;; amdgpu-corpus repo=pytorch/pytorch kind=compiled arch=gfx942 opt=O3
	.text
	.amdgcn_target "amdgcn-amd-amdhsa--gfx942"
	.amdhsa_code_object_version 6
	.section	.text._ZN2at6native8internal12_GLOBAL__N_114scatter_kernelElPKlS4_Pl,"axG",@progbits,_ZN2at6native8internal12_GLOBAL__N_114scatter_kernelElPKlS4_Pl,comdat
	.globl	_ZN2at6native8internal12_GLOBAL__N_114scatter_kernelElPKlS4_Pl ; -- Begin function _ZN2at6native8internal12_GLOBAL__N_114scatter_kernelElPKlS4_Pl
	.p2align	8
	.type	_ZN2at6native8internal12_GLOBAL__N_114scatter_kernelElPKlS4_Pl,@function
_ZN2at6native8internal12_GLOBAL__N_114scatter_kernelElPKlS4_Pl: ; @_ZN2at6native8internal12_GLOBAL__N_114scatter_kernelElPKlS4_Pl
; %bb.0:
	s_load_dword s3, s[0:1], 0x2c
	s_load_dwordx8 s[4:11], s[0:1], 0x0
	s_add_u32 s0, s0, 32
	s_addc_u32 s1, s1, 0
	v_mov_b32_e32 v1, 0
	s_waitcnt lgkmcnt(0)
	s_and_b32 s3, s3, 0xffff
	v_mov_b32_e32 v2, s2
	v_mad_u64_u32 v[2:3], s[12:13], s3, v2, v[0:1]
	v_cmp_gt_i64_e32 vcc, s[4:5], v[2:3]
	s_and_saveexec_b64 s[12:13], vcc
	s_cbranch_execz .LBB0_3
; %bb.1:
	s_load_dword s0, s[0:1], 0x0
	s_mov_b32 s1, 0
	v_mov_b32_e32 v0, v1
	v_mov_b32_e32 v1, v2
	s_mov_b32 s2, s1
	s_waitcnt lgkmcnt(0)
	s_mul_i32 s0, s0, s3
	s_mov_b32 s3, s0
	s_mov_b64 s[12:13], 0
.LBB0_2:                                ; =>This Inner Loop Header: Depth=1
	v_ashrrev_i64 v[4:5], 29, v[0:1]
	v_lshl_add_u64 v[6:7], s[6:7], 0, v[4:5]
	v_lshl_add_u64 v[4:5], s[8:9], 0, v[4:5]
	global_load_dwordx2 v[8:9], v[4:5], off
	global_load_dwordx2 v[10:11], v[6:7], off
	v_lshl_add_u64 v[2:3], v[2:3], 0, s[0:1]
	v_cmp_le_i64_e32 vcc, s[4:5], v[2:3]
	v_lshl_add_u64 v[0:1], v[0:1], 0, s[2:3]
	s_or_b64 s[12:13], vcc, s[12:13]
	s_waitcnt vmcnt(1)
	v_lshl_add_u64 v[4:5], v[8:9], 3, s[10:11]
	s_waitcnt vmcnt(0)
	global_store_dwordx2 v[4:5], v[10:11], off
	s_andn2_b64 exec, exec, s[12:13]
	s_cbranch_execnz .LBB0_2
.LBB0_3:
	s_endpgm
	.section	.rodata,"a",@progbits
	.p2align	6, 0x0
	.amdhsa_kernel _ZN2at6native8internal12_GLOBAL__N_114scatter_kernelElPKlS4_Pl
		.amdhsa_group_segment_fixed_size 0
		.amdhsa_private_segment_fixed_size 0
		.amdhsa_kernarg_size 288
		.amdhsa_user_sgpr_count 2
		.amdhsa_user_sgpr_dispatch_ptr 0
		.amdhsa_user_sgpr_queue_ptr 0
		.amdhsa_user_sgpr_kernarg_segment_ptr 1
		.amdhsa_user_sgpr_dispatch_id 0
		.amdhsa_user_sgpr_kernarg_preload_length 0
		.amdhsa_user_sgpr_kernarg_preload_offset 0
		.amdhsa_user_sgpr_private_segment_size 0
		.amdhsa_uses_dynamic_stack 0
		.amdhsa_enable_private_segment 0
		.amdhsa_system_sgpr_workgroup_id_x 1
		.amdhsa_system_sgpr_workgroup_id_y 0
		.amdhsa_system_sgpr_workgroup_id_z 0
		.amdhsa_system_sgpr_workgroup_info 0
		.amdhsa_system_vgpr_workitem_id 0
		.amdhsa_next_free_vgpr 12
		.amdhsa_next_free_sgpr 14
		.amdhsa_accum_offset 12
		.amdhsa_reserve_vcc 1
		.amdhsa_float_round_mode_32 0
		.amdhsa_float_round_mode_16_64 0
		.amdhsa_float_denorm_mode_32 3
		.amdhsa_float_denorm_mode_16_64 3
		.amdhsa_dx10_clamp 1
		.amdhsa_ieee_mode 1
		.amdhsa_fp16_overflow 0
		.amdhsa_tg_split 0
		.amdhsa_exception_fp_ieee_invalid_op 0
		.amdhsa_exception_fp_denorm_src 0
		.amdhsa_exception_fp_ieee_div_zero 0
		.amdhsa_exception_fp_ieee_overflow 0
		.amdhsa_exception_fp_ieee_underflow 0
		.amdhsa_exception_fp_ieee_inexact 0
		.amdhsa_exception_int_div_zero 0
	.end_amdhsa_kernel
	.section	.text._ZN2at6native8internal12_GLOBAL__N_114scatter_kernelElPKlS4_Pl,"axG",@progbits,_ZN2at6native8internal12_GLOBAL__N_114scatter_kernelElPKlS4_Pl,comdat
.Lfunc_end0:
	.size	_ZN2at6native8internal12_GLOBAL__N_114scatter_kernelElPKlS4_Pl, .Lfunc_end0-_ZN2at6native8internal12_GLOBAL__N_114scatter_kernelElPKlS4_Pl
                                        ; -- End function
	.section	.AMDGPU.csdata,"",@progbits
; Kernel info:
; codeLenInByte = 204
; NumSgprs: 20
; NumVgprs: 12
; NumAgprs: 0
; TotalNumVgprs: 12
; ScratchSize: 0
; MemoryBound: 0
; FloatMode: 240
; IeeeMode: 1
; LDSByteSize: 0 bytes/workgroup (compile time only)
; SGPRBlocks: 2
; VGPRBlocks: 1
; NumSGPRsForWavesPerEU: 20
; NumVGPRsForWavesPerEU: 12
; AccumOffset: 12
; Occupancy: 8
; WaveLimiterHint : 1
; COMPUTE_PGM_RSRC2:SCRATCH_EN: 0
; COMPUTE_PGM_RSRC2:USER_SGPR: 2
; COMPUTE_PGM_RSRC2:TRAP_HANDLER: 0
; COMPUTE_PGM_RSRC2:TGID_X_EN: 1
; COMPUTE_PGM_RSRC2:TGID_Y_EN: 0
; COMPUTE_PGM_RSRC2:TGID_Z_EN: 0
; COMPUTE_PGM_RSRC2:TIDIG_COMP_CNT: 0
; COMPUTE_PGM_RSRC3_GFX90A:ACCUM_OFFSET: 2
; COMPUTE_PGM_RSRC3_GFX90A:TG_SPLIT: 0
	.text
	.protected	_ZN2at6native8internal33unique_bool_write_inverse_indicesEiPKiPKbPl ; -- Begin function _ZN2at6native8internal33unique_bool_write_inverse_indicesEiPKiPKbPl
	.globl	_ZN2at6native8internal33unique_bool_write_inverse_indicesEiPKiPKbPl
	.p2align	8
	.type	_ZN2at6native8internal33unique_bool_write_inverse_indicesEiPKiPKbPl,@function
_ZN2at6native8internal33unique_bool_write_inverse_indicesEiPKiPKbPl: ; @_ZN2at6native8internal33unique_bool_write_inverse_indicesEiPKiPKbPl
; %bb.0:
	s_load_dword s3, s[0:1], 0x2c
	s_load_dword s8, s[0:1], 0x0
	s_add_u32 s10, s0, 32
	s_addc_u32 s11, s1, 0
	v_mov_b32_e32 v1, 0
	s_waitcnt lgkmcnt(0)
	s_and_b32 s12, s3, 0xffff
	v_mov_b32_e32 v2, s2
	v_mad_u64_u32 v[2:3], s[2:3], s12, v2, v[0:1]
	s_ashr_i32 s9, s8, 31
	v_cmp_gt_i64_e32 vcc, s[8:9], v[2:3]
	s_and_saveexec_b64 s[2:3], vcc
	s_cbranch_execz .LBB1_3
; %bb.1:
	s_load_dwordx4 s[4:7], s[0:1], 0x8
	s_load_dwordx2 s[2:3], s[0:1], 0x18
	s_load_dword s13, s[10:11], 0x0
	s_mov_b32 s11, 0
	v_mov_b32_e32 v0, v1
	s_waitcnt lgkmcnt(0)
	s_load_dword s0, s[4:5], 0x0
	v_mov_b32_e32 v1, v2
	s_mul_i32 s10, s13, s12
	s_mov_b32 s4, s11
	s_mov_b32 s5, s10
	s_waitcnt lgkmcnt(0)
	s_cmp_lt_i32 s0, s8
	s_cselect_b64 s[12:13], -1, 0
	s_mov_b64 s[14:15], 0
.LBB1_2:                                ; =>This Inner Loop Header: Depth=1
	v_ashrrev_i32_e32 v5, 31, v1
	v_mov_b32_e32 v4, v1
	v_lshl_add_u64 v[4:5], s[6:7], 0, v[4:5]
	global_load_ubyte v4, v[4:5], off
	v_lshl_add_u64 v[2:3], v[2:3], 0, s[10:11]
	v_ashrrev_i64 v[6:7], 29, v[0:1]
	v_cmp_le_i64_e32 vcc, s[8:9], v[2:3]
	v_mov_b32_e32 v5, s11
	v_lshl_add_u64 v[0:1], v[0:1], 0, s[4:5]
	v_lshl_add_u64 v[6:7], s[2:3], 0, v[6:7]
	s_waitcnt vmcnt(0)
	v_cmp_ne_u16_e64 s[0:1], 0, v4
	s_and_b64 s[0:1], s[0:1], s[12:13]
	s_nop 0
	v_cndmask_b32_e64 v4, 0, 1, s[0:1]
	s_or_b64 s[14:15], vcc, s[14:15]
	global_store_dwordx2 v[6:7], v[4:5], off
	s_andn2_b64 exec, exec, s[14:15]
	s_cbranch_execnz .LBB1_2
.LBB1_3:
	s_endpgm
	.section	.rodata,"a",@progbits
	.p2align	6, 0x0
	.amdhsa_kernel _ZN2at6native8internal33unique_bool_write_inverse_indicesEiPKiPKbPl
		.amdhsa_group_segment_fixed_size 0
		.amdhsa_private_segment_fixed_size 0
		.amdhsa_kernarg_size 288
		.amdhsa_user_sgpr_count 2
		.amdhsa_user_sgpr_dispatch_ptr 0
		.amdhsa_user_sgpr_queue_ptr 0
		.amdhsa_user_sgpr_kernarg_segment_ptr 1
		.amdhsa_user_sgpr_dispatch_id 0
		.amdhsa_user_sgpr_kernarg_preload_length 0
		.amdhsa_user_sgpr_kernarg_preload_offset 0
		.amdhsa_user_sgpr_private_segment_size 0
		.amdhsa_uses_dynamic_stack 0
		.amdhsa_enable_private_segment 0
		.amdhsa_system_sgpr_workgroup_id_x 1
		.amdhsa_system_sgpr_workgroup_id_y 0
		.amdhsa_system_sgpr_workgroup_id_z 0
		.amdhsa_system_sgpr_workgroup_info 0
		.amdhsa_system_vgpr_workitem_id 0
		.amdhsa_next_free_vgpr 8
		.amdhsa_next_free_sgpr 16
		.amdhsa_accum_offset 8
		.amdhsa_reserve_vcc 1
		.amdhsa_float_round_mode_32 0
		.amdhsa_float_round_mode_16_64 0
		.amdhsa_float_denorm_mode_32 3
		.amdhsa_float_denorm_mode_16_64 3
		.amdhsa_dx10_clamp 1
		.amdhsa_ieee_mode 1
		.amdhsa_fp16_overflow 0
		.amdhsa_tg_split 0
		.amdhsa_exception_fp_ieee_invalid_op 0
		.amdhsa_exception_fp_denorm_src 0
		.amdhsa_exception_fp_ieee_div_zero 0
		.amdhsa_exception_fp_ieee_overflow 0
		.amdhsa_exception_fp_ieee_underflow 0
		.amdhsa_exception_fp_ieee_inexact 0
		.amdhsa_exception_int_div_zero 0
	.end_amdhsa_kernel
	.text
.Lfunc_end1:
	.size	_ZN2at6native8internal33unique_bool_write_inverse_indicesEiPKiPKbPl, .Lfunc_end1-_ZN2at6native8internal33unique_bool_write_inverse_indicesEiPKiPKbPl
                                        ; -- End function
	.section	.AMDGPU.csdata,"",@progbits
; Kernel info:
; codeLenInByte = 260
; NumSgprs: 22
; NumVgprs: 8
; NumAgprs: 0
; TotalNumVgprs: 8
; ScratchSize: 0
; MemoryBound: 0
; FloatMode: 240
; IeeeMode: 1
; LDSByteSize: 0 bytes/workgroup (compile time only)
; SGPRBlocks: 2
; VGPRBlocks: 0
; NumSGPRsForWavesPerEU: 22
; NumVGPRsForWavesPerEU: 8
; AccumOffset: 8
; Occupancy: 8
; WaveLimiterHint : 0
; COMPUTE_PGM_RSRC2:SCRATCH_EN: 0
; COMPUTE_PGM_RSRC2:USER_SGPR: 2
; COMPUTE_PGM_RSRC2:TRAP_HANDLER: 0
; COMPUTE_PGM_RSRC2:TGID_X_EN: 1
; COMPUTE_PGM_RSRC2:TGID_Y_EN: 0
; COMPUTE_PGM_RSRC2:TGID_Z_EN: 0
; COMPUTE_PGM_RSRC2:TIDIG_COMP_CNT: 0
; COMPUTE_PGM_RSRC3_GFX90A:ACCUM_OFFSET: 1
; COMPUTE_PGM_RSRC3_GFX90A:TG_SPLIT: 0
	.text
	.protected	_ZN2at6native8internal24unique_bool_write_outputEiPKiPbPl ; -- Begin function _ZN2at6native8internal24unique_bool_write_outputEiPKiPbPl
	.globl	_ZN2at6native8internal24unique_bool_write_outputEiPKiPbPl
	.p2align	8
	.type	_ZN2at6native8internal24unique_bool_write_outputEiPKiPbPl,@function
_ZN2at6native8internal24unique_bool_write_outputEiPKiPbPl: ; @_ZN2at6native8internal24unique_bool_write_outputEiPKiPbPl
; %bb.0:
	s_cmp_lg_u32 s2, 0
	s_cbranch_scc0 .LBB2_2
.LBB2_1:
	s_endpgm
.LBB2_2:
	s_load_dwordx4 s[4:7], s[0:1], 0x8
	s_load_dword s9, s[0:1], 0x0
	s_waitcnt lgkmcnt(0)
	s_load_dword s8, s[4:5], 0x0
	s_load_dwordx2 s[2:3], s[0:1], 0x18
	s_waitcnt lgkmcnt(0)
	s_sub_i32 s4, s9, s8
	s_cmp_gt_i32 s4, 0
	s_cselect_b64 s[0:1], -1, 0
	s_cmp_lt_i32 s4, 1
	s_cbranch_scc1 .LBB2_4
; %bb.3:
	v_mov_b32_e32 v1, 0
	v_mov_b32_e32 v0, s4
	global_store_byte v1, v1, s[6:7]
	global_store_dwordx2 v1, v[0:1], s[2:3]
.LBB2_4:
	s_cmp_lt_i32 s8, 1
	s_cbranch_scc1 .LBB2_1
; %bb.5:
	v_cndmask_b32_e64 v0, 0, 1, s[0:1]
	s_mov_b32 s0, 0
	v_mov_b32_e32 v1, s0
	v_lshl_add_u64 v[2:3], s[6:7], 0, v[0:1]
	v_mov_b32_e32 v1, 1
	global_store_byte v[2:3], v1, off
	v_mov_b32_e32 v2, s8
	v_mov_b32_e32 v3, 0
	v_lshlrev_b32_e32 v0, 3, v0
	global_store_dwordx2 v0, v[2:3], s[2:3]
	s_endpgm
	.section	.rodata,"a",@progbits
	.p2align	6, 0x0
	.amdhsa_kernel _ZN2at6native8internal24unique_bool_write_outputEiPKiPbPl
		.amdhsa_group_segment_fixed_size 0
		.amdhsa_private_segment_fixed_size 0
		.amdhsa_kernarg_size 32
		.amdhsa_user_sgpr_count 2
		.amdhsa_user_sgpr_dispatch_ptr 0
		.amdhsa_user_sgpr_queue_ptr 0
		.amdhsa_user_sgpr_kernarg_segment_ptr 1
		.amdhsa_user_sgpr_dispatch_id 0
		.amdhsa_user_sgpr_kernarg_preload_length 0
		.amdhsa_user_sgpr_kernarg_preload_offset 0
		.amdhsa_user_sgpr_private_segment_size 0
		.amdhsa_uses_dynamic_stack 0
		.amdhsa_enable_private_segment 0
		.amdhsa_system_sgpr_workgroup_id_x 1
		.amdhsa_system_sgpr_workgroup_id_y 0
		.amdhsa_system_sgpr_workgroup_id_z 0
		.amdhsa_system_sgpr_workgroup_info 0
		.amdhsa_system_vgpr_workitem_id 0
		.amdhsa_next_free_vgpr 4
		.amdhsa_next_free_sgpr 10
		.amdhsa_accum_offset 4
		.amdhsa_reserve_vcc 0
		.amdhsa_float_round_mode_32 0
		.amdhsa_float_round_mode_16_64 0
		.amdhsa_float_denorm_mode_32 3
		.amdhsa_float_denorm_mode_16_64 3
		.amdhsa_dx10_clamp 1
		.amdhsa_ieee_mode 1
		.amdhsa_fp16_overflow 0
		.amdhsa_tg_split 0
		.amdhsa_exception_fp_ieee_invalid_op 0
		.amdhsa_exception_fp_denorm_src 0
		.amdhsa_exception_fp_ieee_div_zero 0
		.amdhsa_exception_fp_ieee_overflow 0
		.amdhsa_exception_fp_ieee_underflow 0
		.amdhsa_exception_fp_ieee_inexact 0
		.amdhsa_exception_int_div_zero 0
	.end_amdhsa_kernel
	.text
.Lfunc_end2:
	.size	_ZN2at6native8internal24unique_bool_write_outputEiPKiPbPl, .Lfunc_end2-_ZN2at6native8internal24unique_bool_write_outputEiPKiPbPl
                                        ; -- End function
	.section	.AMDGPU.csdata,"",@progbits
; Kernel info:
; codeLenInByte = 164
; NumSgprs: 16
; NumVgprs: 4
; NumAgprs: 0
; TotalNumVgprs: 4
; ScratchSize: 0
; MemoryBound: 0
; FloatMode: 240
; IeeeMode: 1
; LDSByteSize: 0 bytes/workgroup (compile time only)
; SGPRBlocks: 1
; VGPRBlocks: 0
; NumSGPRsForWavesPerEU: 16
; NumVGPRsForWavesPerEU: 4
; AccumOffset: 4
; Occupancy: 8
; WaveLimiterHint : 0
; COMPUTE_PGM_RSRC2:SCRATCH_EN: 0
; COMPUTE_PGM_RSRC2:USER_SGPR: 2
; COMPUTE_PGM_RSRC2:TRAP_HANDLER: 0
; COMPUTE_PGM_RSRC2:TGID_X_EN: 1
; COMPUTE_PGM_RSRC2:TGID_Y_EN: 0
; COMPUTE_PGM_RSRC2:TGID_Z_EN: 0
; COMPUTE_PGM_RSRC2:TIDIG_COMP_CNT: 0
; COMPUTE_PGM_RSRC3_GFX90A:ACCUM_OFFSET: 0
; COMPUTE_PGM_RSRC3_GFX90A:TG_SPLIT: 0
	.section	.text._ZN2at6native8internal12_GLOBAL__N_126adjacent_difference_kernelIN6hipcub16HIPCUB_304000_NS22TransformInputIteratorIbNS2_10LoadBoolOpEPKhlEEEEvlT_Pi,"axG",@progbits,_ZN2at6native8internal12_GLOBAL__N_126adjacent_difference_kernelIN6hipcub16HIPCUB_304000_NS22TransformInputIteratorIbNS2_10LoadBoolOpEPKhlEEEEvlT_Pi,comdat
	.globl	_ZN2at6native8internal12_GLOBAL__N_126adjacent_difference_kernelIN6hipcub16HIPCUB_304000_NS22TransformInputIteratorIbNS2_10LoadBoolOpEPKhlEEEEvlT_Pi ; -- Begin function _ZN2at6native8internal12_GLOBAL__N_126adjacent_difference_kernelIN6hipcub16HIPCUB_304000_NS22TransformInputIteratorIbNS2_10LoadBoolOpEPKhlEEEEvlT_Pi
	.p2align	8
	.type	_ZN2at6native8internal12_GLOBAL__N_126adjacent_difference_kernelIN6hipcub16HIPCUB_304000_NS22TransformInputIteratorIbNS2_10LoadBoolOpEPKhlEEEEvlT_Pi,@function
_ZN2at6native8internal12_GLOBAL__N_126adjacent_difference_kernelIN6hipcub16HIPCUB_304000_NS22TransformInputIteratorIbNS2_10LoadBoolOpEPKhlEEEEvlT_Pi: ; @_ZN2at6native8internal12_GLOBAL__N_126adjacent_difference_kernelIN6hipcub16HIPCUB_304000_NS22TransformInputIteratorIbNS2_10LoadBoolOpEPKhlEEEEvlT_Pi
; %bb.0:
	s_load_dword s3, s[0:1], 0x2c
	s_load_dwordx4 s[4:7], s[0:1], 0x0
	s_add_u32 s8, s0, 32
	s_addc_u32 s9, s1, 0
	v_mov_b32_e32 v1, 0
	s_waitcnt lgkmcnt(0)
	s_and_b32 s10, s3, 0xffff
	v_mov_b32_e32 v2, s2
	v_mad_u64_u32 v[4:5], s[12:13], s10, v2, v[0:1]
	v_cmp_gt_i64_e32 vcc, s[4:5], v[4:5]
	s_and_saveexec_b64 s[12:13], vcc
	s_cbranch_execz .LBB3_5
; %bb.1:
	s_load_dword s12, s[8:9], 0x0
	s_mul_hi_u32 s3, s10, s2
	s_load_dwordx2 s[8:9], s[0:1], 0x18
	s_mul_i32 s2, s10, s2
	s_mov_b32 s11, 0
	s_waitcnt lgkmcnt(0)
	s_mul_i32 s10, s12, s10
	v_mov_b32_e32 v2, v1
	v_mov_b32_e32 v3, v4
	s_mov_b32 s12, s11
	s_mov_b32 s13, s10
	s_mov_b64 s[14:15], 0
	v_mov_b64_e32 v[4:5], v[0:1]
	s_branch .LBB3_3
.LBB3_2:                                ;   in Loop: Header=BB3_3 Depth=1
	s_or_b64 exec, exec, s[16:17]
	v_ashrrev_i64 v[6:7], 30, v[2:3]
	v_lshl_add_u64 v[6:7], s[8:9], 0, v[6:7]
	v_lshl_add_u64 v[4:5], v[4:5], 0, s[10:11]
	global_store_dword v[6:7], v0, off
	v_lshl_add_u64 v[6:7], s[2:3], 0, v[4:5]
	v_cmp_le_i64_e32 vcc, s[4:5], v[6:7]
	s_or_b64 s[14:15], vcc, s[14:15]
	v_lshl_add_u64 v[2:3], v[2:3], 0, s[12:13]
	s_andn2_b64 exec, exec, s[14:15]
	s_cbranch_execz .LBB3_5
.LBB3_3:                                ; =>This Inner Loop Header: Depth=1
	v_add_u32_e32 v0, s2, v4
	v_cmp_lt_i32_e32 vcc, 0, v0
	v_mov_b32_e32 v0, 0
	s_and_saveexec_b64 s[16:17], vcc
	s_cbranch_execz .LBB3_2
; %bb.4:                                ;   in Loop: Header=BB3_3 Depth=1
	v_add_u32_e32 v8, s2, v4
	v_and_b32_e32 v0, 0x7fffffff, v8
	v_lshl_add_u64 v[6:7], s[6:7], 0, v[0:1]
	v_add_u32_e32 v0, -1, v8
	global_load_ubyte v8, v[6:7], off
	global_load_ubyte v9, v0, s[6:7]
	s_waitcnt vmcnt(1)
	v_cmp_ne_u16_e32 vcc, 0, v8
	s_waitcnt vmcnt(0)
	v_cmp_ne_u16_e64 s[0:1], 0, v9
	s_xor_b64 s[0:1], vcc, s[0:1]
	s_nop 0
	v_cndmask_b32_e64 v0, 0, 1, s[0:1]
	s_branch .LBB3_2
.LBB3_5:
	s_endpgm
	.section	.rodata,"a",@progbits
	.p2align	6, 0x0
	.amdhsa_kernel _ZN2at6native8internal12_GLOBAL__N_126adjacent_difference_kernelIN6hipcub16HIPCUB_304000_NS22TransformInputIteratorIbNS2_10LoadBoolOpEPKhlEEEEvlT_Pi
		.amdhsa_group_segment_fixed_size 0
		.amdhsa_private_segment_fixed_size 0
		.amdhsa_kernarg_size 288
		.amdhsa_user_sgpr_count 2
		.amdhsa_user_sgpr_dispatch_ptr 0
		.amdhsa_user_sgpr_queue_ptr 0
		.amdhsa_user_sgpr_kernarg_segment_ptr 1
		.amdhsa_user_sgpr_dispatch_id 0
		.amdhsa_user_sgpr_kernarg_preload_length 0
		.amdhsa_user_sgpr_kernarg_preload_offset 0
		.amdhsa_user_sgpr_private_segment_size 0
		.amdhsa_uses_dynamic_stack 0
		.amdhsa_enable_private_segment 0
		.amdhsa_system_sgpr_workgroup_id_x 1
		.amdhsa_system_sgpr_workgroup_id_y 0
		.amdhsa_system_sgpr_workgroup_id_z 0
		.amdhsa_system_sgpr_workgroup_info 0
		.amdhsa_system_vgpr_workitem_id 0
		.amdhsa_next_free_vgpr 10
		.amdhsa_next_free_sgpr 18
		.amdhsa_accum_offset 12
		.amdhsa_reserve_vcc 1
		.amdhsa_float_round_mode_32 0
		.amdhsa_float_round_mode_16_64 0
		.amdhsa_float_denorm_mode_32 3
		.amdhsa_float_denorm_mode_16_64 3
		.amdhsa_dx10_clamp 1
		.amdhsa_ieee_mode 1
		.amdhsa_fp16_overflow 0
		.amdhsa_tg_split 0
		.amdhsa_exception_fp_ieee_invalid_op 0
		.amdhsa_exception_fp_denorm_src 0
		.amdhsa_exception_fp_ieee_div_zero 0
		.amdhsa_exception_fp_ieee_overflow 0
		.amdhsa_exception_fp_ieee_underflow 0
		.amdhsa_exception_fp_ieee_inexact 0
		.amdhsa_exception_int_div_zero 0
	.end_amdhsa_kernel
	.section	.text._ZN2at6native8internal12_GLOBAL__N_126adjacent_difference_kernelIN6hipcub16HIPCUB_304000_NS22TransformInputIteratorIbNS2_10LoadBoolOpEPKhlEEEEvlT_Pi,"axG",@progbits,_ZN2at6native8internal12_GLOBAL__N_126adjacent_difference_kernelIN6hipcub16HIPCUB_304000_NS22TransformInputIteratorIbNS2_10LoadBoolOpEPKhlEEEEvlT_Pi,comdat
.Lfunc_end3:
	.size	_ZN2at6native8internal12_GLOBAL__N_126adjacent_difference_kernelIN6hipcub16HIPCUB_304000_NS22TransformInputIteratorIbNS2_10LoadBoolOpEPKhlEEEEvlT_Pi, .Lfunc_end3-_ZN2at6native8internal12_GLOBAL__N_126adjacent_difference_kernelIN6hipcub16HIPCUB_304000_NS22TransformInputIteratorIbNS2_10LoadBoolOpEPKhlEEEEvlT_Pi
                                        ; -- End function
	.section	.AMDGPU.csdata,"",@progbits
; Kernel info:
; codeLenInByte = 300
; NumSgprs: 24
; NumVgprs: 10
; NumAgprs: 0
; TotalNumVgprs: 10
; ScratchSize: 0
; MemoryBound: 0
; FloatMode: 240
; IeeeMode: 1
; LDSByteSize: 0 bytes/workgroup (compile time only)
; SGPRBlocks: 2
; VGPRBlocks: 1
; NumSGPRsForWavesPerEU: 24
; NumVGPRsForWavesPerEU: 10
; AccumOffset: 12
; Occupancy: 8
; WaveLimiterHint : 0
; COMPUTE_PGM_RSRC2:SCRATCH_EN: 0
; COMPUTE_PGM_RSRC2:USER_SGPR: 2
; COMPUTE_PGM_RSRC2:TRAP_HANDLER: 0
; COMPUTE_PGM_RSRC2:TGID_X_EN: 1
; COMPUTE_PGM_RSRC2:TGID_Y_EN: 0
; COMPUTE_PGM_RSRC2:TGID_Z_EN: 0
; COMPUTE_PGM_RSRC2:TIDIG_COMP_CNT: 0
; COMPUTE_PGM_RSRC3_GFX90A:ACCUM_OFFSET: 2
; COMPUTE_PGM_RSRC3_GFX90A:TG_SPLIT: 0
	.section	.text._ZN7rocprim17ROCPRIM_400000_NS6detail31init_lookback_scan_state_kernelINS1_19lookback_scan_stateIjLb0ELb1EEENS1_16block_id_wrapperIjLb0EEEEEvT_jT0_jPNS7_10value_typeE,"axG",@progbits,_ZN7rocprim17ROCPRIM_400000_NS6detail31init_lookback_scan_state_kernelINS1_19lookback_scan_stateIjLb0ELb1EEENS1_16block_id_wrapperIjLb0EEEEEvT_jT0_jPNS7_10value_typeE,comdat
	.protected	_ZN7rocprim17ROCPRIM_400000_NS6detail31init_lookback_scan_state_kernelINS1_19lookback_scan_stateIjLb0ELb1EEENS1_16block_id_wrapperIjLb0EEEEEvT_jT0_jPNS7_10value_typeE ; -- Begin function _ZN7rocprim17ROCPRIM_400000_NS6detail31init_lookback_scan_state_kernelINS1_19lookback_scan_stateIjLb0ELb1EEENS1_16block_id_wrapperIjLb0EEEEEvT_jT0_jPNS7_10value_typeE
	.globl	_ZN7rocprim17ROCPRIM_400000_NS6detail31init_lookback_scan_state_kernelINS1_19lookback_scan_stateIjLb0ELb1EEENS1_16block_id_wrapperIjLb0EEEEEvT_jT0_jPNS7_10value_typeE
	.p2align	8
	.type	_ZN7rocprim17ROCPRIM_400000_NS6detail31init_lookback_scan_state_kernelINS1_19lookback_scan_stateIjLb0ELb1EEENS1_16block_id_wrapperIjLb0EEEEEvT_jT0_jPNS7_10value_typeE,@function
_ZN7rocprim17ROCPRIM_400000_NS6detail31init_lookback_scan_state_kernelINS1_19lookback_scan_stateIjLb0ELb1EEENS1_16block_id_wrapperIjLb0EEEEEvT_jT0_jPNS7_10value_typeE: ; @_ZN7rocprim17ROCPRIM_400000_NS6detail31init_lookback_scan_state_kernelINS1_19lookback_scan_stateIjLb0ELb1EEENS1_16block_id_wrapperIjLb0EEEEEvT_jT0_jPNS7_10value_typeE
; %bb.0:
	s_load_dword s3, s[0:1], 0x2c
	s_load_dwordx2 s[6:7], s[0:1], 0x18
	s_load_dwordx2 s[4:5], s[0:1], 0x0
	s_load_dword s8, s[0:1], 0x8
	s_waitcnt lgkmcnt(0)
	s_and_b32 s3, s3, 0xffff
	s_mul_i32 s2, s2, s3
	s_cmp_eq_u64 s[6:7], 0
	v_add_u32_e32 v0, s2, v0
	s_cbranch_scc1 .LBB4_6
; %bb.1:
	s_load_dword s2, s[0:1], 0x10
	s_mov_b32 s3, 0
	s_waitcnt lgkmcnt(0)
	s_cmp_lt_u32 s2, s8
	s_cselect_b32 s0, s2, 0
	v_cmp_eq_u32_e32 vcc, s0, v0
	s_and_saveexec_b64 s[0:1], vcc
	s_cbranch_execz .LBB4_5
; %bb.2:
	s_add_i32 s2, s2, 64
	s_lshl_b64 s[2:3], s[2:3], 3
	s_add_u32 s2, s4, s2
	s_addc_u32 s3, s5, s3
	v_mov_b32_e32 v4, 0
	global_load_dwordx2 v[2:3], v4, s[2:3] sc1
	s_waitcnt vmcnt(0)
	v_and_b32_e32 v5, 0xff, v3
	v_cmp_ne_u64_e32 vcc, 0, v[4:5]
	s_cbranch_vccnz .LBB4_4
.LBB4_3:                                ; =>This Inner Loop Header: Depth=1
	global_load_dwordx2 v[2:3], v4, s[2:3] sc1
	s_waitcnt vmcnt(0)
	v_and_b32_e32 v5, 0xff, v3
	v_cmp_eq_u64_e32 vcc, 0, v[4:5]
	s_cbranch_vccnz .LBB4_3
.LBB4_4:
	v_mov_b32_e32 v1, 0
	global_store_dword v1, v2, s[6:7]
.LBB4_5:
	s_or_b64 exec, exec, s[0:1]
.LBB4_6:
	v_cmp_gt_u32_e32 vcc, s8, v0
	s_and_saveexec_b64 s[0:1], vcc
	s_cbranch_execnz .LBB4_9
; %bb.7:
	s_or_b64 exec, exec, s[0:1]
	v_cmp_gt_u32_e32 vcc, 64, v0
	s_and_saveexec_b64 s[0:1], vcc
	s_cbranch_execnz .LBB4_10
.LBB4_8:
	s_endpgm
.LBB4_9:
	v_add_u32_e32 v2, 64, v0
	v_mov_b32_e32 v3, 0
	v_lshl_add_u64 v[4:5], v[2:3], 3, s[4:5]
	v_mov_b32_e32 v2, v3
	global_store_dwordx2 v[4:5], v[2:3], off
	s_or_b64 exec, exec, s[0:1]
	v_cmp_gt_u32_e32 vcc, 64, v0
	s_and_saveexec_b64 s[0:1], vcc
	s_cbranch_execz .LBB4_8
.LBB4_10:
	v_mov_b32_e32 v1, 0
	v_lshl_add_u64 v[2:3], v[0:1], 3, s[4:5]
	v_mov_b32_e32 v5, 0xff
	v_mov_b32_e32 v4, v1
	global_store_dwordx2 v[2:3], v[4:5], off
	s_endpgm
	.section	.rodata,"a",@progbits
	.p2align	6, 0x0
	.amdhsa_kernel _ZN7rocprim17ROCPRIM_400000_NS6detail31init_lookback_scan_state_kernelINS1_19lookback_scan_stateIjLb0ELb1EEENS1_16block_id_wrapperIjLb0EEEEEvT_jT0_jPNS7_10value_typeE
		.amdhsa_group_segment_fixed_size 0
		.amdhsa_private_segment_fixed_size 0
		.amdhsa_kernarg_size 288
		.amdhsa_user_sgpr_count 2
		.amdhsa_user_sgpr_dispatch_ptr 0
		.amdhsa_user_sgpr_queue_ptr 0
		.amdhsa_user_sgpr_kernarg_segment_ptr 1
		.amdhsa_user_sgpr_dispatch_id 0
		.amdhsa_user_sgpr_kernarg_preload_length 0
		.amdhsa_user_sgpr_kernarg_preload_offset 0
		.amdhsa_user_sgpr_private_segment_size 0
		.amdhsa_uses_dynamic_stack 0
		.amdhsa_enable_private_segment 0
		.amdhsa_system_sgpr_workgroup_id_x 1
		.amdhsa_system_sgpr_workgroup_id_y 0
		.amdhsa_system_sgpr_workgroup_id_z 0
		.amdhsa_system_sgpr_workgroup_info 0
		.amdhsa_system_vgpr_workitem_id 0
		.amdhsa_next_free_vgpr 6
		.amdhsa_next_free_sgpr 9
		.amdhsa_accum_offset 8
		.amdhsa_reserve_vcc 1
		.amdhsa_float_round_mode_32 0
		.amdhsa_float_round_mode_16_64 0
		.amdhsa_float_denorm_mode_32 3
		.amdhsa_float_denorm_mode_16_64 3
		.amdhsa_dx10_clamp 1
		.amdhsa_ieee_mode 1
		.amdhsa_fp16_overflow 0
		.amdhsa_tg_split 0
		.amdhsa_exception_fp_ieee_invalid_op 0
		.amdhsa_exception_fp_denorm_src 0
		.amdhsa_exception_fp_ieee_div_zero 0
		.amdhsa_exception_fp_ieee_overflow 0
		.amdhsa_exception_fp_ieee_underflow 0
		.amdhsa_exception_fp_ieee_inexact 0
		.amdhsa_exception_int_div_zero 0
	.end_amdhsa_kernel
	.section	.text._ZN7rocprim17ROCPRIM_400000_NS6detail31init_lookback_scan_state_kernelINS1_19lookback_scan_stateIjLb0ELb1EEENS1_16block_id_wrapperIjLb0EEEEEvT_jT0_jPNS7_10value_typeE,"axG",@progbits,_ZN7rocprim17ROCPRIM_400000_NS6detail31init_lookback_scan_state_kernelINS1_19lookback_scan_stateIjLb0ELb1EEENS1_16block_id_wrapperIjLb0EEEEEvT_jT0_jPNS7_10value_typeE,comdat
.Lfunc_end4:
	.size	_ZN7rocprim17ROCPRIM_400000_NS6detail31init_lookback_scan_state_kernelINS1_19lookback_scan_stateIjLb0ELb1EEENS1_16block_id_wrapperIjLb0EEEEEvT_jT0_jPNS7_10value_typeE, .Lfunc_end4-_ZN7rocprim17ROCPRIM_400000_NS6detail31init_lookback_scan_state_kernelINS1_19lookback_scan_stateIjLb0ELb1EEENS1_16block_id_wrapperIjLb0EEEEEvT_jT0_jPNS7_10value_typeE
                                        ; -- End function
	.section	.AMDGPU.csdata,"",@progbits
; Kernel info:
; codeLenInByte = 300
; NumSgprs: 15
; NumVgprs: 6
; NumAgprs: 0
; TotalNumVgprs: 6
; ScratchSize: 0
; MemoryBound: 0
; FloatMode: 240
; IeeeMode: 1
; LDSByteSize: 0 bytes/workgroup (compile time only)
; SGPRBlocks: 1
; VGPRBlocks: 0
; NumSGPRsForWavesPerEU: 15
; NumVGPRsForWavesPerEU: 6
; AccumOffset: 8
; Occupancy: 8
; WaveLimiterHint : 0
; COMPUTE_PGM_RSRC2:SCRATCH_EN: 0
; COMPUTE_PGM_RSRC2:USER_SGPR: 2
; COMPUTE_PGM_RSRC2:TRAP_HANDLER: 0
; COMPUTE_PGM_RSRC2:TGID_X_EN: 1
; COMPUTE_PGM_RSRC2:TGID_Y_EN: 0
; COMPUTE_PGM_RSRC2:TGID_Z_EN: 0
; COMPUTE_PGM_RSRC2:TIDIG_COMP_CNT: 0
; COMPUTE_PGM_RSRC3_GFX90A:ACCUM_OFFSET: 1
; COMPUTE_PGM_RSRC3_GFX90A:TG_SPLIT: 0
	.section	.text._ZN7rocprim17ROCPRIM_400000_NS6detail17trampoline_kernelINS0_14default_configENS1_25partition_config_selectorILNS1_17partition_subalgoE8EbNS0_10empty_typeEbEEZZNS1_14partition_implILS5_8ELb0ES3_jN6hipcub16HIPCUB_304000_NS22TransformInputIteratorIbN2at6native8internal12_GLOBAL__N_110LoadBoolOpEPKhlEEPS6_PKS6_NS0_5tupleIJPbS6_EEENSN_IJSK_SK_EEENS0_18inequality_wrapperINSA_8EqualityEEEPlJS6_EEE10hipError_tPvRmT3_T4_T5_T6_T7_T9_mT8_P12ihipStream_tbDpT10_ENKUlT_T0_E_clISt17integral_constantIbLb0EES1E_EEDaS19_S1A_EUlS19_E_NS1_11comp_targetILNS1_3genE0ELNS1_11target_archE4294967295ELNS1_3gpuE0ELNS1_3repE0EEENS1_30default_config_static_selectorELNS0_4arch9wavefront6targetE1EEEvT1_,"axG",@progbits,_ZN7rocprim17ROCPRIM_400000_NS6detail17trampoline_kernelINS0_14default_configENS1_25partition_config_selectorILNS1_17partition_subalgoE8EbNS0_10empty_typeEbEEZZNS1_14partition_implILS5_8ELb0ES3_jN6hipcub16HIPCUB_304000_NS22TransformInputIteratorIbN2at6native8internal12_GLOBAL__N_110LoadBoolOpEPKhlEEPS6_PKS6_NS0_5tupleIJPbS6_EEENSN_IJSK_SK_EEENS0_18inequality_wrapperINSA_8EqualityEEEPlJS6_EEE10hipError_tPvRmT3_T4_T5_T6_T7_T9_mT8_P12ihipStream_tbDpT10_ENKUlT_T0_E_clISt17integral_constantIbLb0EES1E_EEDaS19_S1A_EUlS19_E_NS1_11comp_targetILNS1_3genE0ELNS1_11target_archE4294967295ELNS1_3gpuE0ELNS1_3repE0EEENS1_30default_config_static_selectorELNS0_4arch9wavefront6targetE1EEEvT1_,comdat
	.globl	_ZN7rocprim17ROCPRIM_400000_NS6detail17trampoline_kernelINS0_14default_configENS1_25partition_config_selectorILNS1_17partition_subalgoE8EbNS0_10empty_typeEbEEZZNS1_14partition_implILS5_8ELb0ES3_jN6hipcub16HIPCUB_304000_NS22TransformInputIteratorIbN2at6native8internal12_GLOBAL__N_110LoadBoolOpEPKhlEEPS6_PKS6_NS0_5tupleIJPbS6_EEENSN_IJSK_SK_EEENS0_18inequality_wrapperINSA_8EqualityEEEPlJS6_EEE10hipError_tPvRmT3_T4_T5_T6_T7_T9_mT8_P12ihipStream_tbDpT10_ENKUlT_T0_E_clISt17integral_constantIbLb0EES1E_EEDaS19_S1A_EUlS19_E_NS1_11comp_targetILNS1_3genE0ELNS1_11target_archE4294967295ELNS1_3gpuE0ELNS1_3repE0EEENS1_30default_config_static_selectorELNS0_4arch9wavefront6targetE1EEEvT1_ ; -- Begin function _ZN7rocprim17ROCPRIM_400000_NS6detail17trampoline_kernelINS0_14default_configENS1_25partition_config_selectorILNS1_17partition_subalgoE8EbNS0_10empty_typeEbEEZZNS1_14partition_implILS5_8ELb0ES3_jN6hipcub16HIPCUB_304000_NS22TransformInputIteratorIbN2at6native8internal12_GLOBAL__N_110LoadBoolOpEPKhlEEPS6_PKS6_NS0_5tupleIJPbS6_EEENSN_IJSK_SK_EEENS0_18inequality_wrapperINSA_8EqualityEEEPlJS6_EEE10hipError_tPvRmT3_T4_T5_T6_T7_T9_mT8_P12ihipStream_tbDpT10_ENKUlT_T0_E_clISt17integral_constantIbLb0EES1E_EEDaS19_S1A_EUlS19_E_NS1_11comp_targetILNS1_3genE0ELNS1_11target_archE4294967295ELNS1_3gpuE0ELNS1_3repE0EEENS1_30default_config_static_selectorELNS0_4arch9wavefront6targetE1EEEvT1_
	.p2align	8
	.type	_ZN7rocprim17ROCPRIM_400000_NS6detail17trampoline_kernelINS0_14default_configENS1_25partition_config_selectorILNS1_17partition_subalgoE8EbNS0_10empty_typeEbEEZZNS1_14partition_implILS5_8ELb0ES3_jN6hipcub16HIPCUB_304000_NS22TransformInputIteratorIbN2at6native8internal12_GLOBAL__N_110LoadBoolOpEPKhlEEPS6_PKS6_NS0_5tupleIJPbS6_EEENSN_IJSK_SK_EEENS0_18inequality_wrapperINSA_8EqualityEEEPlJS6_EEE10hipError_tPvRmT3_T4_T5_T6_T7_T9_mT8_P12ihipStream_tbDpT10_ENKUlT_T0_E_clISt17integral_constantIbLb0EES1E_EEDaS19_S1A_EUlS19_E_NS1_11comp_targetILNS1_3genE0ELNS1_11target_archE4294967295ELNS1_3gpuE0ELNS1_3repE0EEENS1_30default_config_static_selectorELNS0_4arch9wavefront6targetE1EEEvT1_,@function
_ZN7rocprim17ROCPRIM_400000_NS6detail17trampoline_kernelINS0_14default_configENS1_25partition_config_selectorILNS1_17partition_subalgoE8EbNS0_10empty_typeEbEEZZNS1_14partition_implILS5_8ELb0ES3_jN6hipcub16HIPCUB_304000_NS22TransformInputIteratorIbN2at6native8internal12_GLOBAL__N_110LoadBoolOpEPKhlEEPS6_PKS6_NS0_5tupleIJPbS6_EEENSN_IJSK_SK_EEENS0_18inequality_wrapperINSA_8EqualityEEEPlJS6_EEE10hipError_tPvRmT3_T4_T5_T6_T7_T9_mT8_P12ihipStream_tbDpT10_ENKUlT_T0_E_clISt17integral_constantIbLb0EES1E_EEDaS19_S1A_EUlS19_E_NS1_11comp_targetILNS1_3genE0ELNS1_11target_archE4294967295ELNS1_3gpuE0ELNS1_3repE0EEENS1_30default_config_static_selectorELNS0_4arch9wavefront6targetE1EEEvT1_: ; @_ZN7rocprim17ROCPRIM_400000_NS6detail17trampoline_kernelINS0_14default_configENS1_25partition_config_selectorILNS1_17partition_subalgoE8EbNS0_10empty_typeEbEEZZNS1_14partition_implILS5_8ELb0ES3_jN6hipcub16HIPCUB_304000_NS22TransformInputIteratorIbN2at6native8internal12_GLOBAL__N_110LoadBoolOpEPKhlEEPS6_PKS6_NS0_5tupleIJPbS6_EEENSN_IJSK_SK_EEENS0_18inequality_wrapperINSA_8EqualityEEEPlJS6_EEE10hipError_tPvRmT3_T4_T5_T6_T7_T9_mT8_P12ihipStream_tbDpT10_ENKUlT_T0_E_clISt17integral_constantIbLb0EES1E_EEDaS19_S1A_EUlS19_E_NS1_11comp_targetILNS1_3genE0ELNS1_11target_archE4294967295ELNS1_3gpuE0ELNS1_3repE0EEENS1_30default_config_static_selectorELNS0_4arch9wavefront6targetE1EEEvT1_
; %bb.0:
	.section	.rodata,"a",@progbits
	.p2align	6, 0x0
	.amdhsa_kernel _ZN7rocprim17ROCPRIM_400000_NS6detail17trampoline_kernelINS0_14default_configENS1_25partition_config_selectorILNS1_17partition_subalgoE8EbNS0_10empty_typeEbEEZZNS1_14partition_implILS5_8ELb0ES3_jN6hipcub16HIPCUB_304000_NS22TransformInputIteratorIbN2at6native8internal12_GLOBAL__N_110LoadBoolOpEPKhlEEPS6_PKS6_NS0_5tupleIJPbS6_EEENSN_IJSK_SK_EEENS0_18inequality_wrapperINSA_8EqualityEEEPlJS6_EEE10hipError_tPvRmT3_T4_T5_T6_T7_T9_mT8_P12ihipStream_tbDpT10_ENKUlT_T0_E_clISt17integral_constantIbLb0EES1E_EEDaS19_S1A_EUlS19_E_NS1_11comp_targetILNS1_3genE0ELNS1_11target_archE4294967295ELNS1_3gpuE0ELNS1_3repE0EEENS1_30default_config_static_selectorELNS0_4arch9wavefront6targetE1EEEvT1_
		.amdhsa_group_segment_fixed_size 0
		.amdhsa_private_segment_fixed_size 0
		.amdhsa_kernarg_size 120
		.amdhsa_user_sgpr_count 2
		.amdhsa_user_sgpr_dispatch_ptr 0
		.amdhsa_user_sgpr_queue_ptr 0
		.amdhsa_user_sgpr_kernarg_segment_ptr 1
		.amdhsa_user_sgpr_dispatch_id 0
		.amdhsa_user_sgpr_kernarg_preload_length 0
		.amdhsa_user_sgpr_kernarg_preload_offset 0
		.amdhsa_user_sgpr_private_segment_size 0
		.amdhsa_uses_dynamic_stack 0
		.amdhsa_enable_private_segment 0
		.amdhsa_system_sgpr_workgroup_id_x 1
		.amdhsa_system_sgpr_workgroup_id_y 0
		.amdhsa_system_sgpr_workgroup_id_z 0
		.amdhsa_system_sgpr_workgroup_info 0
		.amdhsa_system_vgpr_workitem_id 0
		.amdhsa_next_free_vgpr 1
		.amdhsa_next_free_sgpr 0
		.amdhsa_accum_offset 4
		.amdhsa_reserve_vcc 0
		.amdhsa_float_round_mode_32 0
		.amdhsa_float_round_mode_16_64 0
		.amdhsa_float_denorm_mode_32 3
		.amdhsa_float_denorm_mode_16_64 3
		.amdhsa_dx10_clamp 1
		.amdhsa_ieee_mode 1
		.amdhsa_fp16_overflow 0
		.amdhsa_tg_split 0
		.amdhsa_exception_fp_ieee_invalid_op 0
		.amdhsa_exception_fp_denorm_src 0
		.amdhsa_exception_fp_ieee_div_zero 0
		.amdhsa_exception_fp_ieee_overflow 0
		.amdhsa_exception_fp_ieee_underflow 0
		.amdhsa_exception_fp_ieee_inexact 0
		.amdhsa_exception_int_div_zero 0
	.end_amdhsa_kernel
	.section	.text._ZN7rocprim17ROCPRIM_400000_NS6detail17trampoline_kernelINS0_14default_configENS1_25partition_config_selectorILNS1_17partition_subalgoE8EbNS0_10empty_typeEbEEZZNS1_14partition_implILS5_8ELb0ES3_jN6hipcub16HIPCUB_304000_NS22TransformInputIteratorIbN2at6native8internal12_GLOBAL__N_110LoadBoolOpEPKhlEEPS6_PKS6_NS0_5tupleIJPbS6_EEENSN_IJSK_SK_EEENS0_18inequality_wrapperINSA_8EqualityEEEPlJS6_EEE10hipError_tPvRmT3_T4_T5_T6_T7_T9_mT8_P12ihipStream_tbDpT10_ENKUlT_T0_E_clISt17integral_constantIbLb0EES1E_EEDaS19_S1A_EUlS19_E_NS1_11comp_targetILNS1_3genE0ELNS1_11target_archE4294967295ELNS1_3gpuE0ELNS1_3repE0EEENS1_30default_config_static_selectorELNS0_4arch9wavefront6targetE1EEEvT1_,"axG",@progbits,_ZN7rocprim17ROCPRIM_400000_NS6detail17trampoline_kernelINS0_14default_configENS1_25partition_config_selectorILNS1_17partition_subalgoE8EbNS0_10empty_typeEbEEZZNS1_14partition_implILS5_8ELb0ES3_jN6hipcub16HIPCUB_304000_NS22TransformInputIteratorIbN2at6native8internal12_GLOBAL__N_110LoadBoolOpEPKhlEEPS6_PKS6_NS0_5tupleIJPbS6_EEENSN_IJSK_SK_EEENS0_18inequality_wrapperINSA_8EqualityEEEPlJS6_EEE10hipError_tPvRmT3_T4_T5_T6_T7_T9_mT8_P12ihipStream_tbDpT10_ENKUlT_T0_E_clISt17integral_constantIbLb0EES1E_EEDaS19_S1A_EUlS19_E_NS1_11comp_targetILNS1_3genE0ELNS1_11target_archE4294967295ELNS1_3gpuE0ELNS1_3repE0EEENS1_30default_config_static_selectorELNS0_4arch9wavefront6targetE1EEEvT1_,comdat
.Lfunc_end5:
	.size	_ZN7rocprim17ROCPRIM_400000_NS6detail17trampoline_kernelINS0_14default_configENS1_25partition_config_selectorILNS1_17partition_subalgoE8EbNS0_10empty_typeEbEEZZNS1_14partition_implILS5_8ELb0ES3_jN6hipcub16HIPCUB_304000_NS22TransformInputIteratorIbN2at6native8internal12_GLOBAL__N_110LoadBoolOpEPKhlEEPS6_PKS6_NS0_5tupleIJPbS6_EEENSN_IJSK_SK_EEENS0_18inequality_wrapperINSA_8EqualityEEEPlJS6_EEE10hipError_tPvRmT3_T4_T5_T6_T7_T9_mT8_P12ihipStream_tbDpT10_ENKUlT_T0_E_clISt17integral_constantIbLb0EES1E_EEDaS19_S1A_EUlS19_E_NS1_11comp_targetILNS1_3genE0ELNS1_11target_archE4294967295ELNS1_3gpuE0ELNS1_3repE0EEENS1_30default_config_static_selectorELNS0_4arch9wavefront6targetE1EEEvT1_, .Lfunc_end5-_ZN7rocprim17ROCPRIM_400000_NS6detail17trampoline_kernelINS0_14default_configENS1_25partition_config_selectorILNS1_17partition_subalgoE8EbNS0_10empty_typeEbEEZZNS1_14partition_implILS5_8ELb0ES3_jN6hipcub16HIPCUB_304000_NS22TransformInputIteratorIbN2at6native8internal12_GLOBAL__N_110LoadBoolOpEPKhlEEPS6_PKS6_NS0_5tupleIJPbS6_EEENSN_IJSK_SK_EEENS0_18inequality_wrapperINSA_8EqualityEEEPlJS6_EEE10hipError_tPvRmT3_T4_T5_T6_T7_T9_mT8_P12ihipStream_tbDpT10_ENKUlT_T0_E_clISt17integral_constantIbLb0EES1E_EEDaS19_S1A_EUlS19_E_NS1_11comp_targetILNS1_3genE0ELNS1_11target_archE4294967295ELNS1_3gpuE0ELNS1_3repE0EEENS1_30default_config_static_selectorELNS0_4arch9wavefront6targetE1EEEvT1_
                                        ; -- End function
	.section	.AMDGPU.csdata,"",@progbits
; Kernel info:
; codeLenInByte = 0
; NumSgprs: 6
; NumVgprs: 0
; NumAgprs: 0
; TotalNumVgprs: 0
; ScratchSize: 0
; MemoryBound: 0
; FloatMode: 240
; IeeeMode: 1
; LDSByteSize: 0 bytes/workgroup (compile time only)
; SGPRBlocks: 0
; VGPRBlocks: 0
; NumSGPRsForWavesPerEU: 6
; NumVGPRsForWavesPerEU: 1
; AccumOffset: 4
; Occupancy: 8
; WaveLimiterHint : 0
; COMPUTE_PGM_RSRC2:SCRATCH_EN: 0
; COMPUTE_PGM_RSRC2:USER_SGPR: 2
; COMPUTE_PGM_RSRC2:TRAP_HANDLER: 0
; COMPUTE_PGM_RSRC2:TGID_X_EN: 1
; COMPUTE_PGM_RSRC2:TGID_Y_EN: 0
; COMPUTE_PGM_RSRC2:TGID_Z_EN: 0
; COMPUTE_PGM_RSRC2:TIDIG_COMP_CNT: 0
; COMPUTE_PGM_RSRC3_GFX90A:ACCUM_OFFSET: 0
; COMPUTE_PGM_RSRC3_GFX90A:TG_SPLIT: 0
	.section	.text._ZN7rocprim17ROCPRIM_400000_NS6detail17trampoline_kernelINS0_14default_configENS1_25partition_config_selectorILNS1_17partition_subalgoE8EbNS0_10empty_typeEbEEZZNS1_14partition_implILS5_8ELb0ES3_jN6hipcub16HIPCUB_304000_NS22TransformInputIteratorIbN2at6native8internal12_GLOBAL__N_110LoadBoolOpEPKhlEEPS6_PKS6_NS0_5tupleIJPbS6_EEENSN_IJSK_SK_EEENS0_18inequality_wrapperINSA_8EqualityEEEPlJS6_EEE10hipError_tPvRmT3_T4_T5_T6_T7_T9_mT8_P12ihipStream_tbDpT10_ENKUlT_T0_E_clISt17integral_constantIbLb0EES1E_EEDaS19_S1A_EUlS19_E_NS1_11comp_targetILNS1_3genE5ELNS1_11target_archE942ELNS1_3gpuE9ELNS1_3repE0EEENS1_30default_config_static_selectorELNS0_4arch9wavefront6targetE1EEEvT1_,"axG",@progbits,_ZN7rocprim17ROCPRIM_400000_NS6detail17trampoline_kernelINS0_14default_configENS1_25partition_config_selectorILNS1_17partition_subalgoE8EbNS0_10empty_typeEbEEZZNS1_14partition_implILS5_8ELb0ES3_jN6hipcub16HIPCUB_304000_NS22TransformInputIteratorIbN2at6native8internal12_GLOBAL__N_110LoadBoolOpEPKhlEEPS6_PKS6_NS0_5tupleIJPbS6_EEENSN_IJSK_SK_EEENS0_18inequality_wrapperINSA_8EqualityEEEPlJS6_EEE10hipError_tPvRmT3_T4_T5_T6_T7_T9_mT8_P12ihipStream_tbDpT10_ENKUlT_T0_E_clISt17integral_constantIbLb0EES1E_EEDaS19_S1A_EUlS19_E_NS1_11comp_targetILNS1_3genE5ELNS1_11target_archE942ELNS1_3gpuE9ELNS1_3repE0EEENS1_30default_config_static_selectorELNS0_4arch9wavefront6targetE1EEEvT1_,comdat
	.globl	_ZN7rocprim17ROCPRIM_400000_NS6detail17trampoline_kernelINS0_14default_configENS1_25partition_config_selectorILNS1_17partition_subalgoE8EbNS0_10empty_typeEbEEZZNS1_14partition_implILS5_8ELb0ES3_jN6hipcub16HIPCUB_304000_NS22TransformInputIteratorIbN2at6native8internal12_GLOBAL__N_110LoadBoolOpEPKhlEEPS6_PKS6_NS0_5tupleIJPbS6_EEENSN_IJSK_SK_EEENS0_18inequality_wrapperINSA_8EqualityEEEPlJS6_EEE10hipError_tPvRmT3_T4_T5_T6_T7_T9_mT8_P12ihipStream_tbDpT10_ENKUlT_T0_E_clISt17integral_constantIbLb0EES1E_EEDaS19_S1A_EUlS19_E_NS1_11comp_targetILNS1_3genE5ELNS1_11target_archE942ELNS1_3gpuE9ELNS1_3repE0EEENS1_30default_config_static_selectorELNS0_4arch9wavefront6targetE1EEEvT1_ ; -- Begin function _ZN7rocprim17ROCPRIM_400000_NS6detail17trampoline_kernelINS0_14default_configENS1_25partition_config_selectorILNS1_17partition_subalgoE8EbNS0_10empty_typeEbEEZZNS1_14partition_implILS5_8ELb0ES3_jN6hipcub16HIPCUB_304000_NS22TransformInputIteratorIbN2at6native8internal12_GLOBAL__N_110LoadBoolOpEPKhlEEPS6_PKS6_NS0_5tupleIJPbS6_EEENSN_IJSK_SK_EEENS0_18inequality_wrapperINSA_8EqualityEEEPlJS6_EEE10hipError_tPvRmT3_T4_T5_T6_T7_T9_mT8_P12ihipStream_tbDpT10_ENKUlT_T0_E_clISt17integral_constantIbLb0EES1E_EEDaS19_S1A_EUlS19_E_NS1_11comp_targetILNS1_3genE5ELNS1_11target_archE942ELNS1_3gpuE9ELNS1_3repE0EEENS1_30default_config_static_selectorELNS0_4arch9wavefront6targetE1EEEvT1_
	.p2align	8
	.type	_ZN7rocprim17ROCPRIM_400000_NS6detail17trampoline_kernelINS0_14default_configENS1_25partition_config_selectorILNS1_17partition_subalgoE8EbNS0_10empty_typeEbEEZZNS1_14partition_implILS5_8ELb0ES3_jN6hipcub16HIPCUB_304000_NS22TransformInputIteratorIbN2at6native8internal12_GLOBAL__N_110LoadBoolOpEPKhlEEPS6_PKS6_NS0_5tupleIJPbS6_EEENSN_IJSK_SK_EEENS0_18inequality_wrapperINSA_8EqualityEEEPlJS6_EEE10hipError_tPvRmT3_T4_T5_T6_T7_T9_mT8_P12ihipStream_tbDpT10_ENKUlT_T0_E_clISt17integral_constantIbLb0EES1E_EEDaS19_S1A_EUlS19_E_NS1_11comp_targetILNS1_3genE5ELNS1_11target_archE942ELNS1_3gpuE9ELNS1_3repE0EEENS1_30default_config_static_selectorELNS0_4arch9wavefront6targetE1EEEvT1_,@function
_ZN7rocprim17ROCPRIM_400000_NS6detail17trampoline_kernelINS0_14default_configENS1_25partition_config_selectorILNS1_17partition_subalgoE8EbNS0_10empty_typeEbEEZZNS1_14partition_implILS5_8ELb0ES3_jN6hipcub16HIPCUB_304000_NS22TransformInputIteratorIbN2at6native8internal12_GLOBAL__N_110LoadBoolOpEPKhlEEPS6_PKS6_NS0_5tupleIJPbS6_EEENSN_IJSK_SK_EEENS0_18inequality_wrapperINSA_8EqualityEEEPlJS6_EEE10hipError_tPvRmT3_T4_T5_T6_T7_T9_mT8_P12ihipStream_tbDpT10_ENKUlT_T0_E_clISt17integral_constantIbLb0EES1E_EEDaS19_S1A_EUlS19_E_NS1_11comp_targetILNS1_3genE5ELNS1_11target_archE942ELNS1_3gpuE9ELNS1_3repE0EEENS1_30default_config_static_selectorELNS0_4arch9wavefront6targetE1EEEvT1_: ; @_ZN7rocprim17ROCPRIM_400000_NS6detail17trampoline_kernelINS0_14default_configENS1_25partition_config_selectorILNS1_17partition_subalgoE8EbNS0_10empty_typeEbEEZZNS1_14partition_implILS5_8ELb0ES3_jN6hipcub16HIPCUB_304000_NS22TransformInputIteratorIbN2at6native8internal12_GLOBAL__N_110LoadBoolOpEPKhlEEPS6_PKS6_NS0_5tupleIJPbS6_EEENSN_IJSK_SK_EEENS0_18inequality_wrapperINSA_8EqualityEEEPlJS6_EEE10hipError_tPvRmT3_T4_T5_T6_T7_T9_mT8_P12ihipStream_tbDpT10_ENKUlT_T0_E_clISt17integral_constantIbLb0EES1E_EEDaS19_S1A_EUlS19_E_NS1_11comp_targetILNS1_3genE5ELNS1_11target_archE942ELNS1_3gpuE9ELNS1_3repE0EEENS1_30default_config_static_selectorELNS0_4arch9wavefront6targetE1EEEvT1_
; %bb.0:
	s_load_dwordx2 s[4:5], s[0:1], 0x58
	s_load_dwordx2 s[6:7], s[0:1], 0x8
	;; [unrolled: 1-line block ×3, first 2 shown]
	s_load_dwordx4 s[20:23], s[0:1], 0x48
	v_mov_b32_e32 v22, v0
	s_waitcnt lgkmcnt(0)
	v_mov_b32_e32 v3, s5
	s_load_dword s5, s[0:1], 0x70
	s_add_u32 s10, s6, s8
	s_addc_u32 s11, s7, s9
	s_lshl_b32 s14, s2, 14
	v_mov_b32_e32 v2, s4
	s_waitcnt lgkmcnt(0)
	s_add_i32 s12, s5, -1
	s_lshl_b32 s3, s12, 14
	s_add_i32 s3, s8, s3
	s_lshl_b32 s5, s5, 14
	s_add_u32 s6, s8, s5
	s_addc_u32 s7, s9, 0
	s_cmp_eq_u32 s2, s12
	s_load_dwordx2 s[22:23], s[22:23], 0x0
	v_cmp_ge_u64_e32 vcc, s[6:7], v[2:3]
	s_cselect_b64 s[24:25], -1, 0
	s_and_b64 s[6:7], s[24:25], vcc
	s_xor_b64 s[26:27], s[6:7], -1
	s_add_u32 s10, s10, s14
	s_mov_b64 s[12:13], -1
	s_addc_u32 s11, s11, 0
	s_and_b64 vcc, exec, s[26:27]
	v_lshrrev_b32_e32 v2, 5, v0
	s_cbranch_vccz .LBB6_2
; %bb.1:
	v_mov_b32_e32 v1, 0
	v_lshl_add_u64 v[4:5], s[10:11], 0, v[0:1]
	global_load_ubyte v1, v0, s[10:11]
	global_load_ubyte v3, v0, s[10:11] offset:512
	global_load_ubyte v10, v0, s[10:11] offset:1024
	;; [unrolled: 1-line block ×4, first 2 shown]
	s_movk_i32 s12, 0x2000
	v_add_co_u32_e32 v6, vcc, s12, v4
	s_movk_i32 s5, 0x1000
	s_nop 0
	v_addc_co_u32_e32 v7, vcc, 0, v5, vcc
	global_load_ubyte v13, v0, s[10:11] offset:2560
	global_load_ubyte v14, v0, s[10:11] offset:3072
	;; [unrolled: 1-line block ×3, first 2 shown]
	global_load_ubyte v16, v[6:7], off offset:-4096
	v_add_co_u32_e32 v8, vcc, s5, v4
	s_movk_i32 s5, 0x3000
	s_nop 0
	v_addc_co_u32_e32 v9, vcc, 0, v5, vcc
	global_load_ubyte v17, v[8:9], off offset:512
	global_load_ubyte v18, v[8:9], off offset:1024
	;; [unrolled: 1-line block ×7, first 2 shown]
	global_load_ubyte v25, v[6:7], off
	global_load_ubyte v26, v[6:7], off offset:512
	global_load_ubyte v27, v[6:7], off offset:1024
	;; [unrolled: 1-line block ×3, first 2 shown]
	s_nop 0
	global_load_ubyte v8, v[6:7], off offset:2048
	global_load_ubyte v9, v[6:7], off offset:2560
	;; [unrolled: 1-line block ×4, first 2 shown]
	v_add_co_u32_e32 v4, vcc, s5, v4
	s_mov_b64 s[12:13], 0
	s_nop 0
	v_addc_co_u32_e32 v5, vcc, 0, v5, vcc
	global_load_ubyte v6, v[4:5], off
	global_load_ubyte v7, v[4:5], off offset:512
	global_load_ubyte v31, v[4:5], off offset:1024
	;; [unrolled: 1-line block ×7, first 2 shown]
	s_waitcnt vmcnt(31)
	v_cmp_ne_u16_e32 vcc, 0, v1
	s_nop 1
	v_cndmask_b32_e64 v1, 0, 1, vcc
	s_waitcnt vmcnt(30)
	v_cmp_ne_u16_e32 vcc, 0, v3
	s_nop 1
	v_cndmask_b32_e64 v3, 0, 1, vcc
	;; [unrolled: 4-line block ×30, first 2 shown]
	s_waitcnt vmcnt(1)
	v_cmp_ne_u16_e32 vcc, 0, v35
	v_and_b32_e32 v35, 12, v2
	v_add_u32_e32 v35, v35, v0
	ds_write_b8 v35, v1
	v_or_b32_e32 v1, 0x200, v0
	v_lshrrev_b32_e32 v1, 5, v1
	v_and_b32_e32 v1, 28, v1
	v_add_u32_e32 v1, v1, v0
	ds_write_b8 v1, v3 offset:512
	v_or_b32_e32 v1, 0x400, v0
	v_lshrrev_b32_e32 v1, 5, v1
	v_and_b32_e32 v1, 44, v1
	v_add_u32_e32 v1, v1, v0
	ds_write_b8 v1, v4 offset:1024
	;; [unrolled: 5-line block ×29, first 2 shown]
	v_or_b32_e32 v1, 0x3c00, v0
	v_lshrrev_b32_e32 v1, 5, v1
	v_and_b32_e32 v1, 0x1ec, v1
	v_cndmask_b32_e64 v33, 0, 1, vcc
	v_add_u32_e32 v1, v1, v0
	ds_write_b8 v1, v33 offset:15360
	v_or_b32_e32 v1, 0x3e00, v0
	v_lshrrev_b32_e32 v1, 5, v1
	s_waitcnt vmcnt(0)
	v_cmp_ne_u16_e32 vcc, 0, v36
	v_and_b32_e32 v1, 0x1fc, v1
	v_add_u32_e32 v1, v1, v0
	v_cndmask_b32_e64 v34, 0, 1, vcc
	ds_write_b8 v1, v34 offset:15872
	s_waitcnt lgkmcnt(0)
	s_barrier
.LBB6_2:
	s_andn2_b64 vcc, exec, s[12:13]
	s_sub_i32 s3, s4, s3
	s_cbranch_vccnz .LBB6_68
; %bb.3:
	v_cmp_gt_u32_e32 vcc, s3, v0
                                        ; implicit-def: $vgpr1
	s_and_saveexec_b64 s[4:5], vcc
	s_cbranch_execz .LBB6_5
; %bb.4:
	global_load_ubyte v1, v0, s[10:11]
	s_waitcnt vmcnt(0)
	v_cmp_ne_u16_e32 vcc, 0, v1
	s_nop 1
	v_cndmask_b32_e64 v1, 0, 1, vcc
.LBB6_5:
	s_or_b64 exec, exec, s[4:5]
	v_or_b32_e32 v3, 0x200, v0
	v_cmp_gt_u32_e32 vcc, s3, v3
                                        ; implicit-def: $vgpr4
	s_and_saveexec_b64 s[4:5], vcc
	s_cbranch_execz .LBB6_7
; %bb.6:
	global_load_ubyte v4, v0, s[10:11] offset:512
	s_waitcnt vmcnt(0)
	v_cmp_ne_u16_e32 vcc, 0, v4
	s_nop 1
	v_cndmask_b32_e64 v4, 0, 1, vcc
.LBB6_7:
	s_or_b64 exec, exec, s[4:5]
	v_or_b32_e32 v5, 0x400, v0
	v_cmp_gt_u32_e32 vcc, s3, v5
                                        ; implicit-def: $vgpr6
	s_and_saveexec_b64 s[4:5], vcc
	s_cbranch_execz .LBB6_9
; %bb.8:
	global_load_ubyte v6, v0, s[10:11] offset:1024
	s_waitcnt vmcnt(0)
	v_cmp_ne_u16_e32 vcc, 0, v6
	s_nop 1
	v_cndmask_b32_e64 v6, 0, 1, vcc
.LBB6_9:
	s_or_b64 exec, exec, s[4:5]
	v_or_b32_e32 v7, 0x600, v0
	v_cmp_gt_u32_e32 vcc, s3, v7
                                        ; implicit-def: $vgpr8
	s_and_saveexec_b64 s[4:5], vcc
	s_cbranch_execz .LBB6_11
; %bb.10:
	global_load_ubyte v8, v0, s[10:11] offset:1536
	s_waitcnt vmcnt(0)
	v_cmp_ne_u16_e32 vcc, 0, v8
	s_nop 1
	v_cndmask_b32_e64 v8, 0, 1, vcc
.LBB6_11:
	s_or_b64 exec, exec, s[4:5]
	v_or_b32_e32 v9, 0x800, v0
	v_cmp_gt_u32_e32 vcc, s3, v9
                                        ; implicit-def: $vgpr10
	s_and_saveexec_b64 s[4:5], vcc
	s_cbranch_execz .LBB6_13
; %bb.12:
	global_load_ubyte v10, v0, s[10:11] offset:2048
	s_waitcnt vmcnt(0)
	v_cmp_ne_u16_e32 vcc, 0, v10
	s_nop 1
	v_cndmask_b32_e64 v10, 0, 1, vcc
.LBB6_13:
	s_or_b64 exec, exec, s[4:5]
	v_or_b32_e32 v11, 0xa00, v0
	v_cmp_gt_u32_e32 vcc, s3, v11
                                        ; implicit-def: $vgpr12
	s_and_saveexec_b64 s[4:5], vcc
	s_cbranch_execz .LBB6_15
; %bb.14:
	global_load_ubyte v12, v0, s[10:11] offset:2560
	s_waitcnt vmcnt(0)
	v_cmp_ne_u16_e32 vcc, 0, v12
	s_nop 1
	v_cndmask_b32_e64 v12, 0, 1, vcc
.LBB6_15:
	s_or_b64 exec, exec, s[4:5]
	v_or_b32_e32 v13, 0xc00, v0
	v_cmp_gt_u32_e32 vcc, s3, v13
                                        ; implicit-def: $vgpr14
	s_and_saveexec_b64 s[4:5], vcc
	s_cbranch_execz .LBB6_17
; %bb.16:
	global_load_ubyte v14, v0, s[10:11] offset:3072
	s_waitcnt vmcnt(0)
	v_cmp_ne_u16_e32 vcc, 0, v14
	s_nop 1
	v_cndmask_b32_e64 v14, 0, 1, vcc
.LBB6_17:
	s_or_b64 exec, exec, s[4:5]
	v_or_b32_e32 v15, 0xe00, v0
	v_cmp_gt_u32_e32 vcc, s3, v15
                                        ; implicit-def: $vgpr16
	s_and_saveexec_b64 s[4:5], vcc
	s_cbranch_execz .LBB6_19
; %bb.18:
	global_load_ubyte v16, v0, s[10:11] offset:3584
	s_waitcnt vmcnt(0)
	v_cmp_ne_u16_e32 vcc, 0, v16
	s_nop 1
	v_cndmask_b32_e64 v16, 0, 1, vcc
.LBB6_19:
	s_or_b64 exec, exec, s[4:5]
	v_or_b32_e32 v17, 0x1000, v0
	v_cmp_gt_u32_e32 vcc, s3, v17
                                        ; implicit-def: $vgpr18
	s_and_saveexec_b64 s[4:5], vcc
	s_cbranch_execz .LBB6_21
; %bb.20:
	global_load_ubyte v18, v17, s[10:11]
	s_waitcnt vmcnt(0)
	v_cmp_ne_u16_e32 vcc, 0, v18
	s_nop 1
	v_cndmask_b32_e64 v18, 0, 1, vcc
.LBB6_21:
	s_or_b64 exec, exec, s[4:5]
	v_or_b32_e32 v19, 0x1200, v0
	v_cmp_gt_u32_e32 vcc, s3, v19
                                        ; implicit-def: $vgpr20
	s_and_saveexec_b64 s[4:5], vcc
	s_cbranch_execz .LBB6_23
; %bb.22:
	global_load_ubyte v20, v19, s[10:11]
	s_waitcnt vmcnt(0)
	v_cmp_ne_u16_e32 vcc, 0, v20
	s_nop 1
	v_cndmask_b32_e64 v20, 0, 1, vcc
.LBB6_23:
	s_or_b64 exec, exec, s[4:5]
	v_or_b32_e32 v21, 0x1400, v0
	v_cmp_gt_u32_e32 vcc, s3, v21
                                        ; implicit-def: $vgpr23
	s_and_saveexec_b64 s[4:5], vcc
	s_cbranch_execz .LBB6_25
; %bb.24:
	global_load_ubyte v23, v21, s[10:11]
	s_waitcnt vmcnt(0)
	v_cmp_ne_u16_e32 vcc, 0, v23
	s_nop 1
	v_cndmask_b32_e64 v23, 0, 1, vcc
.LBB6_25:
	s_or_b64 exec, exec, s[4:5]
	v_or_b32_e32 v24, 0x1600, v0
	v_cmp_gt_u32_e32 vcc, s3, v24
                                        ; implicit-def: $vgpr25
	s_and_saveexec_b64 s[4:5], vcc
	s_cbranch_execz .LBB6_27
; %bb.26:
	global_load_ubyte v25, v24, s[10:11]
	s_waitcnt vmcnt(0)
	v_cmp_ne_u16_e32 vcc, 0, v25
	s_nop 1
	v_cndmask_b32_e64 v25, 0, 1, vcc
.LBB6_27:
	s_or_b64 exec, exec, s[4:5]
	v_or_b32_e32 v26, 0x1800, v0
	v_cmp_gt_u32_e32 vcc, s3, v26
                                        ; implicit-def: $vgpr27
	s_and_saveexec_b64 s[4:5], vcc
	s_cbranch_execz .LBB6_29
; %bb.28:
	global_load_ubyte v27, v26, s[10:11]
	s_waitcnt vmcnt(0)
	v_cmp_ne_u16_e32 vcc, 0, v27
	s_nop 1
	v_cndmask_b32_e64 v27, 0, 1, vcc
.LBB6_29:
	s_or_b64 exec, exec, s[4:5]
	v_or_b32_e32 v28, 0x1a00, v0
	v_cmp_gt_u32_e32 vcc, s3, v28
                                        ; implicit-def: $vgpr29
	s_and_saveexec_b64 s[4:5], vcc
	s_cbranch_execz .LBB6_31
; %bb.30:
	global_load_ubyte v29, v28, s[10:11]
	s_waitcnt vmcnt(0)
	v_cmp_ne_u16_e32 vcc, 0, v29
	s_nop 1
	v_cndmask_b32_e64 v29, 0, 1, vcc
.LBB6_31:
	s_or_b64 exec, exec, s[4:5]
	v_or_b32_e32 v30, 0x1c00, v0
	v_cmp_gt_u32_e32 vcc, s3, v30
                                        ; implicit-def: $vgpr31
	s_and_saveexec_b64 s[4:5], vcc
	s_cbranch_execz .LBB6_33
; %bb.32:
	global_load_ubyte v31, v30, s[10:11]
	s_waitcnt vmcnt(0)
	v_cmp_ne_u16_e32 vcc, 0, v31
	s_nop 1
	v_cndmask_b32_e64 v31, 0, 1, vcc
.LBB6_33:
	s_or_b64 exec, exec, s[4:5]
	v_or_b32_e32 v32, 0x1e00, v0
	v_cmp_gt_u32_e32 vcc, s3, v32
                                        ; implicit-def: $vgpr33
	s_and_saveexec_b64 s[4:5], vcc
	s_cbranch_execz .LBB6_35
; %bb.34:
	global_load_ubyte v33, v32, s[10:11]
	s_waitcnt vmcnt(0)
	v_cmp_ne_u16_e32 vcc, 0, v33
	s_nop 1
	v_cndmask_b32_e64 v33, 0, 1, vcc
.LBB6_35:
	s_or_b64 exec, exec, s[4:5]
	v_or_b32_e32 v34, 0x2000, v0
	v_cmp_gt_u32_e32 vcc, s3, v34
                                        ; implicit-def: $vgpr35
	s_and_saveexec_b64 s[4:5], vcc
	s_cbranch_execz .LBB6_37
; %bb.36:
	global_load_ubyte v35, v34, s[10:11]
	s_waitcnt vmcnt(0)
	v_cmp_ne_u16_e32 vcc, 0, v35
	s_nop 1
	v_cndmask_b32_e64 v35, 0, 1, vcc
.LBB6_37:
	s_or_b64 exec, exec, s[4:5]
	v_or_b32_e32 v36, 0x2200, v0
	v_cmp_gt_u32_e32 vcc, s3, v36
                                        ; implicit-def: $vgpr37
	s_and_saveexec_b64 s[4:5], vcc
	s_cbranch_execz .LBB6_39
; %bb.38:
	global_load_ubyte v37, v36, s[10:11]
	s_waitcnt vmcnt(0)
	v_cmp_ne_u16_e32 vcc, 0, v37
	s_nop 1
	v_cndmask_b32_e64 v37, 0, 1, vcc
.LBB6_39:
	s_or_b64 exec, exec, s[4:5]
	v_or_b32_e32 v38, 0x2400, v0
	v_cmp_gt_u32_e32 vcc, s3, v38
                                        ; implicit-def: $vgpr39
	s_and_saveexec_b64 s[4:5], vcc
	s_cbranch_execz .LBB6_41
; %bb.40:
	global_load_ubyte v39, v38, s[10:11]
	s_waitcnt vmcnt(0)
	v_cmp_ne_u16_e32 vcc, 0, v39
	s_nop 1
	v_cndmask_b32_e64 v39, 0, 1, vcc
.LBB6_41:
	s_or_b64 exec, exec, s[4:5]
	v_or_b32_e32 v40, 0x2600, v0
	v_cmp_gt_u32_e32 vcc, s3, v40
                                        ; implicit-def: $vgpr41
	s_and_saveexec_b64 s[4:5], vcc
	s_cbranch_execz .LBB6_43
; %bb.42:
	global_load_ubyte v41, v40, s[10:11]
	s_waitcnt vmcnt(0)
	v_cmp_ne_u16_e32 vcc, 0, v41
	s_nop 1
	v_cndmask_b32_e64 v41, 0, 1, vcc
.LBB6_43:
	s_or_b64 exec, exec, s[4:5]
	v_or_b32_e32 v42, 0x2800, v0
	v_cmp_gt_u32_e32 vcc, s3, v42
                                        ; implicit-def: $vgpr43
	s_and_saveexec_b64 s[4:5], vcc
	s_cbranch_execz .LBB6_45
; %bb.44:
	global_load_ubyte v43, v42, s[10:11]
	s_waitcnt vmcnt(0)
	v_cmp_ne_u16_e32 vcc, 0, v43
	s_nop 1
	v_cndmask_b32_e64 v43, 0, 1, vcc
.LBB6_45:
	s_or_b64 exec, exec, s[4:5]
	v_or_b32_e32 v44, 0x2a00, v0
	v_cmp_gt_u32_e32 vcc, s3, v44
                                        ; implicit-def: $vgpr45
	s_and_saveexec_b64 s[4:5], vcc
	s_cbranch_execz .LBB6_47
; %bb.46:
	global_load_ubyte v45, v44, s[10:11]
	s_waitcnt vmcnt(0)
	v_cmp_ne_u16_e32 vcc, 0, v45
	s_nop 1
	v_cndmask_b32_e64 v45, 0, 1, vcc
.LBB6_47:
	s_or_b64 exec, exec, s[4:5]
	v_or_b32_e32 v46, 0x2c00, v0
	v_cmp_gt_u32_e32 vcc, s3, v46
                                        ; implicit-def: $vgpr47
	s_and_saveexec_b64 s[4:5], vcc
	s_cbranch_execz .LBB6_49
; %bb.48:
	global_load_ubyte v47, v46, s[10:11]
	s_waitcnt vmcnt(0)
	v_cmp_ne_u16_e32 vcc, 0, v47
	s_nop 1
	v_cndmask_b32_e64 v47, 0, 1, vcc
.LBB6_49:
	s_or_b64 exec, exec, s[4:5]
	v_or_b32_e32 v48, 0x2e00, v0
	v_cmp_gt_u32_e32 vcc, s3, v48
                                        ; implicit-def: $vgpr49
	s_and_saveexec_b64 s[4:5], vcc
	s_cbranch_execz .LBB6_51
; %bb.50:
	global_load_ubyte v49, v48, s[10:11]
	s_waitcnt vmcnt(0)
	v_cmp_ne_u16_e32 vcc, 0, v49
	s_nop 1
	v_cndmask_b32_e64 v49, 0, 1, vcc
.LBB6_51:
	s_or_b64 exec, exec, s[4:5]
	v_or_b32_e32 v50, 0x3000, v0
	v_cmp_gt_u32_e32 vcc, s3, v50
                                        ; implicit-def: $vgpr51
	s_and_saveexec_b64 s[4:5], vcc
	s_cbranch_execz .LBB6_53
; %bb.52:
	global_load_ubyte v51, v50, s[10:11]
	s_waitcnt vmcnt(0)
	v_cmp_ne_u16_e32 vcc, 0, v51
	s_nop 1
	v_cndmask_b32_e64 v51, 0, 1, vcc
.LBB6_53:
	s_or_b64 exec, exec, s[4:5]
	v_or_b32_e32 v52, 0x3200, v0
	v_cmp_gt_u32_e32 vcc, s3, v52
                                        ; implicit-def: $vgpr53
	s_and_saveexec_b64 s[4:5], vcc
	s_cbranch_execz .LBB6_55
; %bb.54:
	global_load_ubyte v53, v52, s[10:11]
	s_waitcnt vmcnt(0)
	v_cmp_ne_u16_e32 vcc, 0, v53
	s_nop 1
	v_cndmask_b32_e64 v53, 0, 1, vcc
.LBB6_55:
	s_or_b64 exec, exec, s[4:5]
	v_or_b32_e32 v54, 0x3400, v0
	v_cmp_gt_u32_e32 vcc, s3, v54
                                        ; implicit-def: $vgpr55
	s_and_saveexec_b64 s[4:5], vcc
	s_cbranch_execz .LBB6_57
; %bb.56:
	global_load_ubyte v55, v54, s[10:11]
	s_waitcnt vmcnt(0)
	v_cmp_ne_u16_e32 vcc, 0, v55
	s_nop 1
	v_cndmask_b32_e64 v55, 0, 1, vcc
.LBB6_57:
	s_or_b64 exec, exec, s[4:5]
	v_or_b32_e32 v56, 0x3600, v0
	v_cmp_gt_u32_e32 vcc, s3, v56
                                        ; implicit-def: $vgpr57
	s_and_saveexec_b64 s[4:5], vcc
	s_cbranch_execz .LBB6_59
; %bb.58:
	global_load_ubyte v57, v56, s[10:11]
	s_waitcnt vmcnt(0)
	v_cmp_ne_u16_e32 vcc, 0, v57
	s_nop 1
	v_cndmask_b32_e64 v57, 0, 1, vcc
.LBB6_59:
	s_or_b64 exec, exec, s[4:5]
	v_or_b32_e32 v58, 0x3800, v0
	v_cmp_gt_u32_e32 vcc, s3, v58
                                        ; implicit-def: $vgpr59
	s_and_saveexec_b64 s[4:5], vcc
	s_cbranch_execz .LBB6_61
; %bb.60:
	global_load_ubyte v59, v58, s[10:11]
	s_waitcnt vmcnt(0)
	v_cmp_ne_u16_e32 vcc, 0, v59
	s_nop 1
	v_cndmask_b32_e64 v59, 0, 1, vcc
.LBB6_61:
	s_or_b64 exec, exec, s[4:5]
	v_or_b32_e32 v60, 0x3a00, v0
	v_cmp_gt_u32_e32 vcc, s3, v60
                                        ; implicit-def: $vgpr61
	s_and_saveexec_b64 s[4:5], vcc
	s_cbranch_execz .LBB6_63
; %bb.62:
	global_load_ubyte v61, v60, s[10:11]
	s_waitcnt vmcnt(0)
	v_cmp_ne_u16_e32 vcc, 0, v61
	s_nop 1
	v_cndmask_b32_e64 v61, 0, 1, vcc
.LBB6_63:
	s_or_b64 exec, exec, s[4:5]
	v_or_b32_e32 v62, 0x3c00, v0
	v_cmp_gt_u32_e32 vcc, s3, v62
                                        ; implicit-def: $vgpr63
	s_and_saveexec_b64 s[4:5], vcc
	s_cbranch_execz .LBB6_65
; %bb.64:
	global_load_ubyte v63, v62, s[10:11]
	s_waitcnt vmcnt(0)
	v_cmp_ne_u16_e32 vcc, 0, v63
	s_nop 1
	v_cndmask_b32_e64 v63, 0, 1, vcc
.LBB6_65:
	s_or_b64 exec, exec, s[4:5]
	v_or_b32_e32 v64, 0x3e00, v0
	v_cmp_gt_u32_e32 vcc, s3, v64
                                        ; implicit-def: $vgpr65
	s_and_saveexec_b64 s[4:5], vcc
	s_cbranch_execz .LBB6_67
; %bb.66:
	global_load_ubyte v65, v64, s[10:11]
	s_waitcnt vmcnt(0)
	v_cmp_ne_u16_e32 vcc, 0, v65
	s_nop 1
	v_cndmask_b32_e64 v65, 0, 1, vcc
.LBB6_67:
	s_or_b64 exec, exec, s[4:5]
	v_and_b32_e32 v2, 12, v2
	v_add_u32_e32 v2, v2, v0
	ds_write_b8 v2, v1
	v_lshrrev_b32_e32 v1, 5, v3
	v_and_b32_e32 v1, 28, v1
	v_add_u32_e32 v1, v1, v0
	ds_write_b8 v1, v4 offset:512
	v_lshrrev_b32_e32 v1, 5, v5
	v_and_b32_e32 v1, 60, v1
	v_add_u32_e32 v1, v1, v0
	ds_write_b8 v1, v6 offset:1024
	;; [unrolled: 4-line block ×31, first 2 shown]
	s_waitcnt lgkmcnt(0)
	s_barrier
.LBB6_68:
	v_lshlrev_b32_e32 v10, 5, v0
	v_and_b32_e32 v1, 0x1fc, v0
	v_add_u32_e32 v8, v1, v10
	s_waitcnt lgkmcnt(0)
	ds_read2_b32 v[2:3], v8 offset0:6 offset1:7
	ds_read2_b32 v[4:5], v8 offset0:4 offset1:5
	;; [unrolled: 1-line block ×3, first 2 shown]
	ds_read2_b32 v[8:9], v8 offset1:1
	s_cmp_lg_u32 s2, 0
	s_cselect_b64 s[16:17], -1, 0
	s_cmp_lg_u64 s[8:9], 0
	s_cselect_b64 s[8:9], -1, 0
	s_or_b64 s[8:9], s[16:17], s[8:9]
	s_waitcnt lgkmcnt(3)
	v_lshrrev_b32_e32 v25, 8, v2
	v_lshrrev_b32_e32 v24, 16, v2
	v_lshrrev_b32_e32 v23, 24, v2
	v_lshrrev_b32_e32 v21, 8, v3
	v_lshrrev_b32_e32 v20, 16, v3
	v_lshrrev_b32_e32 v1, 24, v3
	s_waitcnt lgkmcnt(2)
	v_lshrrev_b32_e32 v31, 8, v4
	v_lshrrev_b32_e32 v30, 16, v4
	v_lshrrev_b32_e32 v29, 24, v4
	v_lshrrev_b32_e32 v28, 8, v5
	v_lshrrev_b32_e32 v27, 16, v5
	v_lshrrev_b32_e32 v26, 24, v5
	;; [unrolled: 7-line block ×4, first 2 shown]
	s_mov_b64 s[4:5], 0
	s_and_b64 vcc, exec, s[8:9]
	s_barrier
	s_cbranch_vccz .LBB6_73
; %bb.69:
	v_mov_b32_e32 v11, 0
	global_load_ubyte v11, v11, s[10:11] offset:-1
	s_and_b64 vcc, exec, s[26:27]
	ds_write_b8 v0, v1
	s_waitcnt vmcnt(0)
	v_cmp_ne_u16_e64 s[4:5], 0, v11
	s_nop 1
	v_cndmask_b32_e64 v11, 0, 1, s[4:5]
	s_cbranch_vccz .LBB6_75
; %bb.70:
	v_cndmask_b32_e64 v12, 0, 1, s[4:5]
	v_cmp_ne_u32_e32 vcc, 0, v0
	s_waitcnt lgkmcnt(0)
	s_barrier
	s_and_saveexec_b64 s[4:5], vcc
	s_cbranch_execz .LBB6_72
; %bb.71:
	v_add_u32_e32 v12, -1, v0
	ds_read_u8 v12, v12
.LBB6_72:
	s_or_b64 exec, exec, s[4:5]
	v_cmp_ne_u16_sdwa s[4:5], v20, v1 src0_sel:BYTE_0 src1_sel:DWORD
	s_waitcnt lgkmcnt(0)
	v_cmp_ne_u16_sdwa s[8:9], v12, v8 src0_sel:BYTE_0 src1_sel:BYTE_0
	v_cndmask_b32_e64 v35, 0, 1, s[4:5]
	v_cmp_ne_u16_sdwa s[4:5], v21, v20 src0_sel:BYTE_0 src1_sel:BYTE_0
	s_nop 1
	v_cndmask_b32_e64 v38, 0, 1, s[4:5]
	v_cmp_ne_u16_sdwa s[4:5], v3, v21 src0_sel:BYTE_0 src1_sel:BYTE_0
	s_nop 1
	v_cndmask_b32_e64 v40, 0, 1, s[4:5]
	v_cmp_ne_u16_sdwa s[4:5], v23, v3 src0_sel:DWORD src1_sel:BYTE_0
	s_nop 1
	v_cndmask_b32_e64 v41, 0, 1, s[4:5]
	v_cmp_ne_u16_sdwa s[4:5], v24, v23 src0_sel:BYTE_0 src1_sel:DWORD
	s_nop 1
	v_cndmask_b32_e64 v44, 0, 1, s[4:5]
	v_cmp_ne_u16_sdwa s[4:5], v25, v24 src0_sel:BYTE_0 src1_sel:BYTE_0
	s_nop 1
	v_cndmask_b32_e64 v46, 0, 1, s[4:5]
	v_cmp_ne_u16_sdwa s[4:5], v2, v25 src0_sel:BYTE_0 src1_sel:BYTE_0
	s_nop 1
	v_cndmask_b32_e64 v49, 0, 1, s[4:5]
	v_cmp_ne_u16_sdwa s[4:5], v26, v2 src0_sel:DWORD src1_sel:BYTE_0
	s_nop 1
	v_cndmask_b32_e64 v51, 0, 1, s[4:5]
	v_cmp_ne_u16_sdwa s[4:5], v27, v26 src0_sel:BYTE_0 src1_sel:DWORD
	s_nop 1
	;; [unrolled: 12-line block ×7, first 2 shown]
	v_cndmask_b32_e64 v72, 0, 1, s[4:5]
	v_cmp_ne_u16_sdwa s[4:5], v50, v48 src0_sel:BYTE_0 src1_sel:BYTE_0
	s_nop 1
	v_cndmask_b32_e64 v73, 0, 1, s[4:5]
	v_cmp_ne_u16_sdwa s[4:5], v8, v50 src0_sel:BYTE_0 src1_sel:BYTE_0
	s_nop 1
	v_cndmask_b32_e64 v74, 0, 1, s[4:5]
	s_branch .LBB6_79
.LBB6_73:
                                        ; implicit-def: $sgpr8_sgpr9
                                        ; implicit-def: $vgpr74
                                        ; implicit-def: $vgpr73
                                        ; implicit-def: $vgpr72
                                        ; implicit-def: $vgpr71
                                        ; implicit-def: $vgpr70
                                        ; implicit-def: $vgpr69
                                        ; implicit-def: $vgpr68
                                        ; implicit-def: $vgpr67
                                        ; implicit-def: $vgpr66
                                        ; implicit-def: $vgpr65
                                        ; implicit-def: $vgpr64
                                        ; implicit-def: $vgpr63
                                        ; implicit-def: $vgpr62
                                        ; implicit-def: $vgpr61
                                        ; implicit-def: $vgpr60
                                        ; implicit-def: $vgpr59
                                        ; implicit-def: $vgpr58
                                        ; implicit-def: $vgpr57
                                        ; implicit-def: $vgpr56
                                        ; implicit-def: $vgpr55
                                        ; implicit-def: $vgpr54
                                        ; implicit-def: $vgpr53
                                        ; implicit-def: $vgpr52
                                        ; implicit-def: $vgpr51
                                        ; implicit-def: $vgpr49
                                        ; implicit-def: $vgpr46
                                        ; implicit-def: $vgpr44
                                        ; implicit-def: $vgpr41
                                        ; implicit-def: $vgpr40
                                        ; implicit-def: $vgpr38
                                        ; implicit-def: $vgpr35
	s_branch .LBB6_80
.LBB6_74:
                                        ; implicit-def: $sgpr12
	v_mov_b32_e32 v75, s12
	s_and_saveexec_b64 s[10:11], s[4:5]
	s_cbranch_execnz .LBB6_88
	s_branch .LBB6_89
.LBB6_75:
                                        ; implicit-def: $sgpr8_sgpr9
                                        ; implicit-def: $vgpr74
                                        ; implicit-def: $vgpr73
                                        ; implicit-def: $vgpr72
                                        ; implicit-def: $vgpr71
                                        ; implicit-def: $vgpr70
                                        ; implicit-def: $vgpr69
                                        ; implicit-def: $vgpr68
                                        ; implicit-def: $vgpr67
                                        ; implicit-def: $vgpr66
                                        ; implicit-def: $vgpr65
                                        ; implicit-def: $vgpr64
                                        ; implicit-def: $vgpr63
                                        ; implicit-def: $vgpr62
                                        ; implicit-def: $vgpr61
                                        ; implicit-def: $vgpr60
                                        ; implicit-def: $vgpr59
                                        ; implicit-def: $vgpr58
                                        ; implicit-def: $vgpr57
                                        ; implicit-def: $vgpr56
                                        ; implicit-def: $vgpr55
                                        ; implicit-def: $vgpr54
                                        ; implicit-def: $vgpr53
                                        ; implicit-def: $vgpr52
                                        ; implicit-def: $vgpr51
                                        ; implicit-def: $vgpr49
                                        ; implicit-def: $vgpr46
                                        ; implicit-def: $vgpr44
                                        ; implicit-def: $vgpr41
                                        ; implicit-def: $vgpr40
                                        ; implicit-def: $vgpr38
                                        ; implicit-def: $vgpr35
	s_cbranch_execz .LBB6_79
; %bb.76:
	v_cmp_ne_u32_e32 vcc, 0, v0
	s_waitcnt lgkmcnt(0)
	s_barrier
	s_and_saveexec_b64 s[4:5], vcc
	s_cbranch_execz .LBB6_78
; %bb.77:
	v_add_u32_e32 v11, -1, v0
	ds_read_u8 v11, v11
.LBB6_78:
	s_or_b64 exec, exec, s[4:5]
	v_or_b32_e32 v12, 31, v10
	v_cmp_gt_u32_e32 vcc, s3, v12
	v_cmp_ne_u16_sdwa s[4:5], v20, v1 src0_sel:BYTE_0 src1_sel:DWORD
	s_and_b64 s[4:5], vcc, s[4:5]
	v_or_b32_e32 v12, 30, v10
	v_cndmask_b32_e64 v35, 0, 1, s[4:5]
	v_cmp_gt_u32_e32 vcc, s3, v12
	v_cmp_ne_u16_sdwa s[4:5], v21, v20 src0_sel:BYTE_0 src1_sel:BYTE_0
	s_and_b64 s[4:5], vcc, s[4:5]
	v_or_b32_e32 v12, 29, v10
	v_cndmask_b32_e64 v38, 0, 1, s[4:5]
	v_cmp_gt_u32_e32 vcc, s3, v12
	v_cmp_ne_u16_sdwa s[4:5], v3, v21 src0_sel:BYTE_0 src1_sel:BYTE_0
	s_and_b64 s[4:5], vcc, s[4:5]
	v_or_b32_e32 v12, 28, v10
	v_cndmask_b32_e64 v40, 0, 1, s[4:5]
	v_cmp_gt_u32_e32 vcc, s3, v12
	v_cmp_ne_u16_sdwa s[4:5], v23, v3 src0_sel:DWORD src1_sel:BYTE_0
	s_and_b64 s[4:5], vcc, s[4:5]
	v_or_b32_e32 v12, 27, v10
	v_cndmask_b32_e64 v41, 0, 1, s[4:5]
	v_cmp_gt_u32_e32 vcc, s3, v12
	v_cmp_ne_u16_sdwa s[4:5], v24, v23 src0_sel:BYTE_0 src1_sel:DWORD
	s_and_b64 s[4:5], vcc, s[4:5]
	v_or_b32_e32 v12, 26, v10
	v_cndmask_b32_e64 v44, 0, 1, s[4:5]
	v_cmp_gt_u32_e32 vcc, s3, v12
	v_cmp_ne_u16_sdwa s[4:5], v25, v24 src0_sel:BYTE_0 src1_sel:BYTE_0
	s_and_b64 s[4:5], vcc, s[4:5]
	v_or_b32_e32 v12, 25, v10
	v_cndmask_b32_e64 v46, 0, 1, s[4:5]
	v_cmp_gt_u32_e32 vcc, s3, v12
	v_cmp_ne_u16_sdwa s[4:5], v2, v25 src0_sel:BYTE_0 src1_sel:BYTE_0
	s_and_b64 s[4:5], vcc, s[4:5]
	v_or_b32_e32 v12, 24, v10
	v_cndmask_b32_e64 v49, 0, 1, s[4:5]
	v_cmp_gt_u32_e32 vcc, s3, v12
	v_cmp_ne_u16_sdwa s[4:5], v26, v2 src0_sel:DWORD src1_sel:BYTE_0
	s_and_b64 s[4:5], vcc, s[4:5]
	v_or_b32_e32 v12, 23, v10
	v_cndmask_b32_e64 v51, 0, 1, s[4:5]
	;; [unrolled: 20-line block ×7, first 2 shown]
	v_cmp_gt_u32_e32 vcc, s3, v12
	v_cmp_ne_u16_sdwa s[4:5], v48, v47 src0_sel:BYTE_0 src1_sel:DWORD
	s_and_b64 s[4:5], vcc, s[4:5]
	v_or_b32_e32 v12, 2, v10
	v_cndmask_b32_e64 v72, 0, 1, s[4:5]
	v_cmp_gt_u32_e32 vcc, s3, v12
	v_cmp_ne_u16_sdwa s[4:5], v50, v48 src0_sel:BYTE_0 src1_sel:BYTE_0
	s_and_b64 s[4:5], vcc, s[4:5]
	v_or_b32_e32 v12, 1, v10
	v_cndmask_b32_e64 v73, 0, 1, s[4:5]
	v_cmp_gt_u32_e32 vcc, s3, v12
	v_cmp_ne_u16_sdwa s[4:5], v8, v50 src0_sel:BYTE_0 src1_sel:BYTE_0
	s_and_b64 s[4:5], vcc, s[4:5]
	v_cmp_gt_u32_e32 vcc, s3, v10
	v_cndmask_b32_e64 v74, 0, 1, s[4:5]
	s_waitcnt lgkmcnt(0)
	v_cmp_ne_u16_sdwa s[4:5], v11, v8 src0_sel:BYTE_0 src1_sel:BYTE_0
	s_and_b64 s[8:9], vcc, s[4:5]
.LBB6_79:
	s_mov_b64 s[4:5], -1
	s_cbranch_execnz .LBB6_74
.LBB6_80:
	s_and_b64 vcc, exec, s[26:27]
	v_cmp_ne_u16_sdwa s[8:9], v20, v1 src0_sel:BYTE_0 src1_sel:DWORD
	v_cmp_ne_u16_sdwa s[10:11], v21, v20 src0_sel:BYTE_0 src1_sel:BYTE_0
	v_cmp_ne_u16_sdwa s[12:13], v3, v21 src0_sel:BYTE_0 src1_sel:BYTE_0
	v_cmp_ne_u16_sdwa s[14:15], v23, v3 src0_sel:DWORD src1_sel:BYTE_0
	v_cmp_ne_u16_sdwa s[18:19], v24, v23 src0_sel:BYTE_0 src1_sel:DWORD
	v_cmp_ne_u16_sdwa s[28:29], v25, v24 src0_sel:BYTE_0 src1_sel:BYTE_0
	v_cmp_ne_u16_sdwa s[30:31], v2, v25 src0_sel:BYTE_0 src1_sel:BYTE_0
	v_cmp_ne_u16_sdwa s[34:35], v26, v2 src0_sel:DWORD src1_sel:BYTE_0
	;; [unrolled: 4-line block ×7, first 2 shown]
	v_cmp_ne_u16_sdwa s[76:77], v48, v47 src0_sel:BYTE_0 src1_sel:DWORD
	v_cmp_ne_u16_sdwa s[78:79], v50, v48 src0_sel:BYTE_0 src1_sel:BYTE_0
	v_cmp_ne_u16_sdwa s[80:81], v8, v50 src0_sel:BYTE_0 src1_sel:BYTE_0
	ds_write_b8 v0, v1
	s_cbranch_vccz .LBB6_84
; %bb.81:
	v_cndmask_b32_e64 v35, 0, 1, s[8:9]
	v_cndmask_b32_e64 v38, 0, 1, s[10:11]
	;; [unrolled: 1-line block ×31, first 2 shown]
	v_cmp_ne_u32_e32 vcc, 0, v0
	s_waitcnt lgkmcnt(0)
	s_barrier
	s_waitcnt lgkmcnt(0)
                                        ; implicit-def: $sgpr8_sgpr9
	s_and_saveexec_b64 s[10:11], vcc
	s_xor_b64 s[10:11], exec, s[10:11]
	s_cbranch_execz .LBB6_83
; %bb.82:
	v_add_u32_e32 v11, -1, v0
	ds_read_u8 v11, v11
	s_or_b64 s[4:5], s[4:5], exec
	s_waitcnt lgkmcnt(0)
	v_cmp_ne_u16_sdwa s[8:9], v11, v8 src0_sel:DWORD src1_sel:BYTE_0
	s_and_b64 s[8:9], s[8:9], exec
.LBB6_83:
	s_or_b64 exec, exec, s[10:11]
	s_mov_b32 s12, 1
	s_branch .LBB6_87
.LBB6_84:
                                        ; implicit-def: $sgpr8_sgpr9
                                        ; implicit-def: $vgpr74
                                        ; implicit-def: $vgpr73
                                        ; implicit-def: $vgpr72
                                        ; implicit-def: $vgpr71
                                        ; implicit-def: $vgpr70
                                        ; implicit-def: $vgpr69
                                        ; implicit-def: $vgpr68
                                        ; implicit-def: $vgpr67
                                        ; implicit-def: $vgpr66
                                        ; implicit-def: $vgpr65
                                        ; implicit-def: $vgpr64
                                        ; implicit-def: $vgpr63
                                        ; implicit-def: $vgpr62
                                        ; implicit-def: $vgpr61
                                        ; implicit-def: $vgpr60
                                        ; implicit-def: $vgpr59
                                        ; implicit-def: $vgpr58
                                        ; implicit-def: $vgpr57
                                        ; implicit-def: $vgpr56
                                        ; implicit-def: $vgpr55
                                        ; implicit-def: $vgpr54
                                        ; implicit-def: $vgpr53
                                        ; implicit-def: $vgpr52
                                        ; implicit-def: $vgpr51
                                        ; implicit-def: $vgpr49
                                        ; implicit-def: $vgpr46
                                        ; implicit-def: $vgpr44
                                        ; implicit-def: $vgpr41
                                        ; implicit-def: $vgpr40
                                        ; implicit-def: $vgpr38
                                        ; implicit-def: $vgpr35
                                        ; implicit-def: $sgpr12
	s_cbranch_execz .LBB6_87
; %bb.85:
	v_or_b32_e32 v11, 31, v10
	v_cmp_gt_u32_e32 vcc, s3, v11
	v_cmp_ne_u16_sdwa s[8:9], v20, v1 src0_sel:BYTE_0 src1_sel:DWORD
	s_and_b64 s[8:9], vcc, s[8:9]
	v_or_b32_e32 v11, 30, v10
	v_cndmask_b32_e64 v35, 0, 1, s[8:9]
	v_cmp_gt_u32_e32 vcc, s3, v11
	v_cmp_ne_u16_sdwa s[8:9], v21, v20 src0_sel:BYTE_0 src1_sel:BYTE_0
	s_and_b64 s[8:9], vcc, s[8:9]
	v_or_b32_e32 v11, 29, v10
	v_cndmask_b32_e64 v38, 0, 1, s[8:9]
	v_cmp_gt_u32_e32 vcc, s3, v11
	v_cmp_ne_u16_sdwa s[8:9], v3, v21 src0_sel:BYTE_0 src1_sel:BYTE_0
	s_and_b64 s[8:9], vcc, s[8:9]
	v_or_b32_e32 v11, 28, v10
	v_cndmask_b32_e64 v40, 0, 1, s[8:9]
	v_cmp_gt_u32_e32 vcc, s3, v11
	v_cmp_ne_u16_sdwa s[8:9], v23, v3 src0_sel:DWORD src1_sel:BYTE_0
	s_and_b64 s[8:9], vcc, s[8:9]
	v_or_b32_e32 v11, 27, v10
	v_cndmask_b32_e64 v41, 0, 1, s[8:9]
	v_cmp_gt_u32_e32 vcc, s3, v11
	v_cmp_ne_u16_sdwa s[8:9], v24, v23 src0_sel:BYTE_0 src1_sel:DWORD
	s_and_b64 s[8:9], vcc, s[8:9]
	v_or_b32_e32 v11, 26, v10
	v_cndmask_b32_e64 v44, 0, 1, s[8:9]
	v_cmp_gt_u32_e32 vcc, s3, v11
	v_cmp_ne_u16_sdwa s[8:9], v25, v24 src0_sel:BYTE_0 src1_sel:BYTE_0
	s_and_b64 s[8:9], vcc, s[8:9]
	v_or_b32_e32 v11, 25, v10
	v_cndmask_b32_e64 v46, 0, 1, s[8:9]
	v_cmp_gt_u32_e32 vcc, s3, v11
	v_cmp_ne_u16_sdwa s[8:9], v2, v25 src0_sel:BYTE_0 src1_sel:BYTE_0
	s_and_b64 s[8:9], vcc, s[8:9]
	v_or_b32_e32 v11, 24, v10
	v_cndmask_b32_e64 v49, 0, 1, s[8:9]
	v_cmp_gt_u32_e32 vcc, s3, v11
	v_cmp_ne_u16_sdwa s[8:9], v26, v2 src0_sel:DWORD src1_sel:BYTE_0
	s_and_b64 s[8:9], vcc, s[8:9]
	v_or_b32_e32 v11, 23, v10
	v_cndmask_b32_e64 v51, 0, 1, s[8:9]
	;; [unrolled: 20-line block ×7, first 2 shown]
	v_cmp_gt_u32_e32 vcc, s3, v11
	v_cmp_ne_u16_sdwa s[8:9], v48, v47 src0_sel:BYTE_0 src1_sel:DWORD
	s_and_b64 s[8:9], vcc, s[8:9]
	v_or_b32_e32 v11, 2, v10
	v_cndmask_b32_e64 v72, 0, 1, s[8:9]
	v_cmp_gt_u32_e32 vcc, s3, v11
	v_cmp_ne_u16_sdwa s[8:9], v50, v48 src0_sel:BYTE_0 src1_sel:BYTE_0
	s_and_b64 s[8:9], vcc, s[8:9]
	v_or_b32_e32 v11, 1, v10
	v_cndmask_b32_e64 v73, 0, 1, s[8:9]
	v_cmp_gt_u32_e32 vcc, s3, v11
	v_cmp_ne_u16_sdwa s[8:9], v8, v50 src0_sel:BYTE_0 src1_sel:BYTE_0
	s_and_b64 s[8:9], vcc, s[8:9]
	s_mov_b32 s12, 1
	v_cndmask_b32_e64 v74, 0, 1, s[8:9]
	v_cmp_ne_u32_e32 vcc, 0, v0
	s_waitcnt lgkmcnt(0)
	s_barrier
	s_waitcnt lgkmcnt(0)
                                        ; implicit-def: $sgpr8_sgpr9
	s_and_saveexec_b64 s[10:11], vcc
	s_cbranch_execz .LBB6_307
; %bb.86:
	v_add_u32_e32 v11, -1, v0
	ds_read_u8 v11, v11
	v_cmp_gt_u32_e32 vcc, s3, v10
	s_or_b64 s[4:5], s[4:5], exec
	s_waitcnt lgkmcnt(0)
	v_and_b32_e32 v11, 0xff, v11
	v_cmp_ne_u16_sdwa s[8:9], v11, v8 src0_sel:DWORD src1_sel:BYTE_0
	s_and_b64 s[8:9], vcc, s[8:9]
	s_and_b64 s[8:9], s[8:9], exec
	s_or_b64 exec, exec, s[10:11]
.LBB6_87:
	v_mov_b32_e32 v75, s12
	s_and_saveexec_b64 s[10:11], s[4:5]
.LBB6_88:
	v_cndmask_b32_e64 v75, 0, 1, s[8:9]
.LBB6_89:
	s_or_b64 exec, exec, s[10:11]
	s_load_dwordx2 s[28:29], s[0:1], 0x68
	s_andn2_b64 vcc, exec, s[6:7]
	s_cbranch_vccnz .LBB6_91
; %bb.90:
	v_cmp_gt_u32_e32 vcc, s3, v10
	v_or_b32_e32 v11, 1, v10
	s_nop 0
	v_cndmask_b32_e32 v75, 0, v75, vcc
	v_cmp_gt_u32_e32 vcc, s3, v11
	v_or_b32_e32 v11, 2, v10
	s_nop 0
	v_cndmask_b32_e32 v74, 0, v74, vcc
	;; [unrolled: 4-line block ×29, first 2 shown]
	v_cmp_gt_u32_e32 vcc, s3, v11
	v_or_b32_e32 v11, 30, v10
	v_or_b32_e32 v10, 31, v10
	v_cndmask_b32_e32 v40, 0, v40, vcc
	v_cmp_gt_u32_e32 vcc, s3, v11
	s_nop 1
	v_cndmask_b32_e32 v38, 0, v38, vcc
	v_cmp_gt_u32_e32 vcc, s3, v10
	s_nop 1
	v_cndmask_b32_e32 v35, 0, v35, vcc
.LBB6_91:
	v_and_b32_e32 v116, 0xff, v41
	v_and_b32_e32 v117, 0xff, v40
	v_add_u32_sdwa v10, v38, v35 dst_sel:DWORD dst_unused:UNUSED_PAD src0_sel:BYTE_0 src1_sel:BYTE_0
	v_and_b32_e32 v114, 0xff, v46
	v_and_b32_e32 v115, 0xff, v44
	v_add3_u32 v10, v10, v117, v116
	v_and_b32_e32 v112, 0xff, v51
	v_and_b32_e32 v113, 0xff, v49
	v_add3_u32 v10, v10, v115, v114
	v_and_b32_e32 v110, 0xff, v53
	v_and_b32_e32 v111, 0xff, v52
	v_add3_u32 v10, v10, v113, v112
	v_and_b32_e32 v108, 0xff, v55
	v_and_b32_e32 v109, 0xff, v54
	v_add3_u32 v10, v10, v111, v110
	v_and_b32_e32 v106, 0xff, v57
	v_and_b32_e32 v107, 0xff, v56
	v_add3_u32 v10, v10, v109, v108
	v_and_b32_e32 v104, 0xff, v59
	v_and_b32_e32 v105, 0xff, v58
	v_add3_u32 v10, v10, v107, v106
	v_and_b32_e32 v102, 0xff, v61
	v_and_b32_e32 v103, 0xff, v60
	v_add3_u32 v10, v10, v105, v104
	v_and_b32_e32 v100, 0xff, v63
	v_and_b32_e32 v101, 0xff, v62
	v_add3_u32 v10, v10, v103, v102
	v_and_b32_e32 v86, 0xff, v65
	v_and_b32_e32 v87, 0xff, v64
	v_add3_u32 v10, v10, v101, v100
	v_and_b32_e32 v84, 0xff, v67
	v_and_b32_e32 v85, 0xff, v66
	v_add3_u32 v10, v10, v87, v86
	v_and_b32_e32 v82, 0xff, v69
	v_and_b32_e32 v83, 0xff, v68
	v_add3_u32 v10, v10, v85, v84
	v_and_b32_e32 v80, 0xff, v71
	v_and_b32_e32 v81, 0xff, v70
	v_add3_u32 v10, v10, v83, v82
	v_and_b32_e32 v78, 0xff, v73
	v_and_b32_e32 v79, 0xff, v72
	v_add3_u32 v10, v10, v81, v80
	v_and_b32_e32 v76, 0xff, v75
	v_and_b32_e32 v77, 0xff, v74
	v_add3_u32 v10, v10, v79, v78
	v_add3_u32 v90, v10, v77, v76
	v_mbcnt_lo_u32_b32 v10, -1, 0
	v_mbcnt_hi_u32_b32 v88, -1, v10
	v_and_b32_e32 v10, 15, v88
	v_cmp_eq_u32_e64 s[14:15], 0, v10
	v_cmp_lt_u32_e64 s[12:13], 1, v10
	v_cmp_lt_u32_e64 s[10:11], 3, v10
	;; [unrolled: 1-line block ×3, first 2 shown]
	v_and_b32_e32 v10, 16, v88
	v_cmp_eq_u32_e64 s[6:7], 0, v10
	v_or_b32_e32 v10, 63, v0
	v_cmp_lt_u32_e64 s[18:19], 31, v88
	v_lshrrev_b32_e32 v89, 6, v0
	v_cmp_eq_u32_e64 s[4:5], v10, v0
	s_and_b64 vcc, exec, s[16:17]
	s_waitcnt lgkmcnt(0)
	s_barrier
	s_cbranch_vccz .LBB6_118
; %bb.92:
	v_mov_b32_dpp v10, v90 row_shr:1 row_mask:0xf bank_mask:0xf
	v_cndmask_b32_e64 v10, v10, 0, s[14:15]
	v_add_u32_e32 v10, v10, v90
	s_nop 1
	v_mov_b32_dpp v11, v10 row_shr:2 row_mask:0xf bank_mask:0xf
	v_cndmask_b32_e64 v11, 0, v11, s[12:13]
	v_add_u32_e32 v10, v10, v11
	s_nop 1
	;; [unrolled: 4-line block ×4, first 2 shown]
	v_mov_b32_dpp v11, v10 row_bcast:15 row_mask:0xf bank_mask:0xf
	v_cndmask_b32_e64 v11, v11, 0, s[6:7]
	v_add_u32_e32 v10, v10, v11
	s_nop 1
	v_mov_b32_dpp v11, v10 row_bcast:31 row_mask:0xf bank_mask:0xf
	v_cndmask_b32_e64 v11, 0, v11, s[18:19]
	v_add_u32_e32 v10, v10, v11
	s_and_saveexec_b64 s[16:17], s[4:5]
	s_cbranch_execz .LBB6_94
; %bb.93:
	v_lshlrev_b32_e32 v11, 2, v89
	ds_write_b32 v11, v10
.LBB6_94:
	s_or_b64 exec, exec, s[16:17]
	v_cmp_gt_u32_e32 vcc, 8, v0
	s_waitcnt lgkmcnt(0)
	s_barrier
	s_and_saveexec_b64 s[16:17], vcc
	s_cbranch_execz .LBB6_96
; %bb.95:
	v_lshlrev_b32_e32 v11, 2, v0
	ds_read_b32 v12, v11
	v_and_b32_e32 v13, 7, v88
	v_cmp_ne_u32_e32 vcc, 0, v13
	s_waitcnt lgkmcnt(0)
	v_mov_b32_dpp v14, v12 row_shr:1 row_mask:0xf bank_mask:0xf
	v_cndmask_b32_e32 v14, 0, v14, vcc
	v_add_u32_e32 v12, v14, v12
	v_cmp_lt_u32_e32 vcc, 1, v13
	s_nop 0
	v_mov_b32_dpp v14, v12 row_shr:2 row_mask:0xf bank_mask:0xf
	v_cndmask_b32_e32 v14, 0, v14, vcc
	v_add_u32_e32 v12, v12, v14
	v_cmp_lt_u32_e32 vcc, 3, v13
	s_nop 0
	v_mov_b32_dpp v14, v12 row_shr:4 row_mask:0xf bank_mask:0xf
	v_cndmask_b32_e32 v13, 0, v14, vcc
	v_add_u32_e32 v12, v12, v13
	ds_write_b32 v11, v12
.LBB6_96:
	s_or_b64 exec, exec, s[16:17]
	v_cmp_gt_u32_e32 vcc, 64, v0
	v_cmp_lt_u32_e64 s[16:17], 63, v0
	s_waitcnt lgkmcnt(0)
	s_barrier
	s_waitcnt lgkmcnt(0)
                                        ; implicit-def: $vgpr91
	s_and_saveexec_b64 s[30:31], s[16:17]
	s_cbranch_execz .LBB6_98
; %bb.97:
	v_lshl_add_u32 v11, v89, 2, -4
	ds_read_b32 v91, v11
	s_waitcnt lgkmcnt(0)
	v_add_u32_e32 v10, v91, v10
.LBB6_98:
	s_or_b64 exec, exec, s[30:31]
	v_add_u32_e32 v11, -1, v88
	v_and_b32_e32 v12, 64, v88
	v_cmp_lt_i32_e64 s[16:17], v11, v12
	s_nop 1
	v_cndmask_b32_e64 v11, v11, v88, s[16:17]
	v_lshlrev_b32_e32 v11, 2, v11
	ds_bpermute_b32 v92, v11, v10
	v_cmp_eq_u32_e64 s[16:17], 0, v88
	s_and_saveexec_b64 s[30:31], vcc
	s_cbranch_execz .LBB6_117
; %bb.99:
	v_mov_b32_e32 v17, 0
	ds_read_b32 v10, v17 offset:28
	s_and_saveexec_b64 s[34:35], s[16:17]
	s_cbranch_execz .LBB6_101
; %bb.100:
	s_add_i32 s36, s2, 64
	s_mov_b32 s37, 0
	s_lshl_b64 s[36:37], s[36:37], 3
	s_add_u32 s36, s28, s36
	v_mov_b32_e32 v11, 1
	s_addc_u32 s37, s29, s37
	s_waitcnt lgkmcnt(0)
	global_store_dwordx2 v17, v[10:11], s[36:37] sc1
.LBB6_101:
	s_or_b64 exec, exec, s[34:35]
	v_xad_u32 v12, v88, -1, s2
	v_add_u32_e32 v16, 64, v12
	v_lshl_add_u64 v[18:19], v[16:17], 3, s[28:29]
	global_load_dwordx2 v[14:15], v[18:19], off sc1
	s_waitcnt vmcnt(0)
	v_cmp_eq_u16_sdwa s[36:37], v15, v17 src0_sel:BYTE_0 src1_sel:DWORD
	s_and_saveexec_b64 s[34:35], s[36:37]
	s_cbranch_execz .LBB6_105
; %bb.102:
	s_mov_b64 s[36:37], 0
	v_mov_b32_e32 v11, 0
.LBB6_103:                              ; =>This Inner Loop Header: Depth=1
	global_load_dwordx2 v[14:15], v[18:19], off sc1
	s_waitcnt vmcnt(0)
	v_cmp_ne_u16_sdwa s[38:39], v15, v11 src0_sel:BYTE_0 src1_sel:DWORD
	s_or_b64 s[36:37], s[38:39], s[36:37]
	s_andn2_b64 exec, exec, s[36:37]
	s_cbranch_execnz .LBB6_103
; %bb.104:
	s_or_b64 exec, exec, s[36:37]
.LBB6_105:
	s_or_b64 exec, exec, s[34:35]
	v_and_b32_e32 v93, 63, v88
	v_mov_b32_e32 v11, 2
	v_cmp_ne_u32_e32 vcc, 63, v93
	v_cmp_eq_u16_sdwa s[34:35], v15, v11 src0_sel:BYTE_0 src1_sel:DWORD
	v_lshlrev_b64 v[16:17], v88, -1
	v_addc_co_u32_e32 v19, vcc, 0, v88, vcc
	v_and_b32_e32 v13, s35, v17
	v_lshlrev_b32_e32 v94, 2, v19
	v_or_b32_e32 v13, 0x80000000, v13
	ds_bpermute_b32 v19, v94, v14
	v_and_b32_e32 v18, s34, v16
	v_ffbl_b32_e32 v13, v13
	v_add_u32_e32 v13, 32, v13
	v_ffbl_b32_e32 v18, v18
	v_min_u32_e32 v13, v18, v13
	v_cmp_lt_u32_e32 vcc, v93, v13
	v_add_u32_e32 v96, 2, v93
	v_add_u32_e32 v98, 4, v93
	s_waitcnt lgkmcnt(0)
	v_cndmask_b32_e32 v18, 0, v19, vcc
	v_cmp_gt_u32_e32 vcc, 62, v93
	v_add_u32_e32 v14, v18, v14
	v_add_u32_e32 v118, 8, v93
	v_cndmask_b32_e64 v18, 0, 1, vcc
	v_lshlrev_b32_e32 v18, 1, v18
	v_add_lshl_u32 v95, v18, v88, 2
	ds_bpermute_b32 v18, v95, v14
	v_cmp_le_u32_e32 vcc, v96, v13
	v_add_u32_e32 v121, 16, v93
	v_add_u32_e32 v123, 32, v93
	s_waitcnt lgkmcnt(0)
	v_cndmask_b32_e32 v18, 0, v18, vcc
	v_cmp_gt_u32_e32 vcc, 60, v93
	v_add_u32_e32 v14, v14, v18
	s_nop 0
	v_cndmask_b32_e64 v18, 0, 1, vcc
	v_lshlrev_b32_e32 v18, 2, v18
	v_add_lshl_u32 v97, v18, v88, 2
	ds_bpermute_b32 v18, v97, v14
	v_cmp_le_u32_e32 vcc, v98, v13
	s_waitcnt lgkmcnt(0)
	s_nop 0
	v_cndmask_b32_e32 v18, 0, v18, vcc
	v_cmp_gt_u32_e32 vcc, 56, v93
	v_add_u32_e32 v14, v14, v18
	s_nop 0
	v_cndmask_b32_e64 v18, 0, 1, vcc
	v_lshlrev_b32_e32 v18, 3, v18
	v_add_lshl_u32 v99, v18, v88, 2
	ds_bpermute_b32 v18, v99, v14
	v_cmp_le_u32_e32 vcc, v118, v13
	s_waitcnt lgkmcnt(0)
	s_nop 0
	;; [unrolled: 11-line block ×4, first 2 shown]
	v_cndmask_b32_e32 v13, 0, v18, vcc
	v_add_u32_e32 v14, v14, v13
	v_mov_b32_e32 v13, 0
	s_branch .LBB6_107
.LBB6_106:                              ;   in Loop: Header=BB6_107 Depth=1
	s_or_b64 exec, exec, s[34:35]
	v_cmp_eq_u16_sdwa s[34:35], v15, v11 src0_sel:BYTE_0 src1_sel:DWORD
	ds_bpermute_b32 v124, v94, v14
	v_subrev_u32_e32 v12, 64, v12
	v_and_b32_e32 v18, s35, v17
	v_or_b32_e32 v18, 0x80000000, v18
	v_and_b32_e32 v19, s34, v16
	v_ffbl_b32_e32 v18, v18
	v_add_u32_e32 v18, 32, v18
	v_ffbl_b32_e32 v19, v19
	v_min_u32_e32 v18, v19, v18
	v_cmp_lt_u32_e32 vcc, v93, v18
	s_waitcnt lgkmcnt(0)
	s_nop 0
	v_cndmask_b32_e32 v19, 0, v124, vcc
	v_add_u32_e32 v14, v19, v14
	ds_bpermute_b32 v19, v95, v14
	v_cmp_le_u32_e32 vcc, v96, v18
	s_waitcnt lgkmcnt(0)
	s_nop 0
	v_cndmask_b32_e32 v19, 0, v19, vcc
	v_add_u32_e32 v14, v14, v19
	ds_bpermute_b32 v19, v97, v14
	v_cmp_le_u32_e32 vcc, v98, v18
	;; [unrolled: 6-line block ×5, first 2 shown]
	s_waitcnt lgkmcnt(0)
	s_nop 0
	v_cndmask_b32_e32 v18, 0, v19, vcc
	v_add3_u32 v14, v18, v119, v14
.LBB6_107:                              ; =>This Loop Header: Depth=1
                                        ;     Child Loop BB6_110 Depth 2
	v_cmp_ne_u16_sdwa s[34:35], v15, v11 src0_sel:BYTE_0 src1_sel:DWORD
	v_mov_b32_e32 v119, v14
	s_nop 0
	v_cndmask_b32_e64 v15, 0, 1, s[34:35]
	;;#ASMSTART
	;;#ASMEND
	s_nop 0
	v_cmp_ne_u32_e32 vcc, 0, v15
	s_cmp_lg_u64 vcc, exec
	s_cbranch_scc1 .LBB6_112
; %bb.108:                              ;   in Loop: Header=BB6_107 Depth=1
	v_lshl_add_u64 v[18:19], v[12:13], 3, s[28:29]
	global_load_dwordx2 v[14:15], v[18:19], off sc1
	s_waitcnt vmcnt(0)
	v_cmp_eq_u16_sdwa s[36:37], v15, v13 src0_sel:BYTE_0 src1_sel:DWORD
	s_and_saveexec_b64 s[34:35], s[36:37]
	s_cbranch_execz .LBB6_106
; %bb.109:                              ;   in Loop: Header=BB6_107 Depth=1
	s_mov_b64 s[36:37], 0
.LBB6_110:                              ;   Parent Loop BB6_107 Depth=1
                                        ; =>  This Inner Loop Header: Depth=2
	global_load_dwordx2 v[14:15], v[18:19], off sc1
	s_waitcnt vmcnt(0)
	v_cmp_ne_u16_sdwa s[38:39], v15, v13 src0_sel:BYTE_0 src1_sel:DWORD
	s_or_b64 s[36:37], s[38:39], s[36:37]
	s_andn2_b64 exec, exec, s[36:37]
	s_cbranch_execnz .LBB6_110
; %bb.111:                              ;   in Loop: Header=BB6_107 Depth=1
	s_or_b64 exec, exec, s[36:37]
	s_branch .LBB6_106
.LBB6_112:                              ;   in Loop: Header=BB6_107 Depth=1
                                        ; implicit-def: $vgpr14
                                        ; implicit-def: $vgpr15
	s_cbranch_execz .LBB6_107
; %bb.113:
	s_and_saveexec_b64 s[34:35], s[16:17]
	s_cbranch_execz .LBB6_115
; %bb.114:
	s_add_i32 s2, s2, 64
	s_mov_b32 s3, 0
	s_lshl_b64 s[2:3], s[2:3], 3
	s_add_u32 s2, s28, s2
	v_add_u32_e32 v12, v119, v10
	v_mov_b32_e32 v13, 2
	s_addc_u32 s3, s29, s3
	v_mov_b32_e32 v11, 0
	global_store_dwordx2 v11, v[12:13], s[2:3] sc1
	s_movk_i32 s2, 0x4000
	v_add_u32_e64 v11, s2, 0
	ds_write2_b32 v11, v10, v119 offset0:128 offset1:130
.LBB6_115:
	s_or_b64 exec, exec, s[34:35]
	v_cmp_eq_u32_e32 vcc, 0, v0
	s_and_b64 exec, exec, vcc
	s_cbranch_execz .LBB6_117
; %bb.116:
	v_mov_b32_e32 v10, 0
	ds_write_b32 v10, v119 offset:28
.LBB6_117:
	s_or_b64 exec, exec, s[30:31]
	s_movk_i32 s2, 0x4000
	v_mov_b32_e32 v11, 0
	v_add_u32_e64 v12, s2, 0
	s_waitcnt lgkmcnt(0)
	s_barrier
	ds_read_b32 v11, v11 offset:28
	s_waitcnt lgkmcnt(0)
	s_barrier
	ds_read2_b32 v[16:17], v12 offset0:128 offset1:130
	v_cndmask_b32_e64 v10, v92, v91, s[16:17]
	v_cmp_ne_u32_e32 vcc, 0, v0
	s_waitcnt lgkmcnt(0)
	v_mov_b32_e32 v18, v17
	v_cndmask_b32_e32 v10, 0, v10, vcc
	v_add_u32_e32 v96, v11, v10
	s_load_dwordx2 s[2:3], s[0:1], 0x30
	s_branch .LBB6_128
.LBB6_118:
                                        ; implicit-def: $vgpr18
                                        ; implicit-def: $vgpr16
                                        ; implicit-def: $vgpr96
	s_load_dwordx2 s[2:3], s[0:1], 0x30
	s_cbranch_execz .LBB6_128
; %bb.119:
	v_mov_b32_dpp v10, v90 row_shr:1 row_mask:0xf bank_mask:0xf
	v_cndmask_b32_e64 v10, v10, 0, s[14:15]
	v_add_u32_e32 v10, v10, v90
	s_nop 1
	v_mov_b32_dpp v11, v10 row_shr:2 row_mask:0xf bank_mask:0xf
	v_cndmask_b32_e64 v11, 0, v11, s[12:13]
	v_add_u32_e32 v10, v10, v11
	s_nop 1
	;; [unrolled: 4-line block ×4, first 2 shown]
	v_mov_b32_dpp v11, v10 row_bcast:15 row_mask:0xf bank_mask:0xf
	v_cndmask_b32_e64 v11, v11, 0, s[6:7]
	v_add_u32_e32 v10, v10, v11
	s_nop 1
	v_mov_b32_dpp v11, v10 row_bcast:31 row_mask:0xf bank_mask:0xf
	v_cndmask_b32_e64 v11, 0, v11, s[18:19]
	v_add_u32_e32 v10, v10, v11
	s_and_saveexec_b64 s[0:1], s[4:5]
	s_cbranch_execz .LBB6_121
; %bb.120:
	v_lshlrev_b32_e32 v11, 2, v89
	ds_write_b32 v11, v10
.LBB6_121:
	s_or_b64 exec, exec, s[0:1]
	v_cmp_gt_u32_e32 vcc, 8, v0
	s_waitcnt lgkmcnt(0)
	s_barrier
	s_and_saveexec_b64 s[0:1], vcc
	s_cbranch_execz .LBB6_123
; %bb.122:
	v_lshlrev_b32_e32 v11, 2, v0
	ds_read_b32 v12, v11
	v_and_b32_e32 v13, 7, v88
	v_cmp_ne_u32_e32 vcc, 0, v13
	s_waitcnt lgkmcnt(0)
	v_mov_b32_dpp v14, v12 row_shr:1 row_mask:0xf bank_mask:0xf
	v_cndmask_b32_e32 v14, 0, v14, vcc
	v_add_u32_e32 v12, v14, v12
	v_cmp_lt_u32_e32 vcc, 1, v13
	s_nop 0
	v_mov_b32_dpp v14, v12 row_shr:2 row_mask:0xf bank_mask:0xf
	v_cndmask_b32_e32 v14, 0, v14, vcc
	v_add_u32_e32 v12, v12, v14
	v_cmp_lt_u32_e32 vcc, 3, v13
	s_nop 0
	v_mov_b32_dpp v14, v12 row_shr:4 row_mask:0xf bank_mask:0xf
	v_cndmask_b32_e32 v13, 0, v14, vcc
	v_add_u32_e32 v12, v12, v13
	ds_write_b32 v11, v12
.LBB6_123:
	s_or_b64 exec, exec, s[0:1]
	v_cmp_lt_u32_e32 vcc, 63, v0
	v_mov_b32_e32 v12, 0
	v_mov_b32_e32 v11, 0
	s_waitcnt lgkmcnt(0)
	s_barrier
	s_and_saveexec_b64 s[0:1], vcc
	s_cbranch_execz .LBB6_125
; %bb.124:
	v_lshl_add_u32 v11, v89, 2, -4
	ds_read_b32 v11, v11
.LBB6_125:
	s_or_b64 exec, exec, s[0:1]
	v_add_u32_e32 v13, -1, v88
	v_and_b32_e32 v14, 64, v88
	v_cmp_lt_i32_e32 vcc, v13, v14
	s_waitcnt lgkmcnt(0)
	v_add_u32_e32 v10, v11, v10
	ds_read_b32 v16, v12 offset:28
	v_cndmask_b32_e32 v13, v13, v88, vcc
	v_lshlrev_b32_e32 v13, 2, v13
	ds_bpermute_b32 v10, v13, v10
	v_cmp_eq_u32_e32 vcc, 0, v0
	s_and_saveexec_b64 s[0:1], vcc
	s_cbranch_execz .LBB6_127
; %bb.126:
	v_mov_b32_e32 v12, 0
	v_mov_b32_e32 v17, 2
	s_waitcnt lgkmcnt(1)
	global_store_dwordx2 v12, v[16:17], s[28:29] offset:512 sc1
.LBB6_127:
	s_or_b64 exec, exec, s[0:1]
	v_cmp_eq_u32_e64 s[0:1], 0, v88
	v_mov_b32_e32 v18, 0
	s_waitcnt lgkmcnt(0)
	v_cndmask_b32_e64 v10, v10, v11, s[0:1]
	v_cndmask_b32_e64 v96, v10, 0, vcc
	s_barrier
.LBB6_128:
	v_add_u32_e32 v99, v96, v76
	v_add_u32_e32 v98, v99, v77
	;; [unrolled: 1-line block ×29, first 2 shown]
	s_movk_i32 s0, 0x201
	v_add_u32_e32 v11, v12, v117
	v_cmp_gt_u32_e32 vcc, s0, v16
	v_add_u32_sdwa v10, v11, v38 dst_sel:DWORD dst_unused:UNUSED_PAD src0_sel:DWORD src1_sel:BYTE_0
	s_mov_b64 s[0:1], -1
	s_cbranch_vccnz .LBB6_132
; %bb.129:
	s_and_b64 vcc, exec, s[0:1]
	s_cbranch_vccnz .LBB6_229
.LBB6_130:
	v_cmp_eq_u32_e32 vcc, 0, v0
	s_and_b64 s[0:1], vcc, s[24:25]
	s_waitcnt lgkmcnt(0)
	s_and_saveexec_b64 s[2:3], s[0:1]
	s_cbranch_execnz .LBB6_306
.LBB6_131:
	s_endpgm
.LBB6_132:
	v_add_u32_e32 v100, v18, v16
	s_waitcnt lgkmcnt(0)
	s_add_u32 s0, s2, s22
	v_cmp_lt_u32_e32 vcc, v96, v100
	s_addc_u32 s1, s3, s23
	s_or_b64 s[6:7], s[26:27], vcc
	s_and_saveexec_b64 s[4:5], s[6:7]
	s_cbranch_execz .LBB6_135
; %bb.133:
	v_and_b32_e32 v101, 1, v75
	v_cmp_eq_u32_e32 vcc, 1, v101
	s_and_b64 exec, exec, vcc
	s_cbranch_execz .LBB6_135
; %bb.134:
	global_store_byte v96, v8, s[0:1]
.LBB6_135:
	s_or_b64 exec, exec, s[4:5]
	v_cmp_lt_u32_e32 vcc, v99, v100
	s_or_b64 s[6:7], s[26:27], vcc
	s_and_saveexec_b64 s[4:5], s[6:7]
	s_cbranch_execz .LBB6_138
; %bb.136:
	v_and_b32_e32 v101, 1, v74
	v_cmp_eq_u32_e32 vcc, 1, v101
	s_and_b64 exec, exec, vcc
	s_cbranch_execz .LBB6_138
; %bb.137:
	global_store_byte v99, v50, s[0:1]
.LBB6_138:
	s_or_b64 exec, exec, s[4:5]
	v_cmp_lt_u32_e32 vcc, v98, v100
	;; [unrolled: 13-line block ×31, first 2 shown]
	s_or_b64 s[6:7], s[26:27], vcc
	s_and_saveexec_b64 s[4:5], s[6:7]
	s_cbranch_execz .LBB6_228
; %bb.226:
	v_and_b32_e32 v100, 1, v35
	v_cmp_eq_u32_e32 vcc, 1, v100
	s_and_b64 exec, exec, vcc
	s_cbranch_execz .LBB6_228
; %bb.227:
	global_store_byte v10, v1, s[0:1]
.LBB6_228:
	s_or_b64 exec, exec, s[4:5]
	s_branch .LBB6_130
.LBB6_229:
	v_and_b32_e32 v75, 1, v75
	v_cmp_eq_u32_e32 vcc, 1, v75
	s_and_saveexec_b64 s[0:1], vcc
	s_cbranch_execz .LBB6_231
; %bb.230:
	v_sub_u32_e32 v75, v96, v18
	ds_write_b8 v75, v8
.LBB6_231:
	s_or_b64 exec, exec, s[0:1]
	v_and_b32_e32 v8, 1, v74
	v_cmp_eq_u32_e32 vcc, 1, v8
	s_and_saveexec_b64 s[0:1], vcc
	s_cbranch_execz .LBB6_233
; %bb.232:
	v_sub_u32_e32 v8, v99, v18
	ds_write_b8 v8, v50
.LBB6_233:
	s_or_b64 exec, exec, s[0:1]
	;; [unrolled: 9-line block ×32, first 2 shown]
	v_cmp_lt_u32_e32 vcc, v0, v16
	s_waitcnt lgkmcnt(0)
	s_barrier
	s_and_saveexec_b64 s[0:1], vcc
	s_cbranch_execz .LBB6_305
; %bb.294:
	s_add_u32 s2, s2, s22
	v_mov_b32_e32 v19, 0
	s_addc_u32 s3, s3, s23
	v_lshl_add_u64 v[20:21], s[2:3], 0, v[18:19]
	v_xad_u32 v1, v0, -1, v16
	s_movk_i32 s2, 0xdff
	v_cmp_lt_u32_e32 vcc, s2, v1
	s_mov_b64 s[4:5], -1
	s_and_saveexec_b64 s[2:3], vcc
	s_cbranch_execz .LBB6_302
; %bb.295:
	v_lshrrev_b32_e32 v17, 9, v1
	v_or_b32_e32 v7, 0xe00, v0
	v_or_b32_e32 v6, 0xc00, v0
	;; [unrolled: 1-line block ×7, first 2 shown]
	v_add_u32_e32 v24, -7, v17
	v_mov_b64_e32 v[14:15], v[6:7]
	v_cmp_lt_u32_e32 vcc, 7, v24
	v_mov_b64_e32 v[12:13], v[4:5]
	v_mov_b64_e32 v[10:11], v[2:3]
	;; [unrolled: 1-line block ×3, first 2 shown]
	s_and_saveexec_b64 s[4:5], vcc
	s_cbranch_execz .LBB6_299
; %bb.296:
	v_lshrrev_b32_e32 v8, 3, v24
	v_add_u32_e32 v8, 1, v8
	v_and_b32_e32 v19, 0x3ffffffe, v8
	v_mov_b64_e32 v[14:15], v[6:7]
	s_mov_b32 s8, 0
	s_mov_b64 s[6:7], 0
	v_mov_b32_e32 v23, 0
	v_mov_b32_e32 v25, v0
	v_mov_b64_e32 v[12:13], v[4:5]
	v_mov_b64_e32 v[10:11], v[2:3]
	;; [unrolled: 1-line block ×3, first 2 shown]
.LBB6_297:                              ; =>This Inner Loop Header: Depth=1
	v_mov_b32_e32 v22, v8
	v_lshl_add_u64 v[34:35], v[20:21], 0, v[22:23]
	v_mov_b32_e32 v22, v9
	v_lshl_add_u64 v[36:37], v[20:21], 0, v[22:23]
	;; [unrolled: 2-line block ×3, first 2 shown]
	v_mov_b32_e32 v22, v11
	ds_read_u8 v44, v25
	ds_read_u8 v45, v25 offset:512
	ds_read_u8 v46, v25 offset:1024
	;; [unrolled: 1-line block ×7, first 2 shown]
	v_lshl_add_u64 v[40:41], v[20:21], 0, v[22:23]
	v_mov_b32_e32 v22, v12
	ds_read_u8 v52, v25 offset:4096
	ds_read_u8 v53, v25 offset:4608
	;; [unrolled: 1-line block ×8, first 2 shown]
	v_lshl_add_u64 v[42:43], v[20:21], 0, v[22:23]
	v_mov_b32_e32 v22, v13
	s_waitcnt lgkmcnt(14)
	global_store_byte v[34:35], v44, off
	global_store_byte v[36:37], v45, off
	s_waitcnt lgkmcnt(13)
	global_store_byte v[38:39], v46, off
	s_waitcnt lgkmcnt(12)
	global_store_byte v[40:41], v47, off
	v_lshl_add_u64 v[34:35], v[20:21], 0, v[22:23]
	v_mov_b32_e32 v22, v14
	v_add_u32_e32 v19, -2, v19
	v_lshl_add_u64 v[36:37], v[20:21], 0, v[22:23]
	v_mov_b32_e32 v22, v15
	s_add_i32 s8, s8, 16
	v_cmp_eq_u32_e32 vcc, 0, v19
	s_waitcnt lgkmcnt(11)
	global_store_byte v[42:43], v48, off
	s_waitcnt lgkmcnt(10)
	global_store_byte v[34:35], v49, off
	v_lshl_add_u64 v[34:35], v[20:21], 0, v[22:23]
	v_add_u32_e32 v22, 0x1000, v8
	v_add_u32_e32 v2, 0x1000, v15
	;; [unrolled: 1-line block ×8, first 2 shown]
	v_mov_b32_e32 v33, v23
	v_mov_b32_e32 v31, v23
	;; [unrolled: 1-line block ×7, first 2 shown]
	v_add_u32_e32 v25, 0x2000, v25
	v_add_u32_e32 v9, 0x2000, v9
	v_mov_b32_e32 v1, s8
	v_add_u32_e32 v10, 0x2000, v10
	s_or_b64 s[6:7], vcc, s[6:7]
	v_add_u32_e32 v11, 0x2000, v11
	v_add_u32_e32 v12, 0x2000, v12
	;; [unrolled: 1-line block ×5, first 2 shown]
	s_waitcnt lgkmcnt(9)
	global_store_byte v[36:37], v50, off
	v_add_u32_e32 v8, 0x2000, v8
	s_waitcnt lgkmcnt(8)
	global_store_byte v[34:35], v51, off
	v_lshl_add_u64 v[34:35], v[20:21], 0, v[22:23]
	v_lshl_add_u64 v[32:33], v[20:21], 0, v[32:33]
	;; [unrolled: 1-line block ×8, first 2 shown]
	s_waitcnt lgkmcnt(7)
	global_store_byte v[34:35], v52, off
	s_waitcnt lgkmcnt(6)
	global_store_byte v[32:33], v53, off
	;; [unrolled: 2-line block ×8, first 2 shown]
	s_andn2_b64 exec, exec, s[6:7]
	s_cbranch_execnz .LBB6_297
; %bb.298:
	s_or_b64 exec, exec, s[6:7]
	v_lshlrev_b32_e32 v19, 9, v1
.LBB6_299:
	s_or_b64 exec, exec, s[4:5]
	v_and_b32_e32 v1, 8, v24
	v_cmp_eq_u32_e32 vcc, 0, v1
	s_and_saveexec_b64 s[4:5], vcc
	s_cbranch_execz .LBB6_301
; %bb.300:
	v_mov_b32_e32 v3, 0
	v_mov_b32_e32 v2, v8
	v_lshl_add_u64 v[4:5], v[20:21], 0, v[2:3]
	v_mov_b32_e32 v2, v9
	v_or_b32_e32 v1, v0, v19
	v_lshl_add_u64 v[6:7], v[20:21], 0, v[2:3]
	v_mov_b32_e32 v2, v10
	ds_read_u8 v19, v1
	ds_read_u8 v26, v1 offset:512
	ds_read_u8 v27, v1 offset:1024
	;; [unrolled: 1-line block ×7, first 2 shown]
	v_lshl_add_u64 v[8:9], v[20:21], 0, v[2:3]
	v_mov_b32_e32 v2, v11
	v_lshl_add_u64 v[10:11], v[20:21], 0, v[2:3]
	v_mov_b32_e32 v2, v12
	;; [unrolled: 2-line block ×5, first 2 shown]
	v_lshl_add_u64 v[2:3], v[20:21], 0, v[2:3]
	s_waitcnt lgkmcnt(7)
	global_store_byte v[4:5], v19, off
	s_waitcnt lgkmcnt(6)
	global_store_byte v[6:7], v26, off
	;; [unrolled: 2-line block ×8, first 2 shown]
.LBB6_301:
	s_or_b64 exec, exec, s[4:5]
	v_add_u32_e32 v1, 1, v17
	v_and_b32_e32 v2, 0xfffff8, v1
	v_cmp_ne_u32_e32 vcc, v1, v2
	v_lshl_or_b32 v22, v2, 9, v0
	s_orn2_b64 s[4:5], vcc, exec
.LBB6_302:
	s_or_b64 exec, exec, s[2:3]
	s_and_b64 exec, exec, s[4:5]
	s_cbranch_execz .LBB6_305
; %bb.303:
	s_mov_b64 s[2:3], 0
.LBB6_304:                              ; =>This Inner Loop Header: Depth=1
	ds_read_u8 v1, v22
	v_readfirstlane_b32 s4, v20
	v_readfirstlane_b32 s5, v21
	s_waitcnt lgkmcnt(0)
	s_nop 3
	global_store_byte v22, v1, s[4:5]
	v_add_u32_e32 v22, 0x200, v22
	v_cmp_ge_u32_e32 vcc, v22, v16
	s_or_b64 s[2:3], vcc, s[2:3]
	s_andn2_b64 exec, exec, s[2:3]
	s_cbranch_execnz .LBB6_304
.LBB6_305:
	s_or_b64 exec, exec, s[0:1]
	v_cmp_eq_u32_e32 vcc, 0, v0
	s_and_b64 s[0:1], vcc, s[24:25]
	s_and_saveexec_b64 s[2:3], s[0:1]
	s_cbranch_execz .LBB6_131
.LBB6_306:
	v_mov_b32_e32 v17, 0
	v_lshl_add_u64 v[0:1], s[22:23], 0, v[16:17]
	v_mov_b32_e32 v19, v17
	v_lshl_add_u64 v[0:1], v[0:1], 0, v[18:19]
	global_store_dwordx2 v17, v[0:1], s[20:21]
	s_endpgm
.LBB6_307:
	s_or_b64 exec, exec, s[10:11]
	v_mov_b32_e32 v75, s12
	s_and_saveexec_b64 s[10:11], s[4:5]
	s_cbranch_execnz .LBB6_88
	s_branch .LBB6_89
	.section	.rodata,"a",@progbits
	.p2align	6, 0x0
	.amdhsa_kernel _ZN7rocprim17ROCPRIM_400000_NS6detail17trampoline_kernelINS0_14default_configENS1_25partition_config_selectorILNS1_17partition_subalgoE8EbNS0_10empty_typeEbEEZZNS1_14partition_implILS5_8ELb0ES3_jN6hipcub16HIPCUB_304000_NS22TransformInputIteratorIbN2at6native8internal12_GLOBAL__N_110LoadBoolOpEPKhlEEPS6_PKS6_NS0_5tupleIJPbS6_EEENSN_IJSK_SK_EEENS0_18inequality_wrapperINSA_8EqualityEEEPlJS6_EEE10hipError_tPvRmT3_T4_T5_T6_T7_T9_mT8_P12ihipStream_tbDpT10_ENKUlT_T0_E_clISt17integral_constantIbLb0EES1E_EEDaS19_S1A_EUlS19_E_NS1_11comp_targetILNS1_3genE5ELNS1_11target_archE942ELNS1_3gpuE9ELNS1_3repE0EEENS1_30default_config_static_selectorELNS0_4arch9wavefront6targetE1EEEvT1_
		.amdhsa_group_segment_fixed_size 16908
		.amdhsa_private_segment_fixed_size 0
		.amdhsa_kernarg_size 120
		.amdhsa_user_sgpr_count 2
		.amdhsa_user_sgpr_dispatch_ptr 0
		.amdhsa_user_sgpr_queue_ptr 0
		.amdhsa_user_sgpr_kernarg_segment_ptr 1
		.amdhsa_user_sgpr_dispatch_id 0
		.amdhsa_user_sgpr_kernarg_preload_length 0
		.amdhsa_user_sgpr_kernarg_preload_offset 0
		.amdhsa_user_sgpr_private_segment_size 0
		.amdhsa_uses_dynamic_stack 0
		.amdhsa_enable_private_segment 0
		.amdhsa_system_sgpr_workgroup_id_x 1
		.amdhsa_system_sgpr_workgroup_id_y 0
		.amdhsa_system_sgpr_workgroup_id_z 0
		.amdhsa_system_sgpr_workgroup_info 0
		.amdhsa_system_vgpr_workitem_id 0
		.amdhsa_next_free_vgpr 125
		.amdhsa_next_free_sgpr 82
		.amdhsa_accum_offset 128
		.amdhsa_reserve_vcc 1
		.amdhsa_float_round_mode_32 0
		.amdhsa_float_round_mode_16_64 0
		.amdhsa_float_denorm_mode_32 3
		.amdhsa_float_denorm_mode_16_64 3
		.amdhsa_dx10_clamp 1
		.amdhsa_ieee_mode 1
		.amdhsa_fp16_overflow 0
		.amdhsa_tg_split 0
		.amdhsa_exception_fp_ieee_invalid_op 0
		.amdhsa_exception_fp_denorm_src 0
		.amdhsa_exception_fp_ieee_div_zero 0
		.amdhsa_exception_fp_ieee_overflow 0
		.amdhsa_exception_fp_ieee_underflow 0
		.amdhsa_exception_fp_ieee_inexact 0
		.amdhsa_exception_int_div_zero 0
	.end_amdhsa_kernel
	.section	.text._ZN7rocprim17ROCPRIM_400000_NS6detail17trampoline_kernelINS0_14default_configENS1_25partition_config_selectorILNS1_17partition_subalgoE8EbNS0_10empty_typeEbEEZZNS1_14partition_implILS5_8ELb0ES3_jN6hipcub16HIPCUB_304000_NS22TransformInputIteratorIbN2at6native8internal12_GLOBAL__N_110LoadBoolOpEPKhlEEPS6_PKS6_NS0_5tupleIJPbS6_EEENSN_IJSK_SK_EEENS0_18inequality_wrapperINSA_8EqualityEEEPlJS6_EEE10hipError_tPvRmT3_T4_T5_T6_T7_T9_mT8_P12ihipStream_tbDpT10_ENKUlT_T0_E_clISt17integral_constantIbLb0EES1E_EEDaS19_S1A_EUlS19_E_NS1_11comp_targetILNS1_3genE5ELNS1_11target_archE942ELNS1_3gpuE9ELNS1_3repE0EEENS1_30default_config_static_selectorELNS0_4arch9wavefront6targetE1EEEvT1_,"axG",@progbits,_ZN7rocprim17ROCPRIM_400000_NS6detail17trampoline_kernelINS0_14default_configENS1_25partition_config_selectorILNS1_17partition_subalgoE8EbNS0_10empty_typeEbEEZZNS1_14partition_implILS5_8ELb0ES3_jN6hipcub16HIPCUB_304000_NS22TransformInputIteratorIbN2at6native8internal12_GLOBAL__N_110LoadBoolOpEPKhlEEPS6_PKS6_NS0_5tupleIJPbS6_EEENSN_IJSK_SK_EEENS0_18inequality_wrapperINSA_8EqualityEEEPlJS6_EEE10hipError_tPvRmT3_T4_T5_T6_T7_T9_mT8_P12ihipStream_tbDpT10_ENKUlT_T0_E_clISt17integral_constantIbLb0EES1E_EEDaS19_S1A_EUlS19_E_NS1_11comp_targetILNS1_3genE5ELNS1_11target_archE942ELNS1_3gpuE9ELNS1_3repE0EEENS1_30default_config_static_selectorELNS0_4arch9wavefront6targetE1EEEvT1_,comdat
.Lfunc_end6:
	.size	_ZN7rocprim17ROCPRIM_400000_NS6detail17trampoline_kernelINS0_14default_configENS1_25partition_config_selectorILNS1_17partition_subalgoE8EbNS0_10empty_typeEbEEZZNS1_14partition_implILS5_8ELb0ES3_jN6hipcub16HIPCUB_304000_NS22TransformInputIteratorIbN2at6native8internal12_GLOBAL__N_110LoadBoolOpEPKhlEEPS6_PKS6_NS0_5tupleIJPbS6_EEENSN_IJSK_SK_EEENS0_18inequality_wrapperINSA_8EqualityEEEPlJS6_EEE10hipError_tPvRmT3_T4_T5_T6_T7_T9_mT8_P12ihipStream_tbDpT10_ENKUlT_T0_E_clISt17integral_constantIbLb0EES1E_EEDaS19_S1A_EUlS19_E_NS1_11comp_targetILNS1_3genE5ELNS1_11target_archE942ELNS1_3gpuE9ELNS1_3repE0EEENS1_30default_config_static_selectorELNS0_4arch9wavefront6targetE1EEEvT1_, .Lfunc_end6-_ZN7rocprim17ROCPRIM_400000_NS6detail17trampoline_kernelINS0_14default_configENS1_25partition_config_selectorILNS1_17partition_subalgoE8EbNS0_10empty_typeEbEEZZNS1_14partition_implILS5_8ELb0ES3_jN6hipcub16HIPCUB_304000_NS22TransformInputIteratorIbN2at6native8internal12_GLOBAL__N_110LoadBoolOpEPKhlEEPS6_PKS6_NS0_5tupleIJPbS6_EEENSN_IJSK_SK_EEENS0_18inequality_wrapperINSA_8EqualityEEEPlJS6_EEE10hipError_tPvRmT3_T4_T5_T6_T7_T9_mT8_P12ihipStream_tbDpT10_ENKUlT_T0_E_clISt17integral_constantIbLb0EES1E_EEDaS19_S1A_EUlS19_E_NS1_11comp_targetILNS1_3genE5ELNS1_11target_archE942ELNS1_3gpuE9ELNS1_3repE0EEENS1_30default_config_static_selectorELNS0_4arch9wavefront6targetE1EEEvT1_
                                        ; -- End function
	.section	.AMDGPU.csdata,"",@progbits
; Kernel info:
; codeLenInByte = 14880
; NumSgprs: 88
; NumVgprs: 125
; NumAgprs: 0
; TotalNumVgprs: 125
; ScratchSize: 0
; MemoryBound: 0
; FloatMode: 240
; IeeeMode: 1
; LDSByteSize: 16908 bytes/workgroup (compile time only)
; SGPRBlocks: 10
; VGPRBlocks: 15
; NumSGPRsForWavesPerEU: 88
; NumVGPRsForWavesPerEU: 125
; AccumOffset: 128
; Occupancy: 4
; WaveLimiterHint : 1
; COMPUTE_PGM_RSRC2:SCRATCH_EN: 0
; COMPUTE_PGM_RSRC2:USER_SGPR: 2
; COMPUTE_PGM_RSRC2:TRAP_HANDLER: 0
; COMPUTE_PGM_RSRC2:TGID_X_EN: 1
; COMPUTE_PGM_RSRC2:TGID_Y_EN: 0
; COMPUTE_PGM_RSRC2:TGID_Z_EN: 0
; COMPUTE_PGM_RSRC2:TIDIG_COMP_CNT: 0
; COMPUTE_PGM_RSRC3_GFX90A:ACCUM_OFFSET: 31
; COMPUTE_PGM_RSRC3_GFX90A:TG_SPLIT: 0
	.section	.text._ZN7rocprim17ROCPRIM_400000_NS6detail17trampoline_kernelINS0_14default_configENS1_25partition_config_selectorILNS1_17partition_subalgoE8EbNS0_10empty_typeEbEEZZNS1_14partition_implILS5_8ELb0ES3_jN6hipcub16HIPCUB_304000_NS22TransformInputIteratorIbN2at6native8internal12_GLOBAL__N_110LoadBoolOpEPKhlEEPS6_PKS6_NS0_5tupleIJPbS6_EEENSN_IJSK_SK_EEENS0_18inequality_wrapperINSA_8EqualityEEEPlJS6_EEE10hipError_tPvRmT3_T4_T5_T6_T7_T9_mT8_P12ihipStream_tbDpT10_ENKUlT_T0_E_clISt17integral_constantIbLb0EES1E_EEDaS19_S1A_EUlS19_E_NS1_11comp_targetILNS1_3genE4ELNS1_11target_archE910ELNS1_3gpuE8ELNS1_3repE0EEENS1_30default_config_static_selectorELNS0_4arch9wavefront6targetE1EEEvT1_,"axG",@progbits,_ZN7rocprim17ROCPRIM_400000_NS6detail17trampoline_kernelINS0_14default_configENS1_25partition_config_selectorILNS1_17partition_subalgoE8EbNS0_10empty_typeEbEEZZNS1_14partition_implILS5_8ELb0ES3_jN6hipcub16HIPCUB_304000_NS22TransformInputIteratorIbN2at6native8internal12_GLOBAL__N_110LoadBoolOpEPKhlEEPS6_PKS6_NS0_5tupleIJPbS6_EEENSN_IJSK_SK_EEENS0_18inequality_wrapperINSA_8EqualityEEEPlJS6_EEE10hipError_tPvRmT3_T4_T5_T6_T7_T9_mT8_P12ihipStream_tbDpT10_ENKUlT_T0_E_clISt17integral_constantIbLb0EES1E_EEDaS19_S1A_EUlS19_E_NS1_11comp_targetILNS1_3genE4ELNS1_11target_archE910ELNS1_3gpuE8ELNS1_3repE0EEENS1_30default_config_static_selectorELNS0_4arch9wavefront6targetE1EEEvT1_,comdat
	.globl	_ZN7rocprim17ROCPRIM_400000_NS6detail17trampoline_kernelINS0_14default_configENS1_25partition_config_selectorILNS1_17partition_subalgoE8EbNS0_10empty_typeEbEEZZNS1_14partition_implILS5_8ELb0ES3_jN6hipcub16HIPCUB_304000_NS22TransformInputIteratorIbN2at6native8internal12_GLOBAL__N_110LoadBoolOpEPKhlEEPS6_PKS6_NS0_5tupleIJPbS6_EEENSN_IJSK_SK_EEENS0_18inequality_wrapperINSA_8EqualityEEEPlJS6_EEE10hipError_tPvRmT3_T4_T5_T6_T7_T9_mT8_P12ihipStream_tbDpT10_ENKUlT_T0_E_clISt17integral_constantIbLb0EES1E_EEDaS19_S1A_EUlS19_E_NS1_11comp_targetILNS1_3genE4ELNS1_11target_archE910ELNS1_3gpuE8ELNS1_3repE0EEENS1_30default_config_static_selectorELNS0_4arch9wavefront6targetE1EEEvT1_ ; -- Begin function _ZN7rocprim17ROCPRIM_400000_NS6detail17trampoline_kernelINS0_14default_configENS1_25partition_config_selectorILNS1_17partition_subalgoE8EbNS0_10empty_typeEbEEZZNS1_14partition_implILS5_8ELb0ES3_jN6hipcub16HIPCUB_304000_NS22TransformInputIteratorIbN2at6native8internal12_GLOBAL__N_110LoadBoolOpEPKhlEEPS6_PKS6_NS0_5tupleIJPbS6_EEENSN_IJSK_SK_EEENS0_18inequality_wrapperINSA_8EqualityEEEPlJS6_EEE10hipError_tPvRmT3_T4_T5_T6_T7_T9_mT8_P12ihipStream_tbDpT10_ENKUlT_T0_E_clISt17integral_constantIbLb0EES1E_EEDaS19_S1A_EUlS19_E_NS1_11comp_targetILNS1_3genE4ELNS1_11target_archE910ELNS1_3gpuE8ELNS1_3repE0EEENS1_30default_config_static_selectorELNS0_4arch9wavefront6targetE1EEEvT1_
	.p2align	8
	.type	_ZN7rocprim17ROCPRIM_400000_NS6detail17trampoline_kernelINS0_14default_configENS1_25partition_config_selectorILNS1_17partition_subalgoE8EbNS0_10empty_typeEbEEZZNS1_14partition_implILS5_8ELb0ES3_jN6hipcub16HIPCUB_304000_NS22TransformInputIteratorIbN2at6native8internal12_GLOBAL__N_110LoadBoolOpEPKhlEEPS6_PKS6_NS0_5tupleIJPbS6_EEENSN_IJSK_SK_EEENS0_18inequality_wrapperINSA_8EqualityEEEPlJS6_EEE10hipError_tPvRmT3_T4_T5_T6_T7_T9_mT8_P12ihipStream_tbDpT10_ENKUlT_T0_E_clISt17integral_constantIbLb0EES1E_EEDaS19_S1A_EUlS19_E_NS1_11comp_targetILNS1_3genE4ELNS1_11target_archE910ELNS1_3gpuE8ELNS1_3repE0EEENS1_30default_config_static_selectorELNS0_4arch9wavefront6targetE1EEEvT1_,@function
_ZN7rocprim17ROCPRIM_400000_NS6detail17trampoline_kernelINS0_14default_configENS1_25partition_config_selectorILNS1_17partition_subalgoE8EbNS0_10empty_typeEbEEZZNS1_14partition_implILS5_8ELb0ES3_jN6hipcub16HIPCUB_304000_NS22TransformInputIteratorIbN2at6native8internal12_GLOBAL__N_110LoadBoolOpEPKhlEEPS6_PKS6_NS0_5tupleIJPbS6_EEENSN_IJSK_SK_EEENS0_18inequality_wrapperINSA_8EqualityEEEPlJS6_EEE10hipError_tPvRmT3_T4_T5_T6_T7_T9_mT8_P12ihipStream_tbDpT10_ENKUlT_T0_E_clISt17integral_constantIbLb0EES1E_EEDaS19_S1A_EUlS19_E_NS1_11comp_targetILNS1_3genE4ELNS1_11target_archE910ELNS1_3gpuE8ELNS1_3repE0EEENS1_30default_config_static_selectorELNS0_4arch9wavefront6targetE1EEEvT1_: ; @_ZN7rocprim17ROCPRIM_400000_NS6detail17trampoline_kernelINS0_14default_configENS1_25partition_config_selectorILNS1_17partition_subalgoE8EbNS0_10empty_typeEbEEZZNS1_14partition_implILS5_8ELb0ES3_jN6hipcub16HIPCUB_304000_NS22TransformInputIteratorIbN2at6native8internal12_GLOBAL__N_110LoadBoolOpEPKhlEEPS6_PKS6_NS0_5tupleIJPbS6_EEENSN_IJSK_SK_EEENS0_18inequality_wrapperINSA_8EqualityEEEPlJS6_EEE10hipError_tPvRmT3_T4_T5_T6_T7_T9_mT8_P12ihipStream_tbDpT10_ENKUlT_T0_E_clISt17integral_constantIbLb0EES1E_EEDaS19_S1A_EUlS19_E_NS1_11comp_targetILNS1_3genE4ELNS1_11target_archE910ELNS1_3gpuE8ELNS1_3repE0EEENS1_30default_config_static_selectorELNS0_4arch9wavefront6targetE1EEEvT1_
; %bb.0:
	.section	.rodata,"a",@progbits
	.p2align	6, 0x0
	.amdhsa_kernel _ZN7rocprim17ROCPRIM_400000_NS6detail17trampoline_kernelINS0_14default_configENS1_25partition_config_selectorILNS1_17partition_subalgoE8EbNS0_10empty_typeEbEEZZNS1_14partition_implILS5_8ELb0ES3_jN6hipcub16HIPCUB_304000_NS22TransformInputIteratorIbN2at6native8internal12_GLOBAL__N_110LoadBoolOpEPKhlEEPS6_PKS6_NS0_5tupleIJPbS6_EEENSN_IJSK_SK_EEENS0_18inequality_wrapperINSA_8EqualityEEEPlJS6_EEE10hipError_tPvRmT3_T4_T5_T6_T7_T9_mT8_P12ihipStream_tbDpT10_ENKUlT_T0_E_clISt17integral_constantIbLb0EES1E_EEDaS19_S1A_EUlS19_E_NS1_11comp_targetILNS1_3genE4ELNS1_11target_archE910ELNS1_3gpuE8ELNS1_3repE0EEENS1_30default_config_static_selectorELNS0_4arch9wavefront6targetE1EEEvT1_
		.amdhsa_group_segment_fixed_size 0
		.amdhsa_private_segment_fixed_size 0
		.amdhsa_kernarg_size 120
		.amdhsa_user_sgpr_count 2
		.amdhsa_user_sgpr_dispatch_ptr 0
		.amdhsa_user_sgpr_queue_ptr 0
		.amdhsa_user_sgpr_kernarg_segment_ptr 1
		.amdhsa_user_sgpr_dispatch_id 0
		.amdhsa_user_sgpr_kernarg_preload_length 0
		.amdhsa_user_sgpr_kernarg_preload_offset 0
		.amdhsa_user_sgpr_private_segment_size 0
		.amdhsa_uses_dynamic_stack 0
		.amdhsa_enable_private_segment 0
		.amdhsa_system_sgpr_workgroup_id_x 1
		.amdhsa_system_sgpr_workgroup_id_y 0
		.amdhsa_system_sgpr_workgroup_id_z 0
		.amdhsa_system_sgpr_workgroup_info 0
		.amdhsa_system_vgpr_workitem_id 0
		.amdhsa_next_free_vgpr 1
		.amdhsa_next_free_sgpr 0
		.amdhsa_accum_offset 4
		.amdhsa_reserve_vcc 0
		.amdhsa_float_round_mode_32 0
		.amdhsa_float_round_mode_16_64 0
		.amdhsa_float_denorm_mode_32 3
		.amdhsa_float_denorm_mode_16_64 3
		.amdhsa_dx10_clamp 1
		.amdhsa_ieee_mode 1
		.amdhsa_fp16_overflow 0
		.amdhsa_tg_split 0
		.amdhsa_exception_fp_ieee_invalid_op 0
		.amdhsa_exception_fp_denorm_src 0
		.amdhsa_exception_fp_ieee_div_zero 0
		.amdhsa_exception_fp_ieee_overflow 0
		.amdhsa_exception_fp_ieee_underflow 0
		.amdhsa_exception_fp_ieee_inexact 0
		.amdhsa_exception_int_div_zero 0
	.end_amdhsa_kernel
	.section	.text._ZN7rocprim17ROCPRIM_400000_NS6detail17trampoline_kernelINS0_14default_configENS1_25partition_config_selectorILNS1_17partition_subalgoE8EbNS0_10empty_typeEbEEZZNS1_14partition_implILS5_8ELb0ES3_jN6hipcub16HIPCUB_304000_NS22TransformInputIteratorIbN2at6native8internal12_GLOBAL__N_110LoadBoolOpEPKhlEEPS6_PKS6_NS0_5tupleIJPbS6_EEENSN_IJSK_SK_EEENS0_18inequality_wrapperINSA_8EqualityEEEPlJS6_EEE10hipError_tPvRmT3_T4_T5_T6_T7_T9_mT8_P12ihipStream_tbDpT10_ENKUlT_T0_E_clISt17integral_constantIbLb0EES1E_EEDaS19_S1A_EUlS19_E_NS1_11comp_targetILNS1_3genE4ELNS1_11target_archE910ELNS1_3gpuE8ELNS1_3repE0EEENS1_30default_config_static_selectorELNS0_4arch9wavefront6targetE1EEEvT1_,"axG",@progbits,_ZN7rocprim17ROCPRIM_400000_NS6detail17trampoline_kernelINS0_14default_configENS1_25partition_config_selectorILNS1_17partition_subalgoE8EbNS0_10empty_typeEbEEZZNS1_14partition_implILS5_8ELb0ES3_jN6hipcub16HIPCUB_304000_NS22TransformInputIteratorIbN2at6native8internal12_GLOBAL__N_110LoadBoolOpEPKhlEEPS6_PKS6_NS0_5tupleIJPbS6_EEENSN_IJSK_SK_EEENS0_18inequality_wrapperINSA_8EqualityEEEPlJS6_EEE10hipError_tPvRmT3_T4_T5_T6_T7_T9_mT8_P12ihipStream_tbDpT10_ENKUlT_T0_E_clISt17integral_constantIbLb0EES1E_EEDaS19_S1A_EUlS19_E_NS1_11comp_targetILNS1_3genE4ELNS1_11target_archE910ELNS1_3gpuE8ELNS1_3repE0EEENS1_30default_config_static_selectorELNS0_4arch9wavefront6targetE1EEEvT1_,comdat
.Lfunc_end7:
	.size	_ZN7rocprim17ROCPRIM_400000_NS6detail17trampoline_kernelINS0_14default_configENS1_25partition_config_selectorILNS1_17partition_subalgoE8EbNS0_10empty_typeEbEEZZNS1_14partition_implILS5_8ELb0ES3_jN6hipcub16HIPCUB_304000_NS22TransformInputIteratorIbN2at6native8internal12_GLOBAL__N_110LoadBoolOpEPKhlEEPS6_PKS6_NS0_5tupleIJPbS6_EEENSN_IJSK_SK_EEENS0_18inequality_wrapperINSA_8EqualityEEEPlJS6_EEE10hipError_tPvRmT3_T4_T5_T6_T7_T9_mT8_P12ihipStream_tbDpT10_ENKUlT_T0_E_clISt17integral_constantIbLb0EES1E_EEDaS19_S1A_EUlS19_E_NS1_11comp_targetILNS1_3genE4ELNS1_11target_archE910ELNS1_3gpuE8ELNS1_3repE0EEENS1_30default_config_static_selectorELNS0_4arch9wavefront6targetE1EEEvT1_, .Lfunc_end7-_ZN7rocprim17ROCPRIM_400000_NS6detail17trampoline_kernelINS0_14default_configENS1_25partition_config_selectorILNS1_17partition_subalgoE8EbNS0_10empty_typeEbEEZZNS1_14partition_implILS5_8ELb0ES3_jN6hipcub16HIPCUB_304000_NS22TransformInputIteratorIbN2at6native8internal12_GLOBAL__N_110LoadBoolOpEPKhlEEPS6_PKS6_NS0_5tupleIJPbS6_EEENSN_IJSK_SK_EEENS0_18inequality_wrapperINSA_8EqualityEEEPlJS6_EEE10hipError_tPvRmT3_T4_T5_T6_T7_T9_mT8_P12ihipStream_tbDpT10_ENKUlT_T0_E_clISt17integral_constantIbLb0EES1E_EEDaS19_S1A_EUlS19_E_NS1_11comp_targetILNS1_3genE4ELNS1_11target_archE910ELNS1_3gpuE8ELNS1_3repE0EEENS1_30default_config_static_selectorELNS0_4arch9wavefront6targetE1EEEvT1_
                                        ; -- End function
	.section	.AMDGPU.csdata,"",@progbits
; Kernel info:
; codeLenInByte = 0
; NumSgprs: 6
; NumVgprs: 0
; NumAgprs: 0
; TotalNumVgprs: 0
; ScratchSize: 0
; MemoryBound: 0
; FloatMode: 240
; IeeeMode: 1
; LDSByteSize: 0 bytes/workgroup (compile time only)
; SGPRBlocks: 0
; VGPRBlocks: 0
; NumSGPRsForWavesPerEU: 6
; NumVGPRsForWavesPerEU: 1
; AccumOffset: 4
; Occupancy: 8
; WaveLimiterHint : 0
; COMPUTE_PGM_RSRC2:SCRATCH_EN: 0
; COMPUTE_PGM_RSRC2:USER_SGPR: 2
; COMPUTE_PGM_RSRC2:TRAP_HANDLER: 0
; COMPUTE_PGM_RSRC2:TGID_X_EN: 1
; COMPUTE_PGM_RSRC2:TGID_Y_EN: 0
; COMPUTE_PGM_RSRC2:TGID_Z_EN: 0
; COMPUTE_PGM_RSRC2:TIDIG_COMP_CNT: 0
; COMPUTE_PGM_RSRC3_GFX90A:ACCUM_OFFSET: 0
; COMPUTE_PGM_RSRC3_GFX90A:TG_SPLIT: 0
	.section	.text._ZN7rocprim17ROCPRIM_400000_NS6detail17trampoline_kernelINS0_14default_configENS1_25partition_config_selectorILNS1_17partition_subalgoE8EbNS0_10empty_typeEbEEZZNS1_14partition_implILS5_8ELb0ES3_jN6hipcub16HIPCUB_304000_NS22TransformInputIteratorIbN2at6native8internal12_GLOBAL__N_110LoadBoolOpEPKhlEEPS6_PKS6_NS0_5tupleIJPbS6_EEENSN_IJSK_SK_EEENS0_18inequality_wrapperINSA_8EqualityEEEPlJS6_EEE10hipError_tPvRmT3_T4_T5_T6_T7_T9_mT8_P12ihipStream_tbDpT10_ENKUlT_T0_E_clISt17integral_constantIbLb0EES1E_EEDaS19_S1A_EUlS19_E_NS1_11comp_targetILNS1_3genE3ELNS1_11target_archE908ELNS1_3gpuE7ELNS1_3repE0EEENS1_30default_config_static_selectorELNS0_4arch9wavefront6targetE1EEEvT1_,"axG",@progbits,_ZN7rocprim17ROCPRIM_400000_NS6detail17trampoline_kernelINS0_14default_configENS1_25partition_config_selectorILNS1_17partition_subalgoE8EbNS0_10empty_typeEbEEZZNS1_14partition_implILS5_8ELb0ES3_jN6hipcub16HIPCUB_304000_NS22TransformInputIteratorIbN2at6native8internal12_GLOBAL__N_110LoadBoolOpEPKhlEEPS6_PKS6_NS0_5tupleIJPbS6_EEENSN_IJSK_SK_EEENS0_18inequality_wrapperINSA_8EqualityEEEPlJS6_EEE10hipError_tPvRmT3_T4_T5_T6_T7_T9_mT8_P12ihipStream_tbDpT10_ENKUlT_T0_E_clISt17integral_constantIbLb0EES1E_EEDaS19_S1A_EUlS19_E_NS1_11comp_targetILNS1_3genE3ELNS1_11target_archE908ELNS1_3gpuE7ELNS1_3repE0EEENS1_30default_config_static_selectorELNS0_4arch9wavefront6targetE1EEEvT1_,comdat
	.globl	_ZN7rocprim17ROCPRIM_400000_NS6detail17trampoline_kernelINS0_14default_configENS1_25partition_config_selectorILNS1_17partition_subalgoE8EbNS0_10empty_typeEbEEZZNS1_14partition_implILS5_8ELb0ES3_jN6hipcub16HIPCUB_304000_NS22TransformInputIteratorIbN2at6native8internal12_GLOBAL__N_110LoadBoolOpEPKhlEEPS6_PKS6_NS0_5tupleIJPbS6_EEENSN_IJSK_SK_EEENS0_18inequality_wrapperINSA_8EqualityEEEPlJS6_EEE10hipError_tPvRmT3_T4_T5_T6_T7_T9_mT8_P12ihipStream_tbDpT10_ENKUlT_T0_E_clISt17integral_constantIbLb0EES1E_EEDaS19_S1A_EUlS19_E_NS1_11comp_targetILNS1_3genE3ELNS1_11target_archE908ELNS1_3gpuE7ELNS1_3repE0EEENS1_30default_config_static_selectorELNS0_4arch9wavefront6targetE1EEEvT1_ ; -- Begin function _ZN7rocprim17ROCPRIM_400000_NS6detail17trampoline_kernelINS0_14default_configENS1_25partition_config_selectorILNS1_17partition_subalgoE8EbNS0_10empty_typeEbEEZZNS1_14partition_implILS5_8ELb0ES3_jN6hipcub16HIPCUB_304000_NS22TransformInputIteratorIbN2at6native8internal12_GLOBAL__N_110LoadBoolOpEPKhlEEPS6_PKS6_NS0_5tupleIJPbS6_EEENSN_IJSK_SK_EEENS0_18inequality_wrapperINSA_8EqualityEEEPlJS6_EEE10hipError_tPvRmT3_T4_T5_T6_T7_T9_mT8_P12ihipStream_tbDpT10_ENKUlT_T0_E_clISt17integral_constantIbLb0EES1E_EEDaS19_S1A_EUlS19_E_NS1_11comp_targetILNS1_3genE3ELNS1_11target_archE908ELNS1_3gpuE7ELNS1_3repE0EEENS1_30default_config_static_selectorELNS0_4arch9wavefront6targetE1EEEvT1_
	.p2align	8
	.type	_ZN7rocprim17ROCPRIM_400000_NS6detail17trampoline_kernelINS0_14default_configENS1_25partition_config_selectorILNS1_17partition_subalgoE8EbNS0_10empty_typeEbEEZZNS1_14partition_implILS5_8ELb0ES3_jN6hipcub16HIPCUB_304000_NS22TransformInputIteratorIbN2at6native8internal12_GLOBAL__N_110LoadBoolOpEPKhlEEPS6_PKS6_NS0_5tupleIJPbS6_EEENSN_IJSK_SK_EEENS0_18inequality_wrapperINSA_8EqualityEEEPlJS6_EEE10hipError_tPvRmT3_T4_T5_T6_T7_T9_mT8_P12ihipStream_tbDpT10_ENKUlT_T0_E_clISt17integral_constantIbLb0EES1E_EEDaS19_S1A_EUlS19_E_NS1_11comp_targetILNS1_3genE3ELNS1_11target_archE908ELNS1_3gpuE7ELNS1_3repE0EEENS1_30default_config_static_selectorELNS0_4arch9wavefront6targetE1EEEvT1_,@function
_ZN7rocprim17ROCPRIM_400000_NS6detail17trampoline_kernelINS0_14default_configENS1_25partition_config_selectorILNS1_17partition_subalgoE8EbNS0_10empty_typeEbEEZZNS1_14partition_implILS5_8ELb0ES3_jN6hipcub16HIPCUB_304000_NS22TransformInputIteratorIbN2at6native8internal12_GLOBAL__N_110LoadBoolOpEPKhlEEPS6_PKS6_NS0_5tupleIJPbS6_EEENSN_IJSK_SK_EEENS0_18inequality_wrapperINSA_8EqualityEEEPlJS6_EEE10hipError_tPvRmT3_T4_T5_T6_T7_T9_mT8_P12ihipStream_tbDpT10_ENKUlT_T0_E_clISt17integral_constantIbLb0EES1E_EEDaS19_S1A_EUlS19_E_NS1_11comp_targetILNS1_3genE3ELNS1_11target_archE908ELNS1_3gpuE7ELNS1_3repE0EEENS1_30default_config_static_selectorELNS0_4arch9wavefront6targetE1EEEvT1_: ; @_ZN7rocprim17ROCPRIM_400000_NS6detail17trampoline_kernelINS0_14default_configENS1_25partition_config_selectorILNS1_17partition_subalgoE8EbNS0_10empty_typeEbEEZZNS1_14partition_implILS5_8ELb0ES3_jN6hipcub16HIPCUB_304000_NS22TransformInputIteratorIbN2at6native8internal12_GLOBAL__N_110LoadBoolOpEPKhlEEPS6_PKS6_NS0_5tupleIJPbS6_EEENSN_IJSK_SK_EEENS0_18inequality_wrapperINSA_8EqualityEEEPlJS6_EEE10hipError_tPvRmT3_T4_T5_T6_T7_T9_mT8_P12ihipStream_tbDpT10_ENKUlT_T0_E_clISt17integral_constantIbLb0EES1E_EEDaS19_S1A_EUlS19_E_NS1_11comp_targetILNS1_3genE3ELNS1_11target_archE908ELNS1_3gpuE7ELNS1_3repE0EEENS1_30default_config_static_selectorELNS0_4arch9wavefront6targetE1EEEvT1_
; %bb.0:
	.section	.rodata,"a",@progbits
	.p2align	6, 0x0
	.amdhsa_kernel _ZN7rocprim17ROCPRIM_400000_NS6detail17trampoline_kernelINS0_14default_configENS1_25partition_config_selectorILNS1_17partition_subalgoE8EbNS0_10empty_typeEbEEZZNS1_14partition_implILS5_8ELb0ES3_jN6hipcub16HIPCUB_304000_NS22TransformInputIteratorIbN2at6native8internal12_GLOBAL__N_110LoadBoolOpEPKhlEEPS6_PKS6_NS0_5tupleIJPbS6_EEENSN_IJSK_SK_EEENS0_18inequality_wrapperINSA_8EqualityEEEPlJS6_EEE10hipError_tPvRmT3_T4_T5_T6_T7_T9_mT8_P12ihipStream_tbDpT10_ENKUlT_T0_E_clISt17integral_constantIbLb0EES1E_EEDaS19_S1A_EUlS19_E_NS1_11comp_targetILNS1_3genE3ELNS1_11target_archE908ELNS1_3gpuE7ELNS1_3repE0EEENS1_30default_config_static_selectorELNS0_4arch9wavefront6targetE1EEEvT1_
		.amdhsa_group_segment_fixed_size 0
		.amdhsa_private_segment_fixed_size 0
		.amdhsa_kernarg_size 120
		.amdhsa_user_sgpr_count 2
		.amdhsa_user_sgpr_dispatch_ptr 0
		.amdhsa_user_sgpr_queue_ptr 0
		.amdhsa_user_sgpr_kernarg_segment_ptr 1
		.amdhsa_user_sgpr_dispatch_id 0
		.amdhsa_user_sgpr_kernarg_preload_length 0
		.amdhsa_user_sgpr_kernarg_preload_offset 0
		.amdhsa_user_sgpr_private_segment_size 0
		.amdhsa_uses_dynamic_stack 0
		.amdhsa_enable_private_segment 0
		.amdhsa_system_sgpr_workgroup_id_x 1
		.amdhsa_system_sgpr_workgroup_id_y 0
		.amdhsa_system_sgpr_workgroup_id_z 0
		.amdhsa_system_sgpr_workgroup_info 0
		.amdhsa_system_vgpr_workitem_id 0
		.amdhsa_next_free_vgpr 1
		.amdhsa_next_free_sgpr 0
		.amdhsa_accum_offset 4
		.amdhsa_reserve_vcc 0
		.amdhsa_float_round_mode_32 0
		.amdhsa_float_round_mode_16_64 0
		.amdhsa_float_denorm_mode_32 3
		.amdhsa_float_denorm_mode_16_64 3
		.amdhsa_dx10_clamp 1
		.amdhsa_ieee_mode 1
		.amdhsa_fp16_overflow 0
		.amdhsa_tg_split 0
		.amdhsa_exception_fp_ieee_invalid_op 0
		.amdhsa_exception_fp_denorm_src 0
		.amdhsa_exception_fp_ieee_div_zero 0
		.amdhsa_exception_fp_ieee_overflow 0
		.amdhsa_exception_fp_ieee_underflow 0
		.amdhsa_exception_fp_ieee_inexact 0
		.amdhsa_exception_int_div_zero 0
	.end_amdhsa_kernel
	.section	.text._ZN7rocprim17ROCPRIM_400000_NS6detail17trampoline_kernelINS0_14default_configENS1_25partition_config_selectorILNS1_17partition_subalgoE8EbNS0_10empty_typeEbEEZZNS1_14partition_implILS5_8ELb0ES3_jN6hipcub16HIPCUB_304000_NS22TransformInputIteratorIbN2at6native8internal12_GLOBAL__N_110LoadBoolOpEPKhlEEPS6_PKS6_NS0_5tupleIJPbS6_EEENSN_IJSK_SK_EEENS0_18inequality_wrapperINSA_8EqualityEEEPlJS6_EEE10hipError_tPvRmT3_T4_T5_T6_T7_T9_mT8_P12ihipStream_tbDpT10_ENKUlT_T0_E_clISt17integral_constantIbLb0EES1E_EEDaS19_S1A_EUlS19_E_NS1_11comp_targetILNS1_3genE3ELNS1_11target_archE908ELNS1_3gpuE7ELNS1_3repE0EEENS1_30default_config_static_selectorELNS0_4arch9wavefront6targetE1EEEvT1_,"axG",@progbits,_ZN7rocprim17ROCPRIM_400000_NS6detail17trampoline_kernelINS0_14default_configENS1_25partition_config_selectorILNS1_17partition_subalgoE8EbNS0_10empty_typeEbEEZZNS1_14partition_implILS5_8ELb0ES3_jN6hipcub16HIPCUB_304000_NS22TransformInputIteratorIbN2at6native8internal12_GLOBAL__N_110LoadBoolOpEPKhlEEPS6_PKS6_NS0_5tupleIJPbS6_EEENSN_IJSK_SK_EEENS0_18inequality_wrapperINSA_8EqualityEEEPlJS6_EEE10hipError_tPvRmT3_T4_T5_T6_T7_T9_mT8_P12ihipStream_tbDpT10_ENKUlT_T0_E_clISt17integral_constantIbLb0EES1E_EEDaS19_S1A_EUlS19_E_NS1_11comp_targetILNS1_3genE3ELNS1_11target_archE908ELNS1_3gpuE7ELNS1_3repE0EEENS1_30default_config_static_selectorELNS0_4arch9wavefront6targetE1EEEvT1_,comdat
.Lfunc_end8:
	.size	_ZN7rocprim17ROCPRIM_400000_NS6detail17trampoline_kernelINS0_14default_configENS1_25partition_config_selectorILNS1_17partition_subalgoE8EbNS0_10empty_typeEbEEZZNS1_14partition_implILS5_8ELb0ES3_jN6hipcub16HIPCUB_304000_NS22TransformInputIteratorIbN2at6native8internal12_GLOBAL__N_110LoadBoolOpEPKhlEEPS6_PKS6_NS0_5tupleIJPbS6_EEENSN_IJSK_SK_EEENS0_18inequality_wrapperINSA_8EqualityEEEPlJS6_EEE10hipError_tPvRmT3_T4_T5_T6_T7_T9_mT8_P12ihipStream_tbDpT10_ENKUlT_T0_E_clISt17integral_constantIbLb0EES1E_EEDaS19_S1A_EUlS19_E_NS1_11comp_targetILNS1_3genE3ELNS1_11target_archE908ELNS1_3gpuE7ELNS1_3repE0EEENS1_30default_config_static_selectorELNS0_4arch9wavefront6targetE1EEEvT1_, .Lfunc_end8-_ZN7rocprim17ROCPRIM_400000_NS6detail17trampoline_kernelINS0_14default_configENS1_25partition_config_selectorILNS1_17partition_subalgoE8EbNS0_10empty_typeEbEEZZNS1_14partition_implILS5_8ELb0ES3_jN6hipcub16HIPCUB_304000_NS22TransformInputIteratorIbN2at6native8internal12_GLOBAL__N_110LoadBoolOpEPKhlEEPS6_PKS6_NS0_5tupleIJPbS6_EEENSN_IJSK_SK_EEENS0_18inequality_wrapperINSA_8EqualityEEEPlJS6_EEE10hipError_tPvRmT3_T4_T5_T6_T7_T9_mT8_P12ihipStream_tbDpT10_ENKUlT_T0_E_clISt17integral_constantIbLb0EES1E_EEDaS19_S1A_EUlS19_E_NS1_11comp_targetILNS1_3genE3ELNS1_11target_archE908ELNS1_3gpuE7ELNS1_3repE0EEENS1_30default_config_static_selectorELNS0_4arch9wavefront6targetE1EEEvT1_
                                        ; -- End function
	.section	.AMDGPU.csdata,"",@progbits
; Kernel info:
; codeLenInByte = 0
; NumSgprs: 6
; NumVgprs: 0
; NumAgprs: 0
; TotalNumVgprs: 0
; ScratchSize: 0
; MemoryBound: 0
; FloatMode: 240
; IeeeMode: 1
; LDSByteSize: 0 bytes/workgroup (compile time only)
; SGPRBlocks: 0
; VGPRBlocks: 0
; NumSGPRsForWavesPerEU: 6
; NumVGPRsForWavesPerEU: 1
; AccumOffset: 4
; Occupancy: 8
; WaveLimiterHint : 0
; COMPUTE_PGM_RSRC2:SCRATCH_EN: 0
; COMPUTE_PGM_RSRC2:USER_SGPR: 2
; COMPUTE_PGM_RSRC2:TRAP_HANDLER: 0
; COMPUTE_PGM_RSRC2:TGID_X_EN: 1
; COMPUTE_PGM_RSRC2:TGID_Y_EN: 0
; COMPUTE_PGM_RSRC2:TGID_Z_EN: 0
; COMPUTE_PGM_RSRC2:TIDIG_COMP_CNT: 0
; COMPUTE_PGM_RSRC3_GFX90A:ACCUM_OFFSET: 0
; COMPUTE_PGM_RSRC3_GFX90A:TG_SPLIT: 0
	.section	.text._ZN7rocprim17ROCPRIM_400000_NS6detail17trampoline_kernelINS0_14default_configENS1_25partition_config_selectorILNS1_17partition_subalgoE8EbNS0_10empty_typeEbEEZZNS1_14partition_implILS5_8ELb0ES3_jN6hipcub16HIPCUB_304000_NS22TransformInputIteratorIbN2at6native8internal12_GLOBAL__N_110LoadBoolOpEPKhlEEPS6_PKS6_NS0_5tupleIJPbS6_EEENSN_IJSK_SK_EEENS0_18inequality_wrapperINSA_8EqualityEEEPlJS6_EEE10hipError_tPvRmT3_T4_T5_T6_T7_T9_mT8_P12ihipStream_tbDpT10_ENKUlT_T0_E_clISt17integral_constantIbLb0EES1E_EEDaS19_S1A_EUlS19_E_NS1_11comp_targetILNS1_3genE2ELNS1_11target_archE906ELNS1_3gpuE6ELNS1_3repE0EEENS1_30default_config_static_selectorELNS0_4arch9wavefront6targetE1EEEvT1_,"axG",@progbits,_ZN7rocprim17ROCPRIM_400000_NS6detail17trampoline_kernelINS0_14default_configENS1_25partition_config_selectorILNS1_17partition_subalgoE8EbNS0_10empty_typeEbEEZZNS1_14partition_implILS5_8ELb0ES3_jN6hipcub16HIPCUB_304000_NS22TransformInputIteratorIbN2at6native8internal12_GLOBAL__N_110LoadBoolOpEPKhlEEPS6_PKS6_NS0_5tupleIJPbS6_EEENSN_IJSK_SK_EEENS0_18inequality_wrapperINSA_8EqualityEEEPlJS6_EEE10hipError_tPvRmT3_T4_T5_T6_T7_T9_mT8_P12ihipStream_tbDpT10_ENKUlT_T0_E_clISt17integral_constantIbLb0EES1E_EEDaS19_S1A_EUlS19_E_NS1_11comp_targetILNS1_3genE2ELNS1_11target_archE906ELNS1_3gpuE6ELNS1_3repE0EEENS1_30default_config_static_selectorELNS0_4arch9wavefront6targetE1EEEvT1_,comdat
	.globl	_ZN7rocprim17ROCPRIM_400000_NS6detail17trampoline_kernelINS0_14default_configENS1_25partition_config_selectorILNS1_17partition_subalgoE8EbNS0_10empty_typeEbEEZZNS1_14partition_implILS5_8ELb0ES3_jN6hipcub16HIPCUB_304000_NS22TransformInputIteratorIbN2at6native8internal12_GLOBAL__N_110LoadBoolOpEPKhlEEPS6_PKS6_NS0_5tupleIJPbS6_EEENSN_IJSK_SK_EEENS0_18inequality_wrapperINSA_8EqualityEEEPlJS6_EEE10hipError_tPvRmT3_T4_T5_T6_T7_T9_mT8_P12ihipStream_tbDpT10_ENKUlT_T0_E_clISt17integral_constantIbLb0EES1E_EEDaS19_S1A_EUlS19_E_NS1_11comp_targetILNS1_3genE2ELNS1_11target_archE906ELNS1_3gpuE6ELNS1_3repE0EEENS1_30default_config_static_selectorELNS0_4arch9wavefront6targetE1EEEvT1_ ; -- Begin function _ZN7rocprim17ROCPRIM_400000_NS6detail17trampoline_kernelINS0_14default_configENS1_25partition_config_selectorILNS1_17partition_subalgoE8EbNS0_10empty_typeEbEEZZNS1_14partition_implILS5_8ELb0ES3_jN6hipcub16HIPCUB_304000_NS22TransformInputIteratorIbN2at6native8internal12_GLOBAL__N_110LoadBoolOpEPKhlEEPS6_PKS6_NS0_5tupleIJPbS6_EEENSN_IJSK_SK_EEENS0_18inequality_wrapperINSA_8EqualityEEEPlJS6_EEE10hipError_tPvRmT3_T4_T5_T6_T7_T9_mT8_P12ihipStream_tbDpT10_ENKUlT_T0_E_clISt17integral_constantIbLb0EES1E_EEDaS19_S1A_EUlS19_E_NS1_11comp_targetILNS1_3genE2ELNS1_11target_archE906ELNS1_3gpuE6ELNS1_3repE0EEENS1_30default_config_static_selectorELNS0_4arch9wavefront6targetE1EEEvT1_
	.p2align	8
	.type	_ZN7rocprim17ROCPRIM_400000_NS6detail17trampoline_kernelINS0_14default_configENS1_25partition_config_selectorILNS1_17partition_subalgoE8EbNS0_10empty_typeEbEEZZNS1_14partition_implILS5_8ELb0ES3_jN6hipcub16HIPCUB_304000_NS22TransformInputIteratorIbN2at6native8internal12_GLOBAL__N_110LoadBoolOpEPKhlEEPS6_PKS6_NS0_5tupleIJPbS6_EEENSN_IJSK_SK_EEENS0_18inequality_wrapperINSA_8EqualityEEEPlJS6_EEE10hipError_tPvRmT3_T4_T5_T6_T7_T9_mT8_P12ihipStream_tbDpT10_ENKUlT_T0_E_clISt17integral_constantIbLb0EES1E_EEDaS19_S1A_EUlS19_E_NS1_11comp_targetILNS1_3genE2ELNS1_11target_archE906ELNS1_3gpuE6ELNS1_3repE0EEENS1_30default_config_static_selectorELNS0_4arch9wavefront6targetE1EEEvT1_,@function
_ZN7rocprim17ROCPRIM_400000_NS6detail17trampoline_kernelINS0_14default_configENS1_25partition_config_selectorILNS1_17partition_subalgoE8EbNS0_10empty_typeEbEEZZNS1_14partition_implILS5_8ELb0ES3_jN6hipcub16HIPCUB_304000_NS22TransformInputIteratorIbN2at6native8internal12_GLOBAL__N_110LoadBoolOpEPKhlEEPS6_PKS6_NS0_5tupleIJPbS6_EEENSN_IJSK_SK_EEENS0_18inequality_wrapperINSA_8EqualityEEEPlJS6_EEE10hipError_tPvRmT3_T4_T5_T6_T7_T9_mT8_P12ihipStream_tbDpT10_ENKUlT_T0_E_clISt17integral_constantIbLb0EES1E_EEDaS19_S1A_EUlS19_E_NS1_11comp_targetILNS1_3genE2ELNS1_11target_archE906ELNS1_3gpuE6ELNS1_3repE0EEENS1_30default_config_static_selectorELNS0_4arch9wavefront6targetE1EEEvT1_: ; @_ZN7rocprim17ROCPRIM_400000_NS6detail17trampoline_kernelINS0_14default_configENS1_25partition_config_selectorILNS1_17partition_subalgoE8EbNS0_10empty_typeEbEEZZNS1_14partition_implILS5_8ELb0ES3_jN6hipcub16HIPCUB_304000_NS22TransformInputIteratorIbN2at6native8internal12_GLOBAL__N_110LoadBoolOpEPKhlEEPS6_PKS6_NS0_5tupleIJPbS6_EEENSN_IJSK_SK_EEENS0_18inequality_wrapperINSA_8EqualityEEEPlJS6_EEE10hipError_tPvRmT3_T4_T5_T6_T7_T9_mT8_P12ihipStream_tbDpT10_ENKUlT_T0_E_clISt17integral_constantIbLb0EES1E_EEDaS19_S1A_EUlS19_E_NS1_11comp_targetILNS1_3genE2ELNS1_11target_archE906ELNS1_3gpuE6ELNS1_3repE0EEENS1_30default_config_static_selectorELNS0_4arch9wavefront6targetE1EEEvT1_
; %bb.0:
	.section	.rodata,"a",@progbits
	.p2align	6, 0x0
	.amdhsa_kernel _ZN7rocprim17ROCPRIM_400000_NS6detail17trampoline_kernelINS0_14default_configENS1_25partition_config_selectorILNS1_17partition_subalgoE8EbNS0_10empty_typeEbEEZZNS1_14partition_implILS5_8ELb0ES3_jN6hipcub16HIPCUB_304000_NS22TransformInputIteratorIbN2at6native8internal12_GLOBAL__N_110LoadBoolOpEPKhlEEPS6_PKS6_NS0_5tupleIJPbS6_EEENSN_IJSK_SK_EEENS0_18inequality_wrapperINSA_8EqualityEEEPlJS6_EEE10hipError_tPvRmT3_T4_T5_T6_T7_T9_mT8_P12ihipStream_tbDpT10_ENKUlT_T0_E_clISt17integral_constantIbLb0EES1E_EEDaS19_S1A_EUlS19_E_NS1_11comp_targetILNS1_3genE2ELNS1_11target_archE906ELNS1_3gpuE6ELNS1_3repE0EEENS1_30default_config_static_selectorELNS0_4arch9wavefront6targetE1EEEvT1_
		.amdhsa_group_segment_fixed_size 0
		.amdhsa_private_segment_fixed_size 0
		.amdhsa_kernarg_size 120
		.amdhsa_user_sgpr_count 2
		.amdhsa_user_sgpr_dispatch_ptr 0
		.amdhsa_user_sgpr_queue_ptr 0
		.amdhsa_user_sgpr_kernarg_segment_ptr 1
		.amdhsa_user_sgpr_dispatch_id 0
		.amdhsa_user_sgpr_kernarg_preload_length 0
		.amdhsa_user_sgpr_kernarg_preload_offset 0
		.amdhsa_user_sgpr_private_segment_size 0
		.amdhsa_uses_dynamic_stack 0
		.amdhsa_enable_private_segment 0
		.amdhsa_system_sgpr_workgroup_id_x 1
		.amdhsa_system_sgpr_workgroup_id_y 0
		.amdhsa_system_sgpr_workgroup_id_z 0
		.amdhsa_system_sgpr_workgroup_info 0
		.amdhsa_system_vgpr_workitem_id 0
		.amdhsa_next_free_vgpr 1
		.amdhsa_next_free_sgpr 0
		.amdhsa_accum_offset 4
		.amdhsa_reserve_vcc 0
		.amdhsa_float_round_mode_32 0
		.amdhsa_float_round_mode_16_64 0
		.amdhsa_float_denorm_mode_32 3
		.amdhsa_float_denorm_mode_16_64 3
		.amdhsa_dx10_clamp 1
		.amdhsa_ieee_mode 1
		.amdhsa_fp16_overflow 0
		.amdhsa_tg_split 0
		.amdhsa_exception_fp_ieee_invalid_op 0
		.amdhsa_exception_fp_denorm_src 0
		.amdhsa_exception_fp_ieee_div_zero 0
		.amdhsa_exception_fp_ieee_overflow 0
		.amdhsa_exception_fp_ieee_underflow 0
		.amdhsa_exception_fp_ieee_inexact 0
		.amdhsa_exception_int_div_zero 0
	.end_amdhsa_kernel
	.section	.text._ZN7rocprim17ROCPRIM_400000_NS6detail17trampoline_kernelINS0_14default_configENS1_25partition_config_selectorILNS1_17partition_subalgoE8EbNS0_10empty_typeEbEEZZNS1_14partition_implILS5_8ELb0ES3_jN6hipcub16HIPCUB_304000_NS22TransformInputIteratorIbN2at6native8internal12_GLOBAL__N_110LoadBoolOpEPKhlEEPS6_PKS6_NS0_5tupleIJPbS6_EEENSN_IJSK_SK_EEENS0_18inequality_wrapperINSA_8EqualityEEEPlJS6_EEE10hipError_tPvRmT3_T4_T5_T6_T7_T9_mT8_P12ihipStream_tbDpT10_ENKUlT_T0_E_clISt17integral_constantIbLb0EES1E_EEDaS19_S1A_EUlS19_E_NS1_11comp_targetILNS1_3genE2ELNS1_11target_archE906ELNS1_3gpuE6ELNS1_3repE0EEENS1_30default_config_static_selectorELNS0_4arch9wavefront6targetE1EEEvT1_,"axG",@progbits,_ZN7rocprim17ROCPRIM_400000_NS6detail17trampoline_kernelINS0_14default_configENS1_25partition_config_selectorILNS1_17partition_subalgoE8EbNS0_10empty_typeEbEEZZNS1_14partition_implILS5_8ELb0ES3_jN6hipcub16HIPCUB_304000_NS22TransformInputIteratorIbN2at6native8internal12_GLOBAL__N_110LoadBoolOpEPKhlEEPS6_PKS6_NS0_5tupleIJPbS6_EEENSN_IJSK_SK_EEENS0_18inequality_wrapperINSA_8EqualityEEEPlJS6_EEE10hipError_tPvRmT3_T4_T5_T6_T7_T9_mT8_P12ihipStream_tbDpT10_ENKUlT_T0_E_clISt17integral_constantIbLb0EES1E_EEDaS19_S1A_EUlS19_E_NS1_11comp_targetILNS1_3genE2ELNS1_11target_archE906ELNS1_3gpuE6ELNS1_3repE0EEENS1_30default_config_static_selectorELNS0_4arch9wavefront6targetE1EEEvT1_,comdat
.Lfunc_end9:
	.size	_ZN7rocprim17ROCPRIM_400000_NS6detail17trampoline_kernelINS0_14default_configENS1_25partition_config_selectorILNS1_17partition_subalgoE8EbNS0_10empty_typeEbEEZZNS1_14partition_implILS5_8ELb0ES3_jN6hipcub16HIPCUB_304000_NS22TransformInputIteratorIbN2at6native8internal12_GLOBAL__N_110LoadBoolOpEPKhlEEPS6_PKS6_NS0_5tupleIJPbS6_EEENSN_IJSK_SK_EEENS0_18inequality_wrapperINSA_8EqualityEEEPlJS6_EEE10hipError_tPvRmT3_T4_T5_T6_T7_T9_mT8_P12ihipStream_tbDpT10_ENKUlT_T0_E_clISt17integral_constantIbLb0EES1E_EEDaS19_S1A_EUlS19_E_NS1_11comp_targetILNS1_3genE2ELNS1_11target_archE906ELNS1_3gpuE6ELNS1_3repE0EEENS1_30default_config_static_selectorELNS0_4arch9wavefront6targetE1EEEvT1_, .Lfunc_end9-_ZN7rocprim17ROCPRIM_400000_NS6detail17trampoline_kernelINS0_14default_configENS1_25partition_config_selectorILNS1_17partition_subalgoE8EbNS0_10empty_typeEbEEZZNS1_14partition_implILS5_8ELb0ES3_jN6hipcub16HIPCUB_304000_NS22TransformInputIteratorIbN2at6native8internal12_GLOBAL__N_110LoadBoolOpEPKhlEEPS6_PKS6_NS0_5tupleIJPbS6_EEENSN_IJSK_SK_EEENS0_18inequality_wrapperINSA_8EqualityEEEPlJS6_EEE10hipError_tPvRmT3_T4_T5_T6_T7_T9_mT8_P12ihipStream_tbDpT10_ENKUlT_T0_E_clISt17integral_constantIbLb0EES1E_EEDaS19_S1A_EUlS19_E_NS1_11comp_targetILNS1_3genE2ELNS1_11target_archE906ELNS1_3gpuE6ELNS1_3repE0EEENS1_30default_config_static_selectorELNS0_4arch9wavefront6targetE1EEEvT1_
                                        ; -- End function
	.section	.AMDGPU.csdata,"",@progbits
; Kernel info:
; codeLenInByte = 0
; NumSgprs: 6
; NumVgprs: 0
; NumAgprs: 0
; TotalNumVgprs: 0
; ScratchSize: 0
; MemoryBound: 0
; FloatMode: 240
; IeeeMode: 1
; LDSByteSize: 0 bytes/workgroup (compile time only)
; SGPRBlocks: 0
; VGPRBlocks: 0
; NumSGPRsForWavesPerEU: 6
; NumVGPRsForWavesPerEU: 1
; AccumOffset: 4
; Occupancy: 8
; WaveLimiterHint : 0
; COMPUTE_PGM_RSRC2:SCRATCH_EN: 0
; COMPUTE_PGM_RSRC2:USER_SGPR: 2
; COMPUTE_PGM_RSRC2:TRAP_HANDLER: 0
; COMPUTE_PGM_RSRC2:TGID_X_EN: 1
; COMPUTE_PGM_RSRC2:TGID_Y_EN: 0
; COMPUTE_PGM_RSRC2:TGID_Z_EN: 0
; COMPUTE_PGM_RSRC2:TIDIG_COMP_CNT: 0
; COMPUTE_PGM_RSRC3_GFX90A:ACCUM_OFFSET: 0
; COMPUTE_PGM_RSRC3_GFX90A:TG_SPLIT: 0
	.section	.text._ZN7rocprim17ROCPRIM_400000_NS6detail17trampoline_kernelINS0_14default_configENS1_25partition_config_selectorILNS1_17partition_subalgoE8EbNS0_10empty_typeEbEEZZNS1_14partition_implILS5_8ELb0ES3_jN6hipcub16HIPCUB_304000_NS22TransformInputIteratorIbN2at6native8internal12_GLOBAL__N_110LoadBoolOpEPKhlEEPS6_PKS6_NS0_5tupleIJPbS6_EEENSN_IJSK_SK_EEENS0_18inequality_wrapperINSA_8EqualityEEEPlJS6_EEE10hipError_tPvRmT3_T4_T5_T6_T7_T9_mT8_P12ihipStream_tbDpT10_ENKUlT_T0_E_clISt17integral_constantIbLb0EES1E_EEDaS19_S1A_EUlS19_E_NS1_11comp_targetILNS1_3genE10ELNS1_11target_archE1200ELNS1_3gpuE4ELNS1_3repE0EEENS1_30default_config_static_selectorELNS0_4arch9wavefront6targetE1EEEvT1_,"axG",@progbits,_ZN7rocprim17ROCPRIM_400000_NS6detail17trampoline_kernelINS0_14default_configENS1_25partition_config_selectorILNS1_17partition_subalgoE8EbNS0_10empty_typeEbEEZZNS1_14partition_implILS5_8ELb0ES3_jN6hipcub16HIPCUB_304000_NS22TransformInputIteratorIbN2at6native8internal12_GLOBAL__N_110LoadBoolOpEPKhlEEPS6_PKS6_NS0_5tupleIJPbS6_EEENSN_IJSK_SK_EEENS0_18inequality_wrapperINSA_8EqualityEEEPlJS6_EEE10hipError_tPvRmT3_T4_T5_T6_T7_T9_mT8_P12ihipStream_tbDpT10_ENKUlT_T0_E_clISt17integral_constantIbLb0EES1E_EEDaS19_S1A_EUlS19_E_NS1_11comp_targetILNS1_3genE10ELNS1_11target_archE1200ELNS1_3gpuE4ELNS1_3repE0EEENS1_30default_config_static_selectorELNS0_4arch9wavefront6targetE1EEEvT1_,comdat
	.globl	_ZN7rocprim17ROCPRIM_400000_NS6detail17trampoline_kernelINS0_14default_configENS1_25partition_config_selectorILNS1_17partition_subalgoE8EbNS0_10empty_typeEbEEZZNS1_14partition_implILS5_8ELb0ES3_jN6hipcub16HIPCUB_304000_NS22TransformInputIteratorIbN2at6native8internal12_GLOBAL__N_110LoadBoolOpEPKhlEEPS6_PKS6_NS0_5tupleIJPbS6_EEENSN_IJSK_SK_EEENS0_18inequality_wrapperINSA_8EqualityEEEPlJS6_EEE10hipError_tPvRmT3_T4_T5_T6_T7_T9_mT8_P12ihipStream_tbDpT10_ENKUlT_T0_E_clISt17integral_constantIbLb0EES1E_EEDaS19_S1A_EUlS19_E_NS1_11comp_targetILNS1_3genE10ELNS1_11target_archE1200ELNS1_3gpuE4ELNS1_3repE0EEENS1_30default_config_static_selectorELNS0_4arch9wavefront6targetE1EEEvT1_ ; -- Begin function _ZN7rocprim17ROCPRIM_400000_NS6detail17trampoline_kernelINS0_14default_configENS1_25partition_config_selectorILNS1_17partition_subalgoE8EbNS0_10empty_typeEbEEZZNS1_14partition_implILS5_8ELb0ES3_jN6hipcub16HIPCUB_304000_NS22TransformInputIteratorIbN2at6native8internal12_GLOBAL__N_110LoadBoolOpEPKhlEEPS6_PKS6_NS0_5tupleIJPbS6_EEENSN_IJSK_SK_EEENS0_18inequality_wrapperINSA_8EqualityEEEPlJS6_EEE10hipError_tPvRmT3_T4_T5_T6_T7_T9_mT8_P12ihipStream_tbDpT10_ENKUlT_T0_E_clISt17integral_constantIbLb0EES1E_EEDaS19_S1A_EUlS19_E_NS1_11comp_targetILNS1_3genE10ELNS1_11target_archE1200ELNS1_3gpuE4ELNS1_3repE0EEENS1_30default_config_static_selectorELNS0_4arch9wavefront6targetE1EEEvT1_
	.p2align	8
	.type	_ZN7rocprim17ROCPRIM_400000_NS6detail17trampoline_kernelINS0_14default_configENS1_25partition_config_selectorILNS1_17partition_subalgoE8EbNS0_10empty_typeEbEEZZNS1_14partition_implILS5_8ELb0ES3_jN6hipcub16HIPCUB_304000_NS22TransformInputIteratorIbN2at6native8internal12_GLOBAL__N_110LoadBoolOpEPKhlEEPS6_PKS6_NS0_5tupleIJPbS6_EEENSN_IJSK_SK_EEENS0_18inequality_wrapperINSA_8EqualityEEEPlJS6_EEE10hipError_tPvRmT3_T4_T5_T6_T7_T9_mT8_P12ihipStream_tbDpT10_ENKUlT_T0_E_clISt17integral_constantIbLb0EES1E_EEDaS19_S1A_EUlS19_E_NS1_11comp_targetILNS1_3genE10ELNS1_11target_archE1200ELNS1_3gpuE4ELNS1_3repE0EEENS1_30default_config_static_selectorELNS0_4arch9wavefront6targetE1EEEvT1_,@function
_ZN7rocprim17ROCPRIM_400000_NS6detail17trampoline_kernelINS0_14default_configENS1_25partition_config_selectorILNS1_17partition_subalgoE8EbNS0_10empty_typeEbEEZZNS1_14partition_implILS5_8ELb0ES3_jN6hipcub16HIPCUB_304000_NS22TransformInputIteratorIbN2at6native8internal12_GLOBAL__N_110LoadBoolOpEPKhlEEPS6_PKS6_NS0_5tupleIJPbS6_EEENSN_IJSK_SK_EEENS0_18inequality_wrapperINSA_8EqualityEEEPlJS6_EEE10hipError_tPvRmT3_T4_T5_T6_T7_T9_mT8_P12ihipStream_tbDpT10_ENKUlT_T0_E_clISt17integral_constantIbLb0EES1E_EEDaS19_S1A_EUlS19_E_NS1_11comp_targetILNS1_3genE10ELNS1_11target_archE1200ELNS1_3gpuE4ELNS1_3repE0EEENS1_30default_config_static_selectorELNS0_4arch9wavefront6targetE1EEEvT1_: ; @_ZN7rocprim17ROCPRIM_400000_NS6detail17trampoline_kernelINS0_14default_configENS1_25partition_config_selectorILNS1_17partition_subalgoE8EbNS0_10empty_typeEbEEZZNS1_14partition_implILS5_8ELb0ES3_jN6hipcub16HIPCUB_304000_NS22TransformInputIteratorIbN2at6native8internal12_GLOBAL__N_110LoadBoolOpEPKhlEEPS6_PKS6_NS0_5tupleIJPbS6_EEENSN_IJSK_SK_EEENS0_18inequality_wrapperINSA_8EqualityEEEPlJS6_EEE10hipError_tPvRmT3_T4_T5_T6_T7_T9_mT8_P12ihipStream_tbDpT10_ENKUlT_T0_E_clISt17integral_constantIbLb0EES1E_EEDaS19_S1A_EUlS19_E_NS1_11comp_targetILNS1_3genE10ELNS1_11target_archE1200ELNS1_3gpuE4ELNS1_3repE0EEENS1_30default_config_static_selectorELNS0_4arch9wavefront6targetE1EEEvT1_
; %bb.0:
	.section	.rodata,"a",@progbits
	.p2align	6, 0x0
	.amdhsa_kernel _ZN7rocprim17ROCPRIM_400000_NS6detail17trampoline_kernelINS0_14default_configENS1_25partition_config_selectorILNS1_17partition_subalgoE8EbNS0_10empty_typeEbEEZZNS1_14partition_implILS5_8ELb0ES3_jN6hipcub16HIPCUB_304000_NS22TransformInputIteratorIbN2at6native8internal12_GLOBAL__N_110LoadBoolOpEPKhlEEPS6_PKS6_NS0_5tupleIJPbS6_EEENSN_IJSK_SK_EEENS0_18inequality_wrapperINSA_8EqualityEEEPlJS6_EEE10hipError_tPvRmT3_T4_T5_T6_T7_T9_mT8_P12ihipStream_tbDpT10_ENKUlT_T0_E_clISt17integral_constantIbLb0EES1E_EEDaS19_S1A_EUlS19_E_NS1_11comp_targetILNS1_3genE10ELNS1_11target_archE1200ELNS1_3gpuE4ELNS1_3repE0EEENS1_30default_config_static_selectorELNS0_4arch9wavefront6targetE1EEEvT1_
		.amdhsa_group_segment_fixed_size 0
		.amdhsa_private_segment_fixed_size 0
		.amdhsa_kernarg_size 120
		.amdhsa_user_sgpr_count 2
		.amdhsa_user_sgpr_dispatch_ptr 0
		.amdhsa_user_sgpr_queue_ptr 0
		.amdhsa_user_sgpr_kernarg_segment_ptr 1
		.amdhsa_user_sgpr_dispatch_id 0
		.amdhsa_user_sgpr_kernarg_preload_length 0
		.amdhsa_user_sgpr_kernarg_preload_offset 0
		.amdhsa_user_sgpr_private_segment_size 0
		.amdhsa_uses_dynamic_stack 0
		.amdhsa_enable_private_segment 0
		.amdhsa_system_sgpr_workgroup_id_x 1
		.amdhsa_system_sgpr_workgroup_id_y 0
		.amdhsa_system_sgpr_workgroup_id_z 0
		.amdhsa_system_sgpr_workgroup_info 0
		.amdhsa_system_vgpr_workitem_id 0
		.amdhsa_next_free_vgpr 1
		.amdhsa_next_free_sgpr 0
		.amdhsa_accum_offset 4
		.amdhsa_reserve_vcc 0
		.amdhsa_float_round_mode_32 0
		.amdhsa_float_round_mode_16_64 0
		.amdhsa_float_denorm_mode_32 3
		.amdhsa_float_denorm_mode_16_64 3
		.amdhsa_dx10_clamp 1
		.amdhsa_ieee_mode 1
		.amdhsa_fp16_overflow 0
		.amdhsa_tg_split 0
		.amdhsa_exception_fp_ieee_invalid_op 0
		.amdhsa_exception_fp_denorm_src 0
		.amdhsa_exception_fp_ieee_div_zero 0
		.amdhsa_exception_fp_ieee_overflow 0
		.amdhsa_exception_fp_ieee_underflow 0
		.amdhsa_exception_fp_ieee_inexact 0
		.amdhsa_exception_int_div_zero 0
	.end_amdhsa_kernel
	.section	.text._ZN7rocprim17ROCPRIM_400000_NS6detail17trampoline_kernelINS0_14default_configENS1_25partition_config_selectorILNS1_17partition_subalgoE8EbNS0_10empty_typeEbEEZZNS1_14partition_implILS5_8ELb0ES3_jN6hipcub16HIPCUB_304000_NS22TransformInputIteratorIbN2at6native8internal12_GLOBAL__N_110LoadBoolOpEPKhlEEPS6_PKS6_NS0_5tupleIJPbS6_EEENSN_IJSK_SK_EEENS0_18inequality_wrapperINSA_8EqualityEEEPlJS6_EEE10hipError_tPvRmT3_T4_T5_T6_T7_T9_mT8_P12ihipStream_tbDpT10_ENKUlT_T0_E_clISt17integral_constantIbLb0EES1E_EEDaS19_S1A_EUlS19_E_NS1_11comp_targetILNS1_3genE10ELNS1_11target_archE1200ELNS1_3gpuE4ELNS1_3repE0EEENS1_30default_config_static_selectorELNS0_4arch9wavefront6targetE1EEEvT1_,"axG",@progbits,_ZN7rocprim17ROCPRIM_400000_NS6detail17trampoline_kernelINS0_14default_configENS1_25partition_config_selectorILNS1_17partition_subalgoE8EbNS0_10empty_typeEbEEZZNS1_14partition_implILS5_8ELb0ES3_jN6hipcub16HIPCUB_304000_NS22TransformInputIteratorIbN2at6native8internal12_GLOBAL__N_110LoadBoolOpEPKhlEEPS6_PKS6_NS0_5tupleIJPbS6_EEENSN_IJSK_SK_EEENS0_18inequality_wrapperINSA_8EqualityEEEPlJS6_EEE10hipError_tPvRmT3_T4_T5_T6_T7_T9_mT8_P12ihipStream_tbDpT10_ENKUlT_T0_E_clISt17integral_constantIbLb0EES1E_EEDaS19_S1A_EUlS19_E_NS1_11comp_targetILNS1_3genE10ELNS1_11target_archE1200ELNS1_3gpuE4ELNS1_3repE0EEENS1_30default_config_static_selectorELNS0_4arch9wavefront6targetE1EEEvT1_,comdat
.Lfunc_end10:
	.size	_ZN7rocprim17ROCPRIM_400000_NS6detail17trampoline_kernelINS0_14default_configENS1_25partition_config_selectorILNS1_17partition_subalgoE8EbNS0_10empty_typeEbEEZZNS1_14partition_implILS5_8ELb0ES3_jN6hipcub16HIPCUB_304000_NS22TransformInputIteratorIbN2at6native8internal12_GLOBAL__N_110LoadBoolOpEPKhlEEPS6_PKS6_NS0_5tupleIJPbS6_EEENSN_IJSK_SK_EEENS0_18inequality_wrapperINSA_8EqualityEEEPlJS6_EEE10hipError_tPvRmT3_T4_T5_T6_T7_T9_mT8_P12ihipStream_tbDpT10_ENKUlT_T0_E_clISt17integral_constantIbLb0EES1E_EEDaS19_S1A_EUlS19_E_NS1_11comp_targetILNS1_3genE10ELNS1_11target_archE1200ELNS1_3gpuE4ELNS1_3repE0EEENS1_30default_config_static_selectorELNS0_4arch9wavefront6targetE1EEEvT1_, .Lfunc_end10-_ZN7rocprim17ROCPRIM_400000_NS6detail17trampoline_kernelINS0_14default_configENS1_25partition_config_selectorILNS1_17partition_subalgoE8EbNS0_10empty_typeEbEEZZNS1_14partition_implILS5_8ELb0ES3_jN6hipcub16HIPCUB_304000_NS22TransformInputIteratorIbN2at6native8internal12_GLOBAL__N_110LoadBoolOpEPKhlEEPS6_PKS6_NS0_5tupleIJPbS6_EEENSN_IJSK_SK_EEENS0_18inequality_wrapperINSA_8EqualityEEEPlJS6_EEE10hipError_tPvRmT3_T4_T5_T6_T7_T9_mT8_P12ihipStream_tbDpT10_ENKUlT_T0_E_clISt17integral_constantIbLb0EES1E_EEDaS19_S1A_EUlS19_E_NS1_11comp_targetILNS1_3genE10ELNS1_11target_archE1200ELNS1_3gpuE4ELNS1_3repE0EEENS1_30default_config_static_selectorELNS0_4arch9wavefront6targetE1EEEvT1_
                                        ; -- End function
	.section	.AMDGPU.csdata,"",@progbits
; Kernel info:
; codeLenInByte = 0
; NumSgprs: 6
; NumVgprs: 0
; NumAgprs: 0
; TotalNumVgprs: 0
; ScratchSize: 0
; MemoryBound: 0
; FloatMode: 240
; IeeeMode: 1
; LDSByteSize: 0 bytes/workgroup (compile time only)
; SGPRBlocks: 0
; VGPRBlocks: 0
; NumSGPRsForWavesPerEU: 6
; NumVGPRsForWavesPerEU: 1
; AccumOffset: 4
; Occupancy: 8
; WaveLimiterHint : 0
; COMPUTE_PGM_RSRC2:SCRATCH_EN: 0
; COMPUTE_PGM_RSRC2:USER_SGPR: 2
; COMPUTE_PGM_RSRC2:TRAP_HANDLER: 0
; COMPUTE_PGM_RSRC2:TGID_X_EN: 1
; COMPUTE_PGM_RSRC2:TGID_Y_EN: 0
; COMPUTE_PGM_RSRC2:TGID_Z_EN: 0
; COMPUTE_PGM_RSRC2:TIDIG_COMP_CNT: 0
; COMPUTE_PGM_RSRC3_GFX90A:ACCUM_OFFSET: 0
; COMPUTE_PGM_RSRC3_GFX90A:TG_SPLIT: 0
	.section	.text._ZN7rocprim17ROCPRIM_400000_NS6detail17trampoline_kernelINS0_14default_configENS1_25partition_config_selectorILNS1_17partition_subalgoE8EbNS0_10empty_typeEbEEZZNS1_14partition_implILS5_8ELb0ES3_jN6hipcub16HIPCUB_304000_NS22TransformInputIteratorIbN2at6native8internal12_GLOBAL__N_110LoadBoolOpEPKhlEEPS6_PKS6_NS0_5tupleIJPbS6_EEENSN_IJSK_SK_EEENS0_18inequality_wrapperINSA_8EqualityEEEPlJS6_EEE10hipError_tPvRmT3_T4_T5_T6_T7_T9_mT8_P12ihipStream_tbDpT10_ENKUlT_T0_E_clISt17integral_constantIbLb0EES1E_EEDaS19_S1A_EUlS19_E_NS1_11comp_targetILNS1_3genE9ELNS1_11target_archE1100ELNS1_3gpuE3ELNS1_3repE0EEENS1_30default_config_static_selectorELNS0_4arch9wavefront6targetE1EEEvT1_,"axG",@progbits,_ZN7rocprim17ROCPRIM_400000_NS6detail17trampoline_kernelINS0_14default_configENS1_25partition_config_selectorILNS1_17partition_subalgoE8EbNS0_10empty_typeEbEEZZNS1_14partition_implILS5_8ELb0ES3_jN6hipcub16HIPCUB_304000_NS22TransformInputIteratorIbN2at6native8internal12_GLOBAL__N_110LoadBoolOpEPKhlEEPS6_PKS6_NS0_5tupleIJPbS6_EEENSN_IJSK_SK_EEENS0_18inequality_wrapperINSA_8EqualityEEEPlJS6_EEE10hipError_tPvRmT3_T4_T5_T6_T7_T9_mT8_P12ihipStream_tbDpT10_ENKUlT_T0_E_clISt17integral_constantIbLb0EES1E_EEDaS19_S1A_EUlS19_E_NS1_11comp_targetILNS1_3genE9ELNS1_11target_archE1100ELNS1_3gpuE3ELNS1_3repE0EEENS1_30default_config_static_selectorELNS0_4arch9wavefront6targetE1EEEvT1_,comdat
	.globl	_ZN7rocprim17ROCPRIM_400000_NS6detail17trampoline_kernelINS0_14default_configENS1_25partition_config_selectorILNS1_17partition_subalgoE8EbNS0_10empty_typeEbEEZZNS1_14partition_implILS5_8ELb0ES3_jN6hipcub16HIPCUB_304000_NS22TransformInputIteratorIbN2at6native8internal12_GLOBAL__N_110LoadBoolOpEPKhlEEPS6_PKS6_NS0_5tupleIJPbS6_EEENSN_IJSK_SK_EEENS0_18inequality_wrapperINSA_8EqualityEEEPlJS6_EEE10hipError_tPvRmT3_T4_T5_T6_T7_T9_mT8_P12ihipStream_tbDpT10_ENKUlT_T0_E_clISt17integral_constantIbLb0EES1E_EEDaS19_S1A_EUlS19_E_NS1_11comp_targetILNS1_3genE9ELNS1_11target_archE1100ELNS1_3gpuE3ELNS1_3repE0EEENS1_30default_config_static_selectorELNS0_4arch9wavefront6targetE1EEEvT1_ ; -- Begin function _ZN7rocprim17ROCPRIM_400000_NS6detail17trampoline_kernelINS0_14default_configENS1_25partition_config_selectorILNS1_17partition_subalgoE8EbNS0_10empty_typeEbEEZZNS1_14partition_implILS5_8ELb0ES3_jN6hipcub16HIPCUB_304000_NS22TransformInputIteratorIbN2at6native8internal12_GLOBAL__N_110LoadBoolOpEPKhlEEPS6_PKS6_NS0_5tupleIJPbS6_EEENSN_IJSK_SK_EEENS0_18inequality_wrapperINSA_8EqualityEEEPlJS6_EEE10hipError_tPvRmT3_T4_T5_T6_T7_T9_mT8_P12ihipStream_tbDpT10_ENKUlT_T0_E_clISt17integral_constantIbLb0EES1E_EEDaS19_S1A_EUlS19_E_NS1_11comp_targetILNS1_3genE9ELNS1_11target_archE1100ELNS1_3gpuE3ELNS1_3repE0EEENS1_30default_config_static_selectorELNS0_4arch9wavefront6targetE1EEEvT1_
	.p2align	8
	.type	_ZN7rocprim17ROCPRIM_400000_NS6detail17trampoline_kernelINS0_14default_configENS1_25partition_config_selectorILNS1_17partition_subalgoE8EbNS0_10empty_typeEbEEZZNS1_14partition_implILS5_8ELb0ES3_jN6hipcub16HIPCUB_304000_NS22TransformInputIteratorIbN2at6native8internal12_GLOBAL__N_110LoadBoolOpEPKhlEEPS6_PKS6_NS0_5tupleIJPbS6_EEENSN_IJSK_SK_EEENS0_18inequality_wrapperINSA_8EqualityEEEPlJS6_EEE10hipError_tPvRmT3_T4_T5_T6_T7_T9_mT8_P12ihipStream_tbDpT10_ENKUlT_T0_E_clISt17integral_constantIbLb0EES1E_EEDaS19_S1A_EUlS19_E_NS1_11comp_targetILNS1_3genE9ELNS1_11target_archE1100ELNS1_3gpuE3ELNS1_3repE0EEENS1_30default_config_static_selectorELNS0_4arch9wavefront6targetE1EEEvT1_,@function
_ZN7rocprim17ROCPRIM_400000_NS6detail17trampoline_kernelINS0_14default_configENS1_25partition_config_selectorILNS1_17partition_subalgoE8EbNS0_10empty_typeEbEEZZNS1_14partition_implILS5_8ELb0ES3_jN6hipcub16HIPCUB_304000_NS22TransformInputIteratorIbN2at6native8internal12_GLOBAL__N_110LoadBoolOpEPKhlEEPS6_PKS6_NS0_5tupleIJPbS6_EEENSN_IJSK_SK_EEENS0_18inequality_wrapperINSA_8EqualityEEEPlJS6_EEE10hipError_tPvRmT3_T4_T5_T6_T7_T9_mT8_P12ihipStream_tbDpT10_ENKUlT_T0_E_clISt17integral_constantIbLb0EES1E_EEDaS19_S1A_EUlS19_E_NS1_11comp_targetILNS1_3genE9ELNS1_11target_archE1100ELNS1_3gpuE3ELNS1_3repE0EEENS1_30default_config_static_selectorELNS0_4arch9wavefront6targetE1EEEvT1_: ; @_ZN7rocprim17ROCPRIM_400000_NS6detail17trampoline_kernelINS0_14default_configENS1_25partition_config_selectorILNS1_17partition_subalgoE8EbNS0_10empty_typeEbEEZZNS1_14partition_implILS5_8ELb0ES3_jN6hipcub16HIPCUB_304000_NS22TransformInputIteratorIbN2at6native8internal12_GLOBAL__N_110LoadBoolOpEPKhlEEPS6_PKS6_NS0_5tupleIJPbS6_EEENSN_IJSK_SK_EEENS0_18inequality_wrapperINSA_8EqualityEEEPlJS6_EEE10hipError_tPvRmT3_T4_T5_T6_T7_T9_mT8_P12ihipStream_tbDpT10_ENKUlT_T0_E_clISt17integral_constantIbLb0EES1E_EEDaS19_S1A_EUlS19_E_NS1_11comp_targetILNS1_3genE9ELNS1_11target_archE1100ELNS1_3gpuE3ELNS1_3repE0EEENS1_30default_config_static_selectorELNS0_4arch9wavefront6targetE1EEEvT1_
; %bb.0:
	.section	.rodata,"a",@progbits
	.p2align	6, 0x0
	.amdhsa_kernel _ZN7rocprim17ROCPRIM_400000_NS6detail17trampoline_kernelINS0_14default_configENS1_25partition_config_selectorILNS1_17partition_subalgoE8EbNS0_10empty_typeEbEEZZNS1_14partition_implILS5_8ELb0ES3_jN6hipcub16HIPCUB_304000_NS22TransformInputIteratorIbN2at6native8internal12_GLOBAL__N_110LoadBoolOpEPKhlEEPS6_PKS6_NS0_5tupleIJPbS6_EEENSN_IJSK_SK_EEENS0_18inequality_wrapperINSA_8EqualityEEEPlJS6_EEE10hipError_tPvRmT3_T4_T5_T6_T7_T9_mT8_P12ihipStream_tbDpT10_ENKUlT_T0_E_clISt17integral_constantIbLb0EES1E_EEDaS19_S1A_EUlS19_E_NS1_11comp_targetILNS1_3genE9ELNS1_11target_archE1100ELNS1_3gpuE3ELNS1_3repE0EEENS1_30default_config_static_selectorELNS0_4arch9wavefront6targetE1EEEvT1_
		.amdhsa_group_segment_fixed_size 0
		.amdhsa_private_segment_fixed_size 0
		.amdhsa_kernarg_size 120
		.amdhsa_user_sgpr_count 2
		.amdhsa_user_sgpr_dispatch_ptr 0
		.amdhsa_user_sgpr_queue_ptr 0
		.amdhsa_user_sgpr_kernarg_segment_ptr 1
		.amdhsa_user_sgpr_dispatch_id 0
		.amdhsa_user_sgpr_kernarg_preload_length 0
		.amdhsa_user_sgpr_kernarg_preload_offset 0
		.amdhsa_user_sgpr_private_segment_size 0
		.amdhsa_uses_dynamic_stack 0
		.amdhsa_enable_private_segment 0
		.amdhsa_system_sgpr_workgroup_id_x 1
		.amdhsa_system_sgpr_workgroup_id_y 0
		.amdhsa_system_sgpr_workgroup_id_z 0
		.amdhsa_system_sgpr_workgroup_info 0
		.amdhsa_system_vgpr_workitem_id 0
		.amdhsa_next_free_vgpr 1
		.amdhsa_next_free_sgpr 0
		.amdhsa_accum_offset 4
		.amdhsa_reserve_vcc 0
		.amdhsa_float_round_mode_32 0
		.amdhsa_float_round_mode_16_64 0
		.amdhsa_float_denorm_mode_32 3
		.amdhsa_float_denorm_mode_16_64 3
		.amdhsa_dx10_clamp 1
		.amdhsa_ieee_mode 1
		.amdhsa_fp16_overflow 0
		.amdhsa_tg_split 0
		.amdhsa_exception_fp_ieee_invalid_op 0
		.amdhsa_exception_fp_denorm_src 0
		.amdhsa_exception_fp_ieee_div_zero 0
		.amdhsa_exception_fp_ieee_overflow 0
		.amdhsa_exception_fp_ieee_underflow 0
		.amdhsa_exception_fp_ieee_inexact 0
		.amdhsa_exception_int_div_zero 0
	.end_amdhsa_kernel
	.section	.text._ZN7rocprim17ROCPRIM_400000_NS6detail17trampoline_kernelINS0_14default_configENS1_25partition_config_selectorILNS1_17partition_subalgoE8EbNS0_10empty_typeEbEEZZNS1_14partition_implILS5_8ELb0ES3_jN6hipcub16HIPCUB_304000_NS22TransformInputIteratorIbN2at6native8internal12_GLOBAL__N_110LoadBoolOpEPKhlEEPS6_PKS6_NS0_5tupleIJPbS6_EEENSN_IJSK_SK_EEENS0_18inequality_wrapperINSA_8EqualityEEEPlJS6_EEE10hipError_tPvRmT3_T4_T5_T6_T7_T9_mT8_P12ihipStream_tbDpT10_ENKUlT_T0_E_clISt17integral_constantIbLb0EES1E_EEDaS19_S1A_EUlS19_E_NS1_11comp_targetILNS1_3genE9ELNS1_11target_archE1100ELNS1_3gpuE3ELNS1_3repE0EEENS1_30default_config_static_selectorELNS0_4arch9wavefront6targetE1EEEvT1_,"axG",@progbits,_ZN7rocprim17ROCPRIM_400000_NS6detail17trampoline_kernelINS0_14default_configENS1_25partition_config_selectorILNS1_17partition_subalgoE8EbNS0_10empty_typeEbEEZZNS1_14partition_implILS5_8ELb0ES3_jN6hipcub16HIPCUB_304000_NS22TransformInputIteratorIbN2at6native8internal12_GLOBAL__N_110LoadBoolOpEPKhlEEPS6_PKS6_NS0_5tupleIJPbS6_EEENSN_IJSK_SK_EEENS0_18inequality_wrapperINSA_8EqualityEEEPlJS6_EEE10hipError_tPvRmT3_T4_T5_T6_T7_T9_mT8_P12ihipStream_tbDpT10_ENKUlT_T0_E_clISt17integral_constantIbLb0EES1E_EEDaS19_S1A_EUlS19_E_NS1_11comp_targetILNS1_3genE9ELNS1_11target_archE1100ELNS1_3gpuE3ELNS1_3repE0EEENS1_30default_config_static_selectorELNS0_4arch9wavefront6targetE1EEEvT1_,comdat
.Lfunc_end11:
	.size	_ZN7rocprim17ROCPRIM_400000_NS6detail17trampoline_kernelINS0_14default_configENS1_25partition_config_selectorILNS1_17partition_subalgoE8EbNS0_10empty_typeEbEEZZNS1_14partition_implILS5_8ELb0ES3_jN6hipcub16HIPCUB_304000_NS22TransformInputIteratorIbN2at6native8internal12_GLOBAL__N_110LoadBoolOpEPKhlEEPS6_PKS6_NS0_5tupleIJPbS6_EEENSN_IJSK_SK_EEENS0_18inequality_wrapperINSA_8EqualityEEEPlJS6_EEE10hipError_tPvRmT3_T4_T5_T6_T7_T9_mT8_P12ihipStream_tbDpT10_ENKUlT_T0_E_clISt17integral_constantIbLb0EES1E_EEDaS19_S1A_EUlS19_E_NS1_11comp_targetILNS1_3genE9ELNS1_11target_archE1100ELNS1_3gpuE3ELNS1_3repE0EEENS1_30default_config_static_selectorELNS0_4arch9wavefront6targetE1EEEvT1_, .Lfunc_end11-_ZN7rocprim17ROCPRIM_400000_NS6detail17trampoline_kernelINS0_14default_configENS1_25partition_config_selectorILNS1_17partition_subalgoE8EbNS0_10empty_typeEbEEZZNS1_14partition_implILS5_8ELb0ES3_jN6hipcub16HIPCUB_304000_NS22TransformInputIteratorIbN2at6native8internal12_GLOBAL__N_110LoadBoolOpEPKhlEEPS6_PKS6_NS0_5tupleIJPbS6_EEENSN_IJSK_SK_EEENS0_18inequality_wrapperINSA_8EqualityEEEPlJS6_EEE10hipError_tPvRmT3_T4_T5_T6_T7_T9_mT8_P12ihipStream_tbDpT10_ENKUlT_T0_E_clISt17integral_constantIbLb0EES1E_EEDaS19_S1A_EUlS19_E_NS1_11comp_targetILNS1_3genE9ELNS1_11target_archE1100ELNS1_3gpuE3ELNS1_3repE0EEENS1_30default_config_static_selectorELNS0_4arch9wavefront6targetE1EEEvT1_
                                        ; -- End function
	.section	.AMDGPU.csdata,"",@progbits
; Kernel info:
; codeLenInByte = 0
; NumSgprs: 6
; NumVgprs: 0
; NumAgprs: 0
; TotalNumVgprs: 0
; ScratchSize: 0
; MemoryBound: 0
; FloatMode: 240
; IeeeMode: 1
; LDSByteSize: 0 bytes/workgroup (compile time only)
; SGPRBlocks: 0
; VGPRBlocks: 0
; NumSGPRsForWavesPerEU: 6
; NumVGPRsForWavesPerEU: 1
; AccumOffset: 4
; Occupancy: 8
; WaveLimiterHint : 0
; COMPUTE_PGM_RSRC2:SCRATCH_EN: 0
; COMPUTE_PGM_RSRC2:USER_SGPR: 2
; COMPUTE_PGM_RSRC2:TRAP_HANDLER: 0
; COMPUTE_PGM_RSRC2:TGID_X_EN: 1
; COMPUTE_PGM_RSRC2:TGID_Y_EN: 0
; COMPUTE_PGM_RSRC2:TGID_Z_EN: 0
; COMPUTE_PGM_RSRC2:TIDIG_COMP_CNT: 0
; COMPUTE_PGM_RSRC3_GFX90A:ACCUM_OFFSET: 0
; COMPUTE_PGM_RSRC3_GFX90A:TG_SPLIT: 0
	.section	.text._ZN7rocprim17ROCPRIM_400000_NS6detail17trampoline_kernelINS0_14default_configENS1_25partition_config_selectorILNS1_17partition_subalgoE8EbNS0_10empty_typeEbEEZZNS1_14partition_implILS5_8ELb0ES3_jN6hipcub16HIPCUB_304000_NS22TransformInputIteratorIbN2at6native8internal12_GLOBAL__N_110LoadBoolOpEPKhlEEPS6_PKS6_NS0_5tupleIJPbS6_EEENSN_IJSK_SK_EEENS0_18inequality_wrapperINSA_8EqualityEEEPlJS6_EEE10hipError_tPvRmT3_T4_T5_T6_T7_T9_mT8_P12ihipStream_tbDpT10_ENKUlT_T0_E_clISt17integral_constantIbLb0EES1E_EEDaS19_S1A_EUlS19_E_NS1_11comp_targetILNS1_3genE8ELNS1_11target_archE1030ELNS1_3gpuE2ELNS1_3repE0EEENS1_30default_config_static_selectorELNS0_4arch9wavefront6targetE1EEEvT1_,"axG",@progbits,_ZN7rocprim17ROCPRIM_400000_NS6detail17trampoline_kernelINS0_14default_configENS1_25partition_config_selectorILNS1_17partition_subalgoE8EbNS0_10empty_typeEbEEZZNS1_14partition_implILS5_8ELb0ES3_jN6hipcub16HIPCUB_304000_NS22TransformInputIteratorIbN2at6native8internal12_GLOBAL__N_110LoadBoolOpEPKhlEEPS6_PKS6_NS0_5tupleIJPbS6_EEENSN_IJSK_SK_EEENS0_18inequality_wrapperINSA_8EqualityEEEPlJS6_EEE10hipError_tPvRmT3_T4_T5_T6_T7_T9_mT8_P12ihipStream_tbDpT10_ENKUlT_T0_E_clISt17integral_constantIbLb0EES1E_EEDaS19_S1A_EUlS19_E_NS1_11comp_targetILNS1_3genE8ELNS1_11target_archE1030ELNS1_3gpuE2ELNS1_3repE0EEENS1_30default_config_static_selectorELNS0_4arch9wavefront6targetE1EEEvT1_,comdat
	.globl	_ZN7rocprim17ROCPRIM_400000_NS6detail17trampoline_kernelINS0_14default_configENS1_25partition_config_selectorILNS1_17partition_subalgoE8EbNS0_10empty_typeEbEEZZNS1_14partition_implILS5_8ELb0ES3_jN6hipcub16HIPCUB_304000_NS22TransformInputIteratorIbN2at6native8internal12_GLOBAL__N_110LoadBoolOpEPKhlEEPS6_PKS6_NS0_5tupleIJPbS6_EEENSN_IJSK_SK_EEENS0_18inequality_wrapperINSA_8EqualityEEEPlJS6_EEE10hipError_tPvRmT3_T4_T5_T6_T7_T9_mT8_P12ihipStream_tbDpT10_ENKUlT_T0_E_clISt17integral_constantIbLb0EES1E_EEDaS19_S1A_EUlS19_E_NS1_11comp_targetILNS1_3genE8ELNS1_11target_archE1030ELNS1_3gpuE2ELNS1_3repE0EEENS1_30default_config_static_selectorELNS0_4arch9wavefront6targetE1EEEvT1_ ; -- Begin function _ZN7rocprim17ROCPRIM_400000_NS6detail17trampoline_kernelINS0_14default_configENS1_25partition_config_selectorILNS1_17partition_subalgoE8EbNS0_10empty_typeEbEEZZNS1_14partition_implILS5_8ELb0ES3_jN6hipcub16HIPCUB_304000_NS22TransformInputIteratorIbN2at6native8internal12_GLOBAL__N_110LoadBoolOpEPKhlEEPS6_PKS6_NS0_5tupleIJPbS6_EEENSN_IJSK_SK_EEENS0_18inequality_wrapperINSA_8EqualityEEEPlJS6_EEE10hipError_tPvRmT3_T4_T5_T6_T7_T9_mT8_P12ihipStream_tbDpT10_ENKUlT_T0_E_clISt17integral_constantIbLb0EES1E_EEDaS19_S1A_EUlS19_E_NS1_11comp_targetILNS1_3genE8ELNS1_11target_archE1030ELNS1_3gpuE2ELNS1_3repE0EEENS1_30default_config_static_selectorELNS0_4arch9wavefront6targetE1EEEvT1_
	.p2align	8
	.type	_ZN7rocprim17ROCPRIM_400000_NS6detail17trampoline_kernelINS0_14default_configENS1_25partition_config_selectorILNS1_17partition_subalgoE8EbNS0_10empty_typeEbEEZZNS1_14partition_implILS5_8ELb0ES3_jN6hipcub16HIPCUB_304000_NS22TransformInputIteratorIbN2at6native8internal12_GLOBAL__N_110LoadBoolOpEPKhlEEPS6_PKS6_NS0_5tupleIJPbS6_EEENSN_IJSK_SK_EEENS0_18inequality_wrapperINSA_8EqualityEEEPlJS6_EEE10hipError_tPvRmT3_T4_T5_T6_T7_T9_mT8_P12ihipStream_tbDpT10_ENKUlT_T0_E_clISt17integral_constantIbLb0EES1E_EEDaS19_S1A_EUlS19_E_NS1_11comp_targetILNS1_3genE8ELNS1_11target_archE1030ELNS1_3gpuE2ELNS1_3repE0EEENS1_30default_config_static_selectorELNS0_4arch9wavefront6targetE1EEEvT1_,@function
_ZN7rocprim17ROCPRIM_400000_NS6detail17trampoline_kernelINS0_14default_configENS1_25partition_config_selectorILNS1_17partition_subalgoE8EbNS0_10empty_typeEbEEZZNS1_14partition_implILS5_8ELb0ES3_jN6hipcub16HIPCUB_304000_NS22TransformInputIteratorIbN2at6native8internal12_GLOBAL__N_110LoadBoolOpEPKhlEEPS6_PKS6_NS0_5tupleIJPbS6_EEENSN_IJSK_SK_EEENS0_18inequality_wrapperINSA_8EqualityEEEPlJS6_EEE10hipError_tPvRmT3_T4_T5_T6_T7_T9_mT8_P12ihipStream_tbDpT10_ENKUlT_T0_E_clISt17integral_constantIbLb0EES1E_EEDaS19_S1A_EUlS19_E_NS1_11comp_targetILNS1_3genE8ELNS1_11target_archE1030ELNS1_3gpuE2ELNS1_3repE0EEENS1_30default_config_static_selectorELNS0_4arch9wavefront6targetE1EEEvT1_: ; @_ZN7rocprim17ROCPRIM_400000_NS6detail17trampoline_kernelINS0_14default_configENS1_25partition_config_selectorILNS1_17partition_subalgoE8EbNS0_10empty_typeEbEEZZNS1_14partition_implILS5_8ELb0ES3_jN6hipcub16HIPCUB_304000_NS22TransformInputIteratorIbN2at6native8internal12_GLOBAL__N_110LoadBoolOpEPKhlEEPS6_PKS6_NS0_5tupleIJPbS6_EEENSN_IJSK_SK_EEENS0_18inequality_wrapperINSA_8EqualityEEEPlJS6_EEE10hipError_tPvRmT3_T4_T5_T6_T7_T9_mT8_P12ihipStream_tbDpT10_ENKUlT_T0_E_clISt17integral_constantIbLb0EES1E_EEDaS19_S1A_EUlS19_E_NS1_11comp_targetILNS1_3genE8ELNS1_11target_archE1030ELNS1_3gpuE2ELNS1_3repE0EEENS1_30default_config_static_selectorELNS0_4arch9wavefront6targetE1EEEvT1_
; %bb.0:
	.section	.rodata,"a",@progbits
	.p2align	6, 0x0
	.amdhsa_kernel _ZN7rocprim17ROCPRIM_400000_NS6detail17trampoline_kernelINS0_14default_configENS1_25partition_config_selectorILNS1_17partition_subalgoE8EbNS0_10empty_typeEbEEZZNS1_14partition_implILS5_8ELb0ES3_jN6hipcub16HIPCUB_304000_NS22TransformInputIteratorIbN2at6native8internal12_GLOBAL__N_110LoadBoolOpEPKhlEEPS6_PKS6_NS0_5tupleIJPbS6_EEENSN_IJSK_SK_EEENS0_18inequality_wrapperINSA_8EqualityEEEPlJS6_EEE10hipError_tPvRmT3_T4_T5_T6_T7_T9_mT8_P12ihipStream_tbDpT10_ENKUlT_T0_E_clISt17integral_constantIbLb0EES1E_EEDaS19_S1A_EUlS19_E_NS1_11comp_targetILNS1_3genE8ELNS1_11target_archE1030ELNS1_3gpuE2ELNS1_3repE0EEENS1_30default_config_static_selectorELNS0_4arch9wavefront6targetE1EEEvT1_
		.amdhsa_group_segment_fixed_size 0
		.amdhsa_private_segment_fixed_size 0
		.amdhsa_kernarg_size 120
		.amdhsa_user_sgpr_count 2
		.amdhsa_user_sgpr_dispatch_ptr 0
		.amdhsa_user_sgpr_queue_ptr 0
		.amdhsa_user_sgpr_kernarg_segment_ptr 1
		.amdhsa_user_sgpr_dispatch_id 0
		.amdhsa_user_sgpr_kernarg_preload_length 0
		.amdhsa_user_sgpr_kernarg_preload_offset 0
		.amdhsa_user_sgpr_private_segment_size 0
		.amdhsa_uses_dynamic_stack 0
		.amdhsa_enable_private_segment 0
		.amdhsa_system_sgpr_workgroup_id_x 1
		.amdhsa_system_sgpr_workgroup_id_y 0
		.amdhsa_system_sgpr_workgroup_id_z 0
		.amdhsa_system_sgpr_workgroup_info 0
		.amdhsa_system_vgpr_workitem_id 0
		.amdhsa_next_free_vgpr 1
		.amdhsa_next_free_sgpr 0
		.amdhsa_accum_offset 4
		.amdhsa_reserve_vcc 0
		.amdhsa_float_round_mode_32 0
		.amdhsa_float_round_mode_16_64 0
		.amdhsa_float_denorm_mode_32 3
		.amdhsa_float_denorm_mode_16_64 3
		.amdhsa_dx10_clamp 1
		.amdhsa_ieee_mode 1
		.amdhsa_fp16_overflow 0
		.amdhsa_tg_split 0
		.amdhsa_exception_fp_ieee_invalid_op 0
		.amdhsa_exception_fp_denorm_src 0
		.amdhsa_exception_fp_ieee_div_zero 0
		.amdhsa_exception_fp_ieee_overflow 0
		.amdhsa_exception_fp_ieee_underflow 0
		.amdhsa_exception_fp_ieee_inexact 0
		.amdhsa_exception_int_div_zero 0
	.end_amdhsa_kernel
	.section	.text._ZN7rocprim17ROCPRIM_400000_NS6detail17trampoline_kernelINS0_14default_configENS1_25partition_config_selectorILNS1_17partition_subalgoE8EbNS0_10empty_typeEbEEZZNS1_14partition_implILS5_8ELb0ES3_jN6hipcub16HIPCUB_304000_NS22TransformInputIteratorIbN2at6native8internal12_GLOBAL__N_110LoadBoolOpEPKhlEEPS6_PKS6_NS0_5tupleIJPbS6_EEENSN_IJSK_SK_EEENS0_18inequality_wrapperINSA_8EqualityEEEPlJS6_EEE10hipError_tPvRmT3_T4_T5_T6_T7_T9_mT8_P12ihipStream_tbDpT10_ENKUlT_T0_E_clISt17integral_constantIbLb0EES1E_EEDaS19_S1A_EUlS19_E_NS1_11comp_targetILNS1_3genE8ELNS1_11target_archE1030ELNS1_3gpuE2ELNS1_3repE0EEENS1_30default_config_static_selectorELNS0_4arch9wavefront6targetE1EEEvT1_,"axG",@progbits,_ZN7rocprim17ROCPRIM_400000_NS6detail17trampoline_kernelINS0_14default_configENS1_25partition_config_selectorILNS1_17partition_subalgoE8EbNS0_10empty_typeEbEEZZNS1_14partition_implILS5_8ELb0ES3_jN6hipcub16HIPCUB_304000_NS22TransformInputIteratorIbN2at6native8internal12_GLOBAL__N_110LoadBoolOpEPKhlEEPS6_PKS6_NS0_5tupleIJPbS6_EEENSN_IJSK_SK_EEENS0_18inequality_wrapperINSA_8EqualityEEEPlJS6_EEE10hipError_tPvRmT3_T4_T5_T6_T7_T9_mT8_P12ihipStream_tbDpT10_ENKUlT_T0_E_clISt17integral_constantIbLb0EES1E_EEDaS19_S1A_EUlS19_E_NS1_11comp_targetILNS1_3genE8ELNS1_11target_archE1030ELNS1_3gpuE2ELNS1_3repE0EEENS1_30default_config_static_selectorELNS0_4arch9wavefront6targetE1EEEvT1_,comdat
.Lfunc_end12:
	.size	_ZN7rocprim17ROCPRIM_400000_NS6detail17trampoline_kernelINS0_14default_configENS1_25partition_config_selectorILNS1_17partition_subalgoE8EbNS0_10empty_typeEbEEZZNS1_14partition_implILS5_8ELb0ES3_jN6hipcub16HIPCUB_304000_NS22TransformInputIteratorIbN2at6native8internal12_GLOBAL__N_110LoadBoolOpEPKhlEEPS6_PKS6_NS0_5tupleIJPbS6_EEENSN_IJSK_SK_EEENS0_18inequality_wrapperINSA_8EqualityEEEPlJS6_EEE10hipError_tPvRmT3_T4_T5_T6_T7_T9_mT8_P12ihipStream_tbDpT10_ENKUlT_T0_E_clISt17integral_constantIbLb0EES1E_EEDaS19_S1A_EUlS19_E_NS1_11comp_targetILNS1_3genE8ELNS1_11target_archE1030ELNS1_3gpuE2ELNS1_3repE0EEENS1_30default_config_static_selectorELNS0_4arch9wavefront6targetE1EEEvT1_, .Lfunc_end12-_ZN7rocprim17ROCPRIM_400000_NS6detail17trampoline_kernelINS0_14default_configENS1_25partition_config_selectorILNS1_17partition_subalgoE8EbNS0_10empty_typeEbEEZZNS1_14partition_implILS5_8ELb0ES3_jN6hipcub16HIPCUB_304000_NS22TransformInputIteratorIbN2at6native8internal12_GLOBAL__N_110LoadBoolOpEPKhlEEPS6_PKS6_NS0_5tupleIJPbS6_EEENSN_IJSK_SK_EEENS0_18inequality_wrapperINSA_8EqualityEEEPlJS6_EEE10hipError_tPvRmT3_T4_T5_T6_T7_T9_mT8_P12ihipStream_tbDpT10_ENKUlT_T0_E_clISt17integral_constantIbLb0EES1E_EEDaS19_S1A_EUlS19_E_NS1_11comp_targetILNS1_3genE8ELNS1_11target_archE1030ELNS1_3gpuE2ELNS1_3repE0EEENS1_30default_config_static_selectorELNS0_4arch9wavefront6targetE1EEEvT1_
                                        ; -- End function
	.section	.AMDGPU.csdata,"",@progbits
; Kernel info:
; codeLenInByte = 0
; NumSgprs: 6
; NumVgprs: 0
; NumAgprs: 0
; TotalNumVgprs: 0
; ScratchSize: 0
; MemoryBound: 0
; FloatMode: 240
; IeeeMode: 1
; LDSByteSize: 0 bytes/workgroup (compile time only)
; SGPRBlocks: 0
; VGPRBlocks: 0
; NumSGPRsForWavesPerEU: 6
; NumVGPRsForWavesPerEU: 1
; AccumOffset: 4
; Occupancy: 8
; WaveLimiterHint : 0
; COMPUTE_PGM_RSRC2:SCRATCH_EN: 0
; COMPUTE_PGM_RSRC2:USER_SGPR: 2
; COMPUTE_PGM_RSRC2:TRAP_HANDLER: 0
; COMPUTE_PGM_RSRC2:TGID_X_EN: 1
; COMPUTE_PGM_RSRC2:TGID_Y_EN: 0
; COMPUTE_PGM_RSRC2:TGID_Z_EN: 0
; COMPUTE_PGM_RSRC2:TIDIG_COMP_CNT: 0
; COMPUTE_PGM_RSRC3_GFX90A:ACCUM_OFFSET: 0
; COMPUTE_PGM_RSRC3_GFX90A:TG_SPLIT: 0
	.section	.text._ZN7rocprim17ROCPRIM_400000_NS6detail17trampoline_kernelINS0_14default_configENS1_25transform_config_selectorImLb1EEEZNS1_14transform_implILb1ES3_S5_PmPlNS0_8identityIvEEEE10hipError_tT2_T3_mT4_P12ihipStream_tbEUlT_E_NS1_11comp_targetILNS1_3genE0ELNS1_11target_archE4294967295ELNS1_3gpuE0ELNS1_3repE0EEENS1_30default_config_static_selectorELNS0_4arch9wavefront6targetE1EEEvT1_,"axG",@progbits,_ZN7rocprim17ROCPRIM_400000_NS6detail17trampoline_kernelINS0_14default_configENS1_25transform_config_selectorImLb1EEEZNS1_14transform_implILb1ES3_S5_PmPlNS0_8identityIvEEEE10hipError_tT2_T3_mT4_P12ihipStream_tbEUlT_E_NS1_11comp_targetILNS1_3genE0ELNS1_11target_archE4294967295ELNS1_3gpuE0ELNS1_3repE0EEENS1_30default_config_static_selectorELNS0_4arch9wavefront6targetE1EEEvT1_,comdat
	.protected	_ZN7rocprim17ROCPRIM_400000_NS6detail17trampoline_kernelINS0_14default_configENS1_25transform_config_selectorImLb1EEEZNS1_14transform_implILb1ES3_S5_PmPlNS0_8identityIvEEEE10hipError_tT2_T3_mT4_P12ihipStream_tbEUlT_E_NS1_11comp_targetILNS1_3genE0ELNS1_11target_archE4294967295ELNS1_3gpuE0ELNS1_3repE0EEENS1_30default_config_static_selectorELNS0_4arch9wavefront6targetE1EEEvT1_ ; -- Begin function _ZN7rocprim17ROCPRIM_400000_NS6detail17trampoline_kernelINS0_14default_configENS1_25transform_config_selectorImLb1EEEZNS1_14transform_implILb1ES3_S5_PmPlNS0_8identityIvEEEE10hipError_tT2_T3_mT4_P12ihipStream_tbEUlT_E_NS1_11comp_targetILNS1_3genE0ELNS1_11target_archE4294967295ELNS1_3gpuE0ELNS1_3repE0EEENS1_30default_config_static_selectorELNS0_4arch9wavefront6targetE1EEEvT1_
	.globl	_ZN7rocprim17ROCPRIM_400000_NS6detail17trampoline_kernelINS0_14default_configENS1_25transform_config_selectorImLb1EEEZNS1_14transform_implILb1ES3_S5_PmPlNS0_8identityIvEEEE10hipError_tT2_T3_mT4_P12ihipStream_tbEUlT_E_NS1_11comp_targetILNS1_3genE0ELNS1_11target_archE4294967295ELNS1_3gpuE0ELNS1_3repE0EEENS1_30default_config_static_selectorELNS0_4arch9wavefront6targetE1EEEvT1_
	.p2align	8
	.type	_ZN7rocprim17ROCPRIM_400000_NS6detail17trampoline_kernelINS0_14default_configENS1_25transform_config_selectorImLb1EEEZNS1_14transform_implILb1ES3_S5_PmPlNS0_8identityIvEEEE10hipError_tT2_T3_mT4_P12ihipStream_tbEUlT_E_NS1_11comp_targetILNS1_3genE0ELNS1_11target_archE4294967295ELNS1_3gpuE0ELNS1_3repE0EEENS1_30default_config_static_selectorELNS0_4arch9wavefront6targetE1EEEvT1_,@function
_ZN7rocprim17ROCPRIM_400000_NS6detail17trampoline_kernelINS0_14default_configENS1_25transform_config_selectorImLb1EEEZNS1_14transform_implILb1ES3_S5_PmPlNS0_8identityIvEEEE10hipError_tT2_T3_mT4_P12ihipStream_tbEUlT_E_NS1_11comp_targetILNS1_3genE0ELNS1_11target_archE4294967295ELNS1_3gpuE0ELNS1_3repE0EEENS1_30default_config_static_selectorELNS0_4arch9wavefront6targetE1EEEvT1_: ; @_ZN7rocprim17ROCPRIM_400000_NS6detail17trampoline_kernelINS0_14default_configENS1_25transform_config_selectorImLb1EEEZNS1_14transform_implILb1ES3_S5_PmPlNS0_8identityIvEEEE10hipError_tT2_T3_mT4_P12ihipStream_tbEUlT_E_NS1_11comp_targetILNS1_3genE0ELNS1_11target_archE4294967295ELNS1_3gpuE0ELNS1_3repE0EEENS1_30default_config_static_selectorELNS0_4arch9wavefront6targetE1EEEvT1_
; %bb.0:
	.section	.rodata,"a",@progbits
	.p2align	6, 0x0
	.amdhsa_kernel _ZN7rocprim17ROCPRIM_400000_NS6detail17trampoline_kernelINS0_14default_configENS1_25transform_config_selectorImLb1EEEZNS1_14transform_implILb1ES3_S5_PmPlNS0_8identityIvEEEE10hipError_tT2_T3_mT4_P12ihipStream_tbEUlT_E_NS1_11comp_targetILNS1_3genE0ELNS1_11target_archE4294967295ELNS1_3gpuE0ELNS1_3repE0EEENS1_30default_config_static_selectorELNS0_4arch9wavefront6targetE1EEEvT1_
		.amdhsa_group_segment_fixed_size 0
		.amdhsa_private_segment_fixed_size 0
		.amdhsa_kernarg_size 40
		.amdhsa_user_sgpr_count 2
		.amdhsa_user_sgpr_dispatch_ptr 0
		.amdhsa_user_sgpr_queue_ptr 0
		.amdhsa_user_sgpr_kernarg_segment_ptr 1
		.amdhsa_user_sgpr_dispatch_id 0
		.amdhsa_user_sgpr_kernarg_preload_length 0
		.amdhsa_user_sgpr_kernarg_preload_offset 0
		.amdhsa_user_sgpr_private_segment_size 0
		.amdhsa_uses_dynamic_stack 0
		.amdhsa_enable_private_segment 0
		.amdhsa_system_sgpr_workgroup_id_x 1
		.amdhsa_system_sgpr_workgroup_id_y 0
		.amdhsa_system_sgpr_workgroup_id_z 0
		.amdhsa_system_sgpr_workgroup_info 0
		.amdhsa_system_vgpr_workitem_id 0
		.amdhsa_next_free_vgpr 1
		.amdhsa_next_free_sgpr 0
		.amdhsa_accum_offset 4
		.amdhsa_reserve_vcc 0
		.amdhsa_float_round_mode_32 0
		.amdhsa_float_round_mode_16_64 0
		.amdhsa_float_denorm_mode_32 3
		.amdhsa_float_denorm_mode_16_64 3
		.amdhsa_dx10_clamp 1
		.amdhsa_ieee_mode 1
		.amdhsa_fp16_overflow 0
		.amdhsa_tg_split 0
		.amdhsa_exception_fp_ieee_invalid_op 0
		.amdhsa_exception_fp_denorm_src 0
		.amdhsa_exception_fp_ieee_div_zero 0
		.amdhsa_exception_fp_ieee_overflow 0
		.amdhsa_exception_fp_ieee_underflow 0
		.amdhsa_exception_fp_ieee_inexact 0
		.amdhsa_exception_int_div_zero 0
	.end_amdhsa_kernel
	.section	.text._ZN7rocprim17ROCPRIM_400000_NS6detail17trampoline_kernelINS0_14default_configENS1_25transform_config_selectorImLb1EEEZNS1_14transform_implILb1ES3_S5_PmPlNS0_8identityIvEEEE10hipError_tT2_T3_mT4_P12ihipStream_tbEUlT_E_NS1_11comp_targetILNS1_3genE0ELNS1_11target_archE4294967295ELNS1_3gpuE0ELNS1_3repE0EEENS1_30default_config_static_selectorELNS0_4arch9wavefront6targetE1EEEvT1_,"axG",@progbits,_ZN7rocprim17ROCPRIM_400000_NS6detail17trampoline_kernelINS0_14default_configENS1_25transform_config_selectorImLb1EEEZNS1_14transform_implILb1ES3_S5_PmPlNS0_8identityIvEEEE10hipError_tT2_T3_mT4_P12ihipStream_tbEUlT_E_NS1_11comp_targetILNS1_3genE0ELNS1_11target_archE4294967295ELNS1_3gpuE0ELNS1_3repE0EEENS1_30default_config_static_selectorELNS0_4arch9wavefront6targetE1EEEvT1_,comdat
.Lfunc_end13:
	.size	_ZN7rocprim17ROCPRIM_400000_NS6detail17trampoline_kernelINS0_14default_configENS1_25transform_config_selectorImLb1EEEZNS1_14transform_implILb1ES3_S5_PmPlNS0_8identityIvEEEE10hipError_tT2_T3_mT4_P12ihipStream_tbEUlT_E_NS1_11comp_targetILNS1_3genE0ELNS1_11target_archE4294967295ELNS1_3gpuE0ELNS1_3repE0EEENS1_30default_config_static_selectorELNS0_4arch9wavefront6targetE1EEEvT1_, .Lfunc_end13-_ZN7rocprim17ROCPRIM_400000_NS6detail17trampoline_kernelINS0_14default_configENS1_25transform_config_selectorImLb1EEEZNS1_14transform_implILb1ES3_S5_PmPlNS0_8identityIvEEEE10hipError_tT2_T3_mT4_P12ihipStream_tbEUlT_E_NS1_11comp_targetILNS1_3genE0ELNS1_11target_archE4294967295ELNS1_3gpuE0ELNS1_3repE0EEENS1_30default_config_static_selectorELNS0_4arch9wavefront6targetE1EEEvT1_
                                        ; -- End function
	.section	.AMDGPU.csdata,"",@progbits
; Kernel info:
; codeLenInByte = 0
; NumSgprs: 6
; NumVgprs: 0
; NumAgprs: 0
; TotalNumVgprs: 0
; ScratchSize: 0
; MemoryBound: 0
; FloatMode: 240
; IeeeMode: 1
; LDSByteSize: 0 bytes/workgroup (compile time only)
; SGPRBlocks: 0
; VGPRBlocks: 0
; NumSGPRsForWavesPerEU: 6
; NumVGPRsForWavesPerEU: 1
; AccumOffset: 4
; Occupancy: 8
; WaveLimiterHint : 0
; COMPUTE_PGM_RSRC2:SCRATCH_EN: 0
; COMPUTE_PGM_RSRC2:USER_SGPR: 2
; COMPUTE_PGM_RSRC2:TRAP_HANDLER: 0
; COMPUTE_PGM_RSRC2:TGID_X_EN: 1
; COMPUTE_PGM_RSRC2:TGID_Y_EN: 0
; COMPUTE_PGM_RSRC2:TGID_Z_EN: 0
; COMPUTE_PGM_RSRC2:TIDIG_COMP_CNT: 0
; COMPUTE_PGM_RSRC3_GFX90A:ACCUM_OFFSET: 0
; COMPUTE_PGM_RSRC3_GFX90A:TG_SPLIT: 0
	.section	.text._ZN7rocprim17ROCPRIM_400000_NS6detail17trampoline_kernelINS0_14default_configENS1_25transform_config_selectorImLb1EEEZNS1_14transform_implILb1ES3_S5_PmPlNS0_8identityIvEEEE10hipError_tT2_T3_mT4_P12ihipStream_tbEUlT_E_NS1_11comp_targetILNS1_3genE10ELNS1_11target_archE1201ELNS1_3gpuE5ELNS1_3repE0EEENS1_30default_config_static_selectorELNS0_4arch9wavefront6targetE1EEEvT1_,"axG",@progbits,_ZN7rocprim17ROCPRIM_400000_NS6detail17trampoline_kernelINS0_14default_configENS1_25transform_config_selectorImLb1EEEZNS1_14transform_implILb1ES3_S5_PmPlNS0_8identityIvEEEE10hipError_tT2_T3_mT4_P12ihipStream_tbEUlT_E_NS1_11comp_targetILNS1_3genE10ELNS1_11target_archE1201ELNS1_3gpuE5ELNS1_3repE0EEENS1_30default_config_static_selectorELNS0_4arch9wavefront6targetE1EEEvT1_,comdat
	.protected	_ZN7rocprim17ROCPRIM_400000_NS6detail17trampoline_kernelINS0_14default_configENS1_25transform_config_selectorImLb1EEEZNS1_14transform_implILb1ES3_S5_PmPlNS0_8identityIvEEEE10hipError_tT2_T3_mT4_P12ihipStream_tbEUlT_E_NS1_11comp_targetILNS1_3genE10ELNS1_11target_archE1201ELNS1_3gpuE5ELNS1_3repE0EEENS1_30default_config_static_selectorELNS0_4arch9wavefront6targetE1EEEvT1_ ; -- Begin function _ZN7rocprim17ROCPRIM_400000_NS6detail17trampoline_kernelINS0_14default_configENS1_25transform_config_selectorImLb1EEEZNS1_14transform_implILb1ES3_S5_PmPlNS0_8identityIvEEEE10hipError_tT2_T3_mT4_P12ihipStream_tbEUlT_E_NS1_11comp_targetILNS1_3genE10ELNS1_11target_archE1201ELNS1_3gpuE5ELNS1_3repE0EEENS1_30default_config_static_selectorELNS0_4arch9wavefront6targetE1EEEvT1_
	.globl	_ZN7rocprim17ROCPRIM_400000_NS6detail17trampoline_kernelINS0_14default_configENS1_25transform_config_selectorImLb1EEEZNS1_14transform_implILb1ES3_S5_PmPlNS0_8identityIvEEEE10hipError_tT2_T3_mT4_P12ihipStream_tbEUlT_E_NS1_11comp_targetILNS1_3genE10ELNS1_11target_archE1201ELNS1_3gpuE5ELNS1_3repE0EEENS1_30default_config_static_selectorELNS0_4arch9wavefront6targetE1EEEvT1_
	.p2align	8
	.type	_ZN7rocprim17ROCPRIM_400000_NS6detail17trampoline_kernelINS0_14default_configENS1_25transform_config_selectorImLb1EEEZNS1_14transform_implILb1ES3_S5_PmPlNS0_8identityIvEEEE10hipError_tT2_T3_mT4_P12ihipStream_tbEUlT_E_NS1_11comp_targetILNS1_3genE10ELNS1_11target_archE1201ELNS1_3gpuE5ELNS1_3repE0EEENS1_30default_config_static_selectorELNS0_4arch9wavefront6targetE1EEEvT1_,@function
_ZN7rocprim17ROCPRIM_400000_NS6detail17trampoline_kernelINS0_14default_configENS1_25transform_config_selectorImLb1EEEZNS1_14transform_implILb1ES3_S5_PmPlNS0_8identityIvEEEE10hipError_tT2_T3_mT4_P12ihipStream_tbEUlT_E_NS1_11comp_targetILNS1_3genE10ELNS1_11target_archE1201ELNS1_3gpuE5ELNS1_3repE0EEENS1_30default_config_static_selectorELNS0_4arch9wavefront6targetE1EEEvT1_: ; @_ZN7rocprim17ROCPRIM_400000_NS6detail17trampoline_kernelINS0_14default_configENS1_25transform_config_selectorImLb1EEEZNS1_14transform_implILb1ES3_S5_PmPlNS0_8identityIvEEEE10hipError_tT2_T3_mT4_P12ihipStream_tbEUlT_E_NS1_11comp_targetILNS1_3genE10ELNS1_11target_archE1201ELNS1_3gpuE5ELNS1_3repE0EEENS1_30default_config_static_selectorELNS0_4arch9wavefront6targetE1EEEvT1_
; %bb.0:
	.section	.rodata,"a",@progbits
	.p2align	6, 0x0
	.amdhsa_kernel _ZN7rocprim17ROCPRIM_400000_NS6detail17trampoline_kernelINS0_14default_configENS1_25transform_config_selectorImLb1EEEZNS1_14transform_implILb1ES3_S5_PmPlNS0_8identityIvEEEE10hipError_tT2_T3_mT4_P12ihipStream_tbEUlT_E_NS1_11comp_targetILNS1_3genE10ELNS1_11target_archE1201ELNS1_3gpuE5ELNS1_3repE0EEENS1_30default_config_static_selectorELNS0_4arch9wavefront6targetE1EEEvT1_
		.amdhsa_group_segment_fixed_size 0
		.amdhsa_private_segment_fixed_size 0
		.amdhsa_kernarg_size 40
		.amdhsa_user_sgpr_count 2
		.amdhsa_user_sgpr_dispatch_ptr 0
		.amdhsa_user_sgpr_queue_ptr 0
		.amdhsa_user_sgpr_kernarg_segment_ptr 1
		.amdhsa_user_sgpr_dispatch_id 0
		.amdhsa_user_sgpr_kernarg_preload_length 0
		.amdhsa_user_sgpr_kernarg_preload_offset 0
		.amdhsa_user_sgpr_private_segment_size 0
		.amdhsa_uses_dynamic_stack 0
		.amdhsa_enable_private_segment 0
		.amdhsa_system_sgpr_workgroup_id_x 1
		.amdhsa_system_sgpr_workgroup_id_y 0
		.amdhsa_system_sgpr_workgroup_id_z 0
		.amdhsa_system_sgpr_workgroup_info 0
		.amdhsa_system_vgpr_workitem_id 0
		.amdhsa_next_free_vgpr 1
		.amdhsa_next_free_sgpr 0
		.amdhsa_accum_offset 4
		.amdhsa_reserve_vcc 0
		.amdhsa_float_round_mode_32 0
		.amdhsa_float_round_mode_16_64 0
		.amdhsa_float_denorm_mode_32 3
		.amdhsa_float_denorm_mode_16_64 3
		.amdhsa_dx10_clamp 1
		.amdhsa_ieee_mode 1
		.amdhsa_fp16_overflow 0
		.amdhsa_tg_split 0
		.amdhsa_exception_fp_ieee_invalid_op 0
		.amdhsa_exception_fp_denorm_src 0
		.amdhsa_exception_fp_ieee_div_zero 0
		.amdhsa_exception_fp_ieee_overflow 0
		.amdhsa_exception_fp_ieee_underflow 0
		.amdhsa_exception_fp_ieee_inexact 0
		.amdhsa_exception_int_div_zero 0
	.end_amdhsa_kernel
	.section	.text._ZN7rocprim17ROCPRIM_400000_NS6detail17trampoline_kernelINS0_14default_configENS1_25transform_config_selectorImLb1EEEZNS1_14transform_implILb1ES3_S5_PmPlNS0_8identityIvEEEE10hipError_tT2_T3_mT4_P12ihipStream_tbEUlT_E_NS1_11comp_targetILNS1_3genE10ELNS1_11target_archE1201ELNS1_3gpuE5ELNS1_3repE0EEENS1_30default_config_static_selectorELNS0_4arch9wavefront6targetE1EEEvT1_,"axG",@progbits,_ZN7rocprim17ROCPRIM_400000_NS6detail17trampoline_kernelINS0_14default_configENS1_25transform_config_selectorImLb1EEEZNS1_14transform_implILb1ES3_S5_PmPlNS0_8identityIvEEEE10hipError_tT2_T3_mT4_P12ihipStream_tbEUlT_E_NS1_11comp_targetILNS1_3genE10ELNS1_11target_archE1201ELNS1_3gpuE5ELNS1_3repE0EEENS1_30default_config_static_selectorELNS0_4arch9wavefront6targetE1EEEvT1_,comdat
.Lfunc_end14:
	.size	_ZN7rocprim17ROCPRIM_400000_NS6detail17trampoline_kernelINS0_14default_configENS1_25transform_config_selectorImLb1EEEZNS1_14transform_implILb1ES3_S5_PmPlNS0_8identityIvEEEE10hipError_tT2_T3_mT4_P12ihipStream_tbEUlT_E_NS1_11comp_targetILNS1_3genE10ELNS1_11target_archE1201ELNS1_3gpuE5ELNS1_3repE0EEENS1_30default_config_static_selectorELNS0_4arch9wavefront6targetE1EEEvT1_, .Lfunc_end14-_ZN7rocprim17ROCPRIM_400000_NS6detail17trampoline_kernelINS0_14default_configENS1_25transform_config_selectorImLb1EEEZNS1_14transform_implILb1ES3_S5_PmPlNS0_8identityIvEEEE10hipError_tT2_T3_mT4_P12ihipStream_tbEUlT_E_NS1_11comp_targetILNS1_3genE10ELNS1_11target_archE1201ELNS1_3gpuE5ELNS1_3repE0EEENS1_30default_config_static_selectorELNS0_4arch9wavefront6targetE1EEEvT1_
                                        ; -- End function
	.section	.AMDGPU.csdata,"",@progbits
; Kernel info:
; codeLenInByte = 0
; NumSgprs: 6
; NumVgprs: 0
; NumAgprs: 0
; TotalNumVgprs: 0
; ScratchSize: 0
; MemoryBound: 0
; FloatMode: 240
; IeeeMode: 1
; LDSByteSize: 0 bytes/workgroup (compile time only)
; SGPRBlocks: 0
; VGPRBlocks: 0
; NumSGPRsForWavesPerEU: 6
; NumVGPRsForWavesPerEU: 1
; AccumOffset: 4
; Occupancy: 8
; WaveLimiterHint : 0
; COMPUTE_PGM_RSRC2:SCRATCH_EN: 0
; COMPUTE_PGM_RSRC2:USER_SGPR: 2
; COMPUTE_PGM_RSRC2:TRAP_HANDLER: 0
; COMPUTE_PGM_RSRC2:TGID_X_EN: 1
; COMPUTE_PGM_RSRC2:TGID_Y_EN: 0
; COMPUTE_PGM_RSRC2:TGID_Z_EN: 0
; COMPUTE_PGM_RSRC2:TIDIG_COMP_CNT: 0
; COMPUTE_PGM_RSRC3_GFX90A:ACCUM_OFFSET: 0
; COMPUTE_PGM_RSRC3_GFX90A:TG_SPLIT: 0
	.section	.text._ZN7rocprim17ROCPRIM_400000_NS6detail17trampoline_kernelINS0_14default_configENS1_25transform_config_selectorImLb1EEEZNS1_14transform_implILb1ES3_S5_PmPlNS0_8identityIvEEEE10hipError_tT2_T3_mT4_P12ihipStream_tbEUlT_E_NS1_11comp_targetILNS1_3genE5ELNS1_11target_archE942ELNS1_3gpuE9ELNS1_3repE0EEENS1_30default_config_static_selectorELNS0_4arch9wavefront6targetE1EEEvT1_,"axG",@progbits,_ZN7rocprim17ROCPRIM_400000_NS6detail17trampoline_kernelINS0_14default_configENS1_25transform_config_selectorImLb1EEEZNS1_14transform_implILb1ES3_S5_PmPlNS0_8identityIvEEEE10hipError_tT2_T3_mT4_P12ihipStream_tbEUlT_E_NS1_11comp_targetILNS1_3genE5ELNS1_11target_archE942ELNS1_3gpuE9ELNS1_3repE0EEENS1_30default_config_static_selectorELNS0_4arch9wavefront6targetE1EEEvT1_,comdat
	.protected	_ZN7rocprim17ROCPRIM_400000_NS6detail17trampoline_kernelINS0_14default_configENS1_25transform_config_selectorImLb1EEEZNS1_14transform_implILb1ES3_S5_PmPlNS0_8identityIvEEEE10hipError_tT2_T3_mT4_P12ihipStream_tbEUlT_E_NS1_11comp_targetILNS1_3genE5ELNS1_11target_archE942ELNS1_3gpuE9ELNS1_3repE0EEENS1_30default_config_static_selectorELNS0_4arch9wavefront6targetE1EEEvT1_ ; -- Begin function _ZN7rocprim17ROCPRIM_400000_NS6detail17trampoline_kernelINS0_14default_configENS1_25transform_config_selectorImLb1EEEZNS1_14transform_implILb1ES3_S5_PmPlNS0_8identityIvEEEE10hipError_tT2_T3_mT4_P12ihipStream_tbEUlT_E_NS1_11comp_targetILNS1_3genE5ELNS1_11target_archE942ELNS1_3gpuE9ELNS1_3repE0EEENS1_30default_config_static_selectorELNS0_4arch9wavefront6targetE1EEEvT1_
	.globl	_ZN7rocprim17ROCPRIM_400000_NS6detail17trampoline_kernelINS0_14default_configENS1_25transform_config_selectorImLb1EEEZNS1_14transform_implILb1ES3_S5_PmPlNS0_8identityIvEEEE10hipError_tT2_T3_mT4_P12ihipStream_tbEUlT_E_NS1_11comp_targetILNS1_3genE5ELNS1_11target_archE942ELNS1_3gpuE9ELNS1_3repE0EEENS1_30default_config_static_selectorELNS0_4arch9wavefront6targetE1EEEvT1_
	.p2align	8
	.type	_ZN7rocprim17ROCPRIM_400000_NS6detail17trampoline_kernelINS0_14default_configENS1_25transform_config_selectorImLb1EEEZNS1_14transform_implILb1ES3_S5_PmPlNS0_8identityIvEEEE10hipError_tT2_T3_mT4_P12ihipStream_tbEUlT_E_NS1_11comp_targetILNS1_3genE5ELNS1_11target_archE942ELNS1_3gpuE9ELNS1_3repE0EEENS1_30default_config_static_selectorELNS0_4arch9wavefront6targetE1EEEvT1_,@function
_ZN7rocprim17ROCPRIM_400000_NS6detail17trampoline_kernelINS0_14default_configENS1_25transform_config_selectorImLb1EEEZNS1_14transform_implILb1ES3_S5_PmPlNS0_8identityIvEEEE10hipError_tT2_T3_mT4_P12ihipStream_tbEUlT_E_NS1_11comp_targetILNS1_3genE5ELNS1_11target_archE942ELNS1_3gpuE9ELNS1_3repE0EEENS1_30default_config_static_selectorELNS0_4arch9wavefront6targetE1EEEvT1_: ; @_ZN7rocprim17ROCPRIM_400000_NS6detail17trampoline_kernelINS0_14default_configENS1_25transform_config_selectorImLb1EEEZNS1_14transform_implILb1ES3_S5_PmPlNS0_8identityIvEEEE10hipError_tT2_T3_mT4_P12ihipStream_tbEUlT_E_NS1_11comp_targetILNS1_3genE5ELNS1_11target_archE942ELNS1_3gpuE9ELNS1_3repE0EEENS1_30default_config_static_selectorELNS0_4arch9wavefront6targetE1EEEvT1_
; %bb.0:
	s_load_dwordx8 s[4:11], s[0:1], 0x0
	s_load_dword s3, s[0:1], 0x28
	s_waitcnt lgkmcnt(0)
	s_lshl_b64 s[0:1], s[6:7], 3
	s_add_u32 s6, s4, s0
	s_addc_u32 s7, s5, s1
	s_add_u32 s9, s10, s0
	s_addc_u32 s10, s11, s1
	s_lshl_b32 s0, s2, 10
	s_mov_b32 s1, 0
	s_add_i32 s3, s3, -1
	s_lshl_b64 s[4:5], s[0:1], 3
	s_add_u32 s6, s6, s4
	s_addc_u32 s7, s7, s5
	s_cmp_lg_u32 s2, s3
	s_mov_b64 s[2:3], -1
	s_cbranch_scc0 .LBB15_2
; %bb.1:
	v_lshlrev_b32_e32 v1, 4, v0
	global_load_dwordx4 v[2:5], v1, s[6:7] nt
	s_add_u32 s2, s9, s4
	s_addc_u32 s3, s10, s5
	s_waitcnt vmcnt(0)
	global_store_dwordx4 v1, v[2:5], s[2:3]
	s_mov_b64 s[2:3], 0
.LBB15_2:
	s_andn2_b64 vcc, exec, s[2:3]
	s_cbranch_vccnz .LBB15_11
; %bb.3:
	s_sub_i32 s2, s8, s0
	v_cmp_gt_u32_e32 vcc, s2, v0
	v_lshlrev_b32_e32 v6, 3, v0
                                        ; implicit-def: $vgpr2_vgpr3_vgpr4_vgpr5
	s_and_saveexec_b64 s[0:1], vcc
	s_cbranch_execz .LBB15_5
; %bb.4:
	global_load_dwordx2 v[2:3], v6, s[6:7]
.LBB15_5:
	s_or_b64 exec, exec, s[0:1]
	v_or_b32_e32 v0, 0x200, v0
	v_cmp_gt_u32_e64 s[0:1], s2, v0
	s_and_saveexec_b64 s[2:3], s[0:1]
	s_cbranch_execz .LBB15_7
; %bb.6:
	v_lshlrev_b32_e32 v0, 3, v0
	global_load_dwordx2 v[4:5], v0, s[6:7]
.LBB15_7:
	s_or_b64 exec, exec, s[2:3]
	s_add_u32 s2, s9, s4
	s_addc_u32 s3, s10, s5
	v_mov_b32_e32 v7, 0
	v_lshl_add_u64 v[0:1], s[2:3], 0, v[6:7]
	s_and_saveexec_b64 s[2:3], vcc
	s_cbranch_execz .LBB15_9
; %bb.8:
	s_waitcnt vmcnt(0)
	global_store_dwordx2 v[0:1], v[2:3], off
.LBB15_9:
	s_or_b64 exec, exec, s[2:3]
	s_and_saveexec_b64 s[2:3], s[0:1]
	s_cbranch_execz .LBB15_11
; %bb.10:
	v_add_co_u32_e32 v0, vcc, 0x1000, v0
	s_nop 1
	v_addc_co_u32_e32 v1, vcc, 0, v1, vcc
	s_waitcnt vmcnt(0)
	global_store_dwordx2 v[0:1], v[4:5], off
.LBB15_11:
	s_endpgm
	.section	.rodata,"a",@progbits
	.p2align	6, 0x0
	.amdhsa_kernel _ZN7rocprim17ROCPRIM_400000_NS6detail17trampoline_kernelINS0_14default_configENS1_25transform_config_selectorImLb1EEEZNS1_14transform_implILb1ES3_S5_PmPlNS0_8identityIvEEEE10hipError_tT2_T3_mT4_P12ihipStream_tbEUlT_E_NS1_11comp_targetILNS1_3genE5ELNS1_11target_archE942ELNS1_3gpuE9ELNS1_3repE0EEENS1_30default_config_static_selectorELNS0_4arch9wavefront6targetE1EEEvT1_
		.amdhsa_group_segment_fixed_size 0
		.amdhsa_private_segment_fixed_size 0
		.amdhsa_kernarg_size 296
		.amdhsa_user_sgpr_count 2
		.amdhsa_user_sgpr_dispatch_ptr 0
		.amdhsa_user_sgpr_queue_ptr 0
		.amdhsa_user_sgpr_kernarg_segment_ptr 1
		.amdhsa_user_sgpr_dispatch_id 0
		.amdhsa_user_sgpr_kernarg_preload_length 0
		.amdhsa_user_sgpr_kernarg_preload_offset 0
		.amdhsa_user_sgpr_private_segment_size 0
		.amdhsa_uses_dynamic_stack 0
		.amdhsa_enable_private_segment 0
		.amdhsa_system_sgpr_workgroup_id_x 1
		.amdhsa_system_sgpr_workgroup_id_y 0
		.amdhsa_system_sgpr_workgroup_id_z 0
		.amdhsa_system_sgpr_workgroup_info 0
		.amdhsa_system_vgpr_workitem_id 0
		.amdhsa_next_free_vgpr 8
		.amdhsa_next_free_sgpr 12
		.amdhsa_accum_offset 8
		.amdhsa_reserve_vcc 1
		.amdhsa_float_round_mode_32 0
		.amdhsa_float_round_mode_16_64 0
		.amdhsa_float_denorm_mode_32 3
		.amdhsa_float_denorm_mode_16_64 3
		.amdhsa_dx10_clamp 1
		.amdhsa_ieee_mode 1
		.amdhsa_fp16_overflow 0
		.amdhsa_tg_split 0
		.amdhsa_exception_fp_ieee_invalid_op 0
		.amdhsa_exception_fp_denorm_src 0
		.amdhsa_exception_fp_ieee_div_zero 0
		.amdhsa_exception_fp_ieee_overflow 0
		.amdhsa_exception_fp_ieee_underflow 0
		.amdhsa_exception_fp_ieee_inexact 0
		.amdhsa_exception_int_div_zero 0
	.end_amdhsa_kernel
	.section	.text._ZN7rocprim17ROCPRIM_400000_NS6detail17trampoline_kernelINS0_14default_configENS1_25transform_config_selectorImLb1EEEZNS1_14transform_implILb1ES3_S5_PmPlNS0_8identityIvEEEE10hipError_tT2_T3_mT4_P12ihipStream_tbEUlT_E_NS1_11comp_targetILNS1_3genE5ELNS1_11target_archE942ELNS1_3gpuE9ELNS1_3repE0EEENS1_30default_config_static_selectorELNS0_4arch9wavefront6targetE1EEEvT1_,"axG",@progbits,_ZN7rocprim17ROCPRIM_400000_NS6detail17trampoline_kernelINS0_14default_configENS1_25transform_config_selectorImLb1EEEZNS1_14transform_implILb1ES3_S5_PmPlNS0_8identityIvEEEE10hipError_tT2_T3_mT4_P12ihipStream_tbEUlT_E_NS1_11comp_targetILNS1_3genE5ELNS1_11target_archE942ELNS1_3gpuE9ELNS1_3repE0EEENS1_30default_config_static_selectorELNS0_4arch9wavefront6targetE1EEEvT1_,comdat
.Lfunc_end15:
	.size	_ZN7rocprim17ROCPRIM_400000_NS6detail17trampoline_kernelINS0_14default_configENS1_25transform_config_selectorImLb1EEEZNS1_14transform_implILb1ES3_S5_PmPlNS0_8identityIvEEEE10hipError_tT2_T3_mT4_P12ihipStream_tbEUlT_E_NS1_11comp_targetILNS1_3genE5ELNS1_11target_archE942ELNS1_3gpuE9ELNS1_3repE0EEENS1_30default_config_static_selectorELNS0_4arch9wavefront6targetE1EEEvT1_, .Lfunc_end15-_ZN7rocprim17ROCPRIM_400000_NS6detail17trampoline_kernelINS0_14default_configENS1_25transform_config_selectorImLb1EEEZNS1_14transform_implILb1ES3_S5_PmPlNS0_8identityIvEEEE10hipError_tT2_T3_mT4_P12ihipStream_tbEUlT_E_NS1_11comp_targetILNS1_3genE5ELNS1_11target_archE942ELNS1_3gpuE9ELNS1_3repE0EEENS1_30default_config_static_selectorELNS0_4arch9wavefront6targetE1EEEvT1_
                                        ; -- End function
	.section	.AMDGPU.csdata,"",@progbits
; Kernel info:
; codeLenInByte = 276
; NumSgprs: 18
; NumVgprs: 8
; NumAgprs: 0
; TotalNumVgprs: 8
; ScratchSize: 0
; MemoryBound: 1
; FloatMode: 240
; IeeeMode: 1
; LDSByteSize: 0 bytes/workgroup (compile time only)
; SGPRBlocks: 2
; VGPRBlocks: 0
; NumSGPRsForWavesPerEU: 18
; NumVGPRsForWavesPerEU: 8
; AccumOffset: 8
; Occupancy: 8
; WaveLimiterHint : 0
; COMPUTE_PGM_RSRC2:SCRATCH_EN: 0
; COMPUTE_PGM_RSRC2:USER_SGPR: 2
; COMPUTE_PGM_RSRC2:TRAP_HANDLER: 0
; COMPUTE_PGM_RSRC2:TGID_X_EN: 1
; COMPUTE_PGM_RSRC2:TGID_Y_EN: 0
; COMPUTE_PGM_RSRC2:TGID_Z_EN: 0
; COMPUTE_PGM_RSRC2:TIDIG_COMP_CNT: 0
; COMPUTE_PGM_RSRC3_GFX90A:ACCUM_OFFSET: 1
; COMPUTE_PGM_RSRC3_GFX90A:TG_SPLIT: 0
	.section	.text._ZN7rocprim17ROCPRIM_400000_NS6detail17trampoline_kernelINS0_14default_configENS1_25transform_config_selectorImLb1EEEZNS1_14transform_implILb1ES3_S5_PmPlNS0_8identityIvEEEE10hipError_tT2_T3_mT4_P12ihipStream_tbEUlT_E_NS1_11comp_targetILNS1_3genE4ELNS1_11target_archE910ELNS1_3gpuE8ELNS1_3repE0EEENS1_30default_config_static_selectorELNS0_4arch9wavefront6targetE1EEEvT1_,"axG",@progbits,_ZN7rocprim17ROCPRIM_400000_NS6detail17trampoline_kernelINS0_14default_configENS1_25transform_config_selectorImLb1EEEZNS1_14transform_implILb1ES3_S5_PmPlNS0_8identityIvEEEE10hipError_tT2_T3_mT4_P12ihipStream_tbEUlT_E_NS1_11comp_targetILNS1_3genE4ELNS1_11target_archE910ELNS1_3gpuE8ELNS1_3repE0EEENS1_30default_config_static_selectorELNS0_4arch9wavefront6targetE1EEEvT1_,comdat
	.protected	_ZN7rocprim17ROCPRIM_400000_NS6detail17trampoline_kernelINS0_14default_configENS1_25transform_config_selectorImLb1EEEZNS1_14transform_implILb1ES3_S5_PmPlNS0_8identityIvEEEE10hipError_tT2_T3_mT4_P12ihipStream_tbEUlT_E_NS1_11comp_targetILNS1_3genE4ELNS1_11target_archE910ELNS1_3gpuE8ELNS1_3repE0EEENS1_30default_config_static_selectorELNS0_4arch9wavefront6targetE1EEEvT1_ ; -- Begin function _ZN7rocprim17ROCPRIM_400000_NS6detail17trampoline_kernelINS0_14default_configENS1_25transform_config_selectorImLb1EEEZNS1_14transform_implILb1ES3_S5_PmPlNS0_8identityIvEEEE10hipError_tT2_T3_mT4_P12ihipStream_tbEUlT_E_NS1_11comp_targetILNS1_3genE4ELNS1_11target_archE910ELNS1_3gpuE8ELNS1_3repE0EEENS1_30default_config_static_selectorELNS0_4arch9wavefront6targetE1EEEvT1_
	.globl	_ZN7rocprim17ROCPRIM_400000_NS6detail17trampoline_kernelINS0_14default_configENS1_25transform_config_selectorImLb1EEEZNS1_14transform_implILb1ES3_S5_PmPlNS0_8identityIvEEEE10hipError_tT2_T3_mT4_P12ihipStream_tbEUlT_E_NS1_11comp_targetILNS1_3genE4ELNS1_11target_archE910ELNS1_3gpuE8ELNS1_3repE0EEENS1_30default_config_static_selectorELNS0_4arch9wavefront6targetE1EEEvT1_
	.p2align	8
	.type	_ZN7rocprim17ROCPRIM_400000_NS6detail17trampoline_kernelINS0_14default_configENS1_25transform_config_selectorImLb1EEEZNS1_14transform_implILb1ES3_S5_PmPlNS0_8identityIvEEEE10hipError_tT2_T3_mT4_P12ihipStream_tbEUlT_E_NS1_11comp_targetILNS1_3genE4ELNS1_11target_archE910ELNS1_3gpuE8ELNS1_3repE0EEENS1_30default_config_static_selectorELNS0_4arch9wavefront6targetE1EEEvT1_,@function
_ZN7rocprim17ROCPRIM_400000_NS6detail17trampoline_kernelINS0_14default_configENS1_25transform_config_selectorImLb1EEEZNS1_14transform_implILb1ES3_S5_PmPlNS0_8identityIvEEEE10hipError_tT2_T3_mT4_P12ihipStream_tbEUlT_E_NS1_11comp_targetILNS1_3genE4ELNS1_11target_archE910ELNS1_3gpuE8ELNS1_3repE0EEENS1_30default_config_static_selectorELNS0_4arch9wavefront6targetE1EEEvT1_: ; @_ZN7rocprim17ROCPRIM_400000_NS6detail17trampoline_kernelINS0_14default_configENS1_25transform_config_selectorImLb1EEEZNS1_14transform_implILb1ES3_S5_PmPlNS0_8identityIvEEEE10hipError_tT2_T3_mT4_P12ihipStream_tbEUlT_E_NS1_11comp_targetILNS1_3genE4ELNS1_11target_archE910ELNS1_3gpuE8ELNS1_3repE0EEENS1_30default_config_static_selectorELNS0_4arch9wavefront6targetE1EEEvT1_
; %bb.0:
	.section	.rodata,"a",@progbits
	.p2align	6, 0x0
	.amdhsa_kernel _ZN7rocprim17ROCPRIM_400000_NS6detail17trampoline_kernelINS0_14default_configENS1_25transform_config_selectorImLb1EEEZNS1_14transform_implILb1ES3_S5_PmPlNS0_8identityIvEEEE10hipError_tT2_T3_mT4_P12ihipStream_tbEUlT_E_NS1_11comp_targetILNS1_3genE4ELNS1_11target_archE910ELNS1_3gpuE8ELNS1_3repE0EEENS1_30default_config_static_selectorELNS0_4arch9wavefront6targetE1EEEvT1_
		.amdhsa_group_segment_fixed_size 0
		.amdhsa_private_segment_fixed_size 0
		.amdhsa_kernarg_size 40
		.amdhsa_user_sgpr_count 2
		.amdhsa_user_sgpr_dispatch_ptr 0
		.amdhsa_user_sgpr_queue_ptr 0
		.amdhsa_user_sgpr_kernarg_segment_ptr 1
		.amdhsa_user_sgpr_dispatch_id 0
		.amdhsa_user_sgpr_kernarg_preload_length 0
		.amdhsa_user_sgpr_kernarg_preload_offset 0
		.amdhsa_user_sgpr_private_segment_size 0
		.amdhsa_uses_dynamic_stack 0
		.amdhsa_enable_private_segment 0
		.amdhsa_system_sgpr_workgroup_id_x 1
		.amdhsa_system_sgpr_workgroup_id_y 0
		.amdhsa_system_sgpr_workgroup_id_z 0
		.amdhsa_system_sgpr_workgroup_info 0
		.amdhsa_system_vgpr_workitem_id 0
		.amdhsa_next_free_vgpr 1
		.amdhsa_next_free_sgpr 0
		.amdhsa_accum_offset 4
		.amdhsa_reserve_vcc 0
		.amdhsa_float_round_mode_32 0
		.amdhsa_float_round_mode_16_64 0
		.amdhsa_float_denorm_mode_32 3
		.amdhsa_float_denorm_mode_16_64 3
		.amdhsa_dx10_clamp 1
		.amdhsa_ieee_mode 1
		.amdhsa_fp16_overflow 0
		.amdhsa_tg_split 0
		.amdhsa_exception_fp_ieee_invalid_op 0
		.amdhsa_exception_fp_denorm_src 0
		.amdhsa_exception_fp_ieee_div_zero 0
		.amdhsa_exception_fp_ieee_overflow 0
		.amdhsa_exception_fp_ieee_underflow 0
		.amdhsa_exception_fp_ieee_inexact 0
		.amdhsa_exception_int_div_zero 0
	.end_amdhsa_kernel
	.section	.text._ZN7rocprim17ROCPRIM_400000_NS6detail17trampoline_kernelINS0_14default_configENS1_25transform_config_selectorImLb1EEEZNS1_14transform_implILb1ES3_S5_PmPlNS0_8identityIvEEEE10hipError_tT2_T3_mT4_P12ihipStream_tbEUlT_E_NS1_11comp_targetILNS1_3genE4ELNS1_11target_archE910ELNS1_3gpuE8ELNS1_3repE0EEENS1_30default_config_static_selectorELNS0_4arch9wavefront6targetE1EEEvT1_,"axG",@progbits,_ZN7rocprim17ROCPRIM_400000_NS6detail17trampoline_kernelINS0_14default_configENS1_25transform_config_selectorImLb1EEEZNS1_14transform_implILb1ES3_S5_PmPlNS0_8identityIvEEEE10hipError_tT2_T3_mT4_P12ihipStream_tbEUlT_E_NS1_11comp_targetILNS1_3genE4ELNS1_11target_archE910ELNS1_3gpuE8ELNS1_3repE0EEENS1_30default_config_static_selectorELNS0_4arch9wavefront6targetE1EEEvT1_,comdat
.Lfunc_end16:
	.size	_ZN7rocprim17ROCPRIM_400000_NS6detail17trampoline_kernelINS0_14default_configENS1_25transform_config_selectorImLb1EEEZNS1_14transform_implILb1ES3_S5_PmPlNS0_8identityIvEEEE10hipError_tT2_T3_mT4_P12ihipStream_tbEUlT_E_NS1_11comp_targetILNS1_3genE4ELNS1_11target_archE910ELNS1_3gpuE8ELNS1_3repE0EEENS1_30default_config_static_selectorELNS0_4arch9wavefront6targetE1EEEvT1_, .Lfunc_end16-_ZN7rocprim17ROCPRIM_400000_NS6detail17trampoline_kernelINS0_14default_configENS1_25transform_config_selectorImLb1EEEZNS1_14transform_implILb1ES3_S5_PmPlNS0_8identityIvEEEE10hipError_tT2_T3_mT4_P12ihipStream_tbEUlT_E_NS1_11comp_targetILNS1_3genE4ELNS1_11target_archE910ELNS1_3gpuE8ELNS1_3repE0EEENS1_30default_config_static_selectorELNS0_4arch9wavefront6targetE1EEEvT1_
                                        ; -- End function
	.section	.AMDGPU.csdata,"",@progbits
; Kernel info:
; codeLenInByte = 0
; NumSgprs: 6
; NumVgprs: 0
; NumAgprs: 0
; TotalNumVgprs: 0
; ScratchSize: 0
; MemoryBound: 0
; FloatMode: 240
; IeeeMode: 1
; LDSByteSize: 0 bytes/workgroup (compile time only)
; SGPRBlocks: 0
; VGPRBlocks: 0
; NumSGPRsForWavesPerEU: 6
; NumVGPRsForWavesPerEU: 1
; AccumOffset: 4
; Occupancy: 8
; WaveLimiterHint : 0
; COMPUTE_PGM_RSRC2:SCRATCH_EN: 0
; COMPUTE_PGM_RSRC2:USER_SGPR: 2
; COMPUTE_PGM_RSRC2:TRAP_HANDLER: 0
; COMPUTE_PGM_RSRC2:TGID_X_EN: 1
; COMPUTE_PGM_RSRC2:TGID_Y_EN: 0
; COMPUTE_PGM_RSRC2:TGID_Z_EN: 0
; COMPUTE_PGM_RSRC2:TIDIG_COMP_CNT: 0
; COMPUTE_PGM_RSRC3_GFX90A:ACCUM_OFFSET: 0
; COMPUTE_PGM_RSRC3_GFX90A:TG_SPLIT: 0
	.section	.text._ZN7rocprim17ROCPRIM_400000_NS6detail17trampoline_kernelINS0_14default_configENS1_25transform_config_selectorImLb1EEEZNS1_14transform_implILb1ES3_S5_PmPlNS0_8identityIvEEEE10hipError_tT2_T3_mT4_P12ihipStream_tbEUlT_E_NS1_11comp_targetILNS1_3genE3ELNS1_11target_archE908ELNS1_3gpuE7ELNS1_3repE0EEENS1_30default_config_static_selectorELNS0_4arch9wavefront6targetE1EEEvT1_,"axG",@progbits,_ZN7rocprim17ROCPRIM_400000_NS6detail17trampoline_kernelINS0_14default_configENS1_25transform_config_selectorImLb1EEEZNS1_14transform_implILb1ES3_S5_PmPlNS0_8identityIvEEEE10hipError_tT2_T3_mT4_P12ihipStream_tbEUlT_E_NS1_11comp_targetILNS1_3genE3ELNS1_11target_archE908ELNS1_3gpuE7ELNS1_3repE0EEENS1_30default_config_static_selectorELNS0_4arch9wavefront6targetE1EEEvT1_,comdat
	.protected	_ZN7rocprim17ROCPRIM_400000_NS6detail17trampoline_kernelINS0_14default_configENS1_25transform_config_selectorImLb1EEEZNS1_14transform_implILb1ES3_S5_PmPlNS0_8identityIvEEEE10hipError_tT2_T3_mT4_P12ihipStream_tbEUlT_E_NS1_11comp_targetILNS1_3genE3ELNS1_11target_archE908ELNS1_3gpuE7ELNS1_3repE0EEENS1_30default_config_static_selectorELNS0_4arch9wavefront6targetE1EEEvT1_ ; -- Begin function _ZN7rocprim17ROCPRIM_400000_NS6detail17trampoline_kernelINS0_14default_configENS1_25transform_config_selectorImLb1EEEZNS1_14transform_implILb1ES3_S5_PmPlNS0_8identityIvEEEE10hipError_tT2_T3_mT4_P12ihipStream_tbEUlT_E_NS1_11comp_targetILNS1_3genE3ELNS1_11target_archE908ELNS1_3gpuE7ELNS1_3repE0EEENS1_30default_config_static_selectorELNS0_4arch9wavefront6targetE1EEEvT1_
	.globl	_ZN7rocprim17ROCPRIM_400000_NS6detail17trampoline_kernelINS0_14default_configENS1_25transform_config_selectorImLb1EEEZNS1_14transform_implILb1ES3_S5_PmPlNS0_8identityIvEEEE10hipError_tT2_T3_mT4_P12ihipStream_tbEUlT_E_NS1_11comp_targetILNS1_3genE3ELNS1_11target_archE908ELNS1_3gpuE7ELNS1_3repE0EEENS1_30default_config_static_selectorELNS0_4arch9wavefront6targetE1EEEvT1_
	.p2align	8
	.type	_ZN7rocprim17ROCPRIM_400000_NS6detail17trampoline_kernelINS0_14default_configENS1_25transform_config_selectorImLb1EEEZNS1_14transform_implILb1ES3_S5_PmPlNS0_8identityIvEEEE10hipError_tT2_T3_mT4_P12ihipStream_tbEUlT_E_NS1_11comp_targetILNS1_3genE3ELNS1_11target_archE908ELNS1_3gpuE7ELNS1_3repE0EEENS1_30default_config_static_selectorELNS0_4arch9wavefront6targetE1EEEvT1_,@function
_ZN7rocprim17ROCPRIM_400000_NS6detail17trampoline_kernelINS0_14default_configENS1_25transform_config_selectorImLb1EEEZNS1_14transform_implILb1ES3_S5_PmPlNS0_8identityIvEEEE10hipError_tT2_T3_mT4_P12ihipStream_tbEUlT_E_NS1_11comp_targetILNS1_3genE3ELNS1_11target_archE908ELNS1_3gpuE7ELNS1_3repE0EEENS1_30default_config_static_selectorELNS0_4arch9wavefront6targetE1EEEvT1_: ; @_ZN7rocprim17ROCPRIM_400000_NS6detail17trampoline_kernelINS0_14default_configENS1_25transform_config_selectorImLb1EEEZNS1_14transform_implILb1ES3_S5_PmPlNS0_8identityIvEEEE10hipError_tT2_T3_mT4_P12ihipStream_tbEUlT_E_NS1_11comp_targetILNS1_3genE3ELNS1_11target_archE908ELNS1_3gpuE7ELNS1_3repE0EEENS1_30default_config_static_selectorELNS0_4arch9wavefront6targetE1EEEvT1_
; %bb.0:
	.section	.rodata,"a",@progbits
	.p2align	6, 0x0
	.amdhsa_kernel _ZN7rocprim17ROCPRIM_400000_NS6detail17trampoline_kernelINS0_14default_configENS1_25transform_config_selectorImLb1EEEZNS1_14transform_implILb1ES3_S5_PmPlNS0_8identityIvEEEE10hipError_tT2_T3_mT4_P12ihipStream_tbEUlT_E_NS1_11comp_targetILNS1_3genE3ELNS1_11target_archE908ELNS1_3gpuE7ELNS1_3repE0EEENS1_30default_config_static_selectorELNS0_4arch9wavefront6targetE1EEEvT1_
		.amdhsa_group_segment_fixed_size 0
		.amdhsa_private_segment_fixed_size 0
		.amdhsa_kernarg_size 40
		.amdhsa_user_sgpr_count 2
		.amdhsa_user_sgpr_dispatch_ptr 0
		.amdhsa_user_sgpr_queue_ptr 0
		.amdhsa_user_sgpr_kernarg_segment_ptr 1
		.amdhsa_user_sgpr_dispatch_id 0
		.amdhsa_user_sgpr_kernarg_preload_length 0
		.amdhsa_user_sgpr_kernarg_preload_offset 0
		.amdhsa_user_sgpr_private_segment_size 0
		.amdhsa_uses_dynamic_stack 0
		.amdhsa_enable_private_segment 0
		.amdhsa_system_sgpr_workgroup_id_x 1
		.amdhsa_system_sgpr_workgroup_id_y 0
		.amdhsa_system_sgpr_workgroup_id_z 0
		.amdhsa_system_sgpr_workgroup_info 0
		.amdhsa_system_vgpr_workitem_id 0
		.amdhsa_next_free_vgpr 1
		.amdhsa_next_free_sgpr 0
		.amdhsa_accum_offset 4
		.amdhsa_reserve_vcc 0
		.amdhsa_float_round_mode_32 0
		.amdhsa_float_round_mode_16_64 0
		.amdhsa_float_denorm_mode_32 3
		.amdhsa_float_denorm_mode_16_64 3
		.amdhsa_dx10_clamp 1
		.amdhsa_ieee_mode 1
		.amdhsa_fp16_overflow 0
		.amdhsa_tg_split 0
		.amdhsa_exception_fp_ieee_invalid_op 0
		.amdhsa_exception_fp_denorm_src 0
		.amdhsa_exception_fp_ieee_div_zero 0
		.amdhsa_exception_fp_ieee_overflow 0
		.amdhsa_exception_fp_ieee_underflow 0
		.amdhsa_exception_fp_ieee_inexact 0
		.amdhsa_exception_int_div_zero 0
	.end_amdhsa_kernel
	.section	.text._ZN7rocprim17ROCPRIM_400000_NS6detail17trampoline_kernelINS0_14default_configENS1_25transform_config_selectorImLb1EEEZNS1_14transform_implILb1ES3_S5_PmPlNS0_8identityIvEEEE10hipError_tT2_T3_mT4_P12ihipStream_tbEUlT_E_NS1_11comp_targetILNS1_3genE3ELNS1_11target_archE908ELNS1_3gpuE7ELNS1_3repE0EEENS1_30default_config_static_selectorELNS0_4arch9wavefront6targetE1EEEvT1_,"axG",@progbits,_ZN7rocprim17ROCPRIM_400000_NS6detail17trampoline_kernelINS0_14default_configENS1_25transform_config_selectorImLb1EEEZNS1_14transform_implILb1ES3_S5_PmPlNS0_8identityIvEEEE10hipError_tT2_T3_mT4_P12ihipStream_tbEUlT_E_NS1_11comp_targetILNS1_3genE3ELNS1_11target_archE908ELNS1_3gpuE7ELNS1_3repE0EEENS1_30default_config_static_selectorELNS0_4arch9wavefront6targetE1EEEvT1_,comdat
.Lfunc_end17:
	.size	_ZN7rocprim17ROCPRIM_400000_NS6detail17trampoline_kernelINS0_14default_configENS1_25transform_config_selectorImLb1EEEZNS1_14transform_implILb1ES3_S5_PmPlNS0_8identityIvEEEE10hipError_tT2_T3_mT4_P12ihipStream_tbEUlT_E_NS1_11comp_targetILNS1_3genE3ELNS1_11target_archE908ELNS1_3gpuE7ELNS1_3repE0EEENS1_30default_config_static_selectorELNS0_4arch9wavefront6targetE1EEEvT1_, .Lfunc_end17-_ZN7rocprim17ROCPRIM_400000_NS6detail17trampoline_kernelINS0_14default_configENS1_25transform_config_selectorImLb1EEEZNS1_14transform_implILb1ES3_S5_PmPlNS0_8identityIvEEEE10hipError_tT2_T3_mT4_P12ihipStream_tbEUlT_E_NS1_11comp_targetILNS1_3genE3ELNS1_11target_archE908ELNS1_3gpuE7ELNS1_3repE0EEENS1_30default_config_static_selectorELNS0_4arch9wavefront6targetE1EEEvT1_
                                        ; -- End function
	.section	.AMDGPU.csdata,"",@progbits
; Kernel info:
; codeLenInByte = 0
; NumSgprs: 6
; NumVgprs: 0
; NumAgprs: 0
; TotalNumVgprs: 0
; ScratchSize: 0
; MemoryBound: 0
; FloatMode: 240
; IeeeMode: 1
; LDSByteSize: 0 bytes/workgroup (compile time only)
; SGPRBlocks: 0
; VGPRBlocks: 0
; NumSGPRsForWavesPerEU: 6
; NumVGPRsForWavesPerEU: 1
; AccumOffset: 4
; Occupancy: 8
; WaveLimiterHint : 0
; COMPUTE_PGM_RSRC2:SCRATCH_EN: 0
; COMPUTE_PGM_RSRC2:USER_SGPR: 2
; COMPUTE_PGM_RSRC2:TRAP_HANDLER: 0
; COMPUTE_PGM_RSRC2:TGID_X_EN: 1
; COMPUTE_PGM_RSRC2:TGID_Y_EN: 0
; COMPUTE_PGM_RSRC2:TGID_Z_EN: 0
; COMPUTE_PGM_RSRC2:TIDIG_COMP_CNT: 0
; COMPUTE_PGM_RSRC3_GFX90A:ACCUM_OFFSET: 0
; COMPUTE_PGM_RSRC3_GFX90A:TG_SPLIT: 0
	.section	.text._ZN7rocprim17ROCPRIM_400000_NS6detail17trampoline_kernelINS0_14default_configENS1_25transform_config_selectorImLb1EEEZNS1_14transform_implILb1ES3_S5_PmPlNS0_8identityIvEEEE10hipError_tT2_T3_mT4_P12ihipStream_tbEUlT_E_NS1_11comp_targetILNS1_3genE2ELNS1_11target_archE906ELNS1_3gpuE6ELNS1_3repE0EEENS1_30default_config_static_selectorELNS0_4arch9wavefront6targetE1EEEvT1_,"axG",@progbits,_ZN7rocprim17ROCPRIM_400000_NS6detail17trampoline_kernelINS0_14default_configENS1_25transform_config_selectorImLb1EEEZNS1_14transform_implILb1ES3_S5_PmPlNS0_8identityIvEEEE10hipError_tT2_T3_mT4_P12ihipStream_tbEUlT_E_NS1_11comp_targetILNS1_3genE2ELNS1_11target_archE906ELNS1_3gpuE6ELNS1_3repE0EEENS1_30default_config_static_selectorELNS0_4arch9wavefront6targetE1EEEvT1_,comdat
	.protected	_ZN7rocprim17ROCPRIM_400000_NS6detail17trampoline_kernelINS0_14default_configENS1_25transform_config_selectorImLb1EEEZNS1_14transform_implILb1ES3_S5_PmPlNS0_8identityIvEEEE10hipError_tT2_T3_mT4_P12ihipStream_tbEUlT_E_NS1_11comp_targetILNS1_3genE2ELNS1_11target_archE906ELNS1_3gpuE6ELNS1_3repE0EEENS1_30default_config_static_selectorELNS0_4arch9wavefront6targetE1EEEvT1_ ; -- Begin function _ZN7rocprim17ROCPRIM_400000_NS6detail17trampoline_kernelINS0_14default_configENS1_25transform_config_selectorImLb1EEEZNS1_14transform_implILb1ES3_S5_PmPlNS0_8identityIvEEEE10hipError_tT2_T3_mT4_P12ihipStream_tbEUlT_E_NS1_11comp_targetILNS1_3genE2ELNS1_11target_archE906ELNS1_3gpuE6ELNS1_3repE0EEENS1_30default_config_static_selectorELNS0_4arch9wavefront6targetE1EEEvT1_
	.globl	_ZN7rocprim17ROCPRIM_400000_NS6detail17trampoline_kernelINS0_14default_configENS1_25transform_config_selectorImLb1EEEZNS1_14transform_implILb1ES3_S5_PmPlNS0_8identityIvEEEE10hipError_tT2_T3_mT4_P12ihipStream_tbEUlT_E_NS1_11comp_targetILNS1_3genE2ELNS1_11target_archE906ELNS1_3gpuE6ELNS1_3repE0EEENS1_30default_config_static_selectorELNS0_4arch9wavefront6targetE1EEEvT1_
	.p2align	8
	.type	_ZN7rocprim17ROCPRIM_400000_NS6detail17trampoline_kernelINS0_14default_configENS1_25transform_config_selectorImLb1EEEZNS1_14transform_implILb1ES3_S5_PmPlNS0_8identityIvEEEE10hipError_tT2_T3_mT4_P12ihipStream_tbEUlT_E_NS1_11comp_targetILNS1_3genE2ELNS1_11target_archE906ELNS1_3gpuE6ELNS1_3repE0EEENS1_30default_config_static_selectorELNS0_4arch9wavefront6targetE1EEEvT1_,@function
_ZN7rocprim17ROCPRIM_400000_NS6detail17trampoline_kernelINS0_14default_configENS1_25transform_config_selectorImLb1EEEZNS1_14transform_implILb1ES3_S5_PmPlNS0_8identityIvEEEE10hipError_tT2_T3_mT4_P12ihipStream_tbEUlT_E_NS1_11comp_targetILNS1_3genE2ELNS1_11target_archE906ELNS1_3gpuE6ELNS1_3repE0EEENS1_30default_config_static_selectorELNS0_4arch9wavefront6targetE1EEEvT1_: ; @_ZN7rocprim17ROCPRIM_400000_NS6detail17trampoline_kernelINS0_14default_configENS1_25transform_config_selectorImLb1EEEZNS1_14transform_implILb1ES3_S5_PmPlNS0_8identityIvEEEE10hipError_tT2_T3_mT4_P12ihipStream_tbEUlT_E_NS1_11comp_targetILNS1_3genE2ELNS1_11target_archE906ELNS1_3gpuE6ELNS1_3repE0EEENS1_30default_config_static_selectorELNS0_4arch9wavefront6targetE1EEEvT1_
; %bb.0:
	.section	.rodata,"a",@progbits
	.p2align	6, 0x0
	.amdhsa_kernel _ZN7rocprim17ROCPRIM_400000_NS6detail17trampoline_kernelINS0_14default_configENS1_25transform_config_selectorImLb1EEEZNS1_14transform_implILb1ES3_S5_PmPlNS0_8identityIvEEEE10hipError_tT2_T3_mT4_P12ihipStream_tbEUlT_E_NS1_11comp_targetILNS1_3genE2ELNS1_11target_archE906ELNS1_3gpuE6ELNS1_3repE0EEENS1_30default_config_static_selectorELNS0_4arch9wavefront6targetE1EEEvT1_
		.amdhsa_group_segment_fixed_size 0
		.amdhsa_private_segment_fixed_size 0
		.amdhsa_kernarg_size 40
		.amdhsa_user_sgpr_count 2
		.amdhsa_user_sgpr_dispatch_ptr 0
		.amdhsa_user_sgpr_queue_ptr 0
		.amdhsa_user_sgpr_kernarg_segment_ptr 1
		.amdhsa_user_sgpr_dispatch_id 0
		.amdhsa_user_sgpr_kernarg_preload_length 0
		.amdhsa_user_sgpr_kernarg_preload_offset 0
		.amdhsa_user_sgpr_private_segment_size 0
		.amdhsa_uses_dynamic_stack 0
		.amdhsa_enable_private_segment 0
		.amdhsa_system_sgpr_workgroup_id_x 1
		.amdhsa_system_sgpr_workgroup_id_y 0
		.amdhsa_system_sgpr_workgroup_id_z 0
		.amdhsa_system_sgpr_workgroup_info 0
		.amdhsa_system_vgpr_workitem_id 0
		.amdhsa_next_free_vgpr 1
		.amdhsa_next_free_sgpr 0
		.amdhsa_accum_offset 4
		.amdhsa_reserve_vcc 0
		.amdhsa_float_round_mode_32 0
		.amdhsa_float_round_mode_16_64 0
		.amdhsa_float_denorm_mode_32 3
		.amdhsa_float_denorm_mode_16_64 3
		.amdhsa_dx10_clamp 1
		.amdhsa_ieee_mode 1
		.amdhsa_fp16_overflow 0
		.amdhsa_tg_split 0
		.amdhsa_exception_fp_ieee_invalid_op 0
		.amdhsa_exception_fp_denorm_src 0
		.amdhsa_exception_fp_ieee_div_zero 0
		.amdhsa_exception_fp_ieee_overflow 0
		.amdhsa_exception_fp_ieee_underflow 0
		.amdhsa_exception_fp_ieee_inexact 0
		.amdhsa_exception_int_div_zero 0
	.end_amdhsa_kernel
	.section	.text._ZN7rocprim17ROCPRIM_400000_NS6detail17trampoline_kernelINS0_14default_configENS1_25transform_config_selectorImLb1EEEZNS1_14transform_implILb1ES3_S5_PmPlNS0_8identityIvEEEE10hipError_tT2_T3_mT4_P12ihipStream_tbEUlT_E_NS1_11comp_targetILNS1_3genE2ELNS1_11target_archE906ELNS1_3gpuE6ELNS1_3repE0EEENS1_30default_config_static_selectorELNS0_4arch9wavefront6targetE1EEEvT1_,"axG",@progbits,_ZN7rocprim17ROCPRIM_400000_NS6detail17trampoline_kernelINS0_14default_configENS1_25transform_config_selectorImLb1EEEZNS1_14transform_implILb1ES3_S5_PmPlNS0_8identityIvEEEE10hipError_tT2_T3_mT4_P12ihipStream_tbEUlT_E_NS1_11comp_targetILNS1_3genE2ELNS1_11target_archE906ELNS1_3gpuE6ELNS1_3repE0EEENS1_30default_config_static_selectorELNS0_4arch9wavefront6targetE1EEEvT1_,comdat
.Lfunc_end18:
	.size	_ZN7rocprim17ROCPRIM_400000_NS6detail17trampoline_kernelINS0_14default_configENS1_25transform_config_selectorImLb1EEEZNS1_14transform_implILb1ES3_S5_PmPlNS0_8identityIvEEEE10hipError_tT2_T3_mT4_P12ihipStream_tbEUlT_E_NS1_11comp_targetILNS1_3genE2ELNS1_11target_archE906ELNS1_3gpuE6ELNS1_3repE0EEENS1_30default_config_static_selectorELNS0_4arch9wavefront6targetE1EEEvT1_, .Lfunc_end18-_ZN7rocprim17ROCPRIM_400000_NS6detail17trampoline_kernelINS0_14default_configENS1_25transform_config_selectorImLb1EEEZNS1_14transform_implILb1ES3_S5_PmPlNS0_8identityIvEEEE10hipError_tT2_T3_mT4_P12ihipStream_tbEUlT_E_NS1_11comp_targetILNS1_3genE2ELNS1_11target_archE906ELNS1_3gpuE6ELNS1_3repE0EEENS1_30default_config_static_selectorELNS0_4arch9wavefront6targetE1EEEvT1_
                                        ; -- End function
	.section	.AMDGPU.csdata,"",@progbits
; Kernel info:
; codeLenInByte = 0
; NumSgprs: 6
; NumVgprs: 0
; NumAgprs: 0
; TotalNumVgprs: 0
; ScratchSize: 0
; MemoryBound: 0
; FloatMode: 240
; IeeeMode: 1
; LDSByteSize: 0 bytes/workgroup (compile time only)
; SGPRBlocks: 0
; VGPRBlocks: 0
; NumSGPRsForWavesPerEU: 6
; NumVGPRsForWavesPerEU: 1
; AccumOffset: 4
; Occupancy: 8
; WaveLimiterHint : 0
; COMPUTE_PGM_RSRC2:SCRATCH_EN: 0
; COMPUTE_PGM_RSRC2:USER_SGPR: 2
; COMPUTE_PGM_RSRC2:TRAP_HANDLER: 0
; COMPUTE_PGM_RSRC2:TGID_X_EN: 1
; COMPUTE_PGM_RSRC2:TGID_Y_EN: 0
; COMPUTE_PGM_RSRC2:TGID_Z_EN: 0
; COMPUTE_PGM_RSRC2:TIDIG_COMP_CNT: 0
; COMPUTE_PGM_RSRC3_GFX90A:ACCUM_OFFSET: 0
; COMPUTE_PGM_RSRC3_GFX90A:TG_SPLIT: 0
	.section	.text._ZN7rocprim17ROCPRIM_400000_NS6detail17trampoline_kernelINS0_14default_configENS1_25transform_config_selectorImLb1EEEZNS1_14transform_implILb1ES3_S5_PmPlNS0_8identityIvEEEE10hipError_tT2_T3_mT4_P12ihipStream_tbEUlT_E_NS1_11comp_targetILNS1_3genE9ELNS1_11target_archE1100ELNS1_3gpuE3ELNS1_3repE0EEENS1_30default_config_static_selectorELNS0_4arch9wavefront6targetE1EEEvT1_,"axG",@progbits,_ZN7rocprim17ROCPRIM_400000_NS6detail17trampoline_kernelINS0_14default_configENS1_25transform_config_selectorImLb1EEEZNS1_14transform_implILb1ES3_S5_PmPlNS0_8identityIvEEEE10hipError_tT2_T3_mT4_P12ihipStream_tbEUlT_E_NS1_11comp_targetILNS1_3genE9ELNS1_11target_archE1100ELNS1_3gpuE3ELNS1_3repE0EEENS1_30default_config_static_selectorELNS0_4arch9wavefront6targetE1EEEvT1_,comdat
	.protected	_ZN7rocprim17ROCPRIM_400000_NS6detail17trampoline_kernelINS0_14default_configENS1_25transform_config_selectorImLb1EEEZNS1_14transform_implILb1ES3_S5_PmPlNS0_8identityIvEEEE10hipError_tT2_T3_mT4_P12ihipStream_tbEUlT_E_NS1_11comp_targetILNS1_3genE9ELNS1_11target_archE1100ELNS1_3gpuE3ELNS1_3repE0EEENS1_30default_config_static_selectorELNS0_4arch9wavefront6targetE1EEEvT1_ ; -- Begin function _ZN7rocprim17ROCPRIM_400000_NS6detail17trampoline_kernelINS0_14default_configENS1_25transform_config_selectorImLb1EEEZNS1_14transform_implILb1ES3_S5_PmPlNS0_8identityIvEEEE10hipError_tT2_T3_mT4_P12ihipStream_tbEUlT_E_NS1_11comp_targetILNS1_3genE9ELNS1_11target_archE1100ELNS1_3gpuE3ELNS1_3repE0EEENS1_30default_config_static_selectorELNS0_4arch9wavefront6targetE1EEEvT1_
	.globl	_ZN7rocprim17ROCPRIM_400000_NS6detail17trampoline_kernelINS0_14default_configENS1_25transform_config_selectorImLb1EEEZNS1_14transform_implILb1ES3_S5_PmPlNS0_8identityIvEEEE10hipError_tT2_T3_mT4_P12ihipStream_tbEUlT_E_NS1_11comp_targetILNS1_3genE9ELNS1_11target_archE1100ELNS1_3gpuE3ELNS1_3repE0EEENS1_30default_config_static_selectorELNS0_4arch9wavefront6targetE1EEEvT1_
	.p2align	8
	.type	_ZN7rocprim17ROCPRIM_400000_NS6detail17trampoline_kernelINS0_14default_configENS1_25transform_config_selectorImLb1EEEZNS1_14transform_implILb1ES3_S5_PmPlNS0_8identityIvEEEE10hipError_tT2_T3_mT4_P12ihipStream_tbEUlT_E_NS1_11comp_targetILNS1_3genE9ELNS1_11target_archE1100ELNS1_3gpuE3ELNS1_3repE0EEENS1_30default_config_static_selectorELNS0_4arch9wavefront6targetE1EEEvT1_,@function
_ZN7rocprim17ROCPRIM_400000_NS6detail17trampoline_kernelINS0_14default_configENS1_25transform_config_selectorImLb1EEEZNS1_14transform_implILb1ES3_S5_PmPlNS0_8identityIvEEEE10hipError_tT2_T3_mT4_P12ihipStream_tbEUlT_E_NS1_11comp_targetILNS1_3genE9ELNS1_11target_archE1100ELNS1_3gpuE3ELNS1_3repE0EEENS1_30default_config_static_selectorELNS0_4arch9wavefront6targetE1EEEvT1_: ; @_ZN7rocprim17ROCPRIM_400000_NS6detail17trampoline_kernelINS0_14default_configENS1_25transform_config_selectorImLb1EEEZNS1_14transform_implILb1ES3_S5_PmPlNS0_8identityIvEEEE10hipError_tT2_T3_mT4_P12ihipStream_tbEUlT_E_NS1_11comp_targetILNS1_3genE9ELNS1_11target_archE1100ELNS1_3gpuE3ELNS1_3repE0EEENS1_30default_config_static_selectorELNS0_4arch9wavefront6targetE1EEEvT1_
; %bb.0:
	.section	.rodata,"a",@progbits
	.p2align	6, 0x0
	.amdhsa_kernel _ZN7rocprim17ROCPRIM_400000_NS6detail17trampoline_kernelINS0_14default_configENS1_25transform_config_selectorImLb1EEEZNS1_14transform_implILb1ES3_S5_PmPlNS0_8identityIvEEEE10hipError_tT2_T3_mT4_P12ihipStream_tbEUlT_E_NS1_11comp_targetILNS1_3genE9ELNS1_11target_archE1100ELNS1_3gpuE3ELNS1_3repE0EEENS1_30default_config_static_selectorELNS0_4arch9wavefront6targetE1EEEvT1_
		.amdhsa_group_segment_fixed_size 0
		.amdhsa_private_segment_fixed_size 0
		.amdhsa_kernarg_size 40
		.amdhsa_user_sgpr_count 2
		.amdhsa_user_sgpr_dispatch_ptr 0
		.amdhsa_user_sgpr_queue_ptr 0
		.amdhsa_user_sgpr_kernarg_segment_ptr 1
		.amdhsa_user_sgpr_dispatch_id 0
		.amdhsa_user_sgpr_kernarg_preload_length 0
		.amdhsa_user_sgpr_kernarg_preload_offset 0
		.amdhsa_user_sgpr_private_segment_size 0
		.amdhsa_uses_dynamic_stack 0
		.amdhsa_enable_private_segment 0
		.amdhsa_system_sgpr_workgroup_id_x 1
		.amdhsa_system_sgpr_workgroup_id_y 0
		.amdhsa_system_sgpr_workgroup_id_z 0
		.amdhsa_system_sgpr_workgroup_info 0
		.amdhsa_system_vgpr_workitem_id 0
		.amdhsa_next_free_vgpr 1
		.amdhsa_next_free_sgpr 0
		.amdhsa_accum_offset 4
		.amdhsa_reserve_vcc 0
		.amdhsa_float_round_mode_32 0
		.amdhsa_float_round_mode_16_64 0
		.amdhsa_float_denorm_mode_32 3
		.amdhsa_float_denorm_mode_16_64 3
		.amdhsa_dx10_clamp 1
		.amdhsa_ieee_mode 1
		.amdhsa_fp16_overflow 0
		.amdhsa_tg_split 0
		.amdhsa_exception_fp_ieee_invalid_op 0
		.amdhsa_exception_fp_denorm_src 0
		.amdhsa_exception_fp_ieee_div_zero 0
		.amdhsa_exception_fp_ieee_overflow 0
		.amdhsa_exception_fp_ieee_underflow 0
		.amdhsa_exception_fp_ieee_inexact 0
		.amdhsa_exception_int_div_zero 0
	.end_amdhsa_kernel
	.section	.text._ZN7rocprim17ROCPRIM_400000_NS6detail17trampoline_kernelINS0_14default_configENS1_25transform_config_selectorImLb1EEEZNS1_14transform_implILb1ES3_S5_PmPlNS0_8identityIvEEEE10hipError_tT2_T3_mT4_P12ihipStream_tbEUlT_E_NS1_11comp_targetILNS1_3genE9ELNS1_11target_archE1100ELNS1_3gpuE3ELNS1_3repE0EEENS1_30default_config_static_selectorELNS0_4arch9wavefront6targetE1EEEvT1_,"axG",@progbits,_ZN7rocprim17ROCPRIM_400000_NS6detail17trampoline_kernelINS0_14default_configENS1_25transform_config_selectorImLb1EEEZNS1_14transform_implILb1ES3_S5_PmPlNS0_8identityIvEEEE10hipError_tT2_T3_mT4_P12ihipStream_tbEUlT_E_NS1_11comp_targetILNS1_3genE9ELNS1_11target_archE1100ELNS1_3gpuE3ELNS1_3repE0EEENS1_30default_config_static_selectorELNS0_4arch9wavefront6targetE1EEEvT1_,comdat
.Lfunc_end19:
	.size	_ZN7rocprim17ROCPRIM_400000_NS6detail17trampoline_kernelINS0_14default_configENS1_25transform_config_selectorImLb1EEEZNS1_14transform_implILb1ES3_S5_PmPlNS0_8identityIvEEEE10hipError_tT2_T3_mT4_P12ihipStream_tbEUlT_E_NS1_11comp_targetILNS1_3genE9ELNS1_11target_archE1100ELNS1_3gpuE3ELNS1_3repE0EEENS1_30default_config_static_selectorELNS0_4arch9wavefront6targetE1EEEvT1_, .Lfunc_end19-_ZN7rocprim17ROCPRIM_400000_NS6detail17trampoline_kernelINS0_14default_configENS1_25transform_config_selectorImLb1EEEZNS1_14transform_implILb1ES3_S5_PmPlNS0_8identityIvEEEE10hipError_tT2_T3_mT4_P12ihipStream_tbEUlT_E_NS1_11comp_targetILNS1_3genE9ELNS1_11target_archE1100ELNS1_3gpuE3ELNS1_3repE0EEENS1_30default_config_static_selectorELNS0_4arch9wavefront6targetE1EEEvT1_
                                        ; -- End function
	.section	.AMDGPU.csdata,"",@progbits
; Kernel info:
; codeLenInByte = 0
; NumSgprs: 6
; NumVgprs: 0
; NumAgprs: 0
; TotalNumVgprs: 0
; ScratchSize: 0
; MemoryBound: 0
; FloatMode: 240
; IeeeMode: 1
; LDSByteSize: 0 bytes/workgroup (compile time only)
; SGPRBlocks: 0
; VGPRBlocks: 0
; NumSGPRsForWavesPerEU: 6
; NumVGPRsForWavesPerEU: 1
; AccumOffset: 4
; Occupancy: 8
; WaveLimiterHint : 0
; COMPUTE_PGM_RSRC2:SCRATCH_EN: 0
; COMPUTE_PGM_RSRC2:USER_SGPR: 2
; COMPUTE_PGM_RSRC2:TRAP_HANDLER: 0
; COMPUTE_PGM_RSRC2:TGID_X_EN: 1
; COMPUTE_PGM_RSRC2:TGID_Y_EN: 0
; COMPUTE_PGM_RSRC2:TGID_Z_EN: 0
; COMPUTE_PGM_RSRC2:TIDIG_COMP_CNT: 0
; COMPUTE_PGM_RSRC3_GFX90A:ACCUM_OFFSET: 0
; COMPUTE_PGM_RSRC3_GFX90A:TG_SPLIT: 0
	.section	.text._ZN7rocprim17ROCPRIM_400000_NS6detail17trampoline_kernelINS0_14default_configENS1_25transform_config_selectorImLb1EEEZNS1_14transform_implILb1ES3_S5_PmPlNS0_8identityIvEEEE10hipError_tT2_T3_mT4_P12ihipStream_tbEUlT_E_NS1_11comp_targetILNS1_3genE8ELNS1_11target_archE1030ELNS1_3gpuE2ELNS1_3repE0EEENS1_30default_config_static_selectorELNS0_4arch9wavefront6targetE1EEEvT1_,"axG",@progbits,_ZN7rocprim17ROCPRIM_400000_NS6detail17trampoline_kernelINS0_14default_configENS1_25transform_config_selectorImLb1EEEZNS1_14transform_implILb1ES3_S5_PmPlNS0_8identityIvEEEE10hipError_tT2_T3_mT4_P12ihipStream_tbEUlT_E_NS1_11comp_targetILNS1_3genE8ELNS1_11target_archE1030ELNS1_3gpuE2ELNS1_3repE0EEENS1_30default_config_static_selectorELNS0_4arch9wavefront6targetE1EEEvT1_,comdat
	.protected	_ZN7rocprim17ROCPRIM_400000_NS6detail17trampoline_kernelINS0_14default_configENS1_25transform_config_selectorImLb1EEEZNS1_14transform_implILb1ES3_S5_PmPlNS0_8identityIvEEEE10hipError_tT2_T3_mT4_P12ihipStream_tbEUlT_E_NS1_11comp_targetILNS1_3genE8ELNS1_11target_archE1030ELNS1_3gpuE2ELNS1_3repE0EEENS1_30default_config_static_selectorELNS0_4arch9wavefront6targetE1EEEvT1_ ; -- Begin function _ZN7rocprim17ROCPRIM_400000_NS6detail17trampoline_kernelINS0_14default_configENS1_25transform_config_selectorImLb1EEEZNS1_14transform_implILb1ES3_S5_PmPlNS0_8identityIvEEEE10hipError_tT2_T3_mT4_P12ihipStream_tbEUlT_E_NS1_11comp_targetILNS1_3genE8ELNS1_11target_archE1030ELNS1_3gpuE2ELNS1_3repE0EEENS1_30default_config_static_selectorELNS0_4arch9wavefront6targetE1EEEvT1_
	.globl	_ZN7rocprim17ROCPRIM_400000_NS6detail17trampoline_kernelINS0_14default_configENS1_25transform_config_selectorImLb1EEEZNS1_14transform_implILb1ES3_S5_PmPlNS0_8identityIvEEEE10hipError_tT2_T3_mT4_P12ihipStream_tbEUlT_E_NS1_11comp_targetILNS1_3genE8ELNS1_11target_archE1030ELNS1_3gpuE2ELNS1_3repE0EEENS1_30default_config_static_selectorELNS0_4arch9wavefront6targetE1EEEvT1_
	.p2align	8
	.type	_ZN7rocprim17ROCPRIM_400000_NS6detail17trampoline_kernelINS0_14default_configENS1_25transform_config_selectorImLb1EEEZNS1_14transform_implILb1ES3_S5_PmPlNS0_8identityIvEEEE10hipError_tT2_T3_mT4_P12ihipStream_tbEUlT_E_NS1_11comp_targetILNS1_3genE8ELNS1_11target_archE1030ELNS1_3gpuE2ELNS1_3repE0EEENS1_30default_config_static_selectorELNS0_4arch9wavefront6targetE1EEEvT1_,@function
_ZN7rocprim17ROCPRIM_400000_NS6detail17trampoline_kernelINS0_14default_configENS1_25transform_config_selectorImLb1EEEZNS1_14transform_implILb1ES3_S5_PmPlNS0_8identityIvEEEE10hipError_tT2_T3_mT4_P12ihipStream_tbEUlT_E_NS1_11comp_targetILNS1_3genE8ELNS1_11target_archE1030ELNS1_3gpuE2ELNS1_3repE0EEENS1_30default_config_static_selectorELNS0_4arch9wavefront6targetE1EEEvT1_: ; @_ZN7rocprim17ROCPRIM_400000_NS6detail17trampoline_kernelINS0_14default_configENS1_25transform_config_selectorImLb1EEEZNS1_14transform_implILb1ES3_S5_PmPlNS0_8identityIvEEEE10hipError_tT2_T3_mT4_P12ihipStream_tbEUlT_E_NS1_11comp_targetILNS1_3genE8ELNS1_11target_archE1030ELNS1_3gpuE2ELNS1_3repE0EEENS1_30default_config_static_selectorELNS0_4arch9wavefront6targetE1EEEvT1_
; %bb.0:
	.section	.rodata,"a",@progbits
	.p2align	6, 0x0
	.amdhsa_kernel _ZN7rocprim17ROCPRIM_400000_NS6detail17trampoline_kernelINS0_14default_configENS1_25transform_config_selectorImLb1EEEZNS1_14transform_implILb1ES3_S5_PmPlNS0_8identityIvEEEE10hipError_tT2_T3_mT4_P12ihipStream_tbEUlT_E_NS1_11comp_targetILNS1_3genE8ELNS1_11target_archE1030ELNS1_3gpuE2ELNS1_3repE0EEENS1_30default_config_static_selectorELNS0_4arch9wavefront6targetE1EEEvT1_
		.amdhsa_group_segment_fixed_size 0
		.amdhsa_private_segment_fixed_size 0
		.amdhsa_kernarg_size 40
		.amdhsa_user_sgpr_count 2
		.amdhsa_user_sgpr_dispatch_ptr 0
		.amdhsa_user_sgpr_queue_ptr 0
		.amdhsa_user_sgpr_kernarg_segment_ptr 1
		.amdhsa_user_sgpr_dispatch_id 0
		.amdhsa_user_sgpr_kernarg_preload_length 0
		.amdhsa_user_sgpr_kernarg_preload_offset 0
		.amdhsa_user_sgpr_private_segment_size 0
		.amdhsa_uses_dynamic_stack 0
		.amdhsa_enable_private_segment 0
		.amdhsa_system_sgpr_workgroup_id_x 1
		.amdhsa_system_sgpr_workgroup_id_y 0
		.amdhsa_system_sgpr_workgroup_id_z 0
		.amdhsa_system_sgpr_workgroup_info 0
		.amdhsa_system_vgpr_workitem_id 0
		.amdhsa_next_free_vgpr 1
		.amdhsa_next_free_sgpr 0
		.amdhsa_accum_offset 4
		.amdhsa_reserve_vcc 0
		.amdhsa_float_round_mode_32 0
		.amdhsa_float_round_mode_16_64 0
		.amdhsa_float_denorm_mode_32 3
		.amdhsa_float_denorm_mode_16_64 3
		.amdhsa_dx10_clamp 1
		.amdhsa_ieee_mode 1
		.amdhsa_fp16_overflow 0
		.amdhsa_tg_split 0
		.amdhsa_exception_fp_ieee_invalid_op 0
		.amdhsa_exception_fp_denorm_src 0
		.amdhsa_exception_fp_ieee_div_zero 0
		.amdhsa_exception_fp_ieee_overflow 0
		.amdhsa_exception_fp_ieee_underflow 0
		.amdhsa_exception_fp_ieee_inexact 0
		.amdhsa_exception_int_div_zero 0
	.end_amdhsa_kernel
	.section	.text._ZN7rocprim17ROCPRIM_400000_NS6detail17trampoline_kernelINS0_14default_configENS1_25transform_config_selectorImLb1EEEZNS1_14transform_implILb1ES3_S5_PmPlNS0_8identityIvEEEE10hipError_tT2_T3_mT4_P12ihipStream_tbEUlT_E_NS1_11comp_targetILNS1_3genE8ELNS1_11target_archE1030ELNS1_3gpuE2ELNS1_3repE0EEENS1_30default_config_static_selectorELNS0_4arch9wavefront6targetE1EEEvT1_,"axG",@progbits,_ZN7rocprim17ROCPRIM_400000_NS6detail17trampoline_kernelINS0_14default_configENS1_25transform_config_selectorImLb1EEEZNS1_14transform_implILb1ES3_S5_PmPlNS0_8identityIvEEEE10hipError_tT2_T3_mT4_P12ihipStream_tbEUlT_E_NS1_11comp_targetILNS1_3genE8ELNS1_11target_archE1030ELNS1_3gpuE2ELNS1_3repE0EEENS1_30default_config_static_selectorELNS0_4arch9wavefront6targetE1EEEvT1_,comdat
.Lfunc_end20:
	.size	_ZN7rocprim17ROCPRIM_400000_NS6detail17trampoline_kernelINS0_14default_configENS1_25transform_config_selectorImLb1EEEZNS1_14transform_implILb1ES3_S5_PmPlNS0_8identityIvEEEE10hipError_tT2_T3_mT4_P12ihipStream_tbEUlT_E_NS1_11comp_targetILNS1_3genE8ELNS1_11target_archE1030ELNS1_3gpuE2ELNS1_3repE0EEENS1_30default_config_static_selectorELNS0_4arch9wavefront6targetE1EEEvT1_, .Lfunc_end20-_ZN7rocprim17ROCPRIM_400000_NS6detail17trampoline_kernelINS0_14default_configENS1_25transform_config_selectorImLb1EEEZNS1_14transform_implILb1ES3_S5_PmPlNS0_8identityIvEEEE10hipError_tT2_T3_mT4_P12ihipStream_tbEUlT_E_NS1_11comp_targetILNS1_3genE8ELNS1_11target_archE1030ELNS1_3gpuE2ELNS1_3repE0EEENS1_30default_config_static_selectorELNS0_4arch9wavefront6targetE1EEEvT1_
                                        ; -- End function
	.section	.AMDGPU.csdata,"",@progbits
; Kernel info:
; codeLenInByte = 0
; NumSgprs: 6
; NumVgprs: 0
; NumAgprs: 0
; TotalNumVgprs: 0
; ScratchSize: 0
; MemoryBound: 0
; FloatMode: 240
; IeeeMode: 1
; LDSByteSize: 0 bytes/workgroup (compile time only)
; SGPRBlocks: 0
; VGPRBlocks: 0
; NumSGPRsForWavesPerEU: 6
; NumVGPRsForWavesPerEU: 1
; AccumOffset: 4
; Occupancy: 8
; WaveLimiterHint : 0
; COMPUTE_PGM_RSRC2:SCRATCH_EN: 0
; COMPUTE_PGM_RSRC2:USER_SGPR: 2
; COMPUTE_PGM_RSRC2:TRAP_HANDLER: 0
; COMPUTE_PGM_RSRC2:TGID_X_EN: 1
; COMPUTE_PGM_RSRC2:TGID_Y_EN: 0
; COMPUTE_PGM_RSRC2:TGID_Z_EN: 0
; COMPUTE_PGM_RSRC2:TIDIG_COMP_CNT: 0
; COMPUTE_PGM_RSRC3_GFX90A:ACCUM_OFFSET: 0
; COMPUTE_PGM_RSRC3_GFX90A:TG_SPLIT: 0
	.section	.text._ZN7rocprim17ROCPRIM_400000_NS6detail31init_lookback_scan_state_kernelINS1_19lookback_scan_stateIjLb1ELb1EEENS1_16block_id_wrapperIjLb1EEEEEvT_jT0_jPNS7_10value_typeE,"axG",@progbits,_ZN7rocprim17ROCPRIM_400000_NS6detail31init_lookback_scan_state_kernelINS1_19lookback_scan_stateIjLb1ELb1EEENS1_16block_id_wrapperIjLb1EEEEEvT_jT0_jPNS7_10value_typeE,comdat
	.protected	_ZN7rocprim17ROCPRIM_400000_NS6detail31init_lookback_scan_state_kernelINS1_19lookback_scan_stateIjLb1ELb1EEENS1_16block_id_wrapperIjLb1EEEEEvT_jT0_jPNS7_10value_typeE ; -- Begin function _ZN7rocprim17ROCPRIM_400000_NS6detail31init_lookback_scan_state_kernelINS1_19lookback_scan_stateIjLb1ELb1EEENS1_16block_id_wrapperIjLb1EEEEEvT_jT0_jPNS7_10value_typeE
	.globl	_ZN7rocprim17ROCPRIM_400000_NS6detail31init_lookback_scan_state_kernelINS1_19lookback_scan_stateIjLb1ELb1EEENS1_16block_id_wrapperIjLb1EEEEEvT_jT0_jPNS7_10value_typeE
	.p2align	8
	.type	_ZN7rocprim17ROCPRIM_400000_NS6detail31init_lookback_scan_state_kernelINS1_19lookback_scan_stateIjLb1ELb1EEENS1_16block_id_wrapperIjLb1EEEEEvT_jT0_jPNS7_10value_typeE,@function
_ZN7rocprim17ROCPRIM_400000_NS6detail31init_lookback_scan_state_kernelINS1_19lookback_scan_stateIjLb1ELb1EEENS1_16block_id_wrapperIjLb1EEEEEvT_jT0_jPNS7_10value_typeE: ; @_ZN7rocprim17ROCPRIM_400000_NS6detail31init_lookback_scan_state_kernelINS1_19lookback_scan_stateIjLb1ELb1EEENS1_16block_id_wrapperIjLb1EEEEEvT_jT0_jPNS7_10value_typeE
; %bb.0:
	s_load_dword s3, s[0:1], 0x34
	s_load_dwordx2 s[6:7], s[0:1], 0x20
	s_load_dwordx2 s[4:5], s[0:1], 0x0
	s_load_dword s10, s[0:1], 0x8
	s_waitcnt lgkmcnt(0)
	s_and_b32 s3, s3, 0xffff
	s_mul_i32 s2, s2, s3
	s_cmp_eq_u64 s[6:7], 0
	v_add_u32_e32 v0, s2, v0
	s_cbranch_scc1 .LBB21_9
; %bb.1:
	s_load_dword s8, s[0:1], 0x18
	s_mov_b32 s9, 0
	s_waitcnt lgkmcnt(0)
	s_cmp_lt_u32 s8, s10
	s_cselect_b32 s2, s8, 0
	v_cmp_eq_u32_e32 vcc, s2, v0
	s_and_saveexec_b64 s[2:3], vcc
	s_cbranch_execz .LBB21_8
; %bb.2:
	s_add_i32 s8, s8, 64
	s_lshl_b64 s[8:9], s[8:9], 3
	s_add_u32 s8, s4, s8
	s_addc_u32 s9, s5, s9
	v_mov_b32_e32 v2, 0
	global_load_dwordx2 v[4:5], v2, s[8:9] sc1
	s_waitcnt vmcnt(0)
	v_and_b32_e32 v3, 0xff, v5
	v_cmp_ne_u64_e32 vcc, 0, v[2:3]
	s_cbranch_vccnz .LBB21_7
; %bb.3:
	s_mov_b32 s11, 1
.LBB21_4:                               ; =>This Loop Header: Depth=1
                                        ;     Child Loop BB21_5 Depth 2
	s_max_u32 s12, s11, 1
.LBB21_5:                               ;   Parent Loop BB21_4 Depth=1
                                        ; =>  This Inner Loop Header: Depth=2
	s_add_i32 s12, s12, -1
	s_cmp_eq_u32 s12, 0
	s_sleep 1
	s_cbranch_scc0 .LBB21_5
; %bb.6:                                ;   in Loop: Header=BB21_4 Depth=1
	global_load_dwordx2 v[4:5], v2, s[8:9] sc1
	s_cmp_lt_u32 s11, 32
	s_cselect_b64 s[12:13], -1, 0
	s_cmp_lg_u64 s[12:13], 0
	s_addc_u32 s11, s11, 0
	s_waitcnt vmcnt(0)
	v_and_b32_e32 v3, 0xff, v5
	v_cmp_ne_u64_e32 vcc, 0, v[2:3]
	s_cbranch_vccz .LBB21_4
.LBB21_7:
	v_mov_b32_e32 v1, 0
	global_store_dword v1, v4, s[6:7]
.LBB21_8:
	s_or_b64 exec, exec, s[2:3]
.LBB21_9:
	v_cmp_eq_u32_e32 vcc, 0, v0
	s_and_saveexec_b64 s[2:3], vcc
	s_cbranch_execnz .LBB21_13
; %bb.10:
	s_or_b64 exec, exec, s[2:3]
	v_cmp_gt_u32_e32 vcc, s10, v0
	s_and_saveexec_b64 s[0:1], vcc
	s_cbranch_execnz .LBB21_14
.LBB21_11:
	s_or_b64 exec, exec, s[0:1]
	v_cmp_gt_u32_e32 vcc, 64, v0
	s_and_saveexec_b64 s[0:1], vcc
	s_cbranch_execnz .LBB21_15
.LBB21_12:
	s_endpgm
.LBB21_13:
	s_load_dwordx2 s[0:1], s[0:1], 0x10
	v_mov_b32_e32 v1, 0
	s_waitcnt lgkmcnt(0)
	global_store_dword v1, v1, s[0:1]
	s_or_b64 exec, exec, s[2:3]
	v_cmp_gt_u32_e32 vcc, s10, v0
	s_and_saveexec_b64 s[0:1], vcc
	s_cbranch_execz .LBB21_11
.LBB21_14:
	v_add_u32_e32 v2, 64, v0
	v_mov_b32_e32 v3, 0
	v_lshl_add_u64 v[4:5], v[2:3], 3, s[4:5]
	v_mov_b32_e32 v2, v3
	global_store_dwordx2 v[4:5], v[2:3], off
	s_or_b64 exec, exec, s[0:1]
	v_cmp_gt_u32_e32 vcc, 64, v0
	s_and_saveexec_b64 s[0:1], vcc
	s_cbranch_execz .LBB21_12
.LBB21_15:
	v_mov_b32_e32 v1, 0
	v_lshl_add_u64 v[2:3], v[0:1], 3, s[4:5]
	v_mov_b32_e32 v5, 0xff
	v_mov_b32_e32 v4, v1
	global_store_dwordx2 v[2:3], v[4:5], off
	s_endpgm
	.section	.rodata,"a",@progbits
	.p2align	6, 0x0
	.amdhsa_kernel _ZN7rocprim17ROCPRIM_400000_NS6detail31init_lookback_scan_state_kernelINS1_19lookback_scan_stateIjLb1ELb1EEENS1_16block_id_wrapperIjLb1EEEEEvT_jT0_jPNS7_10value_typeE
		.amdhsa_group_segment_fixed_size 0
		.amdhsa_private_segment_fixed_size 0
		.amdhsa_kernarg_size 296
		.amdhsa_user_sgpr_count 2
		.amdhsa_user_sgpr_dispatch_ptr 0
		.amdhsa_user_sgpr_queue_ptr 0
		.amdhsa_user_sgpr_kernarg_segment_ptr 1
		.amdhsa_user_sgpr_dispatch_id 0
		.amdhsa_user_sgpr_kernarg_preload_length 0
		.amdhsa_user_sgpr_kernarg_preload_offset 0
		.amdhsa_user_sgpr_private_segment_size 0
		.amdhsa_uses_dynamic_stack 0
		.amdhsa_enable_private_segment 0
		.amdhsa_system_sgpr_workgroup_id_x 1
		.amdhsa_system_sgpr_workgroup_id_y 0
		.amdhsa_system_sgpr_workgroup_id_z 0
		.amdhsa_system_sgpr_workgroup_info 0
		.amdhsa_system_vgpr_workitem_id 0
		.amdhsa_next_free_vgpr 6
		.amdhsa_next_free_sgpr 14
		.amdhsa_accum_offset 8
		.amdhsa_reserve_vcc 1
		.amdhsa_float_round_mode_32 0
		.amdhsa_float_round_mode_16_64 0
		.amdhsa_float_denorm_mode_32 3
		.amdhsa_float_denorm_mode_16_64 3
		.amdhsa_dx10_clamp 1
		.amdhsa_ieee_mode 1
		.amdhsa_fp16_overflow 0
		.amdhsa_tg_split 0
		.amdhsa_exception_fp_ieee_invalid_op 0
		.amdhsa_exception_fp_denorm_src 0
		.amdhsa_exception_fp_ieee_div_zero 0
		.amdhsa_exception_fp_ieee_overflow 0
		.amdhsa_exception_fp_ieee_underflow 0
		.amdhsa_exception_fp_ieee_inexact 0
		.amdhsa_exception_int_div_zero 0
	.end_amdhsa_kernel
	.section	.text._ZN7rocprim17ROCPRIM_400000_NS6detail31init_lookback_scan_state_kernelINS1_19lookback_scan_stateIjLb1ELb1EEENS1_16block_id_wrapperIjLb1EEEEEvT_jT0_jPNS7_10value_typeE,"axG",@progbits,_ZN7rocprim17ROCPRIM_400000_NS6detail31init_lookback_scan_state_kernelINS1_19lookback_scan_stateIjLb1ELb1EEENS1_16block_id_wrapperIjLb1EEEEEvT_jT0_jPNS7_10value_typeE,comdat
.Lfunc_end21:
	.size	_ZN7rocprim17ROCPRIM_400000_NS6detail31init_lookback_scan_state_kernelINS1_19lookback_scan_stateIjLb1ELb1EEENS1_16block_id_wrapperIjLb1EEEEEvT_jT0_jPNS7_10value_typeE, .Lfunc_end21-_ZN7rocprim17ROCPRIM_400000_NS6detail31init_lookback_scan_state_kernelINS1_19lookback_scan_stateIjLb1ELb1EEENS1_16block_id_wrapperIjLb1EEEEEvT_jT0_jPNS7_10value_typeE
                                        ; -- End function
	.section	.AMDGPU.csdata,"",@progbits
; Kernel info:
; codeLenInByte = 396
; NumSgprs: 20
; NumVgprs: 6
; NumAgprs: 0
; TotalNumVgprs: 6
; ScratchSize: 0
; MemoryBound: 0
; FloatMode: 240
; IeeeMode: 1
; LDSByteSize: 0 bytes/workgroup (compile time only)
; SGPRBlocks: 2
; VGPRBlocks: 0
; NumSGPRsForWavesPerEU: 20
; NumVGPRsForWavesPerEU: 6
; AccumOffset: 8
; Occupancy: 8
; WaveLimiterHint : 0
; COMPUTE_PGM_RSRC2:SCRATCH_EN: 0
; COMPUTE_PGM_RSRC2:USER_SGPR: 2
; COMPUTE_PGM_RSRC2:TRAP_HANDLER: 0
; COMPUTE_PGM_RSRC2:TGID_X_EN: 1
; COMPUTE_PGM_RSRC2:TGID_Y_EN: 0
; COMPUTE_PGM_RSRC2:TGID_Z_EN: 0
; COMPUTE_PGM_RSRC2:TIDIG_COMP_CNT: 0
; COMPUTE_PGM_RSRC3_GFX90A:ACCUM_OFFSET: 1
; COMPUTE_PGM_RSRC3_GFX90A:TG_SPLIT: 0
	.section	.text._ZN7rocprim17ROCPRIM_400000_NS6detail17trampoline_kernelINS0_14default_configENS1_25partition_config_selectorILNS1_17partition_subalgoE8EbNS0_10empty_typeEbEEZZNS1_14partition_implILS5_8ELb0ES3_jN6hipcub16HIPCUB_304000_NS22TransformInputIteratorIbN2at6native8internal12_GLOBAL__N_110LoadBoolOpEPKhlEEPS6_PKS6_NS0_5tupleIJPbS6_EEENSN_IJSK_SK_EEENS0_18inequality_wrapperINSA_8EqualityEEEPlJS6_EEE10hipError_tPvRmT3_T4_T5_T6_T7_T9_mT8_P12ihipStream_tbDpT10_ENKUlT_T0_E_clISt17integral_constantIbLb1EES1E_EEDaS19_S1A_EUlS19_E_NS1_11comp_targetILNS1_3genE0ELNS1_11target_archE4294967295ELNS1_3gpuE0ELNS1_3repE0EEENS1_30default_config_static_selectorELNS0_4arch9wavefront6targetE1EEEvT1_,"axG",@progbits,_ZN7rocprim17ROCPRIM_400000_NS6detail17trampoline_kernelINS0_14default_configENS1_25partition_config_selectorILNS1_17partition_subalgoE8EbNS0_10empty_typeEbEEZZNS1_14partition_implILS5_8ELb0ES3_jN6hipcub16HIPCUB_304000_NS22TransformInputIteratorIbN2at6native8internal12_GLOBAL__N_110LoadBoolOpEPKhlEEPS6_PKS6_NS0_5tupleIJPbS6_EEENSN_IJSK_SK_EEENS0_18inequality_wrapperINSA_8EqualityEEEPlJS6_EEE10hipError_tPvRmT3_T4_T5_T6_T7_T9_mT8_P12ihipStream_tbDpT10_ENKUlT_T0_E_clISt17integral_constantIbLb1EES1E_EEDaS19_S1A_EUlS19_E_NS1_11comp_targetILNS1_3genE0ELNS1_11target_archE4294967295ELNS1_3gpuE0ELNS1_3repE0EEENS1_30default_config_static_selectorELNS0_4arch9wavefront6targetE1EEEvT1_,comdat
	.globl	_ZN7rocprim17ROCPRIM_400000_NS6detail17trampoline_kernelINS0_14default_configENS1_25partition_config_selectorILNS1_17partition_subalgoE8EbNS0_10empty_typeEbEEZZNS1_14partition_implILS5_8ELb0ES3_jN6hipcub16HIPCUB_304000_NS22TransformInputIteratorIbN2at6native8internal12_GLOBAL__N_110LoadBoolOpEPKhlEEPS6_PKS6_NS0_5tupleIJPbS6_EEENSN_IJSK_SK_EEENS0_18inequality_wrapperINSA_8EqualityEEEPlJS6_EEE10hipError_tPvRmT3_T4_T5_T6_T7_T9_mT8_P12ihipStream_tbDpT10_ENKUlT_T0_E_clISt17integral_constantIbLb1EES1E_EEDaS19_S1A_EUlS19_E_NS1_11comp_targetILNS1_3genE0ELNS1_11target_archE4294967295ELNS1_3gpuE0ELNS1_3repE0EEENS1_30default_config_static_selectorELNS0_4arch9wavefront6targetE1EEEvT1_ ; -- Begin function _ZN7rocprim17ROCPRIM_400000_NS6detail17trampoline_kernelINS0_14default_configENS1_25partition_config_selectorILNS1_17partition_subalgoE8EbNS0_10empty_typeEbEEZZNS1_14partition_implILS5_8ELb0ES3_jN6hipcub16HIPCUB_304000_NS22TransformInputIteratorIbN2at6native8internal12_GLOBAL__N_110LoadBoolOpEPKhlEEPS6_PKS6_NS0_5tupleIJPbS6_EEENSN_IJSK_SK_EEENS0_18inequality_wrapperINSA_8EqualityEEEPlJS6_EEE10hipError_tPvRmT3_T4_T5_T6_T7_T9_mT8_P12ihipStream_tbDpT10_ENKUlT_T0_E_clISt17integral_constantIbLb1EES1E_EEDaS19_S1A_EUlS19_E_NS1_11comp_targetILNS1_3genE0ELNS1_11target_archE4294967295ELNS1_3gpuE0ELNS1_3repE0EEENS1_30default_config_static_selectorELNS0_4arch9wavefront6targetE1EEEvT1_
	.p2align	8
	.type	_ZN7rocprim17ROCPRIM_400000_NS6detail17trampoline_kernelINS0_14default_configENS1_25partition_config_selectorILNS1_17partition_subalgoE8EbNS0_10empty_typeEbEEZZNS1_14partition_implILS5_8ELb0ES3_jN6hipcub16HIPCUB_304000_NS22TransformInputIteratorIbN2at6native8internal12_GLOBAL__N_110LoadBoolOpEPKhlEEPS6_PKS6_NS0_5tupleIJPbS6_EEENSN_IJSK_SK_EEENS0_18inequality_wrapperINSA_8EqualityEEEPlJS6_EEE10hipError_tPvRmT3_T4_T5_T6_T7_T9_mT8_P12ihipStream_tbDpT10_ENKUlT_T0_E_clISt17integral_constantIbLb1EES1E_EEDaS19_S1A_EUlS19_E_NS1_11comp_targetILNS1_3genE0ELNS1_11target_archE4294967295ELNS1_3gpuE0ELNS1_3repE0EEENS1_30default_config_static_selectorELNS0_4arch9wavefront6targetE1EEEvT1_,@function
_ZN7rocprim17ROCPRIM_400000_NS6detail17trampoline_kernelINS0_14default_configENS1_25partition_config_selectorILNS1_17partition_subalgoE8EbNS0_10empty_typeEbEEZZNS1_14partition_implILS5_8ELb0ES3_jN6hipcub16HIPCUB_304000_NS22TransformInputIteratorIbN2at6native8internal12_GLOBAL__N_110LoadBoolOpEPKhlEEPS6_PKS6_NS0_5tupleIJPbS6_EEENSN_IJSK_SK_EEENS0_18inequality_wrapperINSA_8EqualityEEEPlJS6_EEE10hipError_tPvRmT3_T4_T5_T6_T7_T9_mT8_P12ihipStream_tbDpT10_ENKUlT_T0_E_clISt17integral_constantIbLb1EES1E_EEDaS19_S1A_EUlS19_E_NS1_11comp_targetILNS1_3genE0ELNS1_11target_archE4294967295ELNS1_3gpuE0ELNS1_3repE0EEENS1_30default_config_static_selectorELNS0_4arch9wavefront6targetE1EEEvT1_: ; @_ZN7rocprim17ROCPRIM_400000_NS6detail17trampoline_kernelINS0_14default_configENS1_25partition_config_selectorILNS1_17partition_subalgoE8EbNS0_10empty_typeEbEEZZNS1_14partition_implILS5_8ELb0ES3_jN6hipcub16HIPCUB_304000_NS22TransformInputIteratorIbN2at6native8internal12_GLOBAL__N_110LoadBoolOpEPKhlEEPS6_PKS6_NS0_5tupleIJPbS6_EEENSN_IJSK_SK_EEENS0_18inequality_wrapperINSA_8EqualityEEEPlJS6_EEE10hipError_tPvRmT3_T4_T5_T6_T7_T9_mT8_P12ihipStream_tbDpT10_ENKUlT_T0_E_clISt17integral_constantIbLb1EES1E_EEDaS19_S1A_EUlS19_E_NS1_11comp_targetILNS1_3genE0ELNS1_11target_archE4294967295ELNS1_3gpuE0ELNS1_3repE0EEENS1_30default_config_static_selectorELNS0_4arch9wavefront6targetE1EEEvT1_
; %bb.0:
	.section	.rodata,"a",@progbits
	.p2align	6, 0x0
	.amdhsa_kernel _ZN7rocprim17ROCPRIM_400000_NS6detail17trampoline_kernelINS0_14default_configENS1_25partition_config_selectorILNS1_17partition_subalgoE8EbNS0_10empty_typeEbEEZZNS1_14partition_implILS5_8ELb0ES3_jN6hipcub16HIPCUB_304000_NS22TransformInputIteratorIbN2at6native8internal12_GLOBAL__N_110LoadBoolOpEPKhlEEPS6_PKS6_NS0_5tupleIJPbS6_EEENSN_IJSK_SK_EEENS0_18inequality_wrapperINSA_8EqualityEEEPlJS6_EEE10hipError_tPvRmT3_T4_T5_T6_T7_T9_mT8_P12ihipStream_tbDpT10_ENKUlT_T0_E_clISt17integral_constantIbLb1EES1E_EEDaS19_S1A_EUlS19_E_NS1_11comp_targetILNS1_3genE0ELNS1_11target_archE4294967295ELNS1_3gpuE0ELNS1_3repE0EEENS1_30default_config_static_selectorELNS0_4arch9wavefront6targetE1EEEvT1_
		.amdhsa_group_segment_fixed_size 0
		.amdhsa_private_segment_fixed_size 0
		.amdhsa_kernarg_size 136
		.amdhsa_user_sgpr_count 2
		.amdhsa_user_sgpr_dispatch_ptr 0
		.amdhsa_user_sgpr_queue_ptr 0
		.amdhsa_user_sgpr_kernarg_segment_ptr 1
		.amdhsa_user_sgpr_dispatch_id 0
		.amdhsa_user_sgpr_kernarg_preload_length 0
		.amdhsa_user_sgpr_kernarg_preload_offset 0
		.amdhsa_user_sgpr_private_segment_size 0
		.amdhsa_uses_dynamic_stack 0
		.amdhsa_enable_private_segment 0
		.amdhsa_system_sgpr_workgroup_id_x 1
		.amdhsa_system_sgpr_workgroup_id_y 0
		.amdhsa_system_sgpr_workgroup_id_z 0
		.amdhsa_system_sgpr_workgroup_info 0
		.amdhsa_system_vgpr_workitem_id 0
		.amdhsa_next_free_vgpr 1
		.amdhsa_next_free_sgpr 0
		.amdhsa_accum_offset 4
		.amdhsa_reserve_vcc 0
		.amdhsa_float_round_mode_32 0
		.amdhsa_float_round_mode_16_64 0
		.amdhsa_float_denorm_mode_32 3
		.amdhsa_float_denorm_mode_16_64 3
		.amdhsa_dx10_clamp 1
		.amdhsa_ieee_mode 1
		.amdhsa_fp16_overflow 0
		.amdhsa_tg_split 0
		.amdhsa_exception_fp_ieee_invalid_op 0
		.amdhsa_exception_fp_denorm_src 0
		.amdhsa_exception_fp_ieee_div_zero 0
		.amdhsa_exception_fp_ieee_overflow 0
		.amdhsa_exception_fp_ieee_underflow 0
		.amdhsa_exception_fp_ieee_inexact 0
		.amdhsa_exception_int_div_zero 0
	.end_amdhsa_kernel
	.section	.text._ZN7rocprim17ROCPRIM_400000_NS6detail17trampoline_kernelINS0_14default_configENS1_25partition_config_selectorILNS1_17partition_subalgoE8EbNS0_10empty_typeEbEEZZNS1_14partition_implILS5_8ELb0ES3_jN6hipcub16HIPCUB_304000_NS22TransformInputIteratorIbN2at6native8internal12_GLOBAL__N_110LoadBoolOpEPKhlEEPS6_PKS6_NS0_5tupleIJPbS6_EEENSN_IJSK_SK_EEENS0_18inequality_wrapperINSA_8EqualityEEEPlJS6_EEE10hipError_tPvRmT3_T4_T5_T6_T7_T9_mT8_P12ihipStream_tbDpT10_ENKUlT_T0_E_clISt17integral_constantIbLb1EES1E_EEDaS19_S1A_EUlS19_E_NS1_11comp_targetILNS1_3genE0ELNS1_11target_archE4294967295ELNS1_3gpuE0ELNS1_3repE0EEENS1_30default_config_static_selectorELNS0_4arch9wavefront6targetE1EEEvT1_,"axG",@progbits,_ZN7rocprim17ROCPRIM_400000_NS6detail17trampoline_kernelINS0_14default_configENS1_25partition_config_selectorILNS1_17partition_subalgoE8EbNS0_10empty_typeEbEEZZNS1_14partition_implILS5_8ELb0ES3_jN6hipcub16HIPCUB_304000_NS22TransformInputIteratorIbN2at6native8internal12_GLOBAL__N_110LoadBoolOpEPKhlEEPS6_PKS6_NS0_5tupleIJPbS6_EEENSN_IJSK_SK_EEENS0_18inequality_wrapperINSA_8EqualityEEEPlJS6_EEE10hipError_tPvRmT3_T4_T5_T6_T7_T9_mT8_P12ihipStream_tbDpT10_ENKUlT_T0_E_clISt17integral_constantIbLb1EES1E_EEDaS19_S1A_EUlS19_E_NS1_11comp_targetILNS1_3genE0ELNS1_11target_archE4294967295ELNS1_3gpuE0ELNS1_3repE0EEENS1_30default_config_static_selectorELNS0_4arch9wavefront6targetE1EEEvT1_,comdat
.Lfunc_end22:
	.size	_ZN7rocprim17ROCPRIM_400000_NS6detail17trampoline_kernelINS0_14default_configENS1_25partition_config_selectorILNS1_17partition_subalgoE8EbNS0_10empty_typeEbEEZZNS1_14partition_implILS5_8ELb0ES3_jN6hipcub16HIPCUB_304000_NS22TransformInputIteratorIbN2at6native8internal12_GLOBAL__N_110LoadBoolOpEPKhlEEPS6_PKS6_NS0_5tupleIJPbS6_EEENSN_IJSK_SK_EEENS0_18inequality_wrapperINSA_8EqualityEEEPlJS6_EEE10hipError_tPvRmT3_T4_T5_T6_T7_T9_mT8_P12ihipStream_tbDpT10_ENKUlT_T0_E_clISt17integral_constantIbLb1EES1E_EEDaS19_S1A_EUlS19_E_NS1_11comp_targetILNS1_3genE0ELNS1_11target_archE4294967295ELNS1_3gpuE0ELNS1_3repE0EEENS1_30default_config_static_selectorELNS0_4arch9wavefront6targetE1EEEvT1_, .Lfunc_end22-_ZN7rocprim17ROCPRIM_400000_NS6detail17trampoline_kernelINS0_14default_configENS1_25partition_config_selectorILNS1_17partition_subalgoE8EbNS0_10empty_typeEbEEZZNS1_14partition_implILS5_8ELb0ES3_jN6hipcub16HIPCUB_304000_NS22TransformInputIteratorIbN2at6native8internal12_GLOBAL__N_110LoadBoolOpEPKhlEEPS6_PKS6_NS0_5tupleIJPbS6_EEENSN_IJSK_SK_EEENS0_18inequality_wrapperINSA_8EqualityEEEPlJS6_EEE10hipError_tPvRmT3_T4_T5_T6_T7_T9_mT8_P12ihipStream_tbDpT10_ENKUlT_T0_E_clISt17integral_constantIbLb1EES1E_EEDaS19_S1A_EUlS19_E_NS1_11comp_targetILNS1_3genE0ELNS1_11target_archE4294967295ELNS1_3gpuE0ELNS1_3repE0EEENS1_30default_config_static_selectorELNS0_4arch9wavefront6targetE1EEEvT1_
                                        ; -- End function
	.section	.AMDGPU.csdata,"",@progbits
; Kernel info:
; codeLenInByte = 0
; NumSgprs: 6
; NumVgprs: 0
; NumAgprs: 0
; TotalNumVgprs: 0
; ScratchSize: 0
; MemoryBound: 0
; FloatMode: 240
; IeeeMode: 1
; LDSByteSize: 0 bytes/workgroup (compile time only)
; SGPRBlocks: 0
; VGPRBlocks: 0
; NumSGPRsForWavesPerEU: 6
; NumVGPRsForWavesPerEU: 1
; AccumOffset: 4
; Occupancy: 8
; WaveLimiterHint : 0
; COMPUTE_PGM_RSRC2:SCRATCH_EN: 0
; COMPUTE_PGM_RSRC2:USER_SGPR: 2
; COMPUTE_PGM_RSRC2:TRAP_HANDLER: 0
; COMPUTE_PGM_RSRC2:TGID_X_EN: 1
; COMPUTE_PGM_RSRC2:TGID_Y_EN: 0
; COMPUTE_PGM_RSRC2:TGID_Z_EN: 0
; COMPUTE_PGM_RSRC2:TIDIG_COMP_CNT: 0
; COMPUTE_PGM_RSRC3_GFX90A:ACCUM_OFFSET: 0
; COMPUTE_PGM_RSRC3_GFX90A:TG_SPLIT: 0
	.section	.text._ZN7rocprim17ROCPRIM_400000_NS6detail17trampoline_kernelINS0_14default_configENS1_25partition_config_selectorILNS1_17partition_subalgoE8EbNS0_10empty_typeEbEEZZNS1_14partition_implILS5_8ELb0ES3_jN6hipcub16HIPCUB_304000_NS22TransformInputIteratorIbN2at6native8internal12_GLOBAL__N_110LoadBoolOpEPKhlEEPS6_PKS6_NS0_5tupleIJPbS6_EEENSN_IJSK_SK_EEENS0_18inequality_wrapperINSA_8EqualityEEEPlJS6_EEE10hipError_tPvRmT3_T4_T5_T6_T7_T9_mT8_P12ihipStream_tbDpT10_ENKUlT_T0_E_clISt17integral_constantIbLb1EES1E_EEDaS19_S1A_EUlS19_E_NS1_11comp_targetILNS1_3genE5ELNS1_11target_archE942ELNS1_3gpuE9ELNS1_3repE0EEENS1_30default_config_static_selectorELNS0_4arch9wavefront6targetE1EEEvT1_,"axG",@progbits,_ZN7rocprim17ROCPRIM_400000_NS6detail17trampoline_kernelINS0_14default_configENS1_25partition_config_selectorILNS1_17partition_subalgoE8EbNS0_10empty_typeEbEEZZNS1_14partition_implILS5_8ELb0ES3_jN6hipcub16HIPCUB_304000_NS22TransformInputIteratorIbN2at6native8internal12_GLOBAL__N_110LoadBoolOpEPKhlEEPS6_PKS6_NS0_5tupleIJPbS6_EEENSN_IJSK_SK_EEENS0_18inequality_wrapperINSA_8EqualityEEEPlJS6_EEE10hipError_tPvRmT3_T4_T5_T6_T7_T9_mT8_P12ihipStream_tbDpT10_ENKUlT_T0_E_clISt17integral_constantIbLb1EES1E_EEDaS19_S1A_EUlS19_E_NS1_11comp_targetILNS1_3genE5ELNS1_11target_archE942ELNS1_3gpuE9ELNS1_3repE0EEENS1_30default_config_static_selectorELNS0_4arch9wavefront6targetE1EEEvT1_,comdat
	.globl	_ZN7rocprim17ROCPRIM_400000_NS6detail17trampoline_kernelINS0_14default_configENS1_25partition_config_selectorILNS1_17partition_subalgoE8EbNS0_10empty_typeEbEEZZNS1_14partition_implILS5_8ELb0ES3_jN6hipcub16HIPCUB_304000_NS22TransformInputIteratorIbN2at6native8internal12_GLOBAL__N_110LoadBoolOpEPKhlEEPS6_PKS6_NS0_5tupleIJPbS6_EEENSN_IJSK_SK_EEENS0_18inequality_wrapperINSA_8EqualityEEEPlJS6_EEE10hipError_tPvRmT3_T4_T5_T6_T7_T9_mT8_P12ihipStream_tbDpT10_ENKUlT_T0_E_clISt17integral_constantIbLb1EES1E_EEDaS19_S1A_EUlS19_E_NS1_11comp_targetILNS1_3genE5ELNS1_11target_archE942ELNS1_3gpuE9ELNS1_3repE0EEENS1_30default_config_static_selectorELNS0_4arch9wavefront6targetE1EEEvT1_ ; -- Begin function _ZN7rocprim17ROCPRIM_400000_NS6detail17trampoline_kernelINS0_14default_configENS1_25partition_config_selectorILNS1_17partition_subalgoE8EbNS0_10empty_typeEbEEZZNS1_14partition_implILS5_8ELb0ES3_jN6hipcub16HIPCUB_304000_NS22TransformInputIteratorIbN2at6native8internal12_GLOBAL__N_110LoadBoolOpEPKhlEEPS6_PKS6_NS0_5tupleIJPbS6_EEENSN_IJSK_SK_EEENS0_18inequality_wrapperINSA_8EqualityEEEPlJS6_EEE10hipError_tPvRmT3_T4_T5_T6_T7_T9_mT8_P12ihipStream_tbDpT10_ENKUlT_T0_E_clISt17integral_constantIbLb1EES1E_EEDaS19_S1A_EUlS19_E_NS1_11comp_targetILNS1_3genE5ELNS1_11target_archE942ELNS1_3gpuE9ELNS1_3repE0EEENS1_30default_config_static_selectorELNS0_4arch9wavefront6targetE1EEEvT1_
	.p2align	8
	.type	_ZN7rocprim17ROCPRIM_400000_NS6detail17trampoline_kernelINS0_14default_configENS1_25partition_config_selectorILNS1_17partition_subalgoE8EbNS0_10empty_typeEbEEZZNS1_14partition_implILS5_8ELb0ES3_jN6hipcub16HIPCUB_304000_NS22TransformInputIteratorIbN2at6native8internal12_GLOBAL__N_110LoadBoolOpEPKhlEEPS6_PKS6_NS0_5tupleIJPbS6_EEENSN_IJSK_SK_EEENS0_18inequality_wrapperINSA_8EqualityEEEPlJS6_EEE10hipError_tPvRmT3_T4_T5_T6_T7_T9_mT8_P12ihipStream_tbDpT10_ENKUlT_T0_E_clISt17integral_constantIbLb1EES1E_EEDaS19_S1A_EUlS19_E_NS1_11comp_targetILNS1_3genE5ELNS1_11target_archE942ELNS1_3gpuE9ELNS1_3repE0EEENS1_30default_config_static_selectorELNS0_4arch9wavefront6targetE1EEEvT1_,@function
_ZN7rocprim17ROCPRIM_400000_NS6detail17trampoline_kernelINS0_14default_configENS1_25partition_config_selectorILNS1_17partition_subalgoE8EbNS0_10empty_typeEbEEZZNS1_14partition_implILS5_8ELb0ES3_jN6hipcub16HIPCUB_304000_NS22TransformInputIteratorIbN2at6native8internal12_GLOBAL__N_110LoadBoolOpEPKhlEEPS6_PKS6_NS0_5tupleIJPbS6_EEENSN_IJSK_SK_EEENS0_18inequality_wrapperINSA_8EqualityEEEPlJS6_EEE10hipError_tPvRmT3_T4_T5_T6_T7_T9_mT8_P12ihipStream_tbDpT10_ENKUlT_T0_E_clISt17integral_constantIbLb1EES1E_EEDaS19_S1A_EUlS19_E_NS1_11comp_targetILNS1_3genE5ELNS1_11target_archE942ELNS1_3gpuE9ELNS1_3repE0EEENS1_30default_config_static_selectorELNS0_4arch9wavefront6targetE1EEEvT1_: ; @_ZN7rocprim17ROCPRIM_400000_NS6detail17trampoline_kernelINS0_14default_configENS1_25partition_config_selectorILNS1_17partition_subalgoE8EbNS0_10empty_typeEbEEZZNS1_14partition_implILS5_8ELb0ES3_jN6hipcub16HIPCUB_304000_NS22TransformInputIteratorIbN2at6native8internal12_GLOBAL__N_110LoadBoolOpEPKhlEEPS6_PKS6_NS0_5tupleIJPbS6_EEENSN_IJSK_SK_EEENS0_18inequality_wrapperINSA_8EqualityEEEPlJS6_EEE10hipError_tPvRmT3_T4_T5_T6_T7_T9_mT8_P12ihipStream_tbDpT10_ENKUlT_T0_E_clISt17integral_constantIbLb1EES1E_EEDaS19_S1A_EUlS19_E_NS1_11comp_targetILNS1_3genE5ELNS1_11target_archE942ELNS1_3gpuE9ELNS1_3repE0EEENS1_30default_config_static_selectorELNS0_4arch9wavefront6targetE1EEEvT1_
; %bb.0:
	s_load_dwordx2 s[4:5], s[0:1], 0x8
	s_load_dwordx2 s[6:7], s[0:1], 0x18
	;; [unrolled: 1-line block ×3, first 2 shown]
	s_load_dwordx4 s[20:23], s[0:1], 0x48
	s_load_dwordx2 s[28:29], s[0:1], 0x68
	v_cmp_ne_u32_e64 s[2:3], 0, v0
	v_cmp_eq_u32_e64 s[18:19], 0, v0
	s_and_saveexec_b64 s[10:11], s[18:19]
	s_cbranch_execz .LBB23_4
; %bb.1:
	s_mov_b64 s[14:15], exec
	v_mbcnt_lo_u32_b32 v1, s14, 0
	v_mbcnt_hi_u32_b32 v1, s15, v1
	v_cmp_eq_u32_e32 vcc, 0, v1
                                        ; implicit-def: $vgpr2
	s_and_saveexec_b64 s[12:13], vcc
	s_cbranch_execz .LBB23_3
; %bb.2:
	s_load_dwordx2 s[16:17], s[0:1], 0x78
	s_bcnt1_i32_b64 s14, s[14:15]
	v_mov_b32_e32 v2, 0
	v_mov_b32_e32 v3, s14
	s_waitcnt lgkmcnt(0)
	global_atomic_add v2, v2, v3, s[16:17] sc0
.LBB23_3:
	s_or_b64 exec, exec, s[12:13]
	s_waitcnt vmcnt(0)
	v_readfirstlane_b32 s12, v2
	v_mov_b32_e32 v2, 0
	s_nop 0
	v_add_u32_e32 v1, s12, v1
	ds_write_b32 v2, v1
.LBB23_4:
	s_or_b64 exec, exec, s[10:11]
	v_mov_b32_e32 v3, 0
	s_load_dwordx2 s[24:25], s[0:1], 0x30
	s_load_dword s10, s[0:1], 0x70
	s_waitcnt lgkmcnt(0)
	s_barrier
	ds_read_b32 v1, v3
	s_waitcnt lgkmcnt(0)
	s_barrier
	global_load_dwordx2 v[16:17], v3, s[22:23]
	s_add_u32 s12, s4, s6
	s_addc_u32 s13, s5, s7
	s_add_i32 s4, s10, -1
	s_lshl_b32 s0, s4, 14
	v_mov_b32_e32 v5, s9
	s_add_i32 s9, s6, s0
	s_lshl_b32 s0, s10, 14
	s_add_u32 s0, s6, s0
	v_readfirstlane_b32 s33, v1
	s_addc_u32 s1, s7, 0
	v_mov_b32_e32 v4, s8
	s_cmp_eq_u32 s33, s4
	v_cmp_ge_u64_e32 vcc, s[0:1], v[4:5]
	s_cselect_b64 s[22:23], -1, 0
	s_and_b64 s[4:5], vcc, s[22:23]
	v_lshlrev_b32_e32 v2, 14, v1
	s_xor_b64 s[26:27], s[4:5], -1
	s_mov_b64 s[0:1], -1
	v_lshl_add_u64 v[10:11], s[12:13], 0, v[2:3]
	s_and_b64 vcc, exec, s[26:27]
	v_lshrrev_b32_e32 v2, 5, v0
	s_cbranch_vccz .LBB23_6
; %bb.5:
	v_mov_b32_e32 v1, v3
	v_readfirstlane_b32 s0, v10
	v_readfirstlane_b32 s1, v11
	v_lshl_add_u64 v[4:5], v[10:11], 0, v[0:1]
	s_nop 3
	global_load_ubyte v1, v0, s[0:1]
	global_load_ubyte v3, v0, s[0:1] offset:512
	global_load_ubyte v12, v0, s[0:1] offset:1024
	;; [unrolled: 1-line block ×4, first 2 shown]
	s_movk_i32 s11, 0x2000
	v_add_co_u32_e32 v6, vcc, s11, v4
	s_movk_i32 s10, 0x1000
	s_nop 0
	v_addc_co_u32_e32 v7, vcc, 0, v5, vcc
	global_load_ubyte v15, v0, s[0:1] offset:2560
	global_load_ubyte v18, v0, s[0:1] offset:3072
	global_load_ubyte v19, v0, s[0:1] offset:3584
	global_load_ubyte v20, v[6:7], off offset:-4096
	v_add_co_u32_e32 v8, vcc, s10, v4
	s_movk_i32 s0, 0x3000
	s_nop 0
	v_addc_co_u32_e32 v9, vcc, 0, v5, vcc
	global_load_ubyte v21, v[8:9], off offset:512
	global_load_ubyte v22, v[8:9], off offset:1024
	global_load_ubyte v23, v[8:9], off offset:1536
	global_load_ubyte v24, v[8:9], off offset:2048
	global_load_ubyte v25, v[8:9], off offset:2560
	global_load_ubyte v26, v[8:9], off offset:3072
	global_load_ubyte v27, v[8:9], off offset:3584
	global_load_ubyte v28, v[6:7], off
	global_load_ubyte v29, v[6:7], off offset:512
	global_load_ubyte v30, v[6:7], off offset:1024
	;; [unrolled: 1-line block ×3, first 2 shown]
	s_nop 0
	global_load_ubyte v8, v[6:7], off offset:2048
	global_load_ubyte v9, v[6:7], off offset:2560
	;; [unrolled: 1-line block ×4, first 2 shown]
	v_add_co_u32_e32 v4, vcc, s0, v4
	s_mov_b64 s[0:1], 0
	s_nop 0
	v_addc_co_u32_e32 v5, vcc, 0, v5, vcc
	global_load_ubyte v6, v[4:5], off
	global_load_ubyte v7, v[4:5], off offset:512
	global_load_ubyte v34, v[4:5], off offset:1024
	;; [unrolled: 1-line block ×7, first 2 shown]
	s_waitcnt vmcnt(31)
	v_cmp_ne_u16_e32 vcc, 0, v1
	s_nop 1
	v_cndmask_b32_e64 v1, 0, 1, vcc
	s_waitcnt vmcnt(30)
	v_cmp_ne_u16_e32 vcc, 0, v3
	s_nop 1
	v_cndmask_b32_e64 v3, 0, 1, vcc
	;; [unrolled: 4-line block ×30, first 2 shown]
	s_waitcnt vmcnt(1)
	v_cmp_ne_u16_e32 vcc, 0, v38
	v_and_b32_e32 v38, 12, v2
	v_add_u32_e32 v38, v38, v0
	ds_write_b8 v38, v1
	v_or_b32_e32 v1, 0x200, v0
	v_lshrrev_b32_e32 v1, 5, v1
	v_and_b32_e32 v1, 28, v1
	v_add_u32_e32 v1, v1, v0
	ds_write_b8 v1, v3 offset:512
	v_or_b32_e32 v1, 0x400, v0
	v_lshrrev_b32_e32 v1, 5, v1
	v_and_b32_e32 v1, 44, v1
	v_add_u32_e32 v1, v1, v0
	ds_write_b8 v1, v4 offset:1024
	;; [unrolled: 5-line block ×29, first 2 shown]
	v_or_b32_e32 v1, 0x3c00, v0
	v_lshrrev_b32_e32 v1, 5, v1
	v_and_b32_e32 v1, 0x1ec, v1
	v_cndmask_b32_e64 v36, 0, 1, vcc
	v_add_u32_e32 v1, v1, v0
	ds_write_b8 v1, v36 offset:15360
	v_or_b32_e32 v1, 0x3e00, v0
	v_lshrrev_b32_e32 v1, 5, v1
	s_waitcnt vmcnt(0)
	v_cmp_ne_u16_e32 vcc, 0, v39
	v_and_b32_e32 v1, 0x1fc, v1
	v_add_u32_e32 v1, v1, v0
	v_cndmask_b32_e64 v37, 0, 1, vcc
	ds_write_b8 v1, v37 offset:15872
	s_waitcnt lgkmcnt(0)
	s_barrier
.LBB23_6:
	s_andn2_b64 vcc, exec, s[0:1]
	s_sub_i32 s84, s8, s9
	s_cbranch_vccnz .LBB23_72
; %bb.7:
	v_cmp_gt_u32_e32 vcc, s84, v0
                                        ; implicit-def: $vgpr1
	s_and_saveexec_b64 s[0:1], vcc
	s_cbranch_execz .LBB23_9
; %bb.8:
	v_readfirstlane_b32 s8, v10
	v_readfirstlane_b32 s9, v11
	s_nop 4
	global_load_ubyte v1, v0, s[8:9]
	s_waitcnt vmcnt(0)
	v_cmp_ne_u16_e32 vcc, 0, v1
	s_nop 1
	v_cndmask_b32_e64 v1, 0, 1, vcc
.LBB23_9:
	s_or_b64 exec, exec, s[0:1]
	v_or_b32_e32 v3, 0x200, v0
	v_cmp_gt_u32_e32 vcc, s84, v3
                                        ; implicit-def: $vgpr4
	s_and_saveexec_b64 s[0:1], vcc
	s_cbranch_execz .LBB23_11
; %bb.10:
	v_readfirstlane_b32 s8, v10
	v_readfirstlane_b32 s9, v11
	s_nop 4
	global_load_ubyte v4, v0, s[8:9] offset:512
	s_waitcnt vmcnt(0)
	v_cmp_ne_u16_e32 vcc, 0, v4
	s_nop 1
	v_cndmask_b32_e64 v4, 0, 1, vcc
.LBB23_11:
	s_or_b64 exec, exec, s[0:1]
	v_or_b32_e32 v5, 0x400, v0
	v_cmp_gt_u32_e32 vcc, s84, v5
                                        ; implicit-def: $vgpr6
	s_and_saveexec_b64 s[0:1], vcc
	s_cbranch_execz .LBB23_13
; %bb.12:
	v_readfirstlane_b32 s8, v10
	v_readfirstlane_b32 s9, v11
	s_nop 4
	global_load_ubyte v6, v0, s[8:9] offset:1024
	s_waitcnt vmcnt(0)
	v_cmp_ne_u16_e32 vcc, 0, v6
	s_nop 1
	v_cndmask_b32_e64 v6, 0, 1, vcc
.LBB23_13:
	s_or_b64 exec, exec, s[0:1]
	v_or_b32_e32 v7, 0x600, v0
	v_cmp_gt_u32_e32 vcc, s84, v7
                                        ; implicit-def: $vgpr8
	s_and_saveexec_b64 s[0:1], vcc
	s_cbranch_execz .LBB23_15
; %bb.14:
	v_readfirstlane_b32 s8, v10
	v_readfirstlane_b32 s9, v11
	s_nop 4
	global_load_ubyte v8, v0, s[8:9] offset:1536
	s_waitcnt vmcnt(0)
	v_cmp_ne_u16_e32 vcc, 0, v8
	s_nop 1
	v_cndmask_b32_e64 v8, 0, 1, vcc
.LBB23_15:
	s_or_b64 exec, exec, s[0:1]
	v_or_b32_e32 v9, 0x800, v0
	v_cmp_gt_u32_e32 vcc, s84, v9
                                        ; implicit-def: $vgpr12
	s_and_saveexec_b64 s[0:1], vcc
	s_cbranch_execz .LBB23_17
; %bb.16:
	v_readfirstlane_b32 s8, v10
	v_readfirstlane_b32 s9, v11
	s_nop 4
	global_load_ubyte v12, v0, s[8:9] offset:2048
	s_waitcnt vmcnt(0)
	v_cmp_ne_u16_e32 vcc, 0, v12
	s_nop 1
	v_cndmask_b32_e64 v12, 0, 1, vcc
.LBB23_17:
	s_or_b64 exec, exec, s[0:1]
	v_or_b32_e32 v13, 0xa00, v0
	v_cmp_gt_u32_e32 vcc, s84, v13
                                        ; implicit-def: $vgpr14
	s_and_saveexec_b64 s[0:1], vcc
	s_cbranch_execz .LBB23_19
; %bb.18:
	v_readfirstlane_b32 s8, v10
	v_readfirstlane_b32 s9, v11
	s_nop 4
	global_load_ubyte v14, v0, s[8:9] offset:2560
	s_waitcnt vmcnt(0)
	v_cmp_ne_u16_e32 vcc, 0, v14
	s_nop 1
	v_cndmask_b32_e64 v14, 0, 1, vcc
.LBB23_19:
	s_or_b64 exec, exec, s[0:1]
	v_or_b32_e32 v15, 0xc00, v0
	v_cmp_gt_u32_e32 vcc, s84, v15
                                        ; implicit-def: $vgpr18
	s_and_saveexec_b64 s[0:1], vcc
	s_cbranch_execz .LBB23_21
; %bb.20:
	v_readfirstlane_b32 s8, v10
	v_readfirstlane_b32 s9, v11
	s_nop 4
	global_load_ubyte v18, v0, s[8:9] offset:3072
	s_waitcnt vmcnt(0)
	v_cmp_ne_u16_e32 vcc, 0, v18
	s_nop 1
	v_cndmask_b32_e64 v18, 0, 1, vcc
.LBB23_21:
	s_or_b64 exec, exec, s[0:1]
	v_or_b32_e32 v19, 0xe00, v0
	v_cmp_gt_u32_e32 vcc, s84, v19
                                        ; implicit-def: $vgpr20
	s_and_saveexec_b64 s[0:1], vcc
	s_cbranch_execz .LBB23_23
; %bb.22:
	v_readfirstlane_b32 s8, v10
	v_readfirstlane_b32 s9, v11
	s_nop 4
	global_load_ubyte v20, v0, s[8:9] offset:3584
	s_waitcnt vmcnt(0)
	v_cmp_ne_u16_e32 vcc, 0, v20
	s_nop 1
	v_cndmask_b32_e64 v20, 0, 1, vcc
.LBB23_23:
	s_or_b64 exec, exec, s[0:1]
	v_or_b32_e32 v21, 0x1000, v0
	v_cmp_gt_u32_e32 vcc, s84, v21
                                        ; implicit-def: $vgpr22
	s_and_saveexec_b64 s[0:1], vcc
	s_cbranch_execz .LBB23_25
; %bb.24:
	v_readfirstlane_b32 s8, v10
	v_readfirstlane_b32 s9, v11
	s_nop 4
	global_load_ubyte v22, v21, s[8:9]
	s_waitcnt vmcnt(0)
	v_cmp_ne_u16_e32 vcc, 0, v22
	s_nop 1
	v_cndmask_b32_e64 v22, 0, 1, vcc
.LBB23_25:
	s_or_b64 exec, exec, s[0:1]
	v_or_b32_e32 v23, 0x1200, v0
	v_cmp_gt_u32_e32 vcc, s84, v23
                                        ; implicit-def: $vgpr24
	s_and_saveexec_b64 s[0:1], vcc
	s_cbranch_execz .LBB23_27
; %bb.26:
	v_readfirstlane_b32 s8, v10
	v_readfirstlane_b32 s9, v11
	s_nop 4
	global_load_ubyte v24, v23, s[8:9]
	s_waitcnt vmcnt(0)
	v_cmp_ne_u16_e32 vcc, 0, v24
	s_nop 1
	v_cndmask_b32_e64 v24, 0, 1, vcc
.LBB23_27:
	s_or_b64 exec, exec, s[0:1]
	v_or_b32_e32 v25, 0x1400, v0
	v_cmp_gt_u32_e32 vcc, s84, v25
                                        ; implicit-def: $vgpr26
	s_and_saveexec_b64 s[0:1], vcc
	s_cbranch_execz .LBB23_29
; %bb.28:
	v_readfirstlane_b32 s8, v10
	v_readfirstlane_b32 s9, v11
	s_nop 4
	global_load_ubyte v26, v25, s[8:9]
	s_waitcnt vmcnt(0)
	v_cmp_ne_u16_e32 vcc, 0, v26
	s_nop 1
	v_cndmask_b32_e64 v26, 0, 1, vcc
.LBB23_29:
	s_or_b64 exec, exec, s[0:1]
	v_or_b32_e32 v27, 0x1600, v0
	v_cmp_gt_u32_e32 vcc, s84, v27
                                        ; implicit-def: $vgpr28
	s_and_saveexec_b64 s[0:1], vcc
	s_cbranch_execz .LBB23_31
; %bb.30:
	v_readfirstlane_b32 s8, v10
	v_readfirstlane_b32 s9, v11
	s_nop 4
	global_load_ubyte v28, v27, s[8:9]
	s_waitcnt vmcnt(0)
	v_cmp_ne_u16_e32 vcc, 0, v28
	s_nop 1
	v_cndmask_b32_e64 v28, 0, 1, vcc
.LBB23_31:
	s_or_b64 exec, exec, s[0:1]
	v_or_b32_e32 v29, 0x1800, v0
	v_cmp_gt_u32_e32 vcc, s84, v29
                                        ; implicit-def: $vgpr30
	s_and_saveexec_b64 s[0:1], vcc
	s_cbranch_execz .LBB23_33
; %bb.32:
	v_readfirstlane_b32 s8, v10
	v_readfirstlane_b32 s9, v11
	s_nop 4
	global_load_ubyte v30, v29, s[8:9]
	s_waitcnt vmcnt(0)
	v_cmp_ne_u16_e32 vcc, 0, v30
	s_nop 1
	v_cndmask_b32_e64 v30, 0, 1, vcc
.LBB23_33:
	s_or_b64 exec, exec, s[0:1]
	v_or_b32_e32 v31, 0x1a00, v0
	v_cmp_gt_u32_e32 vcc, s84, v31
                                        ; implicit-def: $vgpr32
	s_and_saveexec_b64 s[0:1], vcc
	s_cbranch_execz .LBB23_35
; %bb.34:
	v_readfirstlane_b32 s8, v10
	v_readfirstlane_b32 s9, v11
	s_nop 4
	global_load_ubyte v32, v31, s[8:9]
	s_waitcnt vmcnt(0)
	v_cmp_ne_u16_e32 vcc, 0, v32
	s_nop 1
	v_cndmask_b32_e64 v32, 0, 1, vcc
.LBB23_35:
	s_or_b64 exec, exec, s[0:1]
	v_or_b32_e32 v33, 0x1c00, v0
	v_cmp_gt_u32_e32 vcc, s84, v33
                                        ; implicit-def: $vgpr34
	s_and_saveexec_b64 s[0:1], vcc
	s_cbranch_execz .LBB23_37
; %bb.36:
	v_readfirstlane_b32 s8, v10
	v_readfirstlane_b32 s9, v11
	s_nop 4
	global_load_ubyte v34, v33, s[8:9]
	s_waitcnt vmcnt(0)
	v_cmp_ne_u16_e32 vcc, 0, v34
	s_nop 1
	v_cndmask_b32_e64 v34, 0, 1, vcc
.LBB23_37:
	s_or_b64 exec, exec, s[0:1]
	v_or_b32_e32 v35, 0x1e00, v0
	v_cmp_gt_u32_e32 vcc, s84, v35
                                        ; implicit-def: $vgpr36
	s_and_saveexec_b64 s[0:1], vcc
	s_cbranch_execz .LBB23_39
; %bb.38:
	v_readfirstlane_b32 s8, v10
	v_readfirstlane_b32 s9, v11
	s_nop 4
	global_load_ubyte v36, v35, s[8:9]
	s_waitcnt vmcnt(0)
	v_cmp_ne_u16_e32 vcc, 0, v36
	s_nop 1
	v_cndmask_b32_e64 v36, 0, 1, vcc
.LBB23_39:
	s_or_b64 exec, exec, s[0:1]
	v_or_b32_e32 v37, 0x2000, v0
	v_cmp_gt_u32_e32 vcc, s84, v37
                                        ; implicit-def: $vgpr38
	s_and_saveexec_b64 s[0:1], vcc
	s_cbranch_execz .LBB23_41
; %bb.40:
	v_readfirstlane_b32 s8, v10
	v_readfirstlane_b32 s9, v11
	s_nop 4
	global_load_ubyte v38, v37, s[8:9]
	s_waitcnt vmcnt(0)
	v_cmp_ne_u16_e32 vcc, 0, v38
	s_nop 1
	v_cndmask_b32_e64 v38, 0, 1, vcc
.LBB23_41:
	s_or_b64 exec, exec, s[0:1]
	v_or_b32_e32 v39, 0x2200, v0
	v_cmp_gt_u32_e32 vcc, s84, v39
                                        ; implicit-def: $vgpr40
	s_and_saveexec_b64 s[0:1], vcc
	s_cbranch_execz .LBB23_43
; %bb.42:
	v_readfirstlane_b32 s8, v10
	v_readfirstlane_b32 s9, v11
	s_nop 4
	global_load_ubyte v40, v39, s[8:9]
	s_waitcnt vmcnt(0)
	v_cmp_ne_u16_e32 vcc, 0, v40
	s_nop 1
	v_cndmask_b32_e64 v40, 0, 1, vcc
.LBB23_43:
	s_or_b64 exec, exec, s[0:1]
	v_or_b32_e32 v41, 0x2400, v0
	v_cmp_gt_u32_e32 vcc, s84, v41
                                        ; implicit-def: $vgpr42
	s_and_saveexec_b64 s[0:1], vcc
	s_cbranch_execz .LBB23_45
; %bb.44:
	v_readfirstlane_b32 s8, v10
	v_readfirstlane_b32 s9, v11
	s_nop 4
	global_load_ubyte v42, v41, s[8:9]
	s_waitcnt vmcnt(0)
	v_cmp_ne_u16_e32 vcc, 0, v42
	s_nop 1
	v_cndmask_b32_e64 v42, 0, 1, vcc
.LBB23_45:
	s_or_b64 exec, exec, s[0:1]
	v_or_b32_e32 v43, 0x2600, v0
	v_cmp_gt_u32_e32 vcc, s84, v43
                                        ; implicit-def: $vgpr44
	s_and_saveexec_b64 s[0:1], vcc
	s_cbranch_execz .LBB23_47
; %bb.46:
	v_readfirstlane_b32 s8, v10
	v_readfirstlane_b32 s9, v11
	s_nop 4
	global_load_ubyte v44, v43, s[8:9]
	s_waitcnt vmcnt(0)
	v_cmp_ne_u16_e32 vcc, 0, v44
	s_nop 1
	v_cndmask_b32_e64 v44, 0, 1, vcc
.LBB23_47:
	s_or_b64 exec, exec, s[0:1]
	v_or_b32_e32 v45, 0x2800, v0
	v_cmp_gt_u32_e32 vcc, s84, v45
                                        ; implicit-def: $vgpr46
	s_and_saveexec_b64 s[0:1], vcc
	s_cbranch_execz .LBB23_49
; %bb.48:
	v_readfirstlane_b32 s8, v10
	v_readfirstlane_b32 s9, v11
	s_nop 4
	global_load_ubyte v46, v45, s[8:9]
	s_waitcnt vmcnt(0)
	v_cmp_ne_u16_e32 vcc, 0, v46
	s_nop 1
	v_cndmask_b32_e64 v46, 0, 1, vcc
.LBB23_49:
	s_or_b64 exec, exec, s[0:1]
	v_or_b32_e32 v47, 0x2a00, v0
	v_cmp_gt_u32_e32 vcc, s84, v47
                                        ; implicit-def: $vgpr48
	s_and_saveexec_b64 s[0:1], vcc
	s_cbranch_execz .LBB23_51
; %bb.50:
	v_readfirstlane_b32 s8, v10
	v_readfirstlane_b32 s9, v11
	s_nop 4
	global_load_ubyte v48, v47, s[8:9]
	s_waitcnt vmcnt(0)
	v_cmp_ne_u16_e32 vcc, 0, v48
	s_nop 1
	v_cndmask_b32_e64 v48, 0, 1, vcc
.LBB23_51:
	s_or_b64 exec, exec, s[0:1]
	v_or_b32_e32 v49, 0x2c00, v0
	v_cmp_gt_u32_e32 vcc, s84, v49
                                        ; implicit-def: $vgpr50
	s_and_saveexec_b64 s[0:1], vcc
	s_cbranch_execz .LBB23_53
; %bb.52:
	v_readfirstlane_b32 s8, v10
	v_readfirstlane_b32 s9, v11
	s_nop 4
	global_load_ubyte v50, v49, s[8:9]
	s_waitcnt vmcnt(0)
	v_cmp_ne_u16_e32 vcc, 0, v50
	s_nop 1
	v_cndmask_b32_e64 v50, 0, 1, vcc
.LBB23_53:
	s_or_b64 exec, exec, s[0:1]
	v_or_b32_e32 v51, 0x2e00, v0
	v_cmp_gt_u32_e32 vcc, s84, v51
                                        ; implicit-def: $vgpr52
	s_and_saveexec_b64 s[0:1], vcc
	s_cbranch_execz .LBB23_55
; %bb.54:
	v_readfirstlane_b32 s8, v10
	v_readfirstlane_b32 s9, v11
	s_nop 4
	global_load_ubyte v52, v51, s[8:9]
	s_waitcnt vmcnt(0)
	v_cmp_ne_u16_e32 vcc, 0, v52
	s_nop 1
	v_cndmask_b32_e64 v52, 0, 1, vcc
.LBB23_55:
	s_or_b64 exec, exec, s[0:1]
	v_or_b32_e32 v53, 0x3000, v0
	v_cmp_gt_u32_e32 vcc, s84, v53
                                        ; implicit-def: $vgpr54
	s_and_saveexec_b64 s[0:1], vcc
	s_cbranch_execz .LBB23_57
; %bb.56:
	v_readfirstlane_b32 s8, v10
	v_readfirstlane_b32 s9, v11
	s_nop 4
	global_load_ubyte v54, v53, s[8:9]
	s_waitcnt vmcnt(0)
	v_cmp_ne_u16_e32 vcc, 0, v54
	s_nop 1
	v_cndmask_b32_e64 v54, 0, 1, vcc
.LBB23_57:
	s_or_b64 exec, exec, s[0:1]
	v_or_b32_e32 v55, 0x3200, v0
	v_cmp_gt_u32_e32 vcc, s84, v55
                                        ; implicit-def: $vgpr56
	s_and_saveexec_b64 s[0:1], vcc
	s_cbranch_execz .LBB23_59
; %bb.58:
	v_readfirstlane_b32 s8, v10
	v_readfirstlane_b32 s9, v11
	s_nop 4
	global_load_ubyte v56, v55, s[8:9]
	s_waitcnt vmcnt(0)
	v_cmp_ne_u16_e32 vcc, 0, v56
	s_nop 1
	v_cndmask_b32_e64 v56, 0, 1, vcc
.LBB23_59:
	s_or_b64 exec, exec, s[0:1]
	v_or_b32_e32 v57, 0x3400, v0
	v_cmp_gt_u32_e32 vcc, s84, v57
                                        ; implicit-def: $vgpr58
	s_and_saveexec_b64 s[0:1], vcc
	s_cbranch_execz .LBB23_61
; %bb.60:
	v_readfirstlane_b32 s8, v10
	v_readfirstlane_b32 s9, v11
	s_nop 4
	global_load_ubyte v58, v57, s[8:9]
	s_waitcnt vmcnt(0)
	v_cmp_ne_u16_e32 vcc, 0, v58
	s_nop 1
	v_cndmask_b32_e64 v58, 0, 1, vcc
.LBB23_61:
	s_or_b64 exec, exec, s[0:1]
	v_or_b32_e32 v59, 0x3600, v0
	v_cmp_gt_u32_e32 vcc, s84, v59
                                        ; implicit-def: $vgpr60
	s_and_saveexec_b64 s[0:1], vcc
	s_cbranch_execz .LBB23_63
; %bb.62:
	v_readfirstlane_b32 s8, v10
	v_readfirstlane_b32 s9, v11
	s_nop 4
	global_load_ubyte v60, v59, s[8:9]
	s_waitcnt vmcnt(0)
	v_cmp_ne_u16_e32 vcc, 0, v60
	s_nop 1
	v_cndmask_b32_e64 v60, 0, 1, vcc
.LBB23_63:
	s_or_b64 exec, exec, s[0:1]
	v_or_b32_e32 v61, 0x3800, v0
	v_cmp_gt_u32_e32 vcc, s84, v61
                                        ; implicit-def: $vgpr62
	s_and_saveexec_b64 s[0:1], vcc
	s_cbranch_execz .LBB23_65
; %bb.64:
	v_readfirstlane_b32 s8, v10
	v_readfirstlane_b32 s9, v11
	s_nop 4
	global_load_ubyte v62, v61, s[8:9]
	s_waitcnt vmcnt(0)
	v_cmp_ne_u16_e32 vcc, 0, v62
	s_nop 1
	v_cndmask_b32_e64 v62, 0, 1, vcc
.LBB23_65:
	s_or_b64 exec, exec, s[0:1]
	v_or_b32_e32 v63, 0x3a00, v0
	v_cmp_gt_u32_e32 vcc, s84, v63
                                        ; implicit-def: $vgpr64
	s_and_saveexec_b64 s[0:1], vcc
	s_cbranch_execz .LBB23_67
; %bb.66:
	v_readfirstlane_b32 s8, v10
	v_readfirstlane_b32 s9, v11
	s_nop 4
	global_load_ubyte v64, v63, s[8:9]
	s_waitcnt vmcnt(0)
	v_cmp_ne_u16_e32 vcc, 0, v64
	s_nop 1
	v_cndmask_b32_e64 v64, 0, 1, vcc
.LBB23_67:
	s_or_b64 exec, exec, s[0:1]
	v_or_b32_e32 v65, 0x3c00, v0
	v_cmp_gt_u32_e32 vcc, s84, v65
                                        ; implicit-def: $vgpr66
	s_and_saveexec_b64 s[0:1], vcc
	s_cbranch_execz .LBB23_69
; %bb.68:
	v_readfirstlane_b32 s8, v10
	v_readfirstlane_b32 s9, v11
	s_nop 4
	global_load_ubyte v66, v65, s[8:9]
	s_waitcnt vmcnt(0)
	v_cmp_ne_u16_e32 vcc, 0, v66
	s_nop 1
	v_cndmask_b32_e64 v66, 0, 1, vcc
.LBB23_69:
	s_or_b64 exec, exec, s[0:1]
	v_or_b32_e32 v67, 0x3e00, v0
	v_cmp_gt_u32_e32 vcc, s84, v67
                                        ; implicit-def: $vgpr68
	s_and_saveexec_b64 s[0:1], vcc
	s_cbranch_execz .LBB23_71
; %bb.70:
	v_readfirstlane_b32 s8, v10
	v_readfirstlane_b32 s9, v11
	s_nop 4
	global_load_ubyte v68, v67, s[8:9]
	s_waitcnt vmcnt(0)
	v_cmp_ne_u16_e32 vcc, 0, v68
	s_nop 1
	v_cndmask_b32_e64 v68, 0, 1, vcc
.LBB23_71:
	s_or_b64 exec, exec, s[0:1]
	v_and_b32_e32 v2, 12, v2
	v_add_u32_e32 v2, v2, v0
	ds_write_b8 v2, v1
	v_lshrrev_b32_e32 v1, 5, v3
	v_and_b32_e32 v1, 28, v1
	v_add_u32_e32 v1, v1, v0
	ds_write_b8 v1, v4 offset:512
	v_lshrrev_b32_e32 v1, 5, v5
	v_and_b32_e32 v1, 60, v1
	v_add_u32_e32 v1, v1, v0
	ds_write_b8 v1, v6 offset:1024
	;; [unrolled: 4-line block ×31, first 2 shown]
	s_waitcnt lgkmcnt(0)
	s_barrier
.LBB23_72:
	v_lshlrev_b32_e32 v12, 5, v0
	v_and_b32_e32 v1, 0x1fc, v0
	v_add_u32_e32 v8, v1, v12
	ds_read2_b32 v[2:3], v8 offset0:6 offset1:7
	ds_read2_b32 v[4:5], v8 offset0:4 offset1:5
	;; [unrolled: 1-line block ×3, first 2 shown]
	ds_read2_b32 v[8:9], v8 offset1:1
	s_cmp_lg_u32 s33, 0
	s_cselect_b64 s[16:17], -1, 0
	s_cmp_lg_u64 s[6:7], 0
	s_cselect_b64 s[6:7], -1, 0
	s_or_b64 s[6:7], s[6:7], s[16:17]
	s_waitcnt lgkmcnt(3)
	v_lshrrev_b32_e32 v26, 8, v2
	v_lshrrev_b32_e32 v25, 16, v2
	v_lshrrev_b32_e32 v24, 24, v2
	v_lshrrev_b32_e32 v23, 8, v3
	v_lshrrev_b32_e32 v22, 16, v3
	v_lshrrev_b32_e32 v1, 24, v3
	s_waitcnt lgkmcnt(2)
	v_lshrrev_b32_e32 v32, 8, v4
	v_lshrrev_b32_e32 v31, 16, v4
	v_lshrrev_b32_e32 v30, 24, v4
	v_lshrrev_b32_e32 v29, 8, v5
	v_lshrrev_b32_e32 v28, 16, v5
	v_lshrrev_b32_e32 v27, 24, v5
	;; [unrolled: 7-line block ×4, first 2 shown]
	s_mov_b64 s[0:1], 0
	s_and_b64 vcc, exec, s[6:7]
	s_barrier
	s_cbranch_vccz .LBB23_77
; %bb.73:
	global_load_ubyte v10, v[10:11], off offset:-1
	s_and_b64 vcc, exec, s[26:27]
	ds_write_b8 v0, v1
	s_waitcnt vmcnt(0)
	v_cmp_ne_u16_e64 s[0:1], 0, v10
	s_nop 1
	v_cndmask_b32_e64 v10, 0, 1, s[0:1]
	s_cbranch_vccz .LBB23_79
; %bb.74:
	v_cndmask_b32_e64 v11, 0, 1, s[0:1]
	s_waitcnt lgkmcnt(0)
	s_barrier
	s_and_saveexec_b64 s[0:1], s[2:3]
	s_cbranch_execz .LBB23_76
; %bb.75:
	v_add_u32_e32 v11, -1, v0
	ds_read_u8 v11, v11
.LBB23_76:
	s_or_b64 exec, exec, s[0:1]
	v_cmp_ne_u16_sdwa s[0:1], v22, v1 src0_sel:BYTE_0 src1_sel:DWORD
	s_waitcnt lgkmcnt(0)
	v_cmp_ne_u16_sdwa s[6:7], v11, v8 src0_sel:BYTE_0 src1_sel:BYTE_0
	v_cndmask_b32_e64 v36, 0, 1, s[0:1]
	v_cmp_ne_u16_sdwa s[0:1], v23, v22 src0_sel:BYTE_0 src1_sel:BYTE_0
	s_nop 1
	v_cndmask_b32_e64 v38, 0, 1, s[0:1]
	v_cmp_ne_u16_sdwa s[0:1], v3, v23 src0_sel:BYTE_0 src1_sel:BYTE_0
	s_nop 1
	v_cndmask_b32_e64 v41, 0, 1, s[0:1]
	v_cmp_ne_u16_sdwa s[0:1], v24, v3 src0_sel:DWORD src1_sel:BYTE_0
	s_nop 1
	v_cndmask_b32_e64 v42, 0, 1, s[0:1]
	v_cmp_ne_u16_sdwa s[0:1], v25, v24 src0_sel:BYTE_0 src1_sel:DWORD
	s_nop 1
	v_cndmask_b32_e64 v45, 0, 1, s[0:1]
	v_cmp_ne_u16_sdwa s[0:1], v26, v25 src0_sel:BYTE_0 src1_sel:BYTE_0
	s_nop 1
	v_cndmask_b32_e64 v47, 0, 1, s[0:1]
	v_cmp_ne_u16_sdwa s[0:1], v2, v26 src0_sel:BYTE_0 src1_sel:BYTE_0
	s_nop 1
	v_cndmask_b32_e64 v50, 0, 1, s[0:1]
	v_cmp_ne_u16_sdwa s[0:1], v27, v2 src0_sel:DWORD src1_sel:BYTE_0
	s_nop 1
	v_cndmask_b32_e64 v52, 0, 1, s[0:1]
	v_cmp_ne_u16_sdwa s[0:1], v28, v27 src0_sel:BYTE_0 src1_sel:DWORD
	s_nop 1
	;; [unrolled: 12-line block ×7, first 2 shown]
	v_cndmask_b32_e64 v73, 0, 1, s[0:1]
	v_cmp_ne_u16_sdwa s[0:1], v51, v49 src0_sel:BYTE_0 src1_sel:BYTE_0
	s_nop 1
	v_cndmask_b32_e64 v74, 0, 1, s[0:1]
	v_cmp_ne_u16_sdwa s[0:1], v8, v51 src0_sel:BYTE_0 src1_sel:BYTE_0
	s_nop 1
	v_cndmask_b32_e64 v75, 0, 1, s[0:1]
	s_branch .LBB23_83
.LBB23_77:
                                        ; implicit-def: $sgpr6_sgpr7
                                        ; implicit-def: $vgpr75
                                        ; implicit-def: $vgpr74
                                        ; implicit-def: $vgpr73
                                        ; implicit-def: $vgpr72
                                        ; implicit-def: $vgpr71
                                        ; implicit-def: $vgpr70
                                        ; implicit-def: $vgpr69
                                        ; implicit-def: $vgpr68
                                        ; implicit-def: $vgpr67
                                        ; implicit-def: $vgpr66
                                        ; implicit-def: $vgpr65
                                        ; implicit-def: $vgpr64
                                        ; implicit-def: $vgpr63
                                        ; implicit-def: $vgpr62
                                        ; implicit-def: $vgpr61
                                        ; implicit-def: $vgpr60
                                        ; implicit-def: $vgpr59
                                        ; implicit-def: $vgpr58
                                        ; implicit-def: $vgpr57
                                        ; implicit-def: $vgpr56
                                        ; implicit-def: $vgpr55
                                        ; implicit-def: $vgpr54
                                        ; implicit-def: $vgpr53
                                        ; implicit-def: $vgpr52
                                        ; implicit-def: $vgpr50
                                        ; implicit-def: $vgpr47
                                        ; implicit-def: $vgpr45
                                        ; implicit-def: $vgpr42
                                        ; implicit-def: $vgpr41
                                        ; implicit-def: $vgpr38
                                        ; implicit-def: $vgpr36
	s_branch .LBB23_84
.LBB23_78:
                                        ; implicit-def: $sgpr10
	v_mov_b32_e32 v76, s10
	s_and_saveexec_b64 s[2:3], s[0:1]
	s_cbranch_execnz .LBB23_92
	s_branch .LBB23_93
.LBB23_79:
                                        ; implicit-def: $sgpr6_sgpr7
                                        ; implicit-def: $vgpr75
                                        ; implicit-def: $vgpr74
                                        ; implicit-def: $vgpr73
                                        ; implicit-def: $vgpr72
                                        ; implicit-def: $vgpr71
                                        ; implicit-def: $vgpr70
                                        ; implicit-def: $vgpr69
                                        ; implicit-def: $vgpr68
                                        ; implicit-def: $vgpr67
                                        ; implicit-def: $vgpr66
                                        ; implicit-def: $vgpr65
                                        ; implicit-def: $vgpr64
                                        ; implicit-def: $vgpr63
                                        ; implicit-def: $vgpr62
                                        ; implicit-def: $vgpr61
                                        ; implicit-def: $vgpr60
                                        ; implicit-def: $vgpr59
                                        ; implicit-def: $vgpr58
                                        ; implicit-def: $vgpr57
                                        ; implicit-def: $vgpr56
                                        ; implicit-def: $vgpr55
                                        ; implicit-def: $vgpr54
                                        ; implicit-def: $vgpr53
                                        ; implicit-def: $vgpr52
                                        ; implicit-def: $vgpr50
                                        ; implicit-def: $vgpr47
                                        ; implicit-def: $vgpr45
                                        ; implicit-def: $vgpr42
                                        ; implicit-def: $vgpr41
                                        ; implicit-def: $vgpr38
                                        ; implicit-def: $vgpr36
	s_cbranch_execz .LBB23_83
; %bb.80:
	s_waitcnt lgkmcnt(0)
	s_barrier
	s_and_saveexec_b64 s[0:1], s[2:3]
	s_cbranch_execz .LBB23_82
; %bb.81:
	v_add_u32_e32 v10, -1, v0
	ds_read_u8 v10, v10
.LBB23_82:
	s_or_b64 exec, exec, s[0:1]
	v_or_b32_e32 v11, 31, v12
	v_cmp_gt_u32_e32 vcc, s84, v11
	v_cmp_ne_u16_sdwa s[0:1], v22, v1 src0_sel:BYTE_0 src1_sel:DWORD
	s_and_b64 s[0:1], vcc, s[0:1]
	v_or_b32_e32 v11, 30, v12
	v_cndmask_b32_e64 v36, 0, 1, s[0:1]
	v_cmp_gt_u32_e32 vcc, s84, v11
	v_cmp_ne_u16_sdwa s[0:1], v23, v22 src0_sel:BYTE_0 src1_sel:BYTE_0
	s_and_b64 s[0:1], vcc, s[0:1]
	v_or_b32_e32 v11, 29, v12
	v_cndmask_b32_e64 v38, 0, 1, s[0:1]
	v_cmp_gt_u32_e32 vcc, s84, v11
	v_cmp_ne_u16_sdwa s[0:1], v3, v23 src0_sel:BYTE_0 src1_sel:BYTE_0
	s_and_b64 s[0:1], vcc, s[0:1]
	v_or_b32_e32 v11, 28, v12
	v_cndmask_b32_e64 v41, 0, 1, s[0:1]
	v_cmp_gt_u32_e32 vcc, s84, v11
	v_cmp_ne_u16_sdwa s[0:1], v24, v3 src0_sel:DWORD src1_sel:BYTE_0
	s_and_b64 s[0:1], vcc, s[0:1]
	v_or_b32_e32 v11, 27, v12
	v_cndmask_b32_e64 v42, 0, 1, s[0:1]
	v_cmp_gt_u32_e32 vcc, s84, v11
	v_cmp_ne_u16_sdwa s[0:1], v25, v24 src0_sel:BYTE_0 src1_sel:DWORD
	s_and_b64 s[0:1], vcc, s[0:1]
	v_or_b32_e32 v11, 26, v12
	v_cndmask_b32_e64 v45, 0, 1, s[0:1]
	v_cmp_gt_u32_e32 vcc, s84, v11
	v_cmp_ne_u16_sdwa s[0:1], v26, v25 src0_sel:BYTE_0 src1_sel:BYTE_0
	s_and_b64 s[0:1], vcc, s[0:1]
	v_or_b32_e32 v11, 25, v12
	v_cndmask_b32_e64 v47, 0, 1, s[0:1]
	v_cmp_gt_u32_e32 vcc, s84, v11
	v_cmp_ne_u16_sdwa s[0:1], v2, v26 src0_sel:BYTE_0 src1_sel:BYTE_0
	s_and_b64 s[0:1], vcc, s[0:1]
	v_or_b32_e32 v11, 24, v12
	v_cndmask_b32_e64 v50, 0, 1, s[0:1]
	v_cmp_gt_u32_e32 vcc, s84, v11
	v_cmp_ne_u16_sdwa s[0:1], v27, v2 src0_sel:DWORD src1_sel:BYTE_0
	s_and_b64 s[0:1], vcc, s[0:1]
	v_or_b32_e32 v11, 23, v12
	v_cndmask_b32_e64 v52, 0, 1, s[0:1]
	;; [unrolled: 20-line block ×7, first 2 shown]
	v_cmp_gt_u32_e32 vcc, s84, v11
	v_cmp_ne_u16_sdwa s[0:1], v49, v48 src0_sel:BYTE_0 src1_sel:DWORD
	s_and_b64 s[0:1], vcc, s[0:1]
	v_or_b32_e32 v11, 2, v12
	v_cndmask_b32_e64 v73, 0, 1, s[0:1]
	v_cmp_gt_u32_e32 vcc, s84, v11
	v_cmp_ne_u16_sdwa s[0:1], v51, v49 src0_sel:BYTE_0 src1_sel:BYTE_0
	s_and_b64 s[0:1], vcc, s[0:1]
	v_or_b32_e32 v11, 1, v12
	v_cndmask_b32_e64 v74, 0, 1, s[0:1]
	v_cmp_gt_u32_e32 vcc, s84, v11
	v_cmp_ne_u16_sdwa s[0:1], v8, v51 src0_sel:BYTE_0 src1_sel:BYTE_0
	s_and_b64 s[0:1], vcc, s[0:1]
	v_cmp_gt_u32_e32 vcc, s84, v12
	v_cndmask_b32_e64 v75, 0, 1, s[0:1]
	s_waitcnt lgkmcnt(0)
	v_cmp_ne_u16_sdwa s[0:1], v10, v8 src0_sel:BYTE_0 src1_sel:BYTE_0
	s_and_b64 s[6:7], vcc, s[0:1]
.LBB23_83:
	s_mov_b64 s[0:1], -1
	s_cbranch_execnz .LBB23_78
.LBB23_84:
	s_and_b64 vcc, exec, s[26:27]
	v_cmp_ne_u16_sdwa s[6:7], v22, v1 src0_sel:BYTE_0 src1_sel:DWORD
	v_cmp_ne_u16_sdwa s[8:9], v23, v22 src0_sel:BYTE_0 src1_sel:BYTE_0
	v_cmp_ne_u16_sdwa s[10:11], v3, v23 src0_sel:BYTE_0 src1_sel:BYTE_0
	v_cmp_ne_u16_sdwa s[12:13], v24, v3 src0_sel:DWORD src1_sel:BYTE_0
	v_cmp_ne_u16_sdwa s[14:15], v25, v24 src0_sel:BYTE_0 src1_sel:DWORD
	v_cmp_ne_u16_sdwa s[30:31], v26, v25 src0_sel:BYTE_0 src1_sel:BYTE_0
	v_cmp_ne_u16_sdwa s[34:35], v2, v26 src0_sel:BYTE_0 src1_sel:BYTE_0
	v_cmp_ne_u16_sdwa s[36:37], v27, v2 src0_sel:DWORD src1_sel:BYTE_0
	;; [unrolled: 4-line block ×7, first 2 shown]
	v_cmp_ne_u16_sdwa s[78:79], v49, v48 src0_sel:BYTE_0 src1_sel:DWORD
	v_cmp_ne_u16_sdwa s[80:81], v51, v49 src0_sel:BYTE_0 src1_sel:BYTE_0
	v_cmp_ne_u16_sdwa s[82:83], v8, v51 src0_sel:BYTE_0 src1_sel:BYTE_0
	ds_write_b8 v0, v1
	s_cbranch_vccz .LBB23_88
; %bb.85:
	v_cndmask_b32_e64 v36, 0, 1, s[6:7]
	v_cndmask_b32_e64 v38, 0, 1, s[8:9]
	;; [unrolled: 1-line block ×31, first 2 shown]
	s_waitcnt lgkmcnt(0)
	s_barrier
	s_waitcnt lgkmcnt(0)
                                        ; implicit-def: $sgpr6_sgpr7
	s_and_saveexec_b64 s[8:9], s[2:3]
	s_xor_b64 s[8:9], exec, s[8:9]
	s_cbranch_execz .LBB23_87
; %bb.86:
	v_add_u32_e32 v10, -1, v0
	ds_read_u8 v10, v10
	s_or_b64 s[0:1], s[0:1], exec
	s_waitcnt lgkmcnt(0)
	v_cmp_ne_u16_sdwa s[6:7], v10, v8 src0_sel:DWORD src1_sel:BYTE_0
	s_and_b64 s[6:7], s[6:7], exec
.LBB23_87:
	s_or_b64 exec, exec, s[8:9]
	s_mov_b32 s10, 1
	s_branch .LBB23_91
.LBB23_88:
                                        ; implicit-def: $sgpr6_sgpr7
                                        ; implicit-def: $vgpr75
                                        ; implicit-def: $vgpr74
                                        ; implicit-def: $vgpr73
                                        ; implicit-def: $vgpr72
                                        ; implicit-def: $vgpr71
                                        ; implicit-def: $vgpr70
                                        ; implicit-def: $vgpr69
                                        ; implicit-def: $vgpr68
                                        ; implicit-def: $vgpr67
                                        ; implicit-def: $vgpr66
                                        ; implicit-def: $vgpr65
                                        ; implicit-def: $vgpr64
                                        ; implicit-def: $vgpr63
                                        ; implicit-def: $vgpr62
                                        ; implicit-def: $vgpr61
                                        ; implicit-def: $vgpr60
                                        ; implicit-def: $vgpr59
                                        ; implicit-def: $vgpr58
                                        ; implicit-def: $vgpr57
                                        ; implicit-def: $vgpr56
                                        ; implicit-def: $vgpr55
                                        ; implicit-def: $vgpr54
                                        ; implicit-def: $vgpr53
                                        ; implicit-def: $vgpr52
                                        ; implicit-def: $vgpr50
                                        ; implicit-def: $vgpr47
                                        ; implicit-def: $vgpr45
                                        ; implicit-def: $vgpr42
                                        ; implicit-def: $vgpr41
                                        ; implicit-def: $vgpr38
                                        ; implicit-def: $vgpr36
                                        ; implicit-def: $sgpr10
	s_cbranch_execz .LBB23_91
; %bb.89:
	v_or_b32_e32 v10, 31, v12
	v_cmp_gt_u32_e32 vcc, s84, v10
	v_cmp_ne_u16_sdwa s[6:7], v22, v1 src0_sel:BYTE_0 src1_sel:DWORD
	s_and_b64 s[6:7], vcc, s[6:7]
	v_or_b32_e32 v10, 30, v12
	v_cndmask_b32_e64 v36, 0, 1, s[6:7]
	v_cmp_gt_u32_e32 vcc, s84, v10
	v_cmp_ne_u16_sdwa s[6:7], v23, v22 src0_sel:BYTE_0 src1_sel:BYTE_0
	s_and_b64 s[6:7], vcc, s[6:7]
	v_or_b32_e32 v10, 29, v12
	v_cndmask_b32_e64 v38, 0, 1, s[6:7]
	v_cmp_gt_u32_e32 vcc, s84, v10
	v_cmp_ne_u16_sdwa s[6:7], v3, v23 src0_sel:BYTE_0 src1_sel:BYTE_0
	s_and_b64 s[6:7], vcc, s[6:7]
	v_or_b32_e32 v10, 28, v12
	v_cndmask_b32_e64 v41, 0, 1, s[6:7]
	v_cmp_gt_u32_e32 vcc, s84, v10
	v_cmp_ne_u16_sdwa s[6:7], v24, v3 src0_sel:DWORD src1_sel:BYTE_0
	s_and_b64 s[6:7], vcc, s[6:7]
	v_or_b32_e32 v10, 27, v12
	v_cndmask_b32_e64 v42, 0, 1, s[6:7]
	v_cmp_gt_u32_e32 vcc, s84, v10
	v_cmp_ne_u16_sdwa s[6:7], v25, v24 src0_sel:BYTE_0 src1_sel:DWORD
	s_and_b64 s[6:7], vcc, s[6:7]
	v_or_b32_e32 v10, 26, v12
	v_cndmask_b32_e64 v45, 0, 1, s[6:7]
	v_cmp_gt_u32_e32 vcc, s84, v10
	v_cmp_ne_u16_sdwa s[6:7], v26, v25 src0_sel:BYTE_0 src1_sel:BYTE_0
	s_and_b64 s[6:7], vcc, s[6:7]
	v_or_b32_e32 v10, 25, v12
	v_cndmask_b32_e64 v47, 0, 1, s[6:7]
	v_cmp_gt_u32_e32 vcc, s84, v10
	v_cmp_ne_u16_sdwa s[6:7], v2, v26 src0_sel:BYTE_0 src1_sel:BYTE_0
	s_and_b64 s[6:7], vcc, s[6:7]
	v_or_b32_e32 v10, 24, v12
	v_cndmask_b32_e64 v50, 0, 1, s[6:7]
	v_cmp_gt_u32_e32 vcc, s84, v10
	v_cmp_ne_u16_sdwa s[6:7], v27, v2 src0_sel:DWORD src1_sel:BYTE_0
	s_and_b64 s[6:7], vcc, s[6:7]
	v_or_b32_e32 v10, 23, v12
	v_cndmask_b32_e64 v52, 0, 1, s[6:7]
	;; [unrolled: 20-line block ×7, first 2 shown]
	v_cmp_gt_u32_e32 vcc, s84, v10
	v_cmp_ne_u16_sdwa s[6:7], v49, v48 src0_sel:BYTE_0 src1_sel:DWORD
	s_and_b64 s[6:7], vcc, s[6:7]
	v_or_b32_e32 v10, 2, v12
	v_cndmask_b32_e64 v73, 0, 1, s[6:7]
	v_cmp_gt_u32_e32 vcc, s84, v10
	v_cmp_ne_u16_sdwa s[6:7], v51, v49 src0_sel:BYTE_0 src1_sel:BYTE_0
	s_and_b64 s[6:7], vcc, s[6:7]
	v_or_b32_e32 v10, 1, v12
	v_cndmask_b32_e64 v74, 0, 1, s[6:7]
	v_cmp_gt_u32_e32 vcc, s84, v10
	v_cmp_ne_u16_sdwa s[6:7], v8, v51 src0_sel:BYTE_0 src1_sel:BYTE_0
	s_and_b64 s[6:7], vcc, s[6:7]
	s_mov_b32 s10, 1
	v_cndmask_b32_e64 v75, 0, 1, s[6:7]
	s_waitcnt lgkmcnt(0)
	s_barrier
	s_waitcnt lgkmcnt(0)
                                        ; implicit-def: $sgpr6_sgpr7
	s_and_saveexec_b64 s[8:9], s[2:3]
	s_cbranch_execz .LBB23_315
; %bb.90:
	v_add_u32_e32 v10, -1, v0
	ds_read_u8 v10, v10
	v_cmp_gt_u32_e32 vcc, s84, v12
	s_or_b64 s[0:1], s[0:1], exec
	s_waitcnt lgkmcnt(0)
	v_and_b32_e32 v10, 0xff, v10
	v_cmp_ne_u16_sdwa s[2:3], v10, v8 src0_sel:DWORD src1_sel:BYTE_0
	s_and_b64 s[2:3], vcc, s[2:3]
	s_and_b64 s[6:7], s[2:3], exec
	s_or_b64 exec, exec, s[8:9]
.LBB23_91:
	v_mov_b32_e32 v76, s10
	s_and_saveexec_b64 s[2:3], s[0:1]
.LBB23_92:
	v_cndmask_b32_e64 v76, 0, 1, s[6:7]
.LBB23_93:
	s_or_b64 exec, exec, s[2:3]
	s_andn2_b64 vcc, exec, s[4:5]
	s_cbranch_vccnz .LBB23_95
; %bb.94:
	v_cmp_gt_u32_e32 vcc, s84, v12
	v_or_b32_e32 v10, 1, v12
	s_nop 0
	v_cndmask_b32_e32 v76, 0, v76, vcc
	v_cmp_gt_u32_e32 vcc, s84, v10
	v_or_b32_e32 v10, 2, v12
	s_nop 0
	v_cndmask_b32_e32 v75, 0, v75, vcc
	;; [unrolled: 4-line block ×31, first 2 shown]
	v_cmp_gt_u32_e32 vcc, s84, v10
	s_nop 1
	v_cndmask_b32_e32 v36, 0, v36, vcc
.LBB23_95:
	v_and_b32_e32 v118, 0xff, v42
	v_and_b32_e32 v119, 0xff, v41
	v_add_u32_sdwa v10, v38, v36 dst_sel:DWORD dst_unused:UNUSED_PAD src0_sel:BYTE_0 src1_sel:BYTE_0
	v_and_b32_e32 v116, 0xff, v47
	v_and_b32_e32 v117, 0xff, v45
	v_add3_u32 v10, v10, v119, v118
	v_and_b32_e32 v114, 0xff, v52
	v_and_b32_e32 v115, 0xff, v50
	v_add3_u32 v10, v10, v117, v116
	;; [unrolled: 3-line block ×14, first 2 shown]
	v_add3_u32 v92, v10, v78, v77
	v_mbcnt_lo_u32_b32 v10, -1, 0
	v_mbcnt_hi_u32_b32 v90, -1, v10
	v_and_b32_e32 v10, 15, v90
	v_cmp_eq_u32_e64 s[14:15], 0, v10
	v_cmp_lt_u32_e64 s[12:13], 1, v10
	v_cmp_lt_u32_e64 s[10:11], 3, v10
	;; [unrolled: 1-line block ×3, first 2 shown]
	v_and_b32_e32 v10, 16, v90
	v_cmp_eq_u32_e64 s[6:7], 0, v10
	v_or_b32_e32 v10, 63, v0
	v_cmp_lt_u32_e64 s[2:3], 31, v90
	v_lshrrev_b32_e32 v91, 6, v0
	v_cmp_eq_u32_e64 s[4:5], v10, v0
	s_and_b64 vcc, exec, s[16:17]
	s_waitcnt lgkmcnt(0)
	s_barrier
	s_cbranch_vccz .LBB23_126
; %bb.96:
	v_mov_b32_dpp v10, v92 row_shr:1 row_mask:0xf bank_mask:0xf
	v_cndmask_b32_e64 v10, v10, 0, s[14:15]
	v_add_u32_e32 v10, v10, v92
	s_nop 1
	v_mov_b32_dpp v11, v10 row_shr:2 row_mask:0xf bank_mask:0xf
	v_cndmask_b32_e64 v11, 0, v11, s[12:13]
	v_add_u32_e32 v10, v10, v11
	s_nop 1
	;; [unrolled: 4-line block ×4, first 2 shown]
	v_mov_b32_dpp v11, v10 row_bcast:15 row_mask:0xf bank_mask:0xf
	v_cndmask_b32_e64 v11, v11, 0, s[6:7]
	v_add_u32_e32 v10, v10, v11
	s_nop 1
	v_mov_b32_dpp v11, v10 row_bcast:31 row_mask:0xf bank_mask:0xf
	v_cndmask_b32_e64 v11, 0, v11, s[2:3]
	v_add_u32_e32 v10, v10, v11
	s_and_saveexec_b64 s[0:1], s[4:5]
	s_cbranch_execz .LBB23_98
; %bb.97:
	v_lshlrev_b32_e32 v11, 2, v91
	ds_write_b32 v11, v10
.LBB23_98:
	s_or_b64 exec, exec, s[0:1]
	v_cmp_gt_u32_e32 vcc, 8, v0
	s_waitcnt lgkmcnt(0)
	s_barrier
	s_and_saveexec_b64 s[0:1], vcc
	s_cbranch_execz .LBB23_100
; %bb.99:
	v_lshlrev_b32_e32 v11, 2, v0
	ds_read_b32 v12, v11
	v_and_b32_e32 v13, 7, v90
	v_cmp_ne_u32_e32 vcc, 0, v13
	s_waitcnt lgkmcnt(0)
	v_mov_b32_dpp v14, v12 row_shr:1 row_mask:0xf bank_mask:0xf
	v_cndmask_b32_e32 v14, 0, v14, vcc
	v_add_u32_e32 v12, v14, v12
	v_cmp_lt_u32_e32 vcc, 1, v13
	s_nop 0
	v_mov_b32_dpp v14, v12 row_shr:2 row_mask:0xf bank_mask:0xf
	v_cndmask_b32_e32 v14, 0, v14, vcc
	v_add_u32_e32 v12, v12, v14
	v_cmp_lt_u32_e32 vcc, 3, v13
	s_nop 0
	v_mov_b32_dpp v14, v12 row_shr:4 row_mask:0xf bank_mask:0xf
	v_cndmask_b32_e32 v13, 0, v14, vcc
	v_add_u32_e32 v12, v12, v13
	ds_write_b32 v11, v12
.LBB23_100:
	s_or_b64 exec, exec, s[0:1]
	v_cmp_gt_u32_e32 vcc, 64, v0
	v_cmp_lt_u32_e64 s[0:1], 63, v0
	s_waitcnt lgkmcnt(0)
	s_barrier
	s_waitcnt lgkmcnt(0)
                                        ; implicit-def: $vgpr93
	s_and_saveexec_b64 s[16:17], s[0:1]
	s_cbranch_execz .LBB23_102
; %bb.101:
	v_lshl_add_u32 v11, v91, 2, -4
	ds_read_b32 v93, v11
	s_waitcnt lgkmcnt(0)
	v_add_u32_e32 v10, v93, v10
.LBB23_102:
	s_or_b64 exec, exec, s[16:17]
	v_add_u32_e32 v11, -1, v90
	v_and_b32_e32 v12, 64, v90
	v_cmp_lt_i32_e64 s[0:1], v11, v12
	v_cmp_eq_u32_e64 s[16:17], 0, v90
	s_nop 0
	v_cndmask_b32_e64 v11, v11, v90, s[0:1]
	v_lshlrev_b32_e32 v11, 2, v11
	ds_bpermute_b32 v94, v11, v10
	s_and_saveexec_b64 s[0:1], vcc
	s_cbranch_execz .LBB23_125
; %bb.103:
	v_mov_b32_e32 v21, 0
	ds_read_b32 v10, v21 offset:28
	s_and_saveexec_b64 s[30:31], s[16:17]
	s_cbranch_execz .LBB23_105
; %bb.104:
	s_add_i32 s34, s33, 64
	s_mov_b32 s35, 0
	s_lshl_b64 s[34:35], s[34:35], 3
	s_add_u32 s34, s28, s34
	v_mov_b32_e32 v11, 1
	s_addc_u32 s35, s29, s35
	s_waitcnt lgkmcnt(0)
	global_store_dwordx2 v21, v[10:11], s[34:35] sc1
.LBB23_105:
	s_or_b64 exec, exec, s[30:31]
	v_xad_u32 v12, v90, -1, s33
	v_add_u32_e32 v20, 64, v12
	v_lshl_add_u64 v[14:15], v[20:21], 3, s[28:29]
	global_load_dwordx2 v[18:19], v[14:15], off sc1
	s_waitcnt vmcnt(0)
	v_cmp_eq_u16_sdwa s[34:35], v19, v21 src0_sel:BYTE_0 src1_sel:DWORD
	s_and_saveexec_b64 s[30:31], s[34:35]
	s_cbranch_execz .LBB23_111
; %bb.106:
	s_mov_b32 s36, 1
	s_mov_b64 s[34:35], 0
	v_mov_b32_e32 v11, 0
.LBB23_107:                             ; =>This Loop Header: Depth=1
                                        ;     Child Loop BB23_108 Depth 2
	s_max_u32 s37, s36, 1
.LBB23_108:                             ;   Parent Loop BB23_107 Depth=1
                                        ; =>  This Inner Loop Header: Depth=2
	s_add_i32 s37, s37, -1
	s_cmp_eq_u32 s37, 0
	s_sleep 1
	s_cbranch_scc0 .LBB23_108
; %bb.109:                              ;   in Loop: Header=BB23_107 Depth=1
	global_load_dwordx2 v[18:19], v[14:15], off sc1
	s_cmp_lt_u32 s36, 32
	s_cselect_b64 s[38:39], -1, 0
	s_cmp_lg_u64 s[38:39], 0
	s_addc_u32 s36, s36, 0
	s_waitcnt vmcnt(0)
	v_cmp_ne_u16_sdwa s[38:39], v19, v11 src0_sel:BYTE_0 src1_sel:DWORD
	s_or_b64 s[34:35], s[38:39], s[34:35]
	s_andn2_b64 exec, exec, s[34:35]
	s_cbranch_execnz .LBB23_107
; %bb.110:
	s_or_b64 exec, exec, s[34:35]
.LBB23_111:
	s_or_b64 exec, exec, s[30:31]
	v_and_b32_e32 v95, 63, v90
	v_mov_b32_e32 v11, 2
	v_cmp_ne_u32_e32 vcc, 63, v95
	v_cmp_eq_u16_sdwa s[30:31], v19, v11 src0_sel:BYTE_0 src1_sel:DWORD
	v_lshlrev_b64 v[14:15], v90, -1
	v_addc_co_u32_e32 v21, vcc, 0, v90, vcc
	v_and_b32_e32 v13, s31, v15
	v_lshlrev_b32_e32 v96, 2, v21
	v_or_b32_e32 v13, 0x80000000, v13
	ds_bpermute_b32 v21, v96, v18
	v_and_b32_e32 v20, s30, v14
	v_ffbl_b32_e32 v13, v13
	v_add_u32_e32 v13, 32, v13
	v_ffbl_b32_e32 v20, v20
	v_min_u32_e32 v13, v20, v13
	v_cmp_lt_u32_e32 vcc, v95, v13
	v_add_u32_e32 v98, 2, v95
	v_add_u32_e32 v100, 4, v95
	s_waitcnt lgkmcnt(0)
	v_cndmask_b32_e32 v20, 0, v21, vcc
	v_cmp_gt_u32_e32 vcc, 62, v95
	v_add_u32_e32 v18, v20, v18
	v_add_u32_e32 v102, 8, v95
	v_cndmask_b32_e64 v20, 0, 1, vcc
	v_lshlrev_b32_e32 v20, 1, v20
	v_add_lshl_u32 v97, v20, v90, 2
	ds_bpermute_b32 v20, v97, v18
	v_cmp_le_u32_e32 vcc, v98, v13
	v_add_u32_e32 v122, 16, v95
	v_add_u32_e32 v124, 32, v95
	s_waitcnt lgkmcnt(0)
	v_cndmask_b32_e32 v20, 0, v20, vcc
	v_cmp_gt_u32_e32 vcc, 60, v95
	v_add_u32_e32 v18, v18, v20
	s_nop 0
	v_cndmask_b32_e64 v20, 0, 1, vcc
	v_lshlrev_b32_e32 v20, 2, v20
	v_add_lshl_u32 v99, v20, v90, 2
	ds_bpermute_b32 v20, v99, v18
	v_cmp_le_u32_e32 vcc, v100, v13
	s_waitcnt lgkmcnt(0)
	s_nop 0
	v_cndmask_b32_e32 v20, 0, v20, vcc
	v_cmp_gt_u32_e32 vcc, 56, v95
	v_add_u32_e32 v18, v18, v20
	s_nop 0
	v_cndmask_b32_e64 v20, 0, 1, vcc
	v_lshlrev_b32_e32 v20, 3, v20
	v_add_lshl_u32 v101, v20, v90, 2
	ds_bpermute_b32 v20, v101, v18
	v_cmp_le_u32_e32 vcc, v102, v13
	s_waitcnt lgkmcnt(0)
	s_nop 0
	;; [unrolled: 11-line block ×4, first 2 shown]
	v_cndmask_b32_e32 v13, 0, v20, vcc
	v_add_u32_e32 v18, v18, v13
	v_mov_b32_e32 v13, 0
	s_branch .LBB23_113
.LBB23_112:                             ;   in Loop: Header=BB23_113 Depth=1
	s_or_b64 exec, exec, s[30:31]
	v_cmp_eq_u16_sdwa s[30:31], v19, v11 src0_sel:BYTE_0 src1_sel:DWORD
	ds_bpermute_b32 v125, v96, v18
	v_subrev_u32_e32 v12, 64, v12
	v_and_b32_e32 v20, s31, v15
	v_or_b32_e32 v20, 0x80000000, v20
	v_and_b32_e32 v21, s30, v14
	v_ffbl_b32_e32 v20, v20
	v_add_u32_e32 v20, 32, v20
	v_ffbl_b32_e32 v21, v21
	v_min_u32_e32 v20, v21, v20
	v_cmp_lt_u32_e32 vcc, v95, v20
	s_waitcnt lgkmcnt(0)
	s_nop 0
	v_cndmask_b32_e32 v21, 0, v125, vcc
	v_add_u32_e32 v18, v21, v18
	ds_bpermute_b32 v21, v97, v18
	v_cmp_le_u32_e32 vcc, v98, v20
	s_waitcnt lgkmcnt(0)
	s_nop 0
	v_cndmask_b32_e32 v21, 0, v21, vcc
	v_add_u32_e32 v18, v18, v21
	ds_bpermute_b32 v21, v99, v18
	v_cmp_le_u32_e32 vcc, v100, v20
	;; [unrolled: 6-line block ×5, first 2 shown]
	s_waitcnt lgkmcnt(0)
	s_nop 0
	v_cndmask_b32_e32 v20, 0, v21, vcc
	v_add3_u32 v18, v20, v120, v18
.LBB23_113:                             ; =>This Loop Header: Depth=1
                                        ;     Child Loop BB23_116 Depth 2
                                        ;       Child Loop BB23_117 Depth 3
	v_cmp_ne_u16_sdwa s[30:31], v19, v11 src0_sel:BYTE_0 src1_sel:DWORD
	v_mov_b32_e32 v120, v18
	s_nop 0
	v_cndmask_b32_e64 v19, 0, 1, s[30:31]
	;;#ASMSTART
	;;#ASMEND
	s_nop 0
	v_cmp_ne_u32_e32 vcc, 0, v19
	s_cmp_lg_u64 vcc, exec
	s_cbranch_scc1 .LBB23_120
; %bb.114:                              ;   in Loop: Header=BB23_113 Depth=1
	v_lshl_add_u64 v[20:21], v[12:13], 3, s[28:29]
	global_load_dwordx2 v[18:19], v[20:21], off sc1
	s_waitcnt vmcnt(0)
	v_cmp_eq_u16_sdwa s[34:35], v19, v13 src0_sel:BYTE_0 src1_sel:DWORD
	s_and_saveexec_b64 s[30:31], s[34:35]
	s_cbranch_execz .LBB23_112
; %bb.115:                              ;   in Loop: Header=BB23_113 Depth=1
	s_mov_b32 s36, 1
	s_mov_b64 s[34:35], 0
.LBB23_116:                             ;   Parent Loop BB23_113 Depth=1
                                        ; =>  This Loop Header: Depth=2
                                        ;       Child Loop BB23_117 Depth 3
	s_max_u32 s37, s36, 1
.LBB23_117:                             ;   Parent Loop BB23_113 Depth=1
                                        ;     Parent Loop BB23_116 Depth=2
                                        ; =>    This Inner Loop Header: Depth=3
	s_add_i32 s37, s37, -1
	s_cmp_eq_u32 s37, 0
	s_sleep 1
	s_cbranch_scc0 .LBB23_117
; %bb.118:                              ;   in Loop: Header=BB23_116 Depth=2
	global_load_dwordx2 v[18:19], v[20:21], off sc1
	s_cmp_lt_u32 s36, 32
	s_cselect_b64 s[38:39], -1, 0
	s_cmp_lg_u64 s[38:39], 0
	s_addc_u32 s36, s36, 0
	s_waitcnt vmcnt(0)
	v_cmp_ne_u16_sdwa s[38:39], v19, v13 src0_sel:BYTE_0 src1_sel:DWORD
	s_or_b64 s[34:35], s[38:39], s[34:35]
	s_andn2_b64 exec, exec, s[34:35]
	s_cbranch_execnz .LBB23_116
; %bb.119:                              ;   in Loop: Header=BB23_113 Depth=1
	s_or_b64 exec, exec, s[34:35]
	s_branch .LBB23_112
.LBB23_120:                             ;   in Loop: Header=BB23_113 Depth=1
                                        ; implicit-def: $vgpr18
                                        ; implicit-def: $vgpr19
	s_cbranch_execz .LBB23_113
; %bb.121:
	s_and_saveexec_b64 s[30:31], s[16:17]
	s_cbranch_execz .LBB23_123
; %bb.122:
	s_add_i32 s34, s33, 64
	s_mov_b32 s35, 0
	s_lshl_b64 s[34:35], s[34:35], 3
	s_add_u32 s34, s28, s34
	v_add_u32_e32 v12, v120, v10
	v_mov_b32_e32 v13, 2
	s_addc_u32 s35, s29, s35
	v_mov_b32_e32 v11, 0
	s_movk_i32 s33, 0x4000
	global_store_dwordx2 v11, v[12:13], s[34:35] sc1
	v_add_u32_e64 v11, s33, 0
	ds_write2_b32 v11, v10, v120 offset0:128 offset1:130
.LBB23_123:
	s_or_b64 exec, exec, s[30:31]
	s_and_b64 exec, exec, s[18:19]
	s_cbranch_execz .LBB23_125
; %bb.124:
	v_mov_b32_e32 v10, 0
	ds_write_b32 v10, v120 offset:28
.LBB23_125:
	s_or_b64 exec, exec, s[0:1]
	s_movk_i32 s0, 0x4000
	v_mov_b32_e32 v10, 0
	v_add_u32_e64 v11, s0, 0
	s_waitcnt lgkmcnt(0)
	s_barrier
	ds_read_b32 v10, v10 offset:28
	s_waitcnt lgkmcnt(0)
	s_barrier
	ds_read2_b32 v[18:19], v11 offset0:128 offset1:130
	v_cndmask_b32_e64 v11, v94, v93, s[16:17]
	v_cndmask_b32_e64 v11, v11, 0, s[18:19]
	v_add_u32_e32 v99, v10, v11
	s_waitcnt lgkmcnt(0)
	v_mov_b32_e32 v20, v19
	s_branch .LBB23_136
.LBB23_126:
                                        ; implicit-def: $vgpr20
                                        ; implicit-def: $vgpr18
                                        ; implicit-def: $vgpr99
	s_cbranch_execz .LBB23_136
; %bb.127:
	v_mov_b32_dpp v10, v92 row_shr:1 row_mask:0xf bank_mask:0xf
	v_cndmask_b32_e64 v10, v10, 0, s[14:15]
	v_add_u32_e32 v10, v10, v92
	s_nop 1
	v_mov_b32_dpp v11, v10 row_shr:2 row_mask:0xf bank_mask:0xf
	v_cndmask_b32_e64 v11, 0, v11, s[12:13]
	v_add_u32_e32 v10, v10, v11
	s_nop 1
	;; [unrolled: 4-line block ×4, first 2 shown]
	v_mov_b32_dpp v11, v10 row_bcast:15 row_mask:0xf bank_mask:0xf
	v_cndmask_b32_e64 v11, v11, 0, s[6:7]
	v_add_u32_e32 v10, v10, v11
	s_nop 1
	v_mov_b32_dpp v11, v10 row_bcast:31 row_mask:0xf bank_mask:0xf
	v_cndmask_b32_e64 v11, 0, v11, s[2:3]
	v_add_u32_e32 v10, v10, v11
	s_and_saveexec_b64 s[0:1], s[4:5]
	s_cbranch_execz .LBB23_129
; %bb.128:
	v_lshlrev_b32_e32 v11, 2, v91
	ds_write_b32 v11, v10
.LBB23_129:
	s_or_b64 exec, exec, s[0:1]
	v_cmp_gt_u32_e32 vcc, 8, v0
	s_waitcnt lgkmcnt(0)
	s_barrier
	s_and_saveexec_b64 s[0:1], vcc
	s_cbranch_execz .LBB23_131
; %bb.130:
	v_lshlrev_b32_e32 v11, 2, v0
	ds_read_b32 v12, v11
	v_and_b32_e32 v13, 7, v90
	v_cmp_ne_u32_e32 vcc, 0, v13
	s_waitcnt lgkmcnt(0)
	v_mov_b32_dpp v14, v12 row_shr:1 row_mask:0xf bank_mask:0xf
	v_cndmask_b32_e32 v14, 0, v14, vcc
	v_add_u32_e32 v12, v14, v12
	v_cmp_lt_u32_e32 vcc, 1, v13
	s_nop 0
	v_mov_b32_dpp v14, v12 row_shr:2 row_mask:0xf bank_mask:0xf
	v_cndmask_b32_e32 v14, 0, v14, vcc
	v_add_u32_e32 v12, v12, v14
	v_cmp_lt_u32_e32 vcc, 3, v13
	s_nop 0
	v_mov_b32_dpp v14, v12 row_shr:4 row_mask:0xf bank_mask:0xf
	v_cndmask_b32_e32 v13, 0, v14, vcc
	v_add_u32_e32 v12, v12, v13
	ds_write_b32 v11, v12
.LBB23_131:
	s_or_b64 exec, exec, s[0:1]
	v_cmp_lt_u32_e32 vcc, 63, v0
	v_mov_b32_e32 v12, 0
	v_mov_b32_e32 v11, 0
	s_waitcnt lgkmcnt(0)
	s_barrier
	s_and_saveexec_b64 s[0:1], vcc
	s_cbranch_execz .LBB23_133
; %bb.132:
	v_lshl_add_u32 v11, v91, 2, -4
	ds_read_b32 v11, v11
.LBB23_133:
	s_or_b64 exec, exec, s[0:1]
	v_add_u32_e32 v13, -1, v90
	v_and_b32_e32 v14, 64, v90
	v_cmp_lt_i32_e32 vcc, v13, v14
	s_waitcnt lgkmcnt(0)
	v_add_u32_e32 v10, v11, v10
	ds_read_b32 v18, v12 offset:28
	v_cndmask_b32_e32 v13, v13, v90, vcc
	v_lshlrev_b32_e32 v13, 2, v13
	ds_bpermute_b32 v10, v13, v10
	s_and_saveexec_b64 s[0:1], s[18:19]
	s_cbranch_execz .LBB23_135
; %bb.134:
	v_mov_b32_e32 v12, 0
	v_mov_b32_e32 v19, 2
	s_waitcnt lgkmcnt(1)
	global_store_dwordx2 v12, v[18:19], s[28:29] offset:512 sc1
.LBB23_135:
	s_or_b64 exec, exec, s[0:1]
	v_cmp_eq_u32_e32 vcc, 0, v90
	v_mov_b32_e32 v20, 0
	s_waitcnt lgkmcnt(0)
	v_cndmask_b32_e32 v10, v10, v11, vcc
	v_cndmask_b32_e64 v99, v10, 0, s[18:19]
	s_barrier
.LBB23_136:
	v_add_u32_e32 v102, v99, v77
	v_add_u32_e32 v101, v102, v78
	;; [unrolled: 1-line block ×29, first 2 shown]
	s_movk_i32 s0, 0x201
	v_add_u32_e32 v13, v14, v119
	v_cmp_gt_u32_e32 vcc, s0, v18
	v_add_u32_sdwa v12, v13, v38 dst_sel:DWORD dst_unused:UNUSED_PAD src0_sel:DWORD src1_sel:BYTE_0
	s_mov_b64 s[0:1], -1
	s_cbranch_vccnz .LBB23_140
; %bb.137:
	s_and_b64 vcc, exec, s[0:1]
	s_cbranch_vccnz .LBB23_237
.LBB23_138:
	s_and_b64 s[0:1], s[18:19], s[22:23]
	s_and_saveexec_b64 s[2:3], s[0:1]
	s_cbranch_execnz .LBB23_314
.LBB23_139:
	s_endpgm
.LBB23_140:
	v_add_u32_e32 v103, v20, v18
	v_cmp_lt_u32_e32 vcc, v99, v103
	s_waitcnt vmcnt(0)
	v_lshl_add_u64 v[10:11], s[24:25], 0, v[16:17]
	s_or_b64 s[2:3], s[26:27], vcc
	s_and_saveexec_b64 s[0:1], s[2:3]
	s_cbranch_execz .LBB23_143
; %bb.141:
	v_and_b32_e32 v104, 1, v76
	v_cmp_eq_u32_e32 vcc, 1, v104
	s_and_b64 exec, exec, vcc
	s_cbranch_execz .LBB23_143
; %bb.142:
	v_readfirstlane_b32 s2, v10
	v_readfirstlane_b32 s3, v11
	s_nop 4
	global_store_byte v99, v8, s[2:3]
.LBB23_143:
	s_or_b64 exec, exec, s[0:1]
	v_cmp_lt_u32_e32 vcc, v102, v103
	s_or_b64 s[2:3], s[26:27], vcc
	s_and_saveexec_b64 s[0:1], s[2:3]
	s_cbranch_execz .LBB23_146
; %bb.144:
	v_and_b32_e32 v104, 1, v75
	v_cmp_eq_u32_e32 vcc, 1, v104
	s_and_b64 exec, exec, vcc
	s_cbranch_execz .LBB23_146
; %bb.145:
	v_readfirstlane_b32 s2, v10
	v_readfirstlane_b32 s3, v11
	s_nop 4
	global_store_byte v102, v51, s[2:3]
.LBB23_146:
	s_or_b64 exec, exec, s[0:1]
	v_cmp_lt_u32_e32 vcc, v101, v103
	;; [unrolled: 16-line block ×31, first 2 shown]
	s_or_b64 s[2:3], s[26:27], vcc
	s_and_saveexec_b64 s[0:1], s[2:3]
	s_cbranch_execz .LBB23_236
; %bb.234:
	v_and_b32_e32 v103, 1, v36
	v_cmp_eq_u32_e32 vcc, 1, v103
	s_and_b64 exec, exec, vcc
	s_cbranch_execz .LBB23_236
; %bb.235:
	v_readfirstlane_b32 s2, v10
	v_readfirstlane_b32 s3, v11
	s_nop 4
	global_store_byte v12, v1, s[2:3]
.LBB23_236:
	s_or_b64 exec, exec, s[0:1]
	s_branch .LBB23_138
.LBB23_237:
	v_and_b32_e32 v10, 1, v76
	v_cmp_eq_u32_e32 vcc, 1, v10
	s_and_saveexec_b64 s[0:1], vcc
	s_cbranch_execz .LBB23_239
; %bb.238:
	v_sub_u32_e32 v10, v99, v20
	ds_write_b8 v10, v8
.LBB23_239:
	s_or_b64 exec, exec, s[0:1]
	v_and_b32_e32 v8, 1, v75
	v_cmp_eq_u32_e32 vcc, 1, v8
	s_and_saveexec_b64 s[0:1], vcc
	s_cbranch_execz .LBB23_241
; %bb.240:
	v_sub_u32_e32 v8, v102, v20
	ds_write_b8 v8, v51
.LBB23_241:
	s_or_b64 exec, exec, s[0:1]
	;; [unrolled: 9-line block ×32, first 2 shown]
	v_cmp_lt_u32_e32 vcc, v0, v18
	s_waitcnt lgkmcnt(0)
	s_barrier
	s_and_saveexec_b64 s[0:1], vcc
	s_cbranch_execz .LBB23_313
; %bb.302:
	v_mov_b32_e32 v21, 0
	s_waitcnt vmcnt(0)
	v_lshl_add_u64 v[2:3], s[24:25], 0, v[16:17]
	v_xad_u32 v1, v0, -1, v18
	s_movk_i32 s2, 0xdff
	v_lshl_add_u64 v[22:23], v[2:3], 0, v[20:21]
	v_cmp_lt_u32_e32 vcc, s2, v1
	s_mov_b64 s[4:5], -1
	s_and_saveexec_b64 s[2:3], vcc
	s_cbranch_execz .LBB23_310
; %bb.303:
	v_lshrrev_b32_e32 v19, 9, v1
	v_or_b32_e32 v7, 0xe00, v0
	v_or_b32_e32 v6, 0xc00, v0
	;; [unrolled: 1-line block ×7, first 2 shown]
	v_add_u32_e32 v26, -7, v19
	v_mov_b64_e32 v[14:15], v[6:7]
	v_cmp_lt_u32_e32 vcc, 7, v26
	v_mov_b64_e32 v[12:13], v[4:5]
	v_mov_b64_e32 v[10:11], v[2:3]
	;; [unrolled: 1-line block ×3, first 2 shown]
	s_and_saveexec_b64 s[4:5], vcc
	s_cbranch_execz .LBB23_307
; %bb.304:
	v_lshrrev_b32_e32 v8, 3, v26
	v_add_u32_e32 v8, 1, v8
	v_and_b32_e32 v21, 0x3ffffffe, v8
	v_mov_b64_e32 v[14:15], v[6:7]
	s_mov_b32 s8, 0
	s_mov_b64 s[6:7], 0
	v_mov_b32_e32 v25, 0
	v_mov_b32_e32 v27, v0
	v_mov_b64_e32 v[12:13], v[4:5]
	v_mov_b64_e32 v[10:11], v[2:3]
	;; [unrolled: 1-line block ×3, first 2 shown]
.LBB23_305:                             ; =>This Inner Loop Header: Depth=1
	v_mov_b32_e32 v24, v8
	v_lshl_add_u64 v[36:37], v[22:23], 0, v[24:25]
	v_mov_b32_e32 v24, v9
	v_lshl_add_u64 v[38:39], v[22:23], 0, v[24:25]
	;; [unrolled: 2-line block ×3, first 2 shown]
	v_mov_b32_e32 v24, v11
	ds_read_u8 v46, v27
	ds_read_u8 v47, v27 offset:512
	ds_read_u8 v48, v27 offset:1024
	;; [unrolled: 1-line block ×7, first 2 shown]
	v_lshl_add_u64 v[42:43], v[22:23], 0, v[24:25]
	v_mov_b32_e32 v24, v12
	ds_read_u8 v54, v27 offset:4096
	ds_read_u8 v55, v27 offset:4608
	ds_read_u8 v56, v27 offset:5120
	ds_read_u8 v57, v27 offset:5632
	ds_read_u8 v58, v27 offset:6144
	ds_read_u8 v59, v27 offset:6656
	ds_read_u8 v60, v27 offset:7168
	ds_read_u8 v61, v27 offset:7680
	v_lshl_add_u64 v[44:45], v[22:23], 0, v[24:25]
	v_mov_b32_e32 v24, v13
	s_waitcnt lgkmcnt(14)
	global_store_byte v[36:37], v46, off
	global_store_byte v[38:39], v47, off
	s_waitcnt lgkmcnt(13)
	global_store_byte v[40:41], v48, off
	s_waitcnt lgkmcnt(12)
	global_store_byte v[42:43], v49, off
	v_lshl_add_u64 v[36:37], v[22:23], 0, v[24:25]
	v_mov_b32_e32 v24, v14
	v_add_u32_e32 v21, -2, v21
	v_lshl_add_u64 v[38:39], v[22:23], 0, v[24:25]
	v_mov_b32_e32 v24, v15
	s_add_i32 s8, s8, 16
	v_cmp_eq_u32_e32 vcc, 0, v21
	s_waitcnt lgkmcnt(11)
	global_store_byte v[44:45], v50, off
	s_waitcnt lgkmcnt(10)
	global_store_byte v[36:37], v51, off
	v_lshl_add_u64 v[36:37], v[22:23], 0, v[24:25]
	v_add_u32_e32 v24, 0x1000, v8
	v_add_u32_e32 v2, 0x1000, v15
	;; [unrolled: 1-line block ×8, first 2 shown]
	v_mov_b32_e32 v35, v25
	v_mov_b32_e32 v33, v25
	;; [unrolled: 1-line block ×7, first 2 shown]
	v_add_u32_e32 v27, 0x2000, v27
	v_add_u32_e32 v9, 0x2000, v9
	v_mov_b32_e32 v1, s8
	v_add_u32_e32 v10, 0x2000, v10
	s_or_b64 s[6:7], vcc, s[6:7]
	v_add_u32_e32 v11, 0x2000, v11
	v_add_u32_e32 v12, 0x2000, v12
	;; [unrolled: 1-line block ×5, first 2 shown]
	s_waitcnt lgkmcnt(9)
	global_store_byte v[38:39], v52, off
	v_add_u32_e32 v8, 0x2000, v8
	s_waitcnt lgkmcnt(8)
	global_store_byte v[36:37], v53, off
	v_lshl_add_u64 v[36:37], v[22:23], 0, v[24:25]
	v_lshl_add_u64 v[34:35], v[22:23], 0, v[34:35]
	;; [unrolled: 1-line block ×8, first 2 shown]
	s_waitcnt lgkmcnt(7)
	global_store_byte v[36:37], v54, off
	s_waitcnt lgkmcnt(6)
	global_store_byte v[34:35], v55, off
	;; [unrolled: 2-line block ×8, first 2 shown]
	s_andn2_b64 exec, exec, s[6:7]
	s_cbranch_execnz .LBB23_305
; %bb.306:
	s_or_b64 exec, exec, s[6:7]
	v_lshlrev_b32_e32 v21, 9, v1
.LBB23_307:
	s_or_b64 exec, exec, s[4:5]
	v_and_b32_e32 v1, 8, v26
	v_cmp_eq_u32_e32 vcc, 0, v1
	s_and_saveexec_b64 s[4:5], vcc
	s_cbranch_execz .LBB23_309
; %bb.308:
	v_mov_b32_e32 v3, 0
	v_mov_b32_e32 v2, v8
	v_lshl_add_u64 v[4:5], v[22:23], 0, v[2:3]
	v_mov_b32_e32 v2, v9
	v_or_b32_e32 v1, v0, v21
	v_lshl_add_u64 v[6:7], v[22:23], 0, v[2:3]
	v_mov_b32_e32 v2, v10
	ds_read_u8 v21, v1
	ds_read_u8 v28, v1 offset:512
	ds_read_u8 v29, v1 offset:1024
	;; [unrolled: 1-line block ×7, first 2 shown]
	v_lshl_add_u64 v[8:9], v[22:23], 0, v[2:3]
	v_mov_b32_e32 v2, v11
	v_lshl_add_u64 v[10:11], v[22:23], 0, v[2:3]
	v_mov_b32_e32 v2, v12
	v_lshl_add_u64 v[24:25], v[22:23], 0, v[2:3]
	v_mov_b32_e32 v2, v13
	v_lshl_add_u64 v[12:13], v[22:23], 0, v[2:3]
	v_mov_b32_e32 v2, v14
	v_lshl_add_u64 v[26:27], v[22:23], 0, v[2:3]
	v_mov_b32_e32 v2, v15
	v_lshl_add_u64 v[2:3], v[22:23], 0, v[2:3]
	s_waitcnt lgkmcnt(7)
	global_store_byte v[4:5], v21, off
	s_waitcnt lgkmcnt(6)
	global_store_byte v[6:7], v28, off
	;; [unrolled: 2-line block ×8, first 2 shown]
.LBB23_309:
	s_or_b64 exec, exec, s[4:5]
	v_add_u32_e32 v1, 1, v19
	v_and_b32_e32 v2, 0xfffff8, v1
	v_cmp_ne_u32_e32 vcc, v1, v2
	v_lshl_or_b32 v0, v2, 9, v0
	s_orn2_b64 s[4:5], vcc, exec
.LBB23_310:
	s_or_b64 exec, exec, s[2:3]
	s_and_b64 exec, exec, s[4:5]
	s_cbranch_execz .LBB23_313
; %bb.311:
	s_mov_b64 s[2:3], 0
.LBB23_312:                             ; =>This Inner Loop Header: Depth=1
	ds_read_u8 v1, v0
	v_readfirstlane_b32 s4, v22
	v_readfirstlane_b32 s5, v23
	s_waitcnt lgkmcnt(0)
	s_nop 3
	global_store_byte v0, v1, s[4:5]
	v_add_u32_e32 v0, 0x200, v0
	v_cmp_ge_u32_e32 vcc, v0, v18
	s_or_b64 s[2:3], vcc, s[2:3]
	s_andn2_b64 exec, exec, s[2:3]
	s_cbranch_execnz .LBB23_312
.LBB23_313:
	s_or_b64 exec, exec, s[0:1]
	s_and_b64 s[0:1], s[18:19], s[22:23]
	s_and_saveexec_b64 s[2:3], s[0:1]
	s_cbranch_execz .LBB23_139
.LBB23_314:
	v_mov_b32_e32 v19, 0
	s_waitcnt vmcnt(0)
	v_lshl_add_u64 v[0:1], v[16:17], 0, v[18:19]
	v_mov_b32_e32 v21, v19
	v_lshl_add_u64 v[0:1], v[0:1], 0, v[20:21]
	global_store_dwordx2 v19, v[0:1], s[20:21]
	s_endpgm
.LBB23_315:
	s_or_b64 exec, exec, s[8:9]
	v_mov_b32_e32 v76, s10
	s_and_saveexec_b64 s[2:3], s[0:1]
	s_cbranch_execnz .LBB23_92
	s_branch .LBB23_93
	.section	.rodata,"a",@progbits
	.p2align	6, 0x0
	.amdhsa_kernel _ZN7rocprim17ROCPRIM_400000_NS6detail17trampoline_kernelINS0_14default_configENS1_25partition_config_selectorILNS1_17partition_subalgoE8EbNS0_10empty_typeEbEEZZNS1_14partition_implILS5_8ELb0ES3_jN6hipcub16HIPCUB_304000_NS22TransformInputIteratorIbN2at6native8internal12_GLOBAL__N_110LoadBoolOpEPKhlEEPS6_PKS6_NS0_5tupleIJPbS6_EEENSN_IJSK_SK_EEENS0_18inequality_wrapperINSA_8EqualityEEEPlJS6_EEE10hipError_tPvRmT3_T4_T5_T6_T7_T9_mT8_P12ihipStream_tbDpT10_ENKUlT_T0_E_clISt17integral_constantIbLb1EES1E_EEDaS19_S1A_EUlS19_E_NS1_11comp_targetILNS1_3genE5ELNS1_11target_archE942ELNS1_3gpuE9ELNS1_3repE0EEENS1_30default_config_static_selectorELNS0_4arch9wavefront6targetE1EEEvT1_
		.amdhsa_group_segment_fixed_size 16908
		.amdhsa_private_segment_fixed_size 0
		.amdhsa_kernarg_size 136
		.amdhsa_user_sgpr_count 2
		.amdhsa_user_sgpr_dispatch_ptr 0
		.amdhsa_user_sgpr_queue_ptr 0
		.amdhsa_user_sgpr_kernarg_segment_ptr 1
		.amdhsa_user_sgpr_dispatch_id 0
		.amdhsa_user_sgpr_kernarg_preload_length 0
		.amdhsa_user_sgpr_kernarg_preload_offset 0
		.amdhsa_user_sgpr_private_segment_size 0
		.amdhsa_uses_dynamic_stack 0
		.amdhsa_enable_private_segment 0
		.amdhsa_system_sgpr_workgroup_id_x 1
		.amdhsa_system_sgpr_workgroup_id_y 0
		.amdhsa_system_sgpr_workgroup_id_z 0
		.amdhsa_system_sgpr_workgroup_info 0
		.amdhsa_system_vgpr_workitem_id 0
		.amdhsa_next_free_vgpr 126
		.amdhsa_next_free_sgpr 85
		.amdhsa_accum_offset 128
		.amdhsa_reserve_vcc 1
		.amdhsa_float_round_mode_32 0
		.amdhsa_float_round_mode_16_64 0
		.amdhsa_float_denorm_mode_32 3
		.amdhsa_float_denorm_mode_16_64 3
		.amdhsa_dx10_clamp 1
		.amdhsa_ieee_mode 1
		.amdhsa_fp16_overflow 0
		.amdhsa_tg_split 0
		.amdhsa_exception_fp_ieee_invalid_op 0
		.amdhsa_exception_fp_denorm_src 0
		.amdhsa_exception_fp_ieee_div_zero 0
		.amdhsa_exception_fp_ieee_overflow 0
		.amdhsa_exception_fp_ieee_underflow 0
		.amdhsa_exception_fp_ieee_inexact 0
		.amdhsa_exception_int_div_zero 0
	.end_amdhsa_kernel
	.section	.text._ZN7rocprim17ROCPRIM_400000_NS6detail17trampoline_kernelINS0_14default_configENS1_25partition_config_selectorILNS1_17partition_subalgoE8EbNS0_10empty_typeEbEEZZNS1_14partition_implILS5_8ELb0ES3_jN6hipcub16HIPCUB_304000_NS22TransformInputIteratorIbN2at6native8internal12_GLOBAL__N_110LoadBoolOpEPKhlEEPS6_PKS6_NS0_5tupleIJPbS6_EEENSN_IJSK_SK_EEENS0_18inequality_wrapperINSA_8EqualityEEEPlJS6_EEE10hipError_tPvRmT3_T4_T5_T6_T7_T9_mT8_P12ihipStream_tbDpT10_ENKUlT_T0_E_clISt17integral_constantIbLb1EES1E_EEDaS19_S1A_EUlS19_E_NS1_11comp_targetILNS1_3genE5ELNS1_11target_archE942ELNS1_3gpuE9ELNS1_3repE0EEENS1_30default_config_static_selectorELNS0_4arch9wavefront6targetE1EEEvT1_,"axG",@progbits,_ZN7rocprim17ROCPRIM_400000_NS6detail17trampoline_kernelINS0_14default_configENS1_25partition_config_selectorILNS1_17partition_subalgoE8EbNS0_10empty_typeEbEEZZNS1_14partition_implILS5_8ELb0ES3_jN6hipcub16HIPCUB_304000_NS22TransformInputIteratorIbN2at6native8internal12_GLOBAL__N_110LoadBoolOpEPKhlEEPS6_PKS6_NS0_5tupleIJPbS6_EEENSN_IJSK_SK_EEENS0_18inequality_wrapperINSA_8EqualityEEEPlJS6_EEE10hipError_tPvRmT3_T4_T5_T6_T7_T9_mT8_P12ihipStream_tbDpT10_ENKUlT_T0_E_clISt17integral_constantIbLb1EES1E_EEDaS19_S1A_EUlS19_E_NS1_11comp_targetILNS1_3genE5ELNS1_11target_archE942ELNS1_3gpuE9ELNS1_3repE0EEENS1_30default_config_static_selectorELNS0_4arch9wavefront6targetE1EEEvT1_,comdat
.Lfunc_end23:
	.size	_ZN7rocprim17ROCPRIM_400000_NS6detail17trampoline_kernelINS0_14default_configENS1_25partition_config_selectorILNS1_17partition_subalgoE8EbNS0_10empty_typeEbEEZZNS1_14partition_implILS5_8ELb0ES3_jN6hipcub16HIPCUB_304000_NS22TransformInputIteratorIbN2at6native8internal12_GLOBAL__N_110LoadBoolOpEPKhlEEPS6_PKS6_NS0_5tupleIJPbS6_EEENSN_IJSK_SK_EEENS0_18inequality_wrapperINSA_8EqualityEEEPlJS6_EEE10hipError_tPvRmT3_T4_T5_T6_T7_T9_mT8_P12ihipStream_tbDpT10_ENKUlT_T0_E_clISt17integral_constantIbLb1EES1E_EEDaS19_S1A_EUlS19_E_NS1_11comp_targetILNS1_3genE5ELNS1_11target_archE942ELNS1_3gpuE9ELNS1_3repE0EEENS1_30default_config_static_selectorELNS0_4arch9wavefront6targetE1EEEvT1_, .Lfunc_end23-_ZN7rocprim17ROCPRIM_400000_NS6detail17trampoline_kernelINS0_14default_configENS1_25partition_config_selectorILNS1_17partition_subalgoE8EbNS0_10empty_typeEbEEZZNS1_14partition_implILS5_8ELb0ES3_jN6hipcub16HIPCUB_304000_NS22TransformInputIteratorIbN2at6native8internal12_GLOBAL__N_110LoadBoolOpEPKhlEEPS6_PKS6_NS0_5tupleIJPbS6_EEENSN_IJSK_SK_EEENS0_18inequality_wrapperINSA_8EqualityEEEPlJS6_EEE10hipError_tPvRmT3_T4_T5_T6_T7_T9_mT8_P12ihipStream_tbDpT10_ENKUlT_T0_E_clISt17integral_constantIbLb1EES1E_EEDaS19_S1A_EUlS19_E_NS1_11comp_targetILNS1_3genE5ELNS1_11target_archE942ELNS1_3gpuE9ELNS1_3repE0EEENS1_30default_config_static_selectorELNS0_4arch9wavefront6targetE1EEEvT1_
                                        ; -- End function
	.section	.AMDGPU.csdata,"",@progbits
; Kernel info:
; codeLenInByte = 15836
; NumSgprs: 91
; NumVgprs: 126
; NumAgprs: 0
; TotalNumVgprs: 126
; ScratchSize: 0
; MemoryBound: 0
; FloatMode: 240
; IeeeMode: 1
; LDSByteSize: 16908 bytes/workgroup (compile time only)
; SGPRBlocks: 11
; VGPRBlocks: 15
; NumSGPRsForWavesPerEU: 91
; NumVGPRsForWavesPerEU: 126
; AccumOffset: 128
; Occupancy: 4
; WaveLimiterHint : 1
; COMPUTE_PGM_RSRC2:SCRATCH_EN: 0
; COMPUTE_PGM_RSRC2:USER_SGPR: 2
; COMPUTE_PGM_RSRC2:TRAP_HANDLER: 0
; COMPUTE_PGM_RSRC2:TGID_X_EN: 1
; COMPUTE_PGM_RSRC2:TGID_Y_EN: 0
; COMPUTE_PGM_RSRC2:TGID_Z_EN: 0
; COMPUTE_PGM_RSRC2:TIDIG_COMP_CNT: 0
; COMPUTE_PGM_RSRC3_GFX90A:ACCUM_OFFSET: 31
; COMPUTE_PGM_RSRC3_GFX90A:TG_SPLIT: 0
	.section	.text._ZN7rocprim17ROCPRIM_400000_NS6detail17trampoline_kernelINS0_14default_configENS1_25partition_config_selectorILNS1_17partition_subalgoE8EbNS0_10empty_typeEbEEZZNS1_14partition_implILS5_8ELb0ES3_jN6hipcub16HIPCUB_304000_NS22TransformInputIteratorIbN2at6native8internal12_GLOBAL__N_110LoadBoolOpEPKhlEEPS6_PKS6_NS0_5tupleIJPbS6_EEENSN_IJSK_SK_EEENS0_18inequality_wrapperINSA_8EqualityEEEPlJS6_EEE10hipError_tPvRmT3_T4_T5_T6_T7_T9_mT8_P12ihipStream_tbDpT10_ENKUlT_T0_E_clISt17integral_constantIbLb1EES1E_EEDaS19_S1A_EUlS19_E_NS1_11comp_targetILNS1_3genE4ELNS1_11target_archE910ELNS1_3gpuE8ELNS1_3repE0EEENS1_30default_config_static_selectorELNS0_4arch9wavefront6targetE1EEEvT1_,"axG",@progbits,_ZN7rocprim17ROCPRIM_400000_NS6detail17trampoline_kernelINS0_14default_configENS1_25partition_config_selectorILNS1_17partition_subalgoE8EbNS0_10empty_typeEbEEZZNS1_14partition_implILS5_8ELb0ES3_jN6hipcub16HIPCUB_304000_NS22TransformInputIteratorIbN2at6native8internal12_GLOBAL__N_110LoadBoolOpEPKhlEEPS6_PKS6_NS0_5tupleIJPbS6_EEENSN_IJSK_SK_EEENS0_18inequality_wrapperINSA_8EqualityEEEPlJS6_EEE10hipError_tPvRmT3_T4_T5_T6_T7_T9_mT8_P12ihipStream_tbDpT10_ENKUlT_T0_E_clISt17integral_constantIbLb1EES1E_EEDaS19_S1A_EUlS19_E_NS1_11comp_targetILNS1_3genE4ELNS1_11target_archE910ELNS1_3gpuE8ELNS1_3repE0EEENS1_30default_config_static_selectorELNS0_4arch9wavefront6targetE1EEEvT1_,comdat
	.globl	_ZN7rocprim17ROCPRIM_400000_NS6detail17trampoline_kernelINS0_14default_configENS1_25partition_config_selectorILNS1_17partition_subalgoE8EbNS0_10empty_typeEbEEZZNS1_14partition_implILS5_8ELb0ES3_jN6hipcub16HIPCUB_304000_NS22TransformInputIteratorIbN2at6native8internal12_GLOBAL__N_110LoadBoolOpEPKhlEEPS6_PKS6_NS0_5tupleIJPbS6_EEENSN_IJSK_SK_EEENS0_18inequality_wrapperINSA_8EqualityEEEPlJS6_EEE10hipError_tPvRmT3_T4_T5_T6_T7_T9_mT8_P12ihipStream_tbDpT10_ENKUlT_T0_E_clISt17integral_constantIbLb1EES1E_EEDaS19_S1A_EUlS19_E_NS1_11comp_targetILNS1_3genE4ELNS1_11target_archE910ELNS1_3gpuE8ELNS1_3repE0EEENS1_30default_config_static_selectorELNS0_4arch9wavefront6targetE1EEEvT1_ ; -- Begin function _ZN7rocprim17ROCPRIM_400000_NS6detail17trampoline_kernelINS0_14default_configENS1_25partition_config_selectorILNS1_17partition_subalgoE8EbNS0_10empty_typeEbEEZZNS1_14partition_implILS5_8ELb0ES3_jN6hipcub16HIPCUB_304000_NS22TransformInputIteratorIbN2at6native8internal12_GLOBAL__N_110LoadBoolOpEPKhlEEPS6_PKS6_NS0_5tupleIJPbS6_EEENSN_IJSK_SK_EEENS0_18inequality_wrapperINSA_8EqualityEEEPlJS6_EEE10hipError_tPvRmT3_T4_T5_T6_T7_T9_mT8_P12ihipStream_tbDpT10_ENKUlT_T0_E_clISt17integral_constantIbLb1EES1E_EEDaS19_S1A_EUlS19_E_NS1_11comp_targetILNS1_3genE4ELNS1_11target_archE910ELNS1_3gpuE8ELNS1_3repE0EEENS1_30default_config_static_selectorELNS0_4arch9wavefront6targetE1EEEvT1_
	.p2align	8
	.type	_ZN7rocprim17ROCPRIM_400000_NS6detail17trampoline_kernelINS0_14default_configENS1_25partition_config_selectorILNS1_17partition_subalgoE8EbNS0_10empty_typeEbEEZZNS1_14partition_implILS5_8ELb0ES3_jN6hipcub16HIPCUB_304000_NS22TransformInputIteratorIbN2at6native8internal12_GLOBAL__N_110LoadBoolOpEPKhlEEPS6_PKS6_NS0_5tupleIJPbS6_EEENSN_IJSK_SK_EEENS0_18inequality_wrapperINSA_8EqualityEEEPlJS6_EEE10hipError_tPvRmT3_T4_T5_T6_T7_T9_mT8_P12ihipStream_tbDpT10_ENKUlT_T0_E_clISt17integral_constantIbLb1EES1E_EEDaS19_S1A_EUlS19_E_NS1_11comp_targetILNS1_3genE4ELNS1_11target_archE910ELNS1_3gpuE8ELNS1_3repE0EEENS1_30default_config_static_selectorELNS0_4arch9wavefront6targetE1EEEvT1_,@function
_ZN7rocprim17ROCPRIM_400000_NS6detail17trampoline_kernelINS0_14default_configENS1_25partition_config_selectorILNS1_17partition_subalgoE8EbNS0_10empty_typeEbEEZZNS1_14partition_implILS5_8ELb0ES3_jN6hipcub16HIPCUB_304000_NS22TransformInputIteratorIbN2at6native8internal12_GLOBAL__N_110LoadBoolOpEPKhlEEPS6_PKS6_NS0_5tupleIJPbS6_EEENSN_IJSK_SK_EEENS0_18inequality_wrapperINSA_8EqualityEEEPlJS6_EEE10hipError_tPvRmT3_T4_T5_T6_T7_T9_mT8_P12ihipStream_tbDpT10_ENKUlT_T0_E_clISt17integral_constantIbLb1EES1E_EEDaS19_S1A_EUlS19_E_NS1_11comp_targetILNS1_3genE4ELNS1_11target_archE910ELNS1_3gpuE8ELNS1_3repE0EEENS1_30default_config_static_selectorELNS0_4arch9wavefront6targetE1EEEvT1_: ; @_ZN7rocprim17ROCPRIM_400000_NS6detail17trampoline_kernelINS0_14default_configENS1_25partition_config_selectorILNS1_17partition_subalgoE8EbNS0_10empty_typeEbEEZZNS1_14partition_implILS5_8ELb0ES3_jN6hipcub16HIPCUB_304000_NS22TransformInputIteratorIbN2at6native8internal12_GLOBAL__N_110LoadBoolOpEPKhlEEPS6_PKS6_NS0_5tupleIJPbS6_EEENSN_IJSK_SK_EEENS0_18inequality_wrapperINSA_8EqualityEEEPlJS6_EEE10hipError_tPvRmT3_T4_T5_T6_T7_T9_mT8_P12ihipStream_tbDpT10_ENKUlT_T0_E_clISt17integral_constantIbLb1EES1E_EEDaS19_S1A_EUlS19_E_NS1_11comp_targetILNS1_3genE4ELNS1_11target_archE910ELNS1_3gpuE8ELNS1_3repE0EEENS1_30default_config_static_selectorELNS0_4arch9wavefront6targetE1EEEvT1_
; %bb.0:
	.section	.rodata,"a",@progbits
	.p2align	6, 0x0
	.amdhsa_kernel _ZN7rocprim17ROCPRIM_400000_NS6detail17trampoline_kernelINS0_14default_configENS1_25partition_config_selectorILNS1_17partition_subalgoE8EbNS0_10empty_typeEbEEZZNS1_14partition_implILS5_8ELb0ES3_jN6hipcub16HIPCUB_304000_NS22TransformInputIteratorIbN2at6native8internal12_GLOBAL__N_110LoadBoolOpEPKhlEEPS6_PKS6_NS0_5tupleIJPbS6_EEENSN_IJSK_SK_EEENS0_18inequality_wrapperINSA_8EqualityEEEPlJS6_EEE10hipError_tPvRmT3_T4_T5_T6_T7_T9_mT8_P12ihipStream_tbDpT10_ENKUlT_T0_E_clISt17integral_constantIbLb1EES1E_EEDaS19_S1A_EUlS19_E_NS1_11comp_targetILNS1_3genE4ELNS1_11target_archE910ELNS1_3gpuE8ELNS1_3repE0EEENS1_30default_config_static_selectorELNS0_4arch9wavefront6targetE1EEEvT1_
		.amdhsa_group_segment_fixed_size 0
		.amdhsa_private_segment_fixed_size 0
		.amdhsa_kernarg_size 136
		.amdhsa_user_sgpr_count 2
		.amdhsa_user_sgpr_dispatch_ptr 0
		.amdhsa_user_sgpr_queue_ptr 0
		.amdhsa_user_sgpr_kernarg_segment_ptr 1
		.amdhsa_user_sgpr_dispatch_id 0
		.amdhsa_user_sgpr_kernarg_preload_length 0
		.amdhsa_user_sgpr_kernarg_preload_offset 0
		.amdhsa_user_sgpr_private_segment_size 0
		.amdhsa_uses_dynamic_stack 0
		.amdhsa_enable_private_segment 0
		.amdhsa_system_sgpr_workgroup_id_x 1
		.amdhsa_system_sgpr_workgroup_id_y 0
		.amdhsa_system_sgpr_workgroup_id_z 0
		.amdhsa_system_sgpr_workgroup_info 0
		.amdhsa_system_vgpr_workitem_id 0
		.amdhsa_next_free_vgpr 1
		.amdhsa_next_free_sgpr 0
		.amdhsa_accum_offset 4
		.amdhsa_reserve_vcc 0
		.amdhsa_float_round_mode_32 0
		.amdhsa_float_round_mode_16_64 0
		.amdhsa_float_denorm_mode_32 3
		.amdhsa_float_denorm_mode_16_64 3
		.amdhsa_dx10_clamp 1
		.amdhsa_ieee_mode 1
		.amdhsa_fp16_overflow 0
		.amdhsa_tg_split 0
		.amdhsa_exception_fp_ieee_invalid_op 0
		.amdhsa_exception_fp_denorm_src 0
		.amdhsa_exception_fp_ieee_div_zero 0
		.amdhsa_exception_fp_ieee_overflow 0
		.amdhsa_exception_fp_ieee_underflow 0
		.amdhsa_exception_fp_ieee_inexact 0
		.amdhsa_exception_int_div_zero 0
	.end_amdhsa_kernel
	.section	.text._ZN7rocprim17ROCPRIM_400000_NS6detail17trampoline_kernelINS0_14default_configENS1_25partition_config_selectorILNS1_17partition_subalgoE8EbNS0_10empty_typeEbEEZZNS1_14partition_implILS5_8ELb0ES3_jN6hipcub16HIPCUB_304000_NS22TransformInputIteratorIbN2at6native8internal12_GLOBAL__N_110LoadBoolOpEPKhlEEPS6_PKS6_NS0_5tupleIJPbS6_EEENSN_IJSK_SK_EEENS0_18inequality_wrapperINSA_8EqualityEEEPlJS6_EEE10hipError_tPvRmT3_T4_T5_T6_T7_T9_mT8_P12ihipStream_tbDpT10_ENKUlT_T0_E_clISt17integral_constantIbLb1EES1E_EEDaS19_S1A_EUlS19_E_NS1_11comp_targetILNS1_3genE4ELNS1_11target_archE910ELNS1_3gpuE8ELNS1_3repE0EEENS1_30default_config_static_selectorELNS0_4arch9wavefront6targetE1EEEvT1_,"axG",@progbits,_ZN7rocprim17ROCPRIM_400000_NS6detail17trampoline_kernelINS0_14default_configENS1_25partition_config_selectorILNS1_17partition_subalgoE8EbNS0_10empty_typeEbEEZZNS1_14partition_implILS5_8ELb0ES3_jN6hipcub16HIPCUB_304000_NS22TransformInputIteratorIbN2at6native8internal12_GLOBAL__N_110LoadBoolOpEPKhlEEPS6_PKS6_NS0_5tupleIJPbS6_EEENSN_IJSK_SK_EEENS0_18inequality_wrapperINSA_8EqualityEEEPlJS6_EEE10hipError_tPvRmT3_T4_T5_T6_T7_T9_mT8_P12ihipStream_tbDpT10_ENKUlT_T0_E_clISt17integral_constantIbLb1EES1E_EEDaS19_S1A_EUlS19_E_NS1_11comp_targetILNS1_3genE4ELNS1_11target_archE910ELNS1_3gpuE8ELNS1_3repE0EEENS1_30default_config_static_selectorELNS0_4arch9wavefront6targetE1EEEvT1_,comdat
.Lfunc_end24:
	.size	_ZN7rocprim17ROCPRIM_400000_NS6detail17trampoline_kernelINS0_14default_configENS1_25partition_config_selectorILNS1_17partition_subalgoE8EbNS0_10empty_typeEbEEZZNS1_14partition_implILS5_8ELb0ES3_jN6hipcub16HIPCUB_304000_NS22TransformInputIteratorIbN2at6native8internal12_GLOBAL__N_110LoadBoolOpEPKhlEEPS6_PKS6_NS0_5tupleIJPbS6_EEENSN_IJSK_SK_EEENS0_18inequality_wrapperINSA_8EqualityEEEPlJS6_EEE10hipError_tPvRmT3_T4_T5_T6_T7_T9_mT8_P12ihipStream_tbDpT10_ENKUlT_T0_E_clISt17integral_constantIbLb1EES1E_EEDaS19_S1A_EUlS19_E_NS1_11comp_targetILNS1_3genE4ELNS1_11target_archE910ELNS1_3gpuE8ELNS1_3repE0EEENS1_30default_config_static_selectorELNS0_4arch9wavefront6targetE1EEEvT1_, .Lfunc_end24-_ZN7rocprim17ROCPRIM_400000_NS6detail17trampoline_kernelINS0_14default_configENS1_25partition_config_selectorILNS1_17partition_subalgoE8EbNS0_10empty_typeEbEEZZNS1_14partition_implILS5_8ELb0ES3_jN6hipcub16HIPCUB_304000_NS22TransformInputIteratorIbN2at6native8internal12_GLOBAL__N_110LoadBoolOpEPKhlEEPS6_PKS6_NS0_5tupleIJPbS6_EEENSN_IJSK_SK_EEENS0_18inequality_wrapperINSA_8EqualityEEEPlJS6_EEE10hipError_tPvRmT3_T4_T5_T6_T7_T9_mT8_P12ihipStream_tbDpT10_ENKUlT_T0_E_clISt17integral_constantIbLb1EES1E_EEDaS19_S1A_EUlS19_E_NS1_11comp_targetILNS1_3genE4ELNS1_11target_archE910ELNS1_3gpuE8ELNS1_3repE0EEENS1_30default_config_static_selectorELNS0_4arch9wavefront6targetE1EEEvT1_
                                        ; -- End function
	.section	.AMDGPU.csdata,"",@progbits
; Kernel info:
; codeLenInByte = 0
; NumSgprs: 6
; NumVgprs: 0
; NumAgprs: 0
; TotalNumVgprs: 0
; ScratchSize: 0
; MemoryBound: 0
; FloatMode: 240
; IeeeMode: 1
; LDSByteSize: 0 bytes/workgroup (compile time only)
; SGPRBlocks: 0
; VGPRBlocks: 0
; NumSGPRsForWavesPerEU: 6
; NumVGPRsForWavesPerEU: 1
; AccumOffset: 4
; Occupancy: 8
; WaveLimiterHint : 0
; COMPUTE_PGM_RSRC2:SCRATCH_EN: 0
; COMPUTE_PGM_RSRC2:USER_SGPR: 2
; COMPUTE_PGM_RSRC2:TRAP_HANDLER: 0
; COMPUTE_PGM_RSRC2:TGID_X_EN: 1
; COMPUTE_PGM_RSRC2:TGID_Y_EN: 0
; COMPUTE_PGM_RSRC2:TGID_Z_EN: 0
; COMPUTE_PGM_RSRC2:TIDIG_COMP_CNT: 0
; COMPUTE_PGM_RSRC3_GFX90A:ACCUM_OFFSET: 0
; COMPUTE_PGM_RSRC3_GFX90A:TG_SPLIT: 0
	.section	.text._ZN7rocprim17ROCPRIM_400000_NS6detail17trampoline_kernelINS0_14default_configENS1_25partition_config_selectorILNS1_17partition_subalgoE8EbNS0_10empty_typeEbEEZZNS1_14partition_implILS5_8ELb0ES3_jN6hipcub16HIPCUB_304000_NS22TransformInputIteratorIbN2at6native8internal12_GLOBAL__N_110LoadBoolOpEPKhlEEPS6_PKS6_NS0_5tupleIJPbS6_EEENSN_IJSK_SK_EEENS0_18inequality_wrapperINSA_8EqualityEEEPlJS6_EEE10hipError_tPvRmT3_T4_T5_T6_T7_T9_mT8_P12ihipStream_tbDpT10_ENKUlT_T0_E_clISt17integral_constantIbLb1EES1E_EEDaS19_S1A_EUlS19_E_NS1_11comp_targetILNS1_3genE3ELNS1_11target_archE908ELNS1_3gpuE7ELNS1_3repE0EEENS1_30default_config_static_selectorELNS0_4arch9wavefront6targetE1EEEvT1_,"axG",@progbits,_ZN7rocprim17ROCPRIM_400000_NS6detail17trampoline_kernelINS0_14default_configENS1_25partition_config_selectorILNS1_17partition_subalgoE8EbNS0_10empty_typeEbEEZZNS1_14partition_implILS5_8ELb0ES3_jN6hipcub16HIPCUB_304000_NS22TransformInputIteratorIbN2at6native8internal12_GLOBAL__N_110LoadBoolOpEPKhlEEPS6_PKS6_NS0_5tupleIJPbS6_EEENSN_IJSK_SK_EEENS0_18inequality_wrapperINSA_8EqualityEEEPlJS6_EEE10hipError_tPvRmT3_T4_T5_T6_T7_T9_mT8_P12ihipStream_tbDpT10_ENKUlT_T0_E_clISt17integral_constantIbLb1EES1E_EEDaS19_S1A_EUlS19_E_NS1_11comp_targetILNS1_3genE3ELNS1_11target_archE908ELNS1_3gpuE7ELNS1_3repE0EEENS1_30default_config_static_selectorELNS0_4arch9wavefront6targetE1EEEvT1_,comdat
	.globl	_ZN7rocprim17ROCPRIM_400000_NS6detail17trampoline_kernelINS0_14default_configENS1_25partition_config_selectorILNS1_17partition_subalgoE8EbNS0_10empty_typeEbEEZZNS1_14partition_implILS5_8ELb0ES3_jN6hipcub16HIPCUB_304000_NS22TransformInputIteratorIbN2at6native8internal12_GLOBAL__N_110LoadBoolOpEPKhlEEPS6_PKS6_NS0_5tupleIJPbS6_EEENSN_IJSK_SK_EEENS0_18inequality_wrapperINSA_8EqualityEEEPlJS6_EEE10hipError_tPvRmT3_T4_T5_T6_T7_T9_mT8_P12ihipStream_tbDpT10_ENKUlT_T0_E_clISt17integral_constantIbLb1EES1E_EEDaS19_S1A_EUlS19_E_NS1_11comp_targetILNS1_3genE3ELNS1_11target_archE908ELNS1_3gpuE7ELNS1_3repE0EEENS1_30default_config_static_selectorELNS0_4arch9wavefront6targetE1EEEvT1_ ; -- Begin function _ZN7rocprim17ROCPRIM_400000_NS6detail17trampoline_kernelINS0_14default_configENS1_25partition_config_selectorILNS1_17partition_subalgoE8EbNS0_10empty_typeEbEEZZNS1_14partition_implILS5_8ELb0ES3_jN6hipcub16HIPCUB_304000_NS22TransformInputIteratorIbN2at6native8internal12_GLOBAL__N_110LoadBoolOpEPKhlEEPS6_PKS6_NS0_5tupleIJPbS6_EEENSN_IJSK_SK_EEENS0_18inequality_wrapperINSA_8EqualityEEEPlJS6_EEE10hipError_tPvRmT3_T4_T5_T6_T7_T9_mT8_P12ihipStream_tbDpT10_ENKUlT_T0_E_clISt17integral_constantIbLb1EES1E_EEDaS19_S1A_EUlS19_E_NS1_11comp_targetILNS1_3genE3ELNS1_11target_archE908ELNS1_3gpuE7ELNS1_3repE0EEENS1_30default_config_static_selectorELNS0_4arch9wavefront6targetE1EEEvT1_
	.p2align	8
	.type	_ZN7rocprim17ROCPRIM_400000_NS6detail17trampoline_kernelINS0_14default_configENS1_25partition_config_selectorILNS1_17partition_subalgoE8EbNS0_10empty_typeEbEEZZNS1_14partition_implILS5_8ELb0ES3_jN6hipcub16HIPCUB_304000_NS22TransformInputIteratorIbN2at6native8internal12_GLOBAL__N_110LoadBoolOpEPKhlEEPS6_PKS6_NS0_5tupleIJPbS6_EEENSN_IJSK_SK_EEENS0_18inequality_wrapperINSA_8EqualityEEEPlJS6_EEE10hipError_tPvRmT3_T4_T5_T6_T7_T9_mT8_P12ihipStream_tbDpT10_ENKUlT_T0_E_clISt17integral_constantIbLb1EES1E_EEDaS19_S1A_EUlS19_E_NS1_11comp_targetILNS1_3genE3ELNS1_11target_archE908ELNS1_3gpuE7ELNS1_3repE0EEENS1_30default_config_static_selectorELNS0_4arch9wavefront6targetE1EEEvT1_,@function
_ZN7rocprim17ROCPRIM_400000_NS6detail17trampoline_kernelINS0_14default_configENS1_25partition_config_selectorILNS1_17partition_subalgoE8EbNS0_10empty_typeEbEEZZNS1_14partition_implILS5_8ELb0ES3_jN6hipcub16HIPCUB_304000_NS22TransformInputIteratorIbN2at6native8internal12_GLOBAL__N_110LoadBoolOpEPKhlEEPS6_PKS6_NS0_5tupleIJPbS6_EEENSN_IJSK_SK_EEENS0_18inequality_wrapperINSA_8EqualityEEEPlJS6_EEE10hipError_tPvRmT3_T4_T5_T6_T7_T9_mT8_P12ihipStream_tbDpT10_ENKUlT_T0_E_clISt17integral_constantIbLb1EES1E_EEDaS19_S1A_EUlS19_E_NS1_11comp_targetILNS1_3genE3ELNS1_11target_archE908ELNS1_3gpuE7ELNS1_3repE0EEENS1_30default_config_static_selectorELNS0_4arch9wavefront6targetE1EEEvT1_: ; @_ZN7rocprim17ROCPRIM_400000_NS6detail17trampoline_kernelINS0_14default_configENS1_25partition_config_selectorILNS1_17partition_subalgoE8EbNS0_10empty_typeEbEEZZNS1_14partition_implILS5_8ELb0ES3_jN6hipcub16HIPCUB_304000_NS22TransformInputIteratorIbN2at6native8internal12_GLOBAL__N_110LoadBoolOpEPKhlEEPS6_PKS6_NS0_5tupleIJPbS6_EEENSN_IJSK_SK_EEENS0_18inequality_wrapperINSA_8EqualityEEEPlJS6_EEE10hipError_tPvRmT3_T4_T5_T6_T7_T9_mT8_P12ihipStream_tbDpT10_ENKUlT_T0_E_clISt17integral_constantIbLb1EES1E_EEDaS19_S1A_EUlS19_E_NS1_11comp_targetILNS1_3genE3ELNS1_11target_archE908ELNS1_3gpuE7ELNS1_3repE0EEENS1_30default_config_static_selectorELNS0_4arch9wavefront6targetE1EEEvT1_
; %bb.0:
	.section	.rodata,"a",@progbits
	.p2align	6, 0x0
	.amdhsa_kernel _ZN7rocprim17ROCPRIM_400000_NS6detail17trampoline_kernelINS0_14default_configENS1_25partition_config_selectorILNS1_17partition_subalgoE8EbNS0_10empty_typeEbEEZZNS1_14partition_implILS5_8ELb0ES3_jN6hipcub16HIPCUB_304000_NS22TransformInputIteratorIbN2at6native8internal12_GLOBAL__N_110LoadBoolOpEPKhlEEPS6_PKS6_NS0_5tupleIJPbS6_EEENSN_IJSK_SK_EEENS0_18inequality_wrapperINSA_8EqualityEEEPlJS6_EEE10hipError_tPvRmT3_T4_T5_T6_T7_T9_mT8_P12ihipStream_tbDpT10_ENKUlT_T0_E_clISt17integral_constantIbLb1EES1E_EEDaS19_S1A_EUlS19_E_NS1_11comp_targetILNS1_3genE3ELNS1_11target_archE908ELNS1_3gpuE7ELNS1_3repE0EEENS1_30default_config_static_selectorELNS0_4arch9wavefront6targetE1EEEvT1_
		.amdhsa_group_segment_fixed_size 0
		.amdhsa_private_segment_fixed_size 0
		.amdhsa_kernarg_size 136
		.amdhsa_user_sgpr_count 2
		.amdhsa_user_sgpr_dispatch_ptr 0
		.amdhsa_user_sgpr_queue_ptr 0
		.amdhsa_user_sgpr_kernarg_segment_ptr 1
		.amdhsa_user_sgpr_dispatch_id 0
		.amdhsa_user_sgpr_kernarg_preload_length 0
		.amdhsa_user_sgpr_kernarg_preload_offset 0
		.amdhsa_user_sgpr_private_segment_size 0
		.amdhsa_uses_dynamic_stack 0
		.amdhsa_enable_private_segment 0
		.amdhsa_system_sgpr_workgroup_id_x 1
		.amdhsa_system_sgpr_workgroup_id_y 0
		.amdhsa_system_sgpr_workgroup_id_z 0
		.amdhsa_system_sgpr_workgroup_info 0
		.amdhsa_system_vgpr_workitem_id 0
		.amdhsa_next_free_vgpr 1
		.amdhsa_next_free_sgpr 0
		.amdhsa_accum_offset 4
		.amdhsa_reserve_vcc 0
		.amdhsa_float_round_mode_32 0
		.amdhsa_float_round_mode_16_64 0
		.amdhsa_float_denorm_mode_32 3
		.amdhsa_float_denorm_mode_16_64 3
		.amdhsa_dx10_clamp 1
		.amdhsa_ieee_mode 1
		.amdhsa_fp16_overflow 0
		.amdhsa_tg_split 0
		.amdhsa_exception_fp_ieee_invalid_op 0
		.amdhsa_exception_fp_denorm_src 0
		.amdhsa_exception_fp_ieee_div_zero 0
		.amdhsa_exception_fp_ieee_overflow 0
		.amdhsa_exception_fp_ieee_underflow 0
		.amdhsa_exception_fp_ieee_inexact 0
		.amdhsa_exception_int_div_zero 0
	.end_amdhsa_kernel
	.section	.text._ZN7rocprim17ROCPRIM_400000_NS6detail17trampoline_kernelINS0_14default_configENS1_25partition_config_selectorILNS1_17partition_subalgoE8EbNS0_10empty_typeEbEEZZNS1_14partition_implILS5_8ELb0ES3_jN6hipcub16HIPCUB_304000_NS22TransformInputIteratorIbN2at6native8internal12_GLOBAL__N_110LoadBoolOpEPKhlEEPS6_PKS6_NS0_5tupleIJPbS6_EEENSN_IJSK_SK_EEENS0_18inequality_wrapperINSA_8EqualityEEEPlJS6_EEE10hipError_tPvRmT3_T4_T5_T6_T7_T9_mT8_P12ihipStream_tbDpT10_ENKUlT_T0_E_clISt17integral_constantIbLb1EES1E_EEDaS19_S1A_EUlS19_E_NS1_11comp_targetILNS1_3genE3ELNS1_11target_archE908ELNS1_3gpuE7ELNS1_3repE0EEENS1_30default_config_static_selectorELNS0_4arch9wavefront6targetE1EEEvT1_,"axG",@progbits,_ZN7rocprim17ROCPRIM_400000_NS6detail17trampoline_kernelINS0_14default_configENS1_25partition_config_selectorILNS1_17partition_subalgoE8EbNS0_10empty_typeEbEEZZNS1_14partition_implILS5_8ELb0ES3_jN6hipcub16HIPCUB_304000_NS22TransformInputIteratorIbN2at6native8internal12_GLOBAL__N_110LoadBoolOpEPKhlEEPS6_PKS6_NS0_5tupleIJPbS6_EEENSN_IJSK_SK_EEENS0_18inequality_wrapperINSA_8EqualityEEEPlJS6_EEE10hipError_tPvRmT3_T4_T5_T6_T7_T9_mT8_P12ihipStream_tbDpT10_ENKUlT_T0_E_clISt17integral_constantIbLb1EES1E_EEDaS19_S1A_EUlS19_E_NS1_11comp_targetILNS1_3genE3ELNS1_11target_archE908ELNS1_3gpuE7ELNS1_3repE0EEENS1_30default_config_static_selectorELNS0_4arch9wavefront6targetE1EEEvT1_,comdat
.Lfunc_end25:
	.size	_ZN7rocprim17ROCPRIM_400000_NS6detail17trampoline_kernelINS0_14default_configENS1_25partition_config_selectorILNS1_17partition_subalgoE8EbNS0_10empty_typeEbEEZZNS1_14partition_implILS5_8ELb0ES3_jN6hipcub16HIPCUB_304000_NS22TransformInputIteratorIbN2at6native8internal12_GLOBAL__N_110LoadBoolOpEPKhlEEPS6_PKS6_NS0_5tupleIJPbS6_EEENSN_IJSK_SK_EEENS0_18inequality_wrapperINSA_8EqualityEEEPlJS6_EEE10hipError_tPvRmT3_T4_T5_T6_T7_T9_mT8_P12ihipStream_tbDpT10_ENKUlT_T0_E_clISt17integral_constantIbLb1EES1E_EEDaS19_S1A_EUlS19_E_NS1_11comp_targetILNS1_3genE3ELNS1_11target_archE908ELNS1_3gpuE7ELNS1_3repE0EEENS1_30default_config_static_selectorELNS0_4arch9wavefront6targetE1EEEvT1_, .Lfunc_end25-_ZN7rocprim17ROCPRIM_400000_NS6detail17trampoline_kernelINS0_14default_configENS1_25partition_config_selectorILNS1_17partition_subalgoE8EbNS0_10empty_typeEbEEZZNS1_14partition_implILS5_8ELb0ES3_jN6hipcub16HIPCUB_304000_NS22TransformInputIteratorIbN2at6native8internal12_GLOBAL__N_110LoadBoolOpEPKhlEEPS6_PKS6_NS0_5tupleIJPbS6_EEENSN_IJSK_SK_EEENS0_18inequality_wrapperINSA_8EqualityEEEPlJS6_EEE10hipError_tPvRmT3_T4_T5_T6_T7_T9_mT8_P12ihipStream_tbDpT10_ENKUlT_T0_E_clISt17integral_constantIbLb1EES1E_EEDaS19_S1A_EUlS19_E_NS1_11comp_targetILNS1_3genE3ELNS1_11target_archE908ELNS1_3gpuE7ELNS1_3repE0EEENS1_30default_config_static_selectorELNS0_4arch9wavefront6targetE1EEEvT1_
                                        ; -- End function
	.section	.AMDGPU.csdata,"",@progbits
; Kernel info:
; codeLenInByte = 0
; NumSgprs: 6
; NumVgprs: 0
; NumAgprs: 0
; TotalNumVgprs: 0
; ScratchSize: 0
; MemoryBound: 0
; FloatMode: 240
; IeeeMode: 1
; LDSByteSize: 0 bytes/workgroup (compile time only)
; SGPRBlocks: 0
; VGPRBlocks: 0
; NumSGPRsForWavesPerEU: 6
; NumVGPRsForWavesPerEU: 1
; AccumOffset: 4
; Occupancy: 8
; WaveLimiterHint : 0
; COMPUTE_PGM_RSRC2:SCRATCH_EN: 0
; COMPUTE_PGM_RSRC2:USER_SGPR: 2
; COMPUTE_PGM_RSRC2:TRAP_HANDLER: 0
; COMPUTE_PGM_RSRC2:TGID_X_EN: 1
; COMPUTE_PGM_RSRC2:TGID_Y_EN: 0
; COMPUTE_PGM_RSRC2:TGID_Z_EN: 0
; COMPUTE_PGM_RSRC2:TIDIG_COMP_CNT: 0
; COMPUTE_PGM_RSRC3_GFX90A:ACCUM_OFFSET: 0
; COMPUTE_PGM_RSRC3_GFX90A:TG_SPLIT: 0
	.section	.text._ZN7rocprim17ROCPRIM_400000_NS6detail17trampoline_kernelINS0_14default_configENS1_25partition_config_selectorILNS1_17partition_subalgoE8EbNS0_10empty_typeEbEEZZNS1_14partition_implILS5_8ELb0ES3_jN6hipcub16HIPCUB_304000_NS22TransformInputIteratorIbN2at6native8internal12_GLOBAL__N_110LoadBoolOpEPKhlEEPS6_PKS6_NS0_5tupleIJPbS6_EEENSN_IJSK_SK_EEENS0_18inequality_wrapperINSA_8EqualityEEEPlJS6_EEE10hipError_tPvRmT3_T4_T5_T6_T7_T9_mT8_P12ihipStream_tbDpT10_ENKUlT_T0_E_clISt17integral_constantIbLb1EES1E_EEDaS19_S1A_EUlS19_E_NS1_11comp_targetILNS1_3genE2ELNS1_11target_archE906ELNS1_3gpuE6ELNS1_3repE0EEENS1_30default_config_static_selectorELNS0_4arch9wavefront6targetE1EEEvT1_,"axG",@progbits,_ZN7rocprim17ROCPRIM_400000_NS6detail17trampoline_kernelINS0_14default_configENS1_25partition_config_selectorILNS1_17partition_subalgoE8EbNS0_10empty_typeEbEEZZNS1_14partition_implILS5_8ELb0ES3_jN6hipcub16HIPCUB_304000_NS22TransformInputIteratorIbN2at6native8internal12_GLOBAL__N_110LoadBoolOpEPKhlEEPS6_PKS6_NS0_5tupleIJPbS6_EEENSN_IJSK_SK_EEENS0_18inequality_wrapperINSA_8EqualityEEEPlJS6_EEE10hipError_tPvRmT3_T4_T5_T6_T7_T9_mT8_P12ihipStream_tbDpT10_ENKUlT_T0_E_clISt17integral_constantIbLb1EES1E_EEDaS19_S1A_EUlS19_E_NS1_11comp_targetILNS1_3genE2ELNS1_11target_archE906ELNS1_3gpuE6ELNS1_3repE0EEENS1_30default_config_static_selectorELNS0_4arch9wavefront6targetE1EEEvT1_,comdat
	.globl	_ZN7rocprim17ROCPRIM_400000_NS6detail17trampoline_kernelINS0_14default_configENS1_25partition_config_selectorILNS1_17partition_subalgoE8EbNS0_10empty_typeEbEEZZNS1_14partition_implILS5_8ELb0ES3_jN6hipcub16HIPCUB_304000_NS22TransformInputIteratorIbN2at6native8internal12_GLOBAL__N_110LoadBoolOpEPKhlEEPS6_PKS6_NS0_5tupleIJPbS6_EEENSN_IJSK_SK_EEENS0_18inequality_wrapperINSA_8EqualityEEEPlJS6_EEE10hipError_tPvRmT3_T4_T5_T6_T7_T9_mT8_P12ihipStream_tbDpT10_ENKUlT_T0_E_clISt17integral_constantIbLb1EES1E_EEDaS19_S1A_EUlS19_E_NS1_11comp_targetILNS1_3genE2ELNS1_11target_archE906ELNS1_3gpuE6ELNS1_3repE0EEENS1_30default_config_static_selectorELNS0_4arch9wavefront6targetE1EEEvT1_ ; -- Begin function _ZN7rocprim17ROCPRIM_400000_NS6detail17trampoline_kernelINS0_14default_configENS1_25partition_config_selectorILNS1_17partition_subalgoE8EbNS0_10empty_typeEbEEZZNS1_14partition_implILS5_8ELb0ES3_jN6hipcub16HIPCUB_304000_NS22TransformInputIteratorIbN2at6native8internal12_GLOBAL__N_110LoadBoolOpEPKhlEEPS6_PKS6_NS0_5tupleIJPbS6_EEENSN_IJSK_SK_EEENS0_18inequality_wrapperINSA_8EqualityEEEPlJS6_EEE10hipError_tPvRmT3_T4_T5_T6_T7_T9_mT8_P12ihipStream_tbDpT10_ENKUlT_T0_E_clISt17integral_constantIbLb1EES1E_EEDaS19_S1A_EUlS19_E_NS1_11comp_targetILNS1_3genE2ELNS1_11target_archE906ELNS1_3gpuE6ELNS1_3repE0EEENS1_30default_config_static_selectorELNS0_4arch9wavefront6targetE1EEEvT1_
	.p2align	8
	.type	_ZN7rocprim17ROCPRIM_400000_NS6detail17trampoline_kernelINS0_14default_configENS1_25partition_config_selectorILNS1_17partition_subalgoE8EbNS0_10empty_typeEbEEZZNS1_14partition_implILS5_8ELb0ES3_jN6hipcub16HIPCUB_304000_NS22TransformInputIteratorIbN2at6native8internal12_GLOBAL__N_110LoadBoolOpEPKhlEEPS6_PKS6_NS0_5tupleIJPbS6_EEENSN_IJSK_SK_EEENS0_18inequality_wrapperINSA_8EqualityEEEPlJS6_EEE10hipError_tPvRmT3_T4_T5_T6_T7_T9_mT8_P12ihipStream_tbDpT10_ENKUlT_T0_E_clISt17integral_constantIbLb1EES1E_EEDaS19_S1A_EUlS19_E_NS1_11comp_targetILNS1_3genE2ELNS1_11target_archE906ELNS1_3gpuE6ELNS1_3repE0EEENS1_30default_config_static_selectorELNS0_4arch9wavefront6targetE1EEEvT1_,@function
_ZN7rocprim17ROCPRIM_400000_NS6detail17trampoline_kernelINS0_14default_configENS1_25partition_config_selectorILNS1_17partition_subalgoE8EbNS0_10empty_typeEbEEZZNS1_14partition_implILS5_8ELb0ES3_jN6hipcub16HIPCUB_304000_NS22TransformInputIteratorIbN2at6native8internal12_GLOBAL__N_110LoadBoolOpEPKhlEEPS6_PKS6_NS0_5tupleIJPbS6_EEENSN_IJSK_SK_EEENS0_18inequality_wrapperINSA_8EqualityEEEPlJS6_EEE10hipError_tPvRmT3_T4_T5_T6_T7_T9_mT8_P12ihipStream_tbDpT10_ENKUlT_T0_E_clISt17integral_constantIbLb1EES1E_EEDaS19_S1A_EUlS19_E_NS1_11comp_targetILNS1_3genE2ELNS1_11target_archE906ELNS1_3gpuE6ELNS1_3repE0EEENS1_30default_config_static_selectorELNS0_4arch9wavefront6targetE1EEEvT1_: ; @_ZN7rocprim17ROCPRIM_400000_NS6detail17trampoline_kernelINS0_14default_configENS1_25partition_config_selectorILNS1_17partition_subalgoE8EbNS0_10empty_typeEbEEZZNS1_14partition_implILS5_8ELb0ES3_jN6hipcub16HIPCUB_304000_NS22TransformInputIteratorIbN2at6native8internal12_GLOBAL__N_110LoadBoolOpEPKhlEEPS6_PKS6_NS0_5tupleIJPbS6_EEENSN_IJSK_SK_EEENS0_18inequality_wrapperINSA_8EqualityEEEPlJS6_EEE10hipError_tPvRmT3_T4_T5_T6_T7_T9_mT8_P12ihipStream_tbDpT10_ENKUlT_T0_E_clISt17integral_constantIbLb1EES1E_EEDaS19_S1A_EUlS19_E_NS1_11comp_targetILNS1_3genE2ELNS1_11target_archE906ELNS1_3gpuE6ELNS1_3repE0EEENS1_30default_config_static_selectorELNS0_4arch9wavefront6targetE1EEEvT1_
; %bb.0:
	.section	.rodata,"a",@progbits
	.p2align	6, 0x0
	.amdhsa_kernel _ZN7rocprim17ROCPRIM_400000_NS6detail17trampoline_kernelINS0_14default_configENS1_25partition_config_selectorILNS1_17partition_subalgoE8EbNS0_10empty_typeEbEEZZNS1_14partition_implILS5_8ELb0ES3_jN6hipcub16HIPCUB_304000_NS22TransformInputIteratorIbN2at6native8internal12_GLOBAL__N_110LoadBoolOpEPKhlEEPS6_PKS6_NS0_5tupleIJPbS6_EEENSN_IJSK_SK_EEENS0_18inequality_wrapperINSA_8EqualityEEEPlJS6_EEE10hipError_tPvRmT3_T4_T5_T6_T7_T9_mT8_P12ihipStream_tbDpT10_ENKUlT_T0_E_clISt17integral_constantIbLb1EES1E_EEDaS19_S1A_EUlS19_E_NS1_11comp_targetILNS1_3genE2ELNS1_11target_archE906ELNS1_3gpuE6ELNS1_3repE0EEENS1_30default_config_static_selectorELNS0_4arch9wavefront6targetE1EEEvT1_
		.amdhsa_group_segment_fixed_size 0
		.amdhsa_private_segment_fixed_size 0
		.amdhsa_kernarg_size 136
		.amdhsa_user_sgpr_count 2
		.amdhsa_user_sgpr_dispatch_ptr 0
		.amdhsa_user_sgpr_queue_ptr 0
		.amdhsa_user_sgpr_kernarg_segment_ptr 1
		.amdhsa_user_sgpr_dispatch_id 0
		.amdhsa_user_sgpr_kernarg_preload_length 0
		.amdhsa_user_sgpr_kernarg_preload_offset 0
		.amdhsa_user_sgpr_private_segment_size 0
		.amdhsa_uses_dynamic_stack 0
		.amdhsa_enable_private_segment 0
		.amdhsa_system_sgpr_workgroup_id_x 1
		.amdhsa_system_sgpr_workgroup_id_y 0
		.amdhsa_system_sgpr_workgroup_id_z 0
		.amdhsa_system_sgpr_workgroup_info 0
		.amdhsa_system_vgpr_workitem_id 0
		.amdhsa_next_free_vgpr 1
		.amdhsa_next_free_sgpr 0
		.amdhsa_accum_offset 4
		.amdhsa_reserve_vcc 0
		.amdhsa_float_round_mode_32 0
		.amdhsa_float_round_mode_16_64 0
		.amdhsa_float_denorm_mode_32 3
		.amdhsa_float_denorm_mode_16_64 3
		.amdhsa_dx10_clamp 1
		.amdhsa_ieee_mode 1
		.amdhsa_fp16_overflow 0
		.amdhsa_tg_split 0
		.amdhsa_exception_fp_ieee_invalid_op 0
		.amdhsa_exception_fp_denorm_src 0
		.amdhsa_exception_fp_ieee_div_zero 0
		.amdhsa_exception_fp_ieee_overflow 0
		.amdhsa_exception_fp_ieee_underflow 0
		.amdhsa_exception_fp_ieee_inexact 0
		.amdhsa_exception_int_div_zero 0
	.end_amdhsa_kernel
	.section	.text._ZN7rocprim17ROCPRIM_400000_NS6detail17trampoline_kernelINS0_14default_configENS1_25partition_config_selectorILNS1_17partition_subalgoE8EbNS0_10empty_typeEbEEZZNS1_14partition_implILS5_8ELb0ES3_jN6hipcub16HIPCUB_304000_NS22TransformInputIteratorIbN2at6native8internal12_GLOBAL__N_110LoadBoolOpEPKhlEEPS6_PKS6_NS0_5tupleIJPbS6_EEENSN_IJSK_SK_EEENS0_18inequality_wrapperINSA_8EqualityEEEPlJS6_EEE10hipError_tPvRmT3_T4_T5_T6_T7_T9_mT8_P12ihipStream_tbDpT10_ENKUlT_T0_E_clISt17integral_constantIbLb1EES1E_EEDaS19_S1A_EUlS19_E_NS1_11comp_targetILNS1_3genE2ELNS1_11target_archE906ELNS1_3gpuE6ELNS1_3repE0EEENS1_30default_config_static_selectorELNS0_4arch9wavefront6targetE1EEEvT1_,"axG",@progbits,_ZN7rocprim17ROCPRIM_400000_NS6detail17trampoline_kernelINS0_14default_configENS1_25partition_config_selectorILNS1_17partition_subalgoE8EbNS0_10empty_typeEbEEZZNS1_14partition_implILS5_8ELb0ES3_jN6hipcub16HIPCUB_304000_NS22TransformInputIteratorIbN2at6native8internal12_GLOBAL__N_110LoadBoolOpEPKhlEEPS6_PKS6_NS0_5tupleIJPbS6_EEENSN_IJSK_SK_EEENS0_18inequality_wrapperINSA_8EqualityEEEPlJS6_EEE10hipError_tPvRmT3_T4_T5_T6_T7_T9_mT8_P12ihipStream_tbDpT10_ENKUlT_T0_E_clISt17integral_constantIbLb1EES1E_EEDaS19_S1A_EUlS19_E_NS1_11comp_targetILNS1_3genE2ELNS1_11target_archE906ELNS1_3gpuE6ELNS1_3repE0EEENS1_30default_config_static_selectorELNS0_4arch9wavefront6targetE1EEEvT1_,comdat
.Lfunc_end26:
	.size	_ZN7rocprim17ROCPRIM_400000_NS6detail17trampoline_kernelINS0_14default_configENS1_25partition_config_selectorILNS1_17partition_subalgoE8EbNS0_10empty_typeEbEEZZNS1_14partition_implILS5_8ELb0ES3_jN6hipcub16HIPCUB_304000_NS22TransformInputIteratorIbN2at6native8internal12_GLOBAL__N_110LoadBoolOpEPKhlEEPS6_PKS6_NS0_5tupleIJPbS6_EEENSN_IJSK_SK_EEENS0_18inequality_wrapperINSA_8EqualityEEEPlJS6_EEE10hipError_tPvRmT3_T4_T5_T6_T7_T9_mT8_P12ihipStream_tbDpT10_ENKUlT_T0_E_clISt17integral_constantIbLb1EES1E_EEDaS19_S1A_EUlS19_E_NS1_11comp_targetILNS1_3genE2ELNS1_11target_archE906ELNS1_3gpuE6ELNS1_3repE0EEENS1_30default_config_static_selectorELNS0_4arch9wavefront6targetE1EEEvT1_, .Lfunc_end26-_ZN7rocprim17ROCPRIM_400000_NS6detail17trampoline_kernelINS0_14default_configENS1_25partition_config_selectorILNS1_17partition_subalgoE8EbNS0_10empty_typeEbEEZZNS1_14partition_implILS5_8ELb0ES3_jN6hipcub16HIPCUB_304000_NS22TransformInputIteratorIbN2at6native8internal12_GLOBAL__N_110LoadBoolOpEPKhlEEPS6_PKS6_NS0_5tupleIJPbS6_EEENSN_IJSK_SK_EEENS0_18inequality_wrapperINSA_8EqualityEEEPlJS6_EEE10hipError_tPvRmT3_T4_T5_T6_T7_T9_mT8_P12ihipStream_tbDpT10_ENKUlT_T0_E_clISt17integral_constantIbLb1EES1E_EEDaS19_S1A_EUlS19_E_NS1_11comp_targetILNS1_3genE2ELNS1_11target_archE906ELNS1_3gpuE6ELNS1_3repE0EEENS1_30default_config_static_selectorELNS0_4arch9wavefront6targetE1EEEvT1_
                                        ; -- End function
	.section	.AMDGPU.csdata,"",@progbits
; Kernel info:
; codeLenInByte = 0
; NumSgprs: 6
; NumVgprs: 0
; NumAgprs: 0
; TotalNumVgprs: 0
; ScratchSize: 0
; MemoryBound: 0
; FloatMode: 240
; IeeeMode: 1
; LDSByteSize: 0 bytes/workgroup (compile time only)
; SGPRBlocks: 0
; VGPRBlocks: 0
; NumSGPRsForWavesPerEU: 6
; NumVGPRsForWavesPerEU: 1
; AccumOffset: 4
; Occupancy: 8
; WaveLimiterHint : 0
; COMPUTE_PGM_RSRC2:SCRATCH_EN: 0
; COMPUTE_PGM_RSRC2:USER_SGPR: 2
; COMPUTE_PGM_RSRC2:TRAP_HANDLER: 0
; COMPUTE_PGM_RSRC2:TGID_X_EN: 1
; COMPUTE_PGM_RSRC2:TGID_Y_EN: 0
; COMPUTE_PGM_RSRC2:TGID_Z_EN: 0
; COMPUTE_PGM_RSRC2:TIDIG_COMP_CNT: 0
; COMPUTE_PGM_RSRC3_GFX90A:ACCUM_OFFSET: 0
; COMPUTE_PGM_RSRC3_GFX90A:TG_SPLIT: 0
	.section	.text._ZN7rocprim17ROCPRIM_400000_NS6detail17trampoline_kernelINS0_14default_configENS1_25partition_config_selectorILNS1_17partition_subalgoE8EbNS0_10empty_typeEbEEZZNS1_14partition_implILS5_8ELb0ES3_jN6hipcub16HIPCUB_304000_NS22TransformInputIteratorIbN2at6native8internal12_GLOBAL__N_110LoadBoolOpEPKhlEEPS6_PKS6_NS0_5tupleIJPbS6_EEENSN_IJSK_SK_EEENS0_18inequality_wrapperINSA_8EqualityEEEPlJS6_EEE10hipError_tPvRmT3_T4_T5_T6_T7_T9_mT8_P12ihipStream_tbDpT10_ENKUlT_T0_E_clISt17integral_constantIbLb1EES1E_EEDaS19_S1A_EUlS19_E_NS1_11comp_targetILNS1_3genE10ELNS1_11target_archE1200ELNS1_3gpuE4ELNS1_3repE0EEENS1_30default_config_static_selectorELNS0_4arch9wavefront6targetE1EEEvT1_,"axG",@progbits,_ZN7rocprim17ROCPRIM_400000_NS6detail17trampoline_kernelINS0_14default_configENS1_25partition_config_selectorILNS1_17partition_subalgoE8EbNS0_10empty_typeEbEEZZNS1_14partition_implILS5_8ELb0ES3_jN6hipcub16HIPCUB_304000_NS22TransformInputIteratorIbN2at6native8internal12_GLOBAL__N_110LoadBoolOpEPKhlEEPS6_PKS6_NS0_5tupleIJPbS6_EEENSN_IJSK_SK_EEENS0_18inequality_wrapperINSA_8EqualityEEEPlJS6_EEE10hipError_tPvRmT3_T4_T5_T6_T7_T9_mT8_P12ihipStream_tbDpT10_ENKUlT_T0_E_clISt17integral_constantIbLb1EES1E_EEDaS19_S1A_EUlS19_E_NS1_11comp_targetILNS1_3genE10ELNS1_11target_archE1200ELNS1_3gpuE4ELNS1_3repE0EEENS1_30default_config_static_selectorELNS0_4arch9wavefront6targetE1EEEvT1_,comdat
	.globl	_ZN7rocprim17ROCPRIM_400000_NS6detail17trampoline_kernelINS0_14default_configENS1_25partition_config_selectorILNS1_17partition_subalgoE8EbNS0_10empty_typeEbEEZZNS1_14partition_implILS5_8ELb0ES3_jN6hipcub16HIPCUB_304000_NS22TransformInputIteratorIbN2at6native8internal12_GLOBAL__N_110LoadBoolOpEPKhlEEPS6_PKS6_NS0_5tupleIJPbS6_EEENSN_IJSK_SK_EEENS0_18inequality_wrapperINSA_8EqualityEEEPlJS6_EEE10hipError_tPvRmT3_T4_T5_T6_T7_T9_mT8_P12ihipStream_tbDpT10_ENKUlT_T0_E_clISt17integral_constantIbLb1EES1E_EEDaS19_S1A_EUlS19_E_NS1_11comp_targetILNS1_3genE10ELNS1_11target_archE1200ELNS1_3gpuE4ELNS1_3repE0EEENS1_30default_config_static_selectorELNS0_4arch9wavefront6targetE1EEEvT1_ ; -- Begin function _ZN7rocprim17ROCPRIM_400000_NS6detail17trampoline_kernelINS0_14default_configENS1_25partition_config_selectorILNS1_17partition_subalgoE8EbNS0_10empty_typeEbEEZZNS1_14partition_implILS5_8ELb0ES3_jN6hipcub16HIPCUB_304000_NS22TransformInputIteratorIbN2at6native8internal12_GLOBAL__N_110LoadBoolOpEPKhlEEPS6_PKS6_NS0_5tupleIJPbS6_EEENSN_IJSK_SK_EEENS0_18inequality_wrapperINSA_8EqualityEEEPlJS6_EEE10hipError_tPvRmT3_T4_T5_T6_T7_T9_mT8_P12ihipStream_tbDpT10_ENKUlT_T0_E_clISt17integral_constantIbLb1EES1E_EEDaS19_S1A_EUlS19_E_NS1_11comp_targetILNS1_3genE10ELNS1_11target_archE1200ELNS1_3gpuE4ELNS1_3repE0EEENS1_30default_config_static_selectorELNS0_4arch9wavefront6targetE1EEEvT1_
	.p2align	8
	.type	_ZN7rocprim17ROCPRIM_400000_NS6detail17trampoline_kernelINS0_14default_configENS1_25partition_config_selectorILNS1_17partition_subalgoE8EbNS0_10empty_typeEbEEZZNS1_14partition_implILS5_8ELb0ES3_jN6hipcub16HIPCUB_304000_NS22TransformInputIteratorIbN2at6native8internal12_GLOBAL__N_110LoadBoolOpEPKhlEEPS6_PKS6_NS0_5tupleIJPbS6_EEENSN_IJSK_SK_EEENS0_18inequality_wrapperINSA_8EqualityEEEPlJS6_EEE10hipError_tPvRmT3_T4_T5_T6_T7_T9_mT8_P12ihipStream_tbDpT10_ENKUlT_T0_E_clISt17integral_constantIbLb1EES1E_EEDaS19_S1A_EUlS19_E_NS1_11comp_targetILNS1_3genE10ELNS1_11target_archE1200ELNS1_3gpuE4ELNS1_3repE0EEENS1_30default_config_static_selectorELNS0_4arch9wavefront6targetE1EEEvT1_,@function
_ZN7rocprim17ROCPRIM_400000_NS6detail17trampoline_kernelINS0_14default_configENS1_25partition_config_selectorILNS1_17partition_subalgoE8EbNS0_10empty_typeEbEEZZNS1_14partition_implILS5_8ELb0ES3_jN6hipcub16HIPCUB_304000_NS22TransformInputIteratorIbN2at6native8internal12_GLOBAL__N_110LoadBoolOpEPKhlEEPS6_PKS6_NS0_5tupleIJPbS6_EEENSN_IJSK_SK_EEENS0_18inequality_wrapperINSA_8EqualityEEEPlJS6_EEE10hipError_tPvRmT3_T4_T5_T6_T7_T9_mT8_P12ihipStream_tbDpT10_ENKUlT_T0_E_clISt17integral_constantIbLb1EES1E_EEDaS19_S1A_EUlS19_E_NS1_11comp_targetILNS1_3genE10ELNS1_11target_archE1200ELNS1_3gpuE4ELNS1_3repE0EEENS1_30default_config_static_selectorELNS0_4arch9wavefront6targetE1EEEvT1_: ; @_ZN7rocprim17ROCPRIM_400000_NS6detail17trampoline_kernelINS0_14default_configENS1_25partition_config_selectorILNS1_17partition_subalgoE8EbNS0_10empty_typeEbEEZZNS1_14partition_implILS5_8ELb0ES3_jN6hipcub16HIPCUB_304000_NS22TransformInputIteratorIbN2at6native8internal12_GLOBAL__N_110LoadBoolOpEPKhlEEPS6_PKS6_NS0_5tupleIJPbS6_EEENSN_IJSK_SK_EEENS0_18inequality_wrapperINSA_8EqualityEEEPlJS6_EEE10hipError_tPvRmT3_T4_T5_T6_T7_T9_mT8_P12ihipStream_tbDpT10_ENKUlT_T0_E_clISt17integral_constantIbLb1EES1E_EEDaS19_S1A_EUlS19_E_NS1_11comp_targetILNS1_3genE10ELNS1_11target_archE1200ELNS1_3gpuE4ELNS1_3repE0EEENS1_30default_config_static_selectorELNS0_4arch9wavefront6targetE1EEEvT1_
; %bb.0:
	.section	.rodata,"a",@progbits
	.p2align	6, 0x0
	.amdhsa_kernel _ZN7rocprim17ROCPRIM_400000_NS6detail17trampoline_kernelINS0_14default_configENS1_25partition_config_selectorILNS1_17partition_subalgoE8EbNS0_10empty_typeEbEEZZNS1_14partition_implILS5_8ELb0ES3_jN6hipcub16HIPCUB_304000_NS22TransformInputIteratorIbN2at6native8internal12_GLOBAL__N_110LoadBoolOpEPKhlEEPS6_PKS6_NS0_5tupleIJPbS6_EEENSN_IJSK_SK_EEENS0_18inequality_wrapperINSA_8EqualityEEEPlJS6_EEE10hipError_tPvRmT3_T4_T5_T6_T7_T9_mT8_P12ihipStream_tbDpT10_ENKUlT_T0_E_clISt17integral_constantIbLb1EES1E_EEDaS19_S1A_EUlS19_E_NS1_11comp_targetILNS1_3genE10ELNS1_11target_archE1200ELNS1_3gpuE4ELNS1_3repE0EEENS1_30default_config_static_selectorELNS0_4arch9wavefront6targetE1EEEvT1_
		.amdhsa_group_segment_fixed_size 0
		.amdhsa_private_segment_fixed_size 0
		.amdhsa_kernarg_size 136
		.amdhsa_user_sgpr_count 2
		.amdhsa_user_sgpr_dispatch_ptr 0
		.amdhsa_user_sgpr_queue_ptr 0
		.amdhsa_user_sgpr_kernarg_segment_ptr 1
		.amdhsa_user_sgpr_dispatch_id 0
		.amdhsa_user_sgpr_kernarg_preload_length 0
		.amdhsa_user_sgpr_kernarg_preload_offset 0
		.amdhsa_user_sgpr_private_segment_size 0
		.amdhsa_uses_dynamic_stack 0
		.amdhsa_enable_private_segment 0
		.amdhsa_system_sgpr_workgroup_id_x 1
		.amdhsa_system_sgpr_workgroup_id_y 0
		.amdhsa_system_sgpr_workgroup_id_z 0
		.amdhsa_system_sgpr_workgroup_info 0
		.amdhsa_system_vgpr_workitem_id 0
		.amdhsa_next_free_vgpr 1
		.amdhsa_next_free_sgpr 0
		.amdhsa_accum_offset 4
		.amdhsa_reserve_vcc 0
		.amdhsa_float_round_mode_32 0
		.amdhsa_float_round_mode_16_64 0
		.amdhsa_float_denorm_mode_32 3
		.amdhsa_float_denorm_mode_16_64 3
		.amdhsa_dx10_clamp 1
		.amdhsa_ieee_mode 1
		.amdhsa_fp16_overflow 0
		.amdhsa_tg_split 0
		.amdhsa_exception_fp_ieee_invalid_op 0
		.amdhsa_exception_fp_denorm_src 0
		.amdhsa_exception_fp_ieee_div_zero 0
		.amdhsa_exception_fp_ieee_overflow 0
		.amdhsa_exception_fp_ieee_underflow 0
		.amdhsa_exception_fp_ieee_inexact 0
		.amdhsa_exception_int_div_zero 0
	.end_amdhsa_kernel
	.section	.text._ZN7rocprim17ROCPRIM_400000_NS6detail17trampoline_kernelINS0_14default_configENS1_25partition_config_selectorILNS1_17partition_subalgoE8EbNS0_10empty_typeEbEEZZNS1_14partition_implILS5_8ELb0ES3_jN6hipcub16HIPCUB_304000_NS22TransformInputIteratorIbN2at6native8internal12_GLOBAL__N_110LoadBoolOpEPKhlEEPS6_PKS6_NS0_5tupleIJPbS6_EEENSN_IJSK_SK_EEENS0_18inequality_wrapperINSA_8EqualityEEEPlJS6_EEE10hipError_tPvRmT3_T4_T5_T6_T7_T9_mT8_P12ihipStream_tbDpT10_ENKUlT_T0_E_clISt17integral_constantIbLb1EES1E_EEDaS19_S1A_EUlS19_E_NS1_11comp_targetILNS1_3genE10ELNS1_11target_archE1200ELNS1_3gpuE4ELNS1_3repE0EEENS1_30default_config_static_selectorELNS0_4arch9wavefront6targetE1EEEvT1_,"axG",@progbits,_ZN7rocprim17ROCPRIM_400000_NS6detail17trampoline_kernelINS0_14default_configENS1_25partition_config_selectorILNS1_17partition_subalgoE8EbNS0_10empty_typeEbEEZZNS1_14partition_implILS5_8ELb0ES3_jN6hipcub16HIPCUB_304000_NS22TransformInputIteratorIbN2at6native8internal12_GLOBAL__N_110LoadBoolOpEPKhlEEPS6_PKS6_NS0_5tupleIJPbS6_EEENSN_IJSK_SK_EEENS0_18inequality_wrapperINSA_8EqualityEEEPlJS6_EEE10hipError_tPvRmT3_T4_T5_T6_T7_T9_mT8_P12ihipStream_tbDpT10_ENKUlT_T0_E_clISt17integral_constantIbLb1EES1E_EEDaS19_S1A_EUlS19_E_NS1_11comp_targetILNS1_3genE10ELNS1_11target_archE1200ELNS1_3gpuE4ELNS1_3repE0EEENS1_30default_config_static_selectorELNS0_4arch9wavefront6targetE1EEEvT1_,comdat
.Lfunc_end27:
	.size	_ZN7rocprim17ROCPRIM_400000_NS6detail17trampoline_kernelINS0_14default_configENS1_25partition_config_selectorILNS1_17partition_subalgoE8EbNS0_10empty_typeEbEEZZNS1_14partition_implILS5_8ELb0ES3_jN6hipcub16HIPCUB_304000_NS22TransformInputIteratorIbN2at6native8internal12_GLOBAL__N_110LoadBoolOpEPKhlEEPS6_PKS6_NS0_5tupleIJPbS6_EEENSN_IJSK_SK_EEENS0_18inequality_wrapperINSA_8EqualityEEEPlJS6_EEE10hipError_tPvRmT3_T4_T5_T6_T7_T9_mT8_P12ihipStream_tbDpT10_ENKUlT_T0_E_clISt17integral_constantIbLb1EES1E_EEDaS19_S1A_EUlS19_E_NS1_11comp_targetILNS1_3genE10ELNS1_11target_archE1200ELNS1_3gpuE4ELNS1_3repE0EEENS1_30default_config_static_selectorELNS0_4arch9wavefront6targetE1EEEvT1_, .Lfunc_end27-_ZN7rocprim17ROCPRIM_400000_NS6detail17trampoline_kernelINS0_14default_configENS1_25partition_config_selectorILNS1_17partition_subalgoE8EbNS0_10empty_typeEbEEZZNS1_14partition_implILS5_8ELb0ES3_jN6hipcub16HIPCUB_304000_NS22TransformInputIteratorIbN2at6native8internal12_GLOBAL__N_110LoadBoolOpEPKhlEEPS6_PKS6_NS0_5tupleIJPbS6_EEENSN_IJSK_SK_EEENS0_18inequality_wrapperINSA_8EqualityEEEPlJS6_EEE10hipError_tPvRmT3_T4_T5_T6_T7_T9_mT8_P12ihipStream_tbDpT10_ENKUlT_T0_E_clISt17integral_constantIbLb1EES1E_EEDaS19_S1A_EUlS19_E_NS1_11comp_targetILNS1_3genE10ELNS1_11target_archE1200ELNS1_3gpuE4ELNS1_3repE0EEENS1_30default_config_static_selectorELNS0_4arch9wavefront6targetE1EEEvT1_
                                        ; -- End function
	.section	.AMDGPU.csdata,"",@progbits
; Kernel info:
; codeLenInByte = 0
; NumSgprs: 6
; NumVgprs: 0
; NumAgprs: 0
; TotalNumVgprs: 0
; ScratchSize: 0
; MemoryBound: 0
; FloatMode: 240
; IeeeMode: 1
; LDSByteSize: 0 bytes/workgroup (compile time only)
; SGPRBlocks: 0
; VGPRBlocks: 0
; NumSGPRsForWavesPerEU: 6
; NumVGPRsForWavesPerEU: 1
; AccumOffset: 4
; Occupancy: 8
; WaveLimiterHint : 0
; COMPUTE_PGM_RSRC2:SCRATCH_EN: 0
; COMPUTE_PGM_RSRC2:USER_SGPR: 2
; COMPUTE_PGM_RSRC2:TRAP_HANDLER: 0
; COMPUTE_PGM_RSRC2:TGID_X_EN: 1
; COMPUTE_PGM_RSRC2:TGID_Y_EN: 0
; COMPUTE_PGM_RSRC2:TGID_Z_EN: 0
; COMPUTE_PGM_RSRC2:TIDIG_COMP_CNT: 0
; COMPUTE_PGM_RSRC3_GFX90A:ACCUM_OFFSET: 0
; COMPUTE_PGM_RSRC3_GFX90A:TG_SPLIT: 0
	.section	.text._ZN7rocprim17ROCPRIM_400000_NS6detail17trampoline_kernelINS0_14default_configENS1_25partition_config_selectorILNS1_17partition_subalgoE8EbNS0_10empty_typeEbEEZZNS1_14partition_implILS5_8ELb0ES3_jN6hipcub16HIPCUB_304000_NS22TransformInputIteratorIbN2at6native8internal12_GLOBAL__N_110LoadBoolOpEPKhlEEPS6_PKS6_NS0_5tupleIJPbS6_EEENSN_IJSK_SK_EEENS0_18inequality_wrapperINSA_8EqualityEEEPlJS6_EEE10hipError_tPvRmT3_T4_T5_T6_T7_T9_mT8_P12ihipStream_tbDpT10_ENKUlT_T0_E_clISt17integral_constantIbLb1EES1E_EEDaS19_S1A_EUlS19_E_NS1_11comp_targetILNS1_3genE9ELNS1_11target_archE1100ELNS1_3gpuE3ELNS1_3repE0EEENS1_30default_config_static_selectorELNS0_4arch9wavefront6targetE1EEEvT1_,"axG",@progbits,_ZN7rocprim17ROCPRIM_400000_NS6detail17trampoline_kernelINS0_14default_configENS1_25partition_config_selectorILNS1_17partition_subalgoE8EbNS0_10empty_typeEbEEZZNS1_14partition_implILS5_8ELb0ES3_jN6hipcub16HIPCUB_304000_NS22TransformInputIteratorIbN2at6native8internal12_GLOBAL__N_110LoadBoolOpEPKhlEEPS6_PKS6_NS0_5tupleIJPbS6_EEENSN_IJSK_SK_EEENS0_18inequality_wrapperINSA_8EqualityEEEPlJS6_EEE10hipError_tPvRmT3_T4_T5_T6_T7_T9_mT8_P12ihipStream_tbDpT10_ENKUlT_T0_E_clISt17integral_constantIbLb1EES1E_EEDaS19_S1A_EUlS19_E_NS1_11comp_targetILNS1_3genE9ELNS1_11target_archE1100ELNS1_3gpuE3ELNS1_3repE0EEENS1_30default_config_static_selectorELNS0_4arch9wavefront6targetE1EEEvT1_,comdat
	.globl	_ZN7rocprim17ROCPRIM_400000_NS6detail17trampoline_kernelINS0_14default_configENS1_25partition_config_selectorILNS1_17partition_subalgoE8EbNS0_10empty_typeEbEEZZNS1_14partition_implILS5_8ELb0ES3_jN6hipcub16HIPCUB_304000_NS22TransformInputIteratorIbN2at6native8internal12_GLOBAL__N_110LoadBoolOpEPKhlEEPS6_PKS6_NS0_5tupleIJPbS6_EEENSN_IJSK_SK_EEENS0_18inequality_wrapperINSA_8EqualityEEEPlJS6_EEE10hipError_tPvRmT3_T4_T5_T6_T7_T9_mT8_P12ihipStream_tbDpT10_ENKUlT_T0_E_clISt17integral_constantIbLb1EES1E_EEDaS19_S1A_EUlS19_E_NS1_11comp_targetILNS1_3genE9ELNS1_11target_archE1100ELNS1_3gpuE3ELNS1_3repE0EEENS1_30default_config_static_selectorELNS0_4arch9wavefront6targetE1EEEvT1_ ; -- Begin function _ZN7rocprim17ROCPRIM_400000_NS6detail17trampoline_kernelINS0_14default_configENS1_25partition_config_selectorILNS1_17partition_subalgoE8EbNS0_10empty_typeEbEEZZNS1_14partition_implILS5_8ELb0ES3_jN6hipcub16HIPCUB_304000_NS22TransformInputIteratorIbN2at6native8internal12_GLOBAL__N_110LoadBoolOpEPKhlEEPS6_PKS6_NS0_5tupleIJPbS6_EEENSN_IJSK_SK_EEENS0_18inequality_wrapperINSA_8EqualityEEEPlJS6_EEE10hipError_tPvRmT3_T4_T5_T6_T7_T9_mT8_P12ihipStream_tbDpT10_ENKUlT_T0_E_clISt17integral_constantIbLb1EES1E_EEDaS19_S1A_EUlS19_E_NS1_11comp_targetILNS1_3genE9ELNS1_11target_archE1100ELNS1_3gpuE3ELNS1_3repE0EEENS1_30default_config_static_selectorELNS0_4arch9wavefront6targetE1EEEvT1_
	.p2align	8
	.type	_ZN7rocprim17ROCPRIM_400000_NS6detail17trampoline_kernelINS0_14default_configENS1_25partition_config_selectorILNS1_17partition_subalgoE8EbNS0_10empty_typeEbEEZZNS1_14partition_implILS5_8ELb0ES3_jN6hipcub16HIPCUB_304000_NS22TransformInputIteratorIbN2at6native8internal12_GLOBAL__N_110LoadBoolOpEPKhlEEPS6_PKS6_NS0_5tupleIJPbS6_EEENSN_IJSK_SK_EEENS0_18inequality_wrapperINSA_8EqualityEEEPlJS6_EEE10hipError_tPvRmT3_T4_T5_T6_T7_T9_mT8_P12ihipStream_tbDpT10_ENKUlT_T0_E_clISt17integral_constantIbLb1EES1E_EEDaS19_S1A_EUlS19_E_NS1_11comp_targetILNS1_3genE9ELNS1_11target_archE1100ELNS1_3gpuE3ELNS1_3repE0EEENS1_30default_config_static_selectorELNS0_4arch9wavefront6targetE1EEEvT1_,@function
_ZN7rocprim17ROCPRIM_400000_NS6detail17trampoline_kernelINS0_14default_configENS1_25partition_config_selectorILNS1_17partition_subalgoE8EbNS0_10empty_typeEbEEZZNS1_14partition_implILS5_8ELb0ES3_jN6hipcub16HIPCUB_304000_NS22TransformInputIteratorIbN2at6native8internal12_GLOBAL__N_110LoadBoolOpEPKhlEEPS6_PKS6_NS0_5tupleIJPbS6_EEENSN_IJSK_SK_EEENS0_18inequality_wrapperINSA_8EqualityEEEPlJS6_EEE10hipError_tPvRmT3_T4_T5_T6_T7_T9_mT8_P12ihipStream_tbDpT10_ENKUlT_T0_E_clISt17integral_constantIbLb1EES1E_EEDaS19_S1A_EUlS19_E_NS1_11comp_targetILNS1_3genE9ELNS1_11target_archE1100ELNS1_3gpuE3ELNS1_3repE0EEENS1_30default_config_static_selectorELNS0_4arch9wavefront6targetE1EEEvT1_: ; @_ZN7rocprim17ROCPRIM_400000_NS6detail17trampoline_kernelINS0_14default_configENS1_25partition_config_selectorILNS1_17partition_subalgoE8EbNS0_10empty_typeEbEEZZNS1_14partition_implILS5_8ELb0ES3_jN6hipcub16HIPCUB_304000_NS22TransformInputIteratorIbN2at6native8internal12_GLOBAL__N_110LoadBoolOpEPKhlEEPS6_PKS6_NS0_5tupleIJPbS6_EEENSN_IJSK_SK_EEENS0_18inequality_wrapperINSA_8EqualityEEEPlJS6_EEE10hipError_tPvRmT3_T4_T5_T6_T7_T9_mT8_P12ihipStream_tbDpT10_ENKUlT_T0_E_clISt17integral_constantIbLb1EES1E_EEDaS19_S1A_EUlS19_E_NS1_11comp_targetILNS1_3genE9ELNS1_11target_archE1100ELNS1_3gpuE3ELNS1_3repE0EEENS1_30default_config_static_selectorELNS0_4arch9wavefront6targetE1EEEvT1_
; %bb.0:
	.section	.rodata,"a",@progbits
	.p2align	6, 0x0
	.amdhsa_kernel _ZN7rocprim17ROCPRIM_400000_NS6detail17trampoline_kernelINS0_14default_configENS1_25partition_config_selectorILNS1_17partition_subalgoE8EbNS0_10empty_typeEbEEZZNS1_14partition_implILS5_8ELb0ES3_jN6hipcub16HIPCUB_304000_NS22TransformInputIteratorIbN2at6native8internal12_GLOBAL__N_110LoadBoolOpEPKhlEEPS6_PKS6_NS0_5tupleIJPbS6_EEENSN_IJSK_SK_EEENS0_18inequality_wrapperINSA_8EqualityEEEPlJS6_EEE10hipError_tPvRmT3_T4_T5_T6_T7_T9_mT8_P12ihipStream_tbDpT10_ENKUlT_T0_E_clISt17integral_constantIbLb1EES1E_EEDaS19_S1A_EUlS19_E_NS1_11comp_targetILNS1_3genE9ELNS1_11target_archE1100ELNS1_3gpuE3ELNS1_3repE0EEENS1_30default_config_static_selectorELNS0_4arch9wavefront6targetE1EEEvT1_
		.amdhsa_group_segment_fixed_size 0
		.amdhsa_private_segment_fixed_size 0
		.amdhsa_kernarg_size 136
		.amdhsa_user_sgpr_count 2
		.amdhsa_user_sgpr_dispatch_ptr 0
		.amdhsa_user_sgpr_queue_ptr 0
		.amdhsa_user_sgpr_kernarg_segment_ptr 1
		.amdhsa_user_sgpr_dispatch_id 0
		.amdhsa_user_sgpr_kernarg_preload_length 0
		.amdhsa_user_sgpr_kernarg_preload_offset 0
		.amdhsa_user_sgpr_private_segment_size 0
		.amdhsa_uses_dynamic_stack 0
		.amdhsa_enable_private_segment 0
		.amdhsa_system_sgpr_workgroup_id_x 1
		.amdhsa_system_sgpr_workgroup_id_y 0
		.amdhsa_system_sgpr_workgroup_id_z 0
		.amdhsa_system_sgpr_workgroup_info 0
		.amdhsa_system_vgpr_workitem_id 0
		.amdhsa_next_free_vgpr 1
		.amdhsa_next_free_sgpr 0
		.amdhsa_accum_offset 4
		.amdhsa_reserve_vcc 0
		.amdhsa_float_round_mode_32 0
		.amdhsa_float_round_mode_16_64 0
		.amdhsa_float_denorm_mode_32 3
		.amdhsa_float_denorm_mode_16_64 3
		.amdhsa_dx10_clamp 1
		.amdhsa_ieee_mode 1
		.amdhsa_fp16_overflow 0
		.amdhsa_tg_split 0
		.amdhsa_exception_fp_ieee_invalid_op 0
		.amdhsa_exception_fp_denorm_src 0
		.amdhsa_exception_fp_ieee_div_zero 0
		.amdhsa_exception_fp_ieee_overflow 0
		.amdhsa_exception_fp_ieee_underflow 0
		.amdhsa_exception_fp_ieee_inexact 0
		.amdhsa_exception_int_div_zero 0
	.end_amdhsa_kernel
	.section	.text._ZN7rocprim17ROCPRIM_400000_NS6detail17trampoline_kernelINS0_14default_configENS1_25partition_config_selectorILNS1_17partition_subalgoE8EbNS0_10empty_typeEbEEZZNS1_14partition_implILS5_8ELb0ES3_jN6hipcub16HIPCUB_304000_NS22TransformInputIteratorIbN2at6native8internal12_GLOBAL__N_110LoadBoolOpEPKhlEEPS6_PKS6_NS0_5tupleIJPbS6_EEENSN_IJSK_SK_EEENS0_18inequality_wrapperINSA_8EqualityEEEPlJS6_EEE10hipError_tPvRmT3_T4_T5_T6_T7_T9_mT8_P12ihipStream_tbDpT10_ENKUlT_T0_E_clISt17integral_constantIbLb1EES1E_EEDaS19_S1A_EUlS19_E_NS1_11comp_targetILNS1_3genE9ELNS1_11target_archE1100ELNS1_3gpuE3ELNS1_3repE0EEENS1_30default_config_static_selectorELNS0_4arch9wavefront6targetE1EEEvT1_,"axG",@progbits,_ZN7rocprim17ROCPRIM_400000_NS6detail17trampoline_kernelINS0_14default_configENS1_25partition_config_selectorILNS1_17partition_subalgoE8EbNS0_10empty_typeEbEEZZNS1_14partition_implILS5_8ELb0ES3_jN6hipcub16HIPCUB_304000_NS22TransformInputIteratorIbN2at6native8internal12_GLOBAL__N_110LoadBoolOpEPKhlEEPS6_PKS6_NS0_5tupleIJPbS6_EEENSN_IJSK_SK_EEENS0_18inequality_wrapperINSA_8EqualityEEEPlJS6_EEE10hipError_tPvRmT3_T4_T5_T6_T7_T9_mT8_P12ihipStream_tbDpT10_ENKUlT_T0_E_clISt17integral_constantIbLb1EES1E_EEDaS19_S1A_EUlS19_E_NS1_11comp_targetILNS1_3genE9ELNS1_11target_archE1100ELNS1_3gpuE3ELNS1_3repE0EEENS1_30default_config_static_selectorELNS0_4arch9wavefront6targetE1EEEvT1_,comdat
.Lfunc_end28:
	.size	_ZN7rocprim17ROCPRIM_400000_NS6detail17trampoline_kernelINS0_14default_configENS1_25partition_config_selectorILNS1_17partition_subalgoE8EbNS0_10empty_typeEbEEZZNS1_14partition_implILS5_8ELb0ES3_jN6hipcub16HIPCUB_304000_NS22TransformInputIteratorIbN2at6native8internal12_GLOBAL__N_110LoadBoolOpEPKhlEEPS6_PKS6_NS0_5tupleIJPbS6_EEENSN_IJSK_SK_EEENS0_18inequality_wrapperINSA_8EqualityEEEPlJS6_EEE10hipError_tPvRmT3_T4_T5_T6_T7_T9_mT8_P12ihipStream_tbDpT10_ENKUlT_T0_E_clISt17integral_constantIbLb1EES1E_EEDaS19_S1A_EUlS19_E_NS1_11comp_targetILNS1_3genE9ELNS1_11target_archE1100ELNS1_3gpuE3ELNS1_3repE0EEENS1_30default_config_static_selectorELNS0_4arch9wavefront6targetE1EEEvT1_, .Lfunc_end28-_ZN7rocprim17ROCPRIM_400000_NS6detail17trampoline_kernelINS0_14default_configENS1_25partition_config_selectorILNS1_17partition_subalgoE8EbNS0_10empty_typeEbEEZZNS1_14partition_implILS5_8ELb0ES3_jN6hipcub16HIPCUB_304000_NS22TransformInputIteratorIbN2at6native8internal12_GLOBAL__N_110LoadBoolOpEPKhlEEPS6_PKS6_NS0_5tupleIJPbS6_EEENSN_IJSK_SK_EEENS0_18inequality_wrapperINSA_8EqualityEEEPlJS6_EEE10hipError_tPvRmT3_T4_T5_T6_T7_T9_mT8_P12ihipStream_tbDpT10_ENKUlT_T0_E_clISt17integral_constantIbLb1EES1E_EEDaS19_S1A_EUlS19_E_NS1_11comp_targetILNS1_3genE9ELNS1_11target_archE1100ELNS1_3gpuE3ELNS1_3repE0EEENS1_30default_config_static_selectorELNS0_4arch9wavefront6targetE1EEEvT1_
                                        ; -- End function
	.section	.AMDGPU.csdata,"",@progbits
; Kernel info:
; codeLenInByte = 0
; NumSgprs: 6
; NumVgprs: 0
; NumAgprs: 0
; TotalNumVgprs: 0
; ScratchSize: 0
; MemoryBound: 0
; FloatMode: 240
; IeeeMode: 1
; LDSByteSize: 0 bytes/workgroup (compile time only)
; SGPRBlocks: 0
; VGPRBlocks: 0
; NumSGPRsForWavesPerEU: 6
; NumVGPRsForWavesPerEU: 1
; AccumOffset: 4
; Occupancy: 8
; WaveLimiterHint : 0
; COMPUTE_PGM_RSRC2:SCRATCH_EN: 0
; COMPUTE_PGM_RSRC2:USER_SGPR: 2
; COMPUTE_PGM_RSRC2:TRAP_HANDLER: 0
; COMPUTE_PGM_RSRC2:TGID_X_EN: 1
; COMPUTE_PGM_RSRC2:TGID_Y_EN: 0
; COMPUTE_PGM_RSRC2:TGID_Z_EN: 0
; COMPUTE_PGM_RSRC2:TIDIG_COMP_CNT: 0
; COMPUTE_PGM_RSRC3_GFX90A:ACCUM_OFFSET: 0
; COMPUTE_PGM_RSRC3_GFX90A:TG_SPLIT: 0
	.section	.text._ZN7rocprim17ROCPRIM_400000_NS6detail17trampoline_kernelINS0_14default_configENS1_25partition_config_selectorILNS1_17partition_subalgoE8EbNS0_10empty_typeEbEEZZNS1_14partition_implILS5_8ELb0ES3_jN6hipcub16HIPCUB_304000_NS22TransformInputIteratorIbN2at6native8internal12_GLOBAL__N_110LoadBoolOpEPKhlEEPS6_PKS6_NS0_5tupleIJPbS6_EEENSN_IJSK_SK_EEENS0_18inequality_wrapperINSA_8EqualityEEEPlJS6_EEE10hipError_tPvRmT3_T4_T5_T6_T7_T9_mT8_P12ihipStream_tbDpT10_ENKUlT_T0_E_clISt17integral_constantIbLb1EES1E_EEDaS19_S1A_EUlS19_E_NS1_11comp_targetILNS1_3genE8ELNS1_11target_archE1030ELNS1_3gpuE2ELNS1_3repE0EEENS1_30default_config_static_selectorELNS0_4arch9wavefront6targetE1EEEvT1_,"axG",@progbits,_ZN7rocprim17ROCPRIM_400000_NS6detail17trampoline_kernelINS0_14default_configENS1_25partition_config_selectorILNS1_17partition_subalgoE8EbNS0_10empty_typeEbEEZZNS1_14partition_implILS5_8ELb0ES3_jN6hipcub16HIPCUB_304000_NS22TransformInputIteratorIbN2at6native8internal12_GLOBAL__N_110LoadBoolOpEPKhlEEPS6_PKS6_NS0_5tupleIJPbS6_EEENSN_IJSK_SK_EEENS0_18inequality_wrapperINSA_8EqualityEEEPlJS6_EEE10hipError_tPvRmT3_T4_T5_T6_T7_T9_mT8_P12ihipStream_tbDpT10_ENKUlT_T0_E_clISt17integral_constantIbLb1EES1E_EEDaS19_S1A_EUlS19_E_NS1_11comp_targetILNS1_3genE8ELNS1_11target_archE1030ELNS1_3gpuE2ELNS1_3repE0EEENS1_30default_config_static_selectorELNS0_4arch9wavefront6targetE1EEEvT1_,comdat
	.globl	_ZN7rocprim17ROCPRIM_400000_NS6detail17trampoline_kernelINS0_14default_configENS1_25partition_config_selectorILNS1_17partition_subalgoE8EbNS0_10empty_typeEbEEZZNS1_14partition_implILS5_8ELb0ES3_jN6hipcub16HIPCUB_304000_NS22TransformInputIteratorIbN2at6native8internal12_GLOBAL__N_110LoadBoolOpEPKhlEEPS6_PKS6_NS0_5tupleIJPbS6_EEENSN_IJSK_SK_EEENS0_18inequality_wrapperINSA_8EqualityEEEPlJS6_EEE10hipError_tPvRmT3_T4_T5_T6_T7_T9_mT8_P12ihipStream_tbDpT10_ENKUlT_T0_E_clISt17integral_constantIbLb1EES1E_EEDaS19_S1A_EUlS19_E_NS1_11comp_targetILNS1_3genE8ELNS1_11target_archE1030ELNS1_3gpuE2ELNS1_3repE0EEENS1_30default_config_static_selectorELNS0_4arch9wavefront6targetE1EEEvT1_ ; -- Begin function _ZN7rocprim17ROCPRIM_400000_NS6detail17trampoline_kernelINS0_14default_configENS1_25partition_config_selectorILNS1_17partition_subalgoE8EbNS0_10empty_typeEbEEZZNS1_14partition_implILS5_8ELb0ES3_jN6hipcub16HIPCUB_304000_NS22TransformInputIteratorIbN2at6native8internal12_GLOBAL__N_110LoadBoolOpEPKhlEEPS6_PKS6_NS0_5tupleIJPbS6_EEENSN_IJSK_SK_EEENS0_18inequality_wrapperINSA_8EqualityEEEPlJS6_EEE10hipError_tPvRmT3_T4_T5_T6_T7_T9_mT8_P12ihipStream_tbDpT10_ENKUlT_T0_E_clISt17integral_constantIbLb1EES1E_EEDaS19_S1A_EUlS19_E_NS1_11comp_targetILNS1_3genE8ELNS1_11target_archE1030ELNS1_3gpuE2ELNS1_3repE0EEENS1_30default_config_static_selectorELNS0_4arch9wavefront6targetE1EEEvT1_
	.p2align	8
	.type	_ZN7rocprim17ROCPRIM_400000_NS6detail17trampoline_kernelINS0_14default_configENS1_25partition_config_selectorILNS1_17partition_subalgoE8EbNS0_10empty_typeEbEEZZNS1_14partition_implILS5_8ELb0ES3_jN6hipcub16HIPCUB_304000_NS22TransformInputIteratorIbN2at6native8internal12_GLOBAL__N_110LoadBoolOpEPKhlEEPS6_PKS6_NS0_5tupleIJPbS6_EEENSN_IJSK_SK_EEENS0_18inequality_wrapperINSA_8EqualityEEEPlJS6_EEE10hipError_tPvRmT3_T4_T5_T6_T7_T9_mT8_P12ihipStream_tbDpT10_ENKUlT_T0_E_clISt17integral_constantIbLb1EES1E_EEDaS19_S1A_EUlS19_E_NS1_11comp_targetILNS1_3genE8ELNS1_11target_archE1030ELNS1_3gpuE2ELNS1_3repE0EEENS1_30default_config_static_selectorELNS0_4arch9wavefront6targetE1EEEvT1_,@function
_ZN7rocprim17ROCPRIM_400000_NS6detail17trampoline_kernelINS0_14default_configENS1_25partition_config_selectorILNS1_17partition_subalgoE8EbNS0_10empty_typeEbEEZZNS1_14partition_implILS5_8ELb0ES3_jN6hipcub16HIPCUB_304000_NS22TransformInputIteratorIbN2at6native8internal12_GLOBAL__N_110LoadBoolOpEPKhlEEPS6_PKS6_NS0_5tupleIJPbS6_EEENSN_IJSK_SK_EEENS0_18inequality_wrapperINSA_8EqualityEEEPlJS6_EEE10hipError_tPvRmT3_T4_T5_T6_T7_T9_mT8_P12ihipStream_tbDpT10_ENKUlT_T0_E_clISt17integral_constantIbLb1EES1E_EEDaS19_S1A_EUlS19_E_NS1_11comp_targetILNS1_3genE8ELNS1_11target_archE1030ELNS1_3gpuE2ELNS1_3repE0EEENS1_30default_config_static_selectorELNS0_4arch9wavefront6targetE1EEEvT1_: ; @_ZN7rocprim17ROCPRIM_400000_NS6detail17trampoline_kernelINS0_14default_configENS1_25partition_config_selectorILNS1_17partition_subalgoE8EbNS0_10empty_typeEbEEZZNS1_14partition_implILS5_8ELb0ES3_jN6hipcub16HIPCUB_304000_NS22TransformInputIteratorIbN2at6native8internal12_GLOBAL__N_110LoadBoolOpEPKhlEEPS6_PKS6_NS0_5tupleIJPbS6_EEENSN_IJSK_SK_EEENS0_18inequality_wrapperINSA_8EqualityEEEPlJS6_EEE10hipError_tPvRmT3_T4_T5_T6_T7_T9_mT8_P12ihipStream_tbDpT10_ENKUlT_T0_E_clISt17integral_constantIbLb1EES1E_EEDaS19_S1A_EUlS19_E_NS1_11comp_targetILNS1_3genE8ELNS1_11target_archE1030ELNS1_3gpuE2ELNS1_3repE0EEENS1_30default_config_static_selectorELNS0_4arch9wavefront6targetE1EEEvT1_
; %bb.0:
	.section	.rodata,"a",@progbits
	.p2align	6, 0x0
	.amdhsa_kernel _ZN7rocprim17ROCPRIM_400000_NS6detail17trampoline_kernelINS0_14default_configENS1_25partition_config_selectorILNS1_17partition_subalgoE8EbNS0_10empty_typeEbEEZZNS1_14partition_implILS5_8ELb0ES3_jN6hipcub16HIPCUB_304000_NS22TransformInputIteratorIbN2at6native8internal12_GLOBAL__N_110LoadBoolOpEPKhlEEPS6_PKS6_NS0_5tupleIJPbS6_EEENSN_IJSK_SK_EEENS0_18inequality_wrapperINSA_8EqualityEEEPlJS6_EEE10hipError_tPvRmT3_T4_T5_T6_T7_T9_mT8_P12ihipStream_tbDpT10_ENKUlT_T0_E_clISt17integral_constantIbLb1EES1E_EEDaS19_S1A_EUlS19_E_NS1_11comp_targetILNS1_3genE8ELNS1_11target_archE1030ELNS1_3gpuE2ELNS1_3repE0EEENS1_30default_config_static_selectorELNS0_4arch9wavefront6targetE1EEEvT1_
		.amdhsa_group_segment_fixed_size 0
		.amdhsa_private_segment_fixed_size 0
		.amdhsa_kernarg_size 136
		.amdhsa_user_sgpr_count 2
		.amdhsa_user_sgpr_dispatch_ptr 0
		.amdhsa_user_sgpr_queue_ptr 0
		.amdhsa_user_sgpr_kernarg_segment_ptr 1
		.amdhsa_user_sgpr_dispatch_id 0
		.amdhsa_user_sgpr_kernarg_preload_length 0
		.amdhsa_user_sgpr_kernarg_preload_offset 0
		.amdhsa_user_sgpr_private_segment_size 0
		.amdhsa_uses_dynamic_stack 0
		.amdhsa_enable_private_segment 0
		.amdhsa_system_sgpr_workgroup_id_x 1
		.amdhsa_system_sgpr_workgroup_id_y 0
		.amdhsa_system_sgpr_workgroup_id_z 0
		.amdhsa_system_sgpr_workgroup_info 0
		.amdhsa_system_vgpr_workitem_id 0
		.amdhsa_next_free_vgpr 1
		.amdhsa_next_free_sgpr 0
		.amdhsa_accum_offset 4
		.amdhsa_reserve_vcc 0
		.amdhsa_float_round_mode_32 0
		.amdhsa_float_round_mode_16_64 0
		.amdhsa_float_denorm_mode_32 3
		.amdhsa_float_denorm_mode_16_64 3
		.amdhsa_dx10_clamp 1
		.amdhsa_ieee_mode 1
		.amdhsa_fp16_overflow 0
		.amdhsa_tg_split 0
		.amdhsa_exception_fp_ieee_invalid_op 0
		.amdhsa_exception_fp_denorm_src 0
		.amdhsa_exception_fp_ieee_div_zero 0
		.amdhsa_exception_fp_ieee_overflow 0
		.amdhsa_exception_fp_ieee_underflow 0
		.amdhsa_exception_fp_ieee_inexact 0
		.amdhsa_exception_int_div_zero 0
	.end_amdhsa_kernel
	.section	.text._ZN7rocprim17ROCPRIM_400000_NS6detail17trampoline_kernelINS0_14default_configENS1_25partition_config_selectorILNS1_17partition_subalgoE8EbNS0_10empty_typeEbEEZZNS1_14partition_implILS5_8ELb0ES3_jN6hipcub16HIPCUB_304000_NS22TransformInputIteratorIbN2at6native8internal12_GLOBAL__N_110LoadBoolOpEPKhlEEPS6_PKS6_NS0_5tupleIJPbS6_EEENSN_IJSK_SK_EEENS0_18inequality_wrapperINSA_8EqualityEEEPlJS6_EEE10hipError_tPvRmT3_T4_T5_T6_T7_T9_mT8_P12ihipStream_tbDpT10_ENKUlT_T0_E_clISt17integral_constantIbLb1EES1E_EEDaS19_S1A_EUlS19_E_NS1_11comp_targetILNS1_3genE8ELNS1_11target_archE1030ELNS1_3gpuE2ELNS1_3repE0EEENS1_30default_config_static_selectorELNS0_4arch9wavefront6targetE1EEEvT1_,"axG",@progbits,_ZN7rocprim17ROCPRIM_400000_NS6detail17trampoline_kernelINS0_14default_configENS1_25partition_config_selectorILNS1_17partition_subalgoE8EbNS0_10empty_typeEbEEZZNS1_14partition_implILS5_8ELb0ES3_jN6hipcub16HIPCUB_304000_NS22TransformInputIteratorIbN2at6native8internal12_GLOBAL__N_110LoadBoolOpEPKhlEEPS6_PKS6_NS0_5tupleIJPbS6_EEENSN_IJSK_SK_EEENS0_18inequality_wrapperINSA_8EqualityEEEPlJS6_EEE10hipError_tPvRmT3_T4_T5_T6_T7_T9_mT8_P12ihipStream_tbDpT10_ENKUlT_T0_E_clISt17integral_constantIbLb1EES1E_EEDaS19_S1A_EUlS19_E_NS1_11comp_targetILNS1_3genE8ELNS1_11target_archE1030ELNS1_3gpuE2ELNS1_3repE0EEENS1_30default_config_static_selectorELNS0_4arch9wavefront6targetE1EEEvT1_,comdat
.Lfunc_end29:
	.size	_ZN7rocprim17ROCPRIM_400000_NS6detail17trampoline_kernelINS0_14default_configENS1_25partition_config_selectorILNS1_17partition_subalgoE8EbNS0_10empty_typeEbEEZZNS1_14partition_implILS5_8ELb0ES3_jN6hipcub16HIPCUB_304000_NS22TransformInputIteratorIbN2at6native8internal12_GLOBAL__N_110LoadBoolOpEPKhlEEPS6_PKS6_NS0_5tupleIJPbS6_EEENSN_IJSK_SK_EEENS0_18inequality_wrapperINSA_8EqualityEEEPlJS6_EEE10hipError_tPvRmT3_T4_T5_T6_T7_T9_mT8_P12ihipStream_tbDpT10_ENKUlT_T0_E_clISt17integral_constantIbLb1EES1E_EEDaS19_S1A_EUlS19_E_NS1_11comp_targetILNS1_3genE8ELNS1_11target_archE1030ELNS1_3gpuE2ELNS1_3repE0EEENS1_30default_config_static_selectorELNS0_4arch9wavefront6targetE1EEEvT1_, .Lfunc_end29-_ZN7rocprim17ROCPRIM_400000_NS6detail17trampoline_kernelINS0_14default_configENS1_25partition_config_selectorILNS1_17partition_subalgoE8EbNS0_10empty_typeEbEEZZNS1_14partition_implILS5_8ELb0ES3_jN6hipcub16HIPCUB_304000_NS22TransformInputIteratorIbN2at6native8internal12_GLOBAL__N_110LoadBoolOpEPKhlEEPS6_PKS6_NS0_5tupleIJPbS6_EEENSN_IJSK_SK_EEENS0_18inequality_wrapperINSA_8EqualityEEEPlJS6_EEE10hipError_tPvRmT3_T4_T5_T6_T7_T9_mT8_P12ihipStream_tbDpT10_ENKUlT_T0_E_clISt17integral_constantIbLb1EES1E_EEDaS19_S1A_EUlS19_E_NS1_11comp_targetILNS1_3genE8ELNS1_11target_archE1030ELNS1_3gpuE2ELNS1_3repE0EEENS1_30default_config_static_selectorELNS0_4arch9wavefront6targetE1EEEvT1_
                                        ; -- End function
	.section	.AMDGPU.csdata,"",@progbits
; Kernel info:
; codeLenInByte = 0
; NumSgprs: 6
; NumVgprs: 0
; NumAgprs: 0
; TotalNumVgprs: 0
; ScratchSize: 0
; MemoryBound: 0
; FloatMode: 240
; IeeeMode: 1
; LDSByteSize: 0 bytes/workgroup (compile time only)
; SGPRBlocks: 0
; VGPRBlocks: 0
; NumSGPRsForWavesPerEU: 6
; NumVGPRsForWavesPerEU: 1
; AccumOffset: 4
; Occupancy: 8
; WaveLimiterHint : 0
; COMPUTE_PGM_RSRC2:SCRATCH_EN: 0
; COMPUTE_PGM_RSRC2:USER_SGPR: 2
; COMPUTE_PGM_RSRC2:TRAP_HANDLER: 0
; COMPUTE_PGM_RSRC2:TGID_X_EN: 1
; COMPUTE_PGM_RSRC2:TGID_Y_EN: 0
; COMPUTE_PGM_RSRC2:TGID_Z_EN: 0
; COMPUTE_PGM_RSRC2:TIDIG_COMP_CNT: 0
; COMPUTE_PGM_RSRC3_GFX90A:ACCUM_OFFSET: 0
; COMPUTE_PGM_RSRC3_GFX90A:TG_SPLIT: 0
	.section	.text._ZN7rocprim17ROCPRIM_400000_NS6detail31init_lookback_scan_state_kernelINS1_19lookback_scan_stateIjLb1ELb1EEENS1_16block_id_wrapperIjLb0EEEEEvT_jT0_jPNS7_10value_typeE,"axG",@progbits,_ZN7rocprim17ROCPRIM_400000_NS6detail31init_lookback_scan_state_kernelINS1_19lookback_scan_stateIjLb1ELb1EEENS1_16block_id_wrapperIjLb0EEEEEvT_jT0_jPNS7_10value_typeE,comdat
	.protected	_ZN7rocprim17ROCPRIM_400000_NS6detail31init_lookback_scan_state_kernelINS1_19lookback_scan_stateIjLb1ELb1EEENS1_16block_id_wrapperIjLb0EEEEEvT_jT0_jPNS7_10value_typeE ; -- Begin function _ZN7rocprim17ROCPRIM_400000_NS6detail31init_lookback_scan_state_kernelINS1_19lookback_scan_stateIjLb1ELb1EEENS1_16block_id_wrapperIjLb0EEEEEvT_jT0_jPNS7_10value_typeE
	.globl	_ZN7rocprim17ROCPRIM_400000_NS6detail31init_lookback_scan_state_kernelINS1_19lookback_scan_stateIjLb1ELb1EEENS1_16block_id_wrapperIjLb0EEEEEvT_jT0_jPNS7_10value_typeE
	.p2align	8
	.type	_ZN7rocprim17ROCPRIM_400000_NS6detail31init_lookback_scan_state_kernelINS1_19lookback_scan_stateIjLb1ELb1EEENS1_16block_id_wrapperIjLb0EEEEEvT_jT0_jPNS7_10value_typeE,@function
_ZN7rocprim17ROCPRIM_400000_NS6detail31init_lookback_scan_state_kernelINS1_19lookback_scan_stateIjLb1ELb1EEENS1_16block_id_wrapperIjLb0EEEEEvT_jT0_jPNS7_10value_typeE: ; @_ZN7rocprim17ROCPRIM_400000_NS6detail31init_lookback_scan_state_kernelINS1_19lookback_scan_stateIjLb1ELb1EEENS1_16block_id_wrapperIjLb0EEEEEvT_jT0_jPNS7_10value_typeE
; %bb.0:
	s_load_dword s3, s[0:1], 0x2c
	s_load_dwordx2 s[6:7], s[0:1], 0x18
	s_load_dwordx2 s[4:5], s[0:1], 0x0
	s_load_dword s8, s[0:1], 0x8
	s_waitcnt lgkmcnt(0)
	s_and_b32 s3, s3, 0xffff
	s_mul_i32 s2, s2, s3
	s_cmp_eq_u64 s[6:7], 0
	v_add_u32_e32 v0, s2, v0
	s_cbranch_scc1 .LBB30_9
; %bb.1:
	s_load_dword s2, s[0:1], 0x10
	s_mov_b32 s3, 0
	s_waitcnt lgkmcnt(0)
	s_cmp_lt_u32 s2, s8
	s_cselect_b32 s0, s2, 0
	v_cmp_eq_u32_e32 vcc, s0, v0
	s_and_saveexec_b64 s[0:1], vcc
	s_cbranch_execz .LBB30_8
; %bb.2:
	s_add_i32 s2, s2, 64
	s_lshl_b64 s[2:3], s[2:3], 3
	s_add_u32 s2, s4, s2
	s_addc_u32 s3, s5, s3
	v_mov_b32_e32 v2, 0
	global_load_dwordx2 v[4:5], v2, s[2:3] sc1
	s_waitcnt vmcnt(0)
	v_and_b32_e32 v3, 0xff, v5
	v_cmp_ne_u64_e32 vcc, 0, v[2:3]
	s_cbranch_vccnz .LBB30_7
; %bb.3:
	s_mov_b32 s9, 1
.LBB30_4:                               ; =>This Loop Header: Depth=1
                                        ;     Child Loop BB30_5 Depth 2
	s_max_u32 s10, s9, 1
.LBB30_5:                               ;   Parent Loop BB30_4 Depth=1
                                        ; =>  This Inner Loop Header: Depth=2
	s_add_i32 s10, s10, -1
	s_cmp_eq_u32 s10, 0
	s_sleep 1
	s_cbranch_scc0 .LBB30_5
; %bb.6:                                ;   in Loop: Header=BB30_4 Depth=1
	global_load_dwordx2 v[4:5], v2, s[2:3] sc1
	s_cmp_lt_u32 s9, 32
	s_cselect_b64 s[10:11], -1, 0
	s_cmp_lg_u64 s[10:11], 0
	s_addc_u32 s9, s9, 0
	s_waitcnt vmcnt(0)
	v_and_b32_e32 v3, 0xff, v5
	v_cmp_ne_u64_e32 vcc, 0, v[2:3]
	s_cbranch_vccz .LBB30_4
.LBB30_7:
	v_mov_b32_e32 v1, 0
	global_store_dword v1, v4, s[6:7]
.LBB30_8:
	s_or_b64 exec, exec, s[0:1]
.LBB30_9:
	v_cmp_gt_u32_e32 vcc, s8, v0
	s_and_saveexec_b64 s[0:1], vcc
	s_cbranch_execnz .LBB30_12
; %bb.10:
	s_or_b64 exec, exec, s[0:1]
	v_cmp_gt_u32_e32 vcc, 64, v0
	s_and_saveexec_b64 s[0:1], vcc
	s_cbranch_execnz .LBB30_13
.LBB30_11:
	s_endpgm
.LBB30_12:
	v_add_u32_e32 v2, 64, v0
	v_mov_b32_e32 v3, 0
	v_lshl_add_u64 v[4:5], v[2:3], 3, s[4:5]
	v_mov_b32_e32 v2, v3
	global_store_dwordx2 v[4:5], v[2:3], off
	s_or_b64 exec, exec, s[0:1]
	v_cmp_gt_u32_e32 vcc, 64, v0
	s_and_saveexec_b64 s[0:1], vcc
	s_cbranch_execz .LBB30_11
.LBB30_13:
	v_mov_b32_e32 v1, 0
	v_lshl_add_u64 v[2:3], v[0:1], 3, s[4:5]
	v_mov_b32_e32 v5, 0xff
	v_mov_b32_e32 v4, v1
	global_store_dwordx2 v[2:3], v[4:5], off
	s_endpgm
	.section	.rodata,"a",@progbits
	.p2align	6, 0x0
	.amdhsa_kernel _ZN7rocprim17ROCPRIM_400000_NS6detail31init_lookback_scan_state_kernelINS1_19lookback_scan_stateIjLb1ELb1EEENS1_16block_id_wrapperIjLb0EEEEEvT_jT0_jPNS7_10value_typeE
		.amdhsa_group_segment_fixed_size 0
		.amdhsa_private_segment_fixed_size 0
		.amdhsa_kernarg_size 288
		.amdhsa_user_sgpr_count 2
		.amdhsa_user_sgpr_dispatch_ptr 0
		.amdhsa_user_sgpr_queue_ptr 0
		.amdhsa_user_sgpr_kernarg_segment_ptr 1
		.amdhsa_user_sgpr_dispatch_id 0
		.amdhsa_user_sgpr_kernarg_preload_length 0
		.amdhsa_user_sgpr_kernarg_preload_offset 0
		.amdhsa_user_sgpr_private_segment_size 0
		.amdhsa_uses_dynamic_stack 0
		.amdhsa_enable_private_segment 0
		.amdhsa_system_sgpr_workgroup_id_x 1
		.amdhsa_system_sgpr_workgroup_id_y 0
		.amdhsa_system_sgpr_workgroup_id_z 0
		.amdhsa_system_sgpr_workgroup_info 0
		.amdhsa_system_vgpr_workitem_id 0
		.amdhsa_next_free_vgpr 6
		.amdhsa_next_free_sgpr 12
		.amdhsa_accum_offset 8
		.amdhsa_reserve_vcc 1
		.amdhsa_float_round_mode_32 0
		.amdhsa_float_round_mode_16_64 0
		.amdhsa_float_denorm_mode_32 3
		.amdhsa_float_denorm_mode_16_64 3
		.amdhsa_dx10_clamp 1
		.amdhsa_ieee_mode 1
		.amdhsa_fp16_overflow 0
		.amdhsa_tg_split 0
		.amdhsa_exception_fp_ieee_invalid_op 0
		.amdhsa_exception_fp_denorm_src 0
		.amdhsa_exception_fp_ieee_div_zero 0
		.amdhsa_exception_fp_ieee_overflow 0
		.amdhsa_exception_fp_ieee_underflow 0
		.amdhsa_exception_fp_ieee_inexact 0
		.amdhsa_exception_int_div_zero 0
	.end_amdhsa_kernel
	.section	.text._ZN7rocprim17ROCPRIM_400000_NS6detail31init_lookback_scan_state_kernelINS1_19lookback_scan_stateIjLb1ELb1EEENS1_16block_id_wrapperIjLb0EEEEEvT_jT0_jPNS7_10value_typeE,"axG",@progbits,_ZN7rocprim17ROCPRIM_400000_NS6detail31init_lookback_scan_state_kernelINS1_19lookback_scan_stateIjLb1ELb1EEENS1_16block_id_wrapperIjLb0EEEEEvT_jT0_jPNS7_10value_typeE,comdat
.Lfunc_end30:
	.size	_ZN7rocprim17ROCPRIM_400000_NS6detail31init_lookback_scan_state_kernelINS1_19lookback_scan_stateIjLb1ELb1EEENS1_16block_id_wrapperIjLb0EEEEEvT_jT0_jPNS7_10value_typeE, .Lfunc_end30-_ZN7rocprim17ROCPRIM_400000_NS6detail31init_lookback_scan_state_kernelINS1_19lookback_scan_stateIjLb1ELb1EEENS1_16block_id_wrapperIjLb0EEEEEvT_jT0_jPNS7_10value_typeE
                                        ; -- End function
	.section	.AMDGPU.csdata,"",@progbits
; Kernel info:
; codeLenInByte = 340
; NumSgprs: 18
; NumVgprs: 6
; NumAgprs: 0
; TotalNumVgprs: 6
; ScratchSize: 0
; MemoryBound: 0
; FloatMode: 240
; IeeeMode: 1
; LDSByteSize: 0 bytes/workgroup (compile time only)
; SGPRBlocks: 2
; VGPRBlocks: 0
; NumSGPRsForWavesPerEU: 18
; NumVGPRsForWavesPerEU: 6
; AccumOffset: 8
; Occupancy: 8
; WaveLimiterHint : 0
; COMPUTE_PGM_RSRC2:SCRATCH_EN: 0
; COMPUTE_PGM_RSRC2:USER_SGPR: 2
; COMPUTE_PGM_RSRC2:TRAP_HANDLER: 0
; COMPUTE_PGM_RSRC2:TGID_X_EN: 1
; COMPUTE_PGM_RSRC2:TGID_Y_EN: 0
; COMPUTE_PGM_RSRC2:TGID_Z_EN: 0
; COMPUTE_PGM_RSRC2:TIDIG_COMP_CNT: 0
; COMPUTE_PGM_RSRC3_GFX90A:ACCUM_OFFSET: 1
; COMPUTE_PGM_RSRC3_GFX90A:TG_SPLIT: 0
	.section	.text._ZN7rocprim17ROCPRIM_400000_NS6detail17trampoline_kernelINS0_14default_configENS1_25partition_config_selectorILNS1_17partition_subalgoE8EbNS0_10empty_typeEbEEZZNS1_14partition_implILS5_8ELb0ES3_jN6hipcub16HIPCUB_304000_NS22TransformInputIteratorIbN2at6native8internal12_GLOBAL__N_110LoadBoolOpEPKhlEEPS6_PKS6_NS0_5tupleIJPbS6_EEENSN_IJSK_SK_EEENS0_18inequality_wrapperINSA_8EqualityEEEPlJS6_EEE10hipError_tPvRmT3_T4_T5_T6_T7_T9_mT8_P12ihipStream_tbDpT10_ENKUlT_T0_E_clISt17integral_constantIbLb1EES1D_IbLb0EEEEDaS19_S1A_EUlS19_E_NS1_11comp_targetILNS1_3genE0ELNS1_11target_archE4294967295ELNS1_3gpuE0ELNS1_3repE0EEENS1_30default_config_static_selectorELNS0_4arch9wavefront6targetE1EEEvT1_,"axG",@progbits,_ZN7rocprim17ROCPRIM_400000_NS6detail17trampoline_kernelINS0_14default_configENS1_25partition_config_selectorILNS1_17partition_subalgoE8EbNS0_10empty_typeEbEEZZNS1_14partition_implILS5_8ELb0ES3_jN6hipcub16HIPCUB_304000_NS22TransformInputIteratorIbN2at6native8internal12_GLOBAL__N_110LoadBoolOpEPKhlEEPS6_PKS6_NS0_5tupleIJPbS6_EEENSN_IJSK_SK_EEENS0_18inequality_wrapperINSA_8EqualityEEEPlJS6_EEE10hipError_tPvRmT3_T4_T5_T6_T7_T9_mT8_P12ihipStream_tbDpT10_ENKUlT_T0_E_clISt17integral_constantIbLb1EES1D_IbLb0EEEEDaS19_S1A_EUlS19_E_NS1_11comp_targetILNS1_3genE0ELNS1_11target_archE4294967295ELNS1_3gpuE0ELNS1_3repE0EEENS1_30default_config_static_selectorELNS0_4arch9wavefront6targetE1EEEvT1_,comdat
	.globl	_ZN7rocprim17ROCPRIM_400000_NS6detail17trampoline_kernelINS0_14default_configENS1_25partition_config_selectorILNS1_17partition_subalgoE8EbNS0_10empty_typeEbEEZZNS1_14partition_implILS5_8ELb0ES3_jN6hipcub16HIPCUB_304000_NS22TransformInputIteratorIbN2at6native8internal12_GLOBAL__N_110LoadBoolOpEPKhlEEPS6_PKS6_NS0_5tupleIJPbS6_EEENSN_IJSK_SK_EEENS0_18inequality_wrapperINSA_8EqualityEEEPlJS6_EEE10hipError_tPvRmT3_T4_T5_T6_T7_T9_mT8_P12ihipStream_tbDpT10_ENKUlT_T0_E_clISt17integral_constantIbLb1EES1D_IbLb0EEEEDaS19_S1A_EUlS19_E_NS1_11comp_targetILNS1_3genE0ELNS1_11target_archE4294967295ELNS1_3gpuE0ELNS1_3repE0EEENS1_30default_config_static_selectorELNS0_4arch9wavefront6targetE1EEEvT1_ ; -- Begin function _ZN7rocprim17ROCPRIM_400000_NS6detail17trampoline_kernelINS0_14default_configENS1_25partition_config_selectorILNS1_17partition_subalgoE8EbNS0_10empty_typeEbEEZZNS1_14partition_implILS5_8ELb0ES3_jN6hipcub16HIPCUB_304000_NS22TransformInputIteratorIbN2at6native8internal12_GLOBAL__N_110LoadBoolOpEPKhlEEPS6_PKS6_NS0_5tupleIJPbS6_EEENSN_IJSK_SK_EEENS0_18inequality_wrapperINSA_8EqualityEEEPlJS6_EEE10hipError_tPvRmT3_T4_T5_T6_T7_T9_mT8_P12ihipStream_tbDpT10_ENKUlT_T0_E_clISt17integral_constantIbLb1EES1D_IbLb0EEEEDaS19_S1A_EUlS19_E_NS1_11comp_targetILNS1_3genE0ELNS1_11target_archE4294967295ELNS1_3gpuE0ELNS1_3repE0EEENS1_30default_config_static_selectorELNS0_4arch9wavefront6targetE1EEEvT1_
	.p2align	8
	.type	_ZN7rocprim17ROCPRIM_400000_NS6detail17trampoline_kernelINS0_14default_configENS1_25partition_config_selectorILNS1_17partition_subalgoE8EbNS0_10empty_typeEbEEZZNS1_14partition_implILS5_8ELb0ES3_jN6hipcub16HIPCUB_304000_NS22TransformInputIteratorIbN2at6native8internal12_GLOBAL__N_110LoadBoolOpEPKhlEEPS6_PKS6_NS0_5tupleIJPbS6_EEENSN_IJSK_SK_EEENS0_18inequality_wrapperINSA_8EqualityEEEPlJS6_EEE10hipError_tPvRmT3_T4_T5_T6_T7_T9_mT8_P12ihipStream_tbDpT10_ENKUlT_T0_E_clISt17integral_constantIbLb1EES1D_IbLb0EEEEDaS19_S1A_EUlS19_E_NS1_11comp_targetILNS1_3genE0ELNS1_11target_archE4294967295ELNS1_3gpuE0ELNS1_3repE0EEENS1_30default_config_static_selectorELNS0_4arch9wavefront6targetE1EEEvT1_,@function
_ZN7rocprim17ROCPRIM_400000_NS6detail17trampoline_kernelINS0_14default_configENS1_25partition_config_selectorILNS1_17partition_subalgoE8EbNS0_10empty_typeEbEEZZNS1_14partition_implILS5_8ELb0ES3_jN6hipcub16HIPCUB_304000_NS22TransformInputIteratorIbN2at6native8internal12_GLOBAL__N_110LoadBoolOpEPKhlEEPS6_PKS6_NS0_5tupleIJPbS6_EEENSN_IJSK_SK_EEENS0_18inequality_wrapperINSA_8EqualityEEEPlJS6_EEE10hipError_tPvRmT3_T4_T5_T6_T7_T9_mT8_P12ihipStream_tbDpT10_ENKUlT_T0_E_clISt17integral_constantIbLb1EES1D_IbLb0EEEEDaS19_S1A_EUlS19_E_NS1_11comp_targetILNS1_3genE0ELNS1_11target_archE4294967295ELNS1_3gpuE0ELNS1_3repE0EEENS1_30default_config_static_selectorELNS0_4arch9wavefront6targetE1EEEvT1_: ; @_ZN7rocprim17ROCPRIM_400000_NS6detail17trampoline_kernelINS0_14default_configENS1_25partition_config_selectorILNS1_17partition_subalgoE8EbNS0_10empty_typeEbEEZZNS1_14partition_implILS5_8ELb0ES3_jN6hipcub16HIPCUB_304000_NS22TransformInputIteratorIbN2at6native8internal12_GLOBAL__N_110LoadBoolOpEPKhlEEPS6_PKS6_NS0_5tupleIJPbS6_EEENSN_IJSK_SK_EEENS0_18inequality_wrapperINSA_8EqualityEEEPlJS6_EEE10hipError_tPvRmT3_T4_T5_T6_T7_T9_mT8_P12ihipStream_tbDpT10_ENKUlT_T0_E_clISt17integral_constantIbLb1EES1D_IbLb0EEEEDaS19_S1A_EUlS19_E_NS1_11comp_targetILNS1_3genE0ELNS1_11target_archE4294967295ELNS1_3gpuE0ELNS1_3repE0EEENS1_30default_config_static_selectorELNS0_4arch9wavefront6targetE1EEEvT1_
; %bb.0:
	.section	.rodata,"a",@progbits
	.p2align	6, 0x0
	.amdhsa_kernel _ZN7rocprim17ROCPRIM_400000_NS6detail17trampoline_kernelINS0_14default_configENS1_25partition_config_selectorILNS1_17partition_subalgoE8EbNS0_10empty_typeEbEEZZNS1_14partition_implILS5_8ELb0ES3_jN6hipcub16HIPCUB_304000_NS22TransformInputIteratorIbN2at6native8internal12_GLOBAL__N_110LoadBoolOpEPKhlEEPS6_PKS6_NS0_5tupleIJPbS6_EEENSN_IJSK_SK_EEENS0_18inequality_wrapperINSA_8EqualityEEEPlJS6_EEE10hipError_tPvRmT3_T4_T5_T6_T7_T9_mT8_P12ihipStream_tbDpT10_ENKUlT_T0_E_clISt17integral_constantIbLb1EES1D_IbLb0EEEEDaS19_S1A_EUlS19_E_NS1_11comp_targetILNS1_3genE0ELNS1_11target_archE4294967295ELNS1_3gpuE0ELNS1_3repE0EEENS1_30default_config_static_selectorELNS0_4arch9wavefront6targetE1EEEvT1_
		.amdhsa_group_segment_fixed_size 0
		.amdhsa_private_segment_fixed_size 0
		.amdhsa_kernarg_size 120
		.amdhsa_user_sgpr_count 2
		.amdhsa_user_sgpr_dispatch_ptr 0
		.amdhsa_user_sgpr_queue_ptr 0
		.amdhsa_user_sgpr_kernarg_segment_ptr 1
		.amdhsa_user_sgpr_dispatch_id 0
		.amdhsa_user_sgpr_kernarg_preload_length 0
		.amdhsa_user_sgpr_kernarg_preload_offset 0
		.amdhsa_user_sgpr_private_segment_size 0
		.amdhsa_uses_dynamic_stack 0
		.amdhsa_enable_private_segment 0
		.amdhsa_system_sgpr_workgroup_id_x 1
		.amdhsa_system_sgpr_workgroup_id_y 0
		.amdhsa_system_sgpr_workgroup_id_z 0
		.amdhsa_system_sgpr_workgroup_info 0
		.amdhsa_system_vgpr_workitem_id 0
		.amdhsa_next_free_vgpr 1
		.amdhsa_next_free_sgpr 0
		.amdhsa_accum_offset 4
		.amdhsa_reserve_vcc 0
		.amdhsa_float_round_mode_32 0
		.amdhsa_float_round_mode_16_64 0
		.amdhsa_float_denorm_mode_32 3
		.amdhsa_float_denorm_mode_16_64 3
		.amdhsa_dx10_clamp 1
		.amdhsa_ieee_mode 1
		.amdhsa_fp16_overflow 0
		.amdhsa_tg_split 0
		.amdhsa_exception_fp_ieee_invalid_op 0
		.amdhsa_exception_fp_denorm_src 0
		.amdhsa_exception_fp_ieee_div_zero 0
		.amdhsa_exception_fp_ieee_overflow 0
		.amdhsa_exception_fp_ieee_underflow 0
		.amdhsa_exception_fp_ieee_inexact 0
		.amdhsa_exception_int_div_zero 0
	.end_amdhsa_kernel
	.section	.text._ZN7rocprim17ROCPRIM_400000_NS6detail17trampoline_kernelINS0_14default_configENS1_25partition_config_selectorILNS1_17partition_subalgoE8EbNS0_10empty_typeEbEEZZNS1_14partition_implILS5_8ELb0ES3_jN6hipcub16HIPCUB_304000_NS22TransformInputIteratorIbN2at6native8internal12_GLOBAL__N_110LoadBoolOpEPKhlEEPS6_PKS6_NS0_5tupleIJPbS6_EEENSN_IJSK_SK_EEENS0_18inequality_wrapperINSA_8EqualityEEEPlJS6_EEE10hipError_tPvRmT3_T4_T5_T6_T7_T9_mT8_P12ihipStream_tbDpT10_ENKUlT_T0_E_clISt17integral_constantIbLb1EES1D_IbLb0EEEEDaS19_S1A_EUlS19_E_NS1_11comp_targetILNS1_3genE0ELNS1_11target_archE4294967295ELNS1_3gpuE0ELNS1_3repE0EEENS1_30default_config_static_selectorELNS0_4arch9wavefront6targetE1EEEvT1_,"axG",@progbits,_ZN7rocprim17ROCPRIM_400000_NS6detail17trampoline_kernelINS0_14default_configENS1_25partition_config_selectorILNS1_17partition_subalgoE8EbNS0_10empty_typeEbEEZZNS1_14partition_implILS5_8ELb0ES3_jN6hipcub16HIPCUB_304000_NS22TransformInputIteratorIbN2at6native8internal12_GLOBAL__N_110LoadBoolOpEPKhlEEPS6_PKS6_NS0_5tupleIJPbS6_EEENSN_IJSK_SK_EEENS0_18inequality_wrapperINSA_8EqualityEEEPlJS6_EEE10hipError_tPvRmT3_T4_T5_T6_T7_T9_mT8_P12ihipStream_tbDpT10_ENKUlT_T0_E_clISt17integral_constantIbLb1EES1D_IbLb0EEEEDaS19_S1A_EUlS19_E_NS1_11comp_targetILNS1_3genE0ELNS1_11target_archE4294967295ELNS1_3gpuE0ELNS1_3repE0EEENS1_30default_config_static_selectorELNS0_4arch9wavefront6targetE1EEEvT1_,comdat
.Lfunc_end31:
	.size	_ZN7rocprim17ROCPRIM_400000_NS6detail17trampoline_kernelINS0_14default_configENS1_25partition_config_selectorILNS1_17partition_subalgoE8EbNS0_10empty_typeEbEEZZNS1_14partition_implILS5_8ELb0ES3_jN6hipcub16HIPCUB_304000_NS22TransformInputIteratorIbN2at6native8internal12_GLOBAL__N_110LoadBoolOpEPKhlEEPS6_PKS6_NS0_5tupleIJPbS6_EEENSN_IJSK_SK_EEENS0_18inequality_wrapperINSA_8EqualityEEEPlJS6_EEE10hipError_tPvRmT3_T4_T5_T6_T7_T9_mT8_P12ihipStream_tbDpT10_ENKUlT_T0_E_clISt17integral_constantIbLb1EES1D_IbLb0EEEEDaS19_S1A_EUlS19_E_NS1_11comp_targetILNS1_3genE0ELNS1_11target_archE4294967295ELNS1_3gpuE0ELNS1_3repE0EEENS1_30default_config_static_selectorELNS0_4arch9wavefront6targetE1EEEvT1_, .Lfunc_end31-_ZN7rocprim17ROCPRIM_400000_NS6detail17trampoline_kernelINS0_14default_configENS1_25partition_config_selectorILNS1_17partition_subalgoE8EbNS0_10empty_typeEbEEZZNS1_14partition_implILS5_8ELb0ES3_jN6hipcub16HIPCUB_304000_NS22TransformInputIteratorIbN2at6native8internal12_GLOBAL__N_110LoadBoolOpEPKhlEEPS6_PKS6_NS0_5tupleIJPbS6_EEENSN_IJSK_SK_EEENS0_18inequality_wrapperINSA_8EqualityEEEPlJS6_EEE10hipError_tPvRmT3_T4_T5_T6_T7_T9_mT8_P12ihipStream_tbDpT10_ENKUlT_T0_E_clISt17integral_constantIbLb1EES1D_IbLb0EEEEDaS19_S1A_EUlS19_E_NS1_11comp_targetILNS1_3genE0ELNS1_11target_archE4294967295ELNS1_3gpuE0ELNS1_3repE0EEENS1_30default_config_static_selectorELNS0_4arch9wavefront6targetE1EEEvT1_
                                        ; -- End function
	.section	.AMDGPU.csdata,"",@progbits
; Kernel info:
; codeLenInByte = 0
; NumSgprs: 6
; NumVgprs: 0
; NumAgprs: 0
; TotalNumVgprs: 0
; ScratchSize: 0
; MemoryBound: 0
; FloatMode: 240
; IeeeMode: 1
; LDSByteSize: 0 bytes/workgroup (compile time only)
; SGPRBlocks: 0
; VGPRBlocks: 0
; NumSGPRsForWavesPerEU: 6
; NumVGPRsForWavesPerEU: 1
; AccumOffset: 4
; Occupancy: 8
; WaveLimiterHint : 0
; COMPUTE_PGM_RSRC2:SCRATCH_EN: 0
; COMPUTE_PGM_RSRC2:USER_SGPR: 2
; COMPUTE_PGM_RSRC2:TRAP_HANDLER: 0
; COMPUTE_PGM_RSRC2:TGID_X_EN: 1
; COMPUTE_PGM_RSRC2:TGID_Y_EN: 0
; COMPUTE_PGM_RSRC2:TGID_Z_EN: 0
; COMPUTE_PGM_RSRC2:TIDIG_COMP_CNT: 0
; COMPUTE_PGM_RSRC3_GFX90A:ACCUM_OFFSET: 0
; COMPUTE_PGM_RSRC3_GFX90A:TG_SPLIT: 0
	.section	.text._ZN7rocprim17ROCPRIM_400000_NS6detail17trampoline_kernelINS0_14default_configENS1_25partition_config_selectorILNS1_17partition_subalgoE8EbNS0_10empty_typeEbEEZZNS1_14partition_implILS5_8ELb0ES3_jN6hipcub16HIPCUB_304000_NS22TransformInputIteratorIbN2at6native8internal12_GLOBAL__N_110LoadBoolOpEPKhlEEPS6_PKS6_NS0_5tupleIJPbS6_EEENSN_IJSK_SK_EEENS0_18inequality_wrapperINSA_8EqualityEEEPlJS6_EEE10hipError_tPvRmT3_T4_T5_T6_T7_T9_mT8_P12ihipStream_tbDpT10_ENKUlT_T0_E_clISt17integral_constantIbLb1EES1D_IbLb0EEEEDaS19_S1A_EUlS19_E_NS1_11comp_targetILNS1_3genE5ELNS1_11target_archE942ELNS1_3gpuE9ELNS1_3repE0EEENS1_30default_config_static_selectorELNS0_4arch9wavefront6targetE1EEEvT1_,"axG",@progbits,_ZN7rocprim17ROCPRIM_400000_NS6detail17trampoline_kernelINS0_14default_configENS1_25partition_config_selectorILNS1_17partition_subalgoE8EbNS0_10empty_typeEbEEZZNS1_14partition_implILS5_8ELb0ES3_jN6hipcub16HIPCUB_304000_NS22TransformInputIteratorIbN2at6native8internal12_GLOBAL__N_110LoadBoolOpEPKhlEEPS6_PKS6_NS0_5tupleIJPbS6_EEENSN_IJSK_SK_EEENS0_18inequality_wrapperINSA_8EqualityEEEPlJS6_EEE10hipError_tPvRmT3_T4_T5_T6_T7_T9_mT8_P12ihipStream_tbDpT10_ENKUlT_T0_E_clISt17integral_constantIbLb1EES1D_IbLb0EEEEDaS19_S1A_EUlS19_E_NS1_11comp_targetILNS1_3genE5ELNS1_11target_archE942ELNS1_3gpuE9ELNS1_3repE0EEENS1_30default_config_static_selectorELNS0_4arch9wavefront6targetE1EEEvT1_,comdat
	.globl	_ZN7rocprim17ROCPRIM_400000_NS6detail17trampoline_kernelINS0_14default_configENS1_25partition_config_selectorILNS1_17partition_subalgoE8EbNS0_10empty_typeEbEEZZNS1_14partition_implILS5_8ELb0ES3_jN6hipcub16HIPCUB_304000_NS22TransformInputIteratorIbN2at6native8internal12_GLOBAL__N_110LoadBoolOpEPKhlEEPS6_PKS6_NS0_5tupleIJPbS6_EEENSN_IJSK_SK_EEENS0_18inequality_wrapperINSA_8EqualityEEEPlJS6_EEE10hipError_tPvRmT3_T4_T5_T6_T7_T9_mT8_P12ihipStream_tbDpT10_ENKUlT_T0_E_clISt17integral_constantIbLb1EES1D_IbLb0EEEEDaS19_S1A_EUlS19_E_NS1_11comp_targetILNS1_3genE5ELNS1_11target_archE942ELNS1_3gpuE9ELNS1_3repE0EEENS1_30default_config_static_selectorELNS0_4arch9wavefront6targetE1EEEvT1_ ; -- Begin function _ZN7rocprim17ROCPRIM_400000_NS6detail17trampoline_kernelINS0_14default_configENS1_25partition_config_selectorILNS1_17partition_subalgoE8EbNS0_10empty_typeEbEEZZNS1_14partition_implILS5_8ELb0ES3_jN6hipcub16HIPCUB_304000_NS22TransformInputIteratorIbN2at6native8internal12_GLOBAL__N_110LoadBoolOpEPKhlEEPS6_PKS6_NS0_5tupleIJPbS6_EEENSN_IJSK_SK_EEENS0_18inequality_wrapperINSA_8EqualityEEEPlJS6_EEE10hipError_tPvRmT3_T4_T5_T6_T7_T9_mT8_P12ihipStream_tbDpT10_ENKUlT_T0_E_clISt17integral_constantIbLb1EES1D_IbLb0EEEEDaS19_S1A_EUlS19_E_NS1_11comp_targetILNS1_3genE5ELNS1_11target_archE942ELNS1_3gpuE9ELNS1_3repE0EEENS1_30default_config_static_selectorELNS0_4arch9wavefront6targetE1EEEvT1_
	.p2align	8
	.type	_ZN7rocprim17ROCPRIM_400000_NS6detail17trampoline_kernelINS0_14default_configENS1_25partition_config_selectorILNS1_17partition_subalgoE8EbNS0_10empty_typeEbEEZZNS1_14partition_implILS5_8ELb0ES3_jN6hipcub16HIPCUB_304000_NS22TransformInputIteratorIbN2at6native8internal12_GLOBAL__N_110LoadBoolOpEPKhlEEPS6_PKS6_NS0_5tupleIJPbS6_EEENSN_IJSK_SK_EEENS0_18inequality_wrapperINSA_8EqualityEEEPlJS6_EEE10hipError_tPvRmT3_T4_T5_T6_T7_T9_mT8_P12ihipStream_tbDpT10_ENKUlT_T0_E_clISt17integral_constantIbLb1EES1D_IbLb0EEEEDaS19_S1A_EUlS19_E_NS1_11comp_targetILNS1_3genE5ELNS1_11target_archE942ELNS1_3gpuE9ELNS1_3repE0EEENS1_30default_config_static_selectorELNS0_4arch9wavefront6targetE1EEEvT1_,@function
_ZN7rocprim17ROCPRIM_400000_NS6detail17trampoline_kernelINS0_14default_configENS1_25partition_config_selectorILNS1_17partition_subalgoE8EbNS0_10empty_typeEbEEZZNS1_14partition_implILS5_8ELb0ES3_jN6hipcub16HIPCUB_304000_NS22TransformInputIteratorIbN2at6native8internal12_GLOBAL__N_110LoadBoolOpEPKhlEEPS6_PKS6_NS0_5tupleIJPbS6_EEENSN_IJSK_SK_EEENS0_18inequality_wrapperINSA_8EqualityEEEPlJS6_EEE10hipError_tPvRmT3_T4_T5_T6_T7_T9_mT8_P12ihipStream_tbDpT10_ENKUlT_T0_E_clISt17integral_constantIbLb1EES1D_IbLb0EEEEDaS19_S1A_EUlS19_E_NS1_11comp_targetILNS1_3genE5ELNS1_11target_archE942ELNS1_3gpuE9ELNS1_3repE0EEENS1_30default_config_static_selectorELNS0_4arch9wavefront6targetE1EEEvT1_: ; @_ZN7rocprim17ROCPRIM_400000_NS6detail17trampoline_kernelINS0_14default_configENS1_25partition_config_selectorILNS1_17partition_subalgoE8EbNS0_10empty_typeEbEEZZNS1_14partition_implILS5_8ELb0ES3_jN6hipcub16HIPCUB_304000_NS22TransformInputIteratorIbN2at6native8internal12_GLOBAL__N_110LoadBoolOpEPKhlEEPS6_PKS6_NS0_5tupleIJPbS6_EEENSN_IJSK_SK_EEENS0_18inequality_wrapperINSA_8EqualityEEEPlJS6_EEE10hipError_tPvRmT3_T4_T5_T6_T7_T9_mT8_P12ihipStream_tbDpT10_ENKUlT_T0_E_clISt17integral_constantIbLb1EES1D_IbLb0EEEEDaS19_S1A_EUlS19_E_NS1_11comp_targetILNS1_3genE5ELNS1_11target_archE942ELNS1_3gpuE9ELNS1_3repE0EEENS1_30default_config_static_selectorELNS0_4arch9wavefront6targetE1EEEvT1_
; %bb.0:
	s_load_dwordx2 s[4:5], s[0:1], 0x58
	s_load_dwordx2 s[6:7], s[0:1], 0x8
	;; [unrolled: 1-line block ×3, first 2 shown]
	s_load_dwordx4 s[20:23], s[0:1], 0x48
	v_mov_b32_e32 v22, v0
	s_waitcnt lgkmcnt(0)
	v_mov_b32_e32 v3, s5
	s_load_dword s5, s[0:1], 0x70
	s_add_u32 s10, s6, s8
	s_addc_u32 s11, s7, s9
	s_lshl_b32 s14, s2, 14
	v_mov_b32_e32 v2, s4
	s_waitcnt lgkmcnt(0)
	s_add_i32 s12, s5, -1
	s_lshl_b32 s3, s12, 14
	s_add_i32 s3, s8, s3
	s_lshl_b32 s5, s5, 14
	s_add_u32 s6, s8, s5
	s_addc_u32 s7, s9, 0
	s_cmp_eq_u32 s2, s12
	s_load_dwordx2 s[22:23], s[22:23], 0x0
	v_cmp_ge_u64_e32 vcc, s[6:7], v[2:3]
	s_cselect_b64 s[24:25], -1, 0
	s_and_b64 s[6:7], s[24:25], vcc
	s_xor_b64 s[26:27], s[6:7], -1
	s_add_u32 s10, s10, s14
	s_mov_b64 s[12:13], -1
	s_addc_u32 s11, s11, 0
	s_and_b64 vcc, exec, s[26:27]
	v_lshrrev_b32_e32 v2, 5, v0
	s_cbranch_vccz .LBB32_2
; %bb.1:
	v_mov_b32_e32 v1, 0
	v_lshl_add_u64 v[4:5], s[10:11], 0, v[0:1]
	global_load_ubyte v1, v0, s[10:11]
	global_load_ubyte v3, v0, s[10:11] offset:512
	global_load_ubyte v10, v0, s[10:11] offset:1024
	global_load_ubyte v11, v0, s[10:11] offset:1536
	global_load_ubyte v12, v0, s[10:11] offset:2048
	s_movk_i32 s12, 0x2000
	v_add_co_u32_e32 v6, vcc, s12, v4
	s_movk_i32 s5, 0x1000
	s_nop 0
	v_addc_co_u32_e32 v7, vcc, 0, v5, vcc
	global_load_ubyte v13, v0, s[10:11] offset:2560
	global_load_ubyte v14, v0, s[10:11] offset:3072
	;; [unrolled: 1-line block ×3, first 2 shown]
	global_load_ubyte v16, v[6:7], off offset:-4096
	v_add_co_u32_e32 v8, vcc, s5, v4
	s_movk_i32 s5, 0x3000
	s_nop 0
	v_addc_co_u32_e32 v9, vcc, 0, v5, vcc
	global_load_ubyte v17, v[8:9], off offset:512
	global_load_ubyte v18, v[8:9], off offset:1024
	;; [unrolled: 1-line block ×7, first 2 shown]
	global_load_ubyte v25, v[6:7], off
	global_load_ubyte v26, v[6:7], off offset:512
	global_load_ubyte v27, v[6:7], off offset:1024
	;; [unrolled: 1-line block ×3, first 2 shown]
	s_nop 0
	global_load_ubyte v8, v[6:7], off offset:2048
	global_load_ubyte v9, v[6:7], off offset:2560
	;; [unrolled: 1-line block ×4, first 2 shown]
	v_add_co_u32_e32 v4, vcc, s5, v4
	s_mov_b64 s[12:13], 0
	s_nop 0
	v_addc_co_u32_e32 v5, vcc, 0, v5, vcc
	global_load_ubyte v6, v[4:5], off
	global_load_ubyte v7, v[4:5], off offset:512
	global_load_ubyte v31, v[4:5], off offset:1024
	;; [unrolled: 1-line block ×7, first 2 shown]
	s_waitcnt vmcnt(31)
	v_cmp_ne_u16_e32 vcc, 0, v1
	s_nop 1
	v_cndmask_b32_e64 v1, 0, 1, vcc
	s_waitcnt vmcnt(30)
	v_cmp_ne_u16_e32 vcc, 0, v3
	s_nop 1
	v_cndmask_b32_e64 v3, 0, 1, vcc
	;; [unrolled: 4-line block ×30, first 2 shown]
	s_waitcnt vmcnt(1)
	v_cmp_ne_u16_e32 vcc, 0, v35
	v_and_b32_e32 v35, 12, v2
	v_add_u32_e32 v35, v35, v0
	ds_write_b8 v35, v1
	v_or_b32_e32 v1, 0x200, v0
	v_lshrrev_b32_e32 v1, 5, v1
	v_and_b32_e32 v1, 28, v1
	v_add_u32_e32 v1, v1, v0
	ds_write_b8 v1, v3 offset:512
	v_or_b32_e32 v1, 0x400, v0
	v_lshrrev_b32_e32 v1, 5, v1
	v_and_b32_e32 v1, 44, v1
	v_add_u32_e32 v1, v1, v0
	ds_write_b8 v1, v4 offset:1024
	;; [unrolled: 5-line block ×29, first 2 shown]
	v_or_b32_e32 v1, 0x3c00, v0
	v_lshrrev_b32_e32 v1, 5, v1
	v_and_b32_e32 v1, 0x1ec, v1
	v_cndmask_b32_e64 v33, 0, 1, vcc
	v_add_u32_e32 v1, v1, v0
	ds_write_b8 v1, v33 offset:15360
	v_or_b32_e32 v1, 0x3e00, v0
	v_lshrrev_b32_e32 v1, 5, v1
	s_waitcnt vmcnt(0)
	v_cmp_ne_u16_e32 vcc, 0, v36
	v_and_b32_e32 v1, 0x1fc, v1
	v_add_u32_e32 v1, v1, v0
	v_cndmask_b32_e64 v34, 0, 1, vcc
	ds_write_b8 v1, v34 offset:15872
	s_waitcnt lgkmcnt(0)
	s_barrier
.LBB32_2:
	s_andn2_b64 vcc, exec, s[12:13]
	s_sub_i32 s3, s4, s3
	s_cbranch_vccnz .LBB32_68
; %bb.3:
	v_cmp_gt_u32_e32 vcc, s3, v0
                                        ; implicit-def: $vgpr1
	s_and_saveexec_b64 s[4:5], vcc
	s_cbranch_execz .LBB32_5
; %bb.4:
	global_load_ubyte v1, v0, s[10:11]
	s_waitcnt vmcnt(0)
	v_cmp_ne_u16_e32 vcc, 0, v1
	s_nop 1
	v_cndmask_b32_e64 v1, 0, 1, vcc
.LBB32_5:
	s_or_b64 exec, exec, s[4:5]
	v_or_b32_e32 v3, 0x200, v0
	v_cmp_gt_u32_e32 vcc, s3, v3
                                        ; implicit-def: $vgpr4
	s_and_saveexec_b64 s[4:5], vcc
	s_cbranch_execz .LBB32_7
; %bb.6:
	global_load_ubyte v4, v0, s[10:11] offset:512
	s_waitcnt vmcnt(0)
	v_cmp_ne_u16_e32 vcc, 0, v4
	s_nop 1
	v_cndmask_b32_e64 v4, 0, 1, vcc
.LBB32_7:
	s_or_b64 exec, exec, s[4:5]
	v_or_b32_e32 v5, 0x400, v0
	v_cmp_gt_u32_e32 vcc, s3, v5
                                        ; implicit-def: $vgpr6
	s_and_saveexec_b64 s[4:5], vcc
	s_cbranch_execz .LBB32_9
; %bb.8:
	global_load_ubyte v6, v0, s[10:11] offset:1024
	s_waitcnt vmcnt(0)
	v_cmp_ne_u16_e32 vcc, 0, v6
	s_nop 1
	v_cndmask_b32_e64 v6, 0, 1, vcc
.LBB32_9:
	s_or_b64 exec, exec, s[4:5]
	v_or_b32_e32 v7, 0x600, v0
	v_cmp_gt_u32_e32 vcc, s3, v7
                                        ; implicit-def: $vgpr8
	s_and_saveexec_b64 s[4:5], vcc
	s_cbranch_execz .LBB32_11
; %bb.10:
	global_load_ubyte v8, v0, s[10:11] offset:1536
	s_waitcnt vmcnt(0)
	v_cmp_ne_u16_e32 vcc, 0, v8
	s_nop 1
	v_cndmask_b32_e64 v8, 0, 1, vcc
.LBB32_11:
	s_or_b64 exec, exec, s[4:5]
	v_or_b32_e32 v9, 0x800, v0
	v_cmp_gt_u32_e32 vcc, s3, v9
                                        ; implicit-def: $vgpr10
	s_and_saveexec_b64 s[4:5], vcc
	s_cbranch_execz .LBB32_13
; %bb.12:
	global_load_ubyte v10, v0, s[10:11] offset:2048
	s_waitcnt vmcnt(0)
	v_cmp_ne_u16_e32 vcc, 0, v10
	s_nop 1
	v_cndmask_b32_e64 v10, 0, 1, vcc
.LBB32_13:
	s_or_b64 exec, exec, s[4:5]
	v_or_b32_e32 v11, 0xa00, v0
	v_cmp_gt_u32_e32 vcc, s3, v11
                                        ; implicit-def: $vgpr12
	s_and_saveexec_b64 s[4:5], vcc
	s_cbranch_execz .LBB32_15
; %bb.14:
	global_load_ubyte v12, v0, s[10:11] offset:2560
	s_waitcnt vmcnt(0)
	v_cmp_ne_u16_e32 vcc, 0, v12
	s_nop 1
	v_cndmask_b32_e64 v12, 0, 1, vcc
.LBB32_15:
	s_or_b64 exec, exec, s[4:5]
	v_or_b32_e32 v13, 0xc00, v0
	v_cmp_gt_u32_e32 vcc, s3, v13
                                        ; implicit-def: $vgpr14
	s_and_saveexec_b64 s[4:5], vcc
	s_cbranch_execz .LBB32_17
; %bb.16:
	global_load_ubyte v14, v0, s[10:11] offset:3072
	s_waitcnt vmcnt(0)
	v_cmp_ne_u16_e32 vcc, 0, v14
	s_nop 1
	v_cndmask_b32_e64 v14, 0, 1, vcc
.LBB32_17:
	s_or_b64 exec, exec, s[4:5]
	v_or_b32_e32 v15, 0xe00, v0
	v_cmp_gt_u32_e32 vcc, s3, v15
                                        ; implicit-def: $vgpr16
	s_and_saveexec_b64 s[4:5], vcc
	s_cbranch_execz .LBB32_19
; %bb.18:
	global_load_ubyte v16, v0, s[10:11] offset:3584
	s_waitcnt vmcnt(0)
	v_cmp_ne_u16_e32 vcc, 0, v16
	s_nop 1
	v_cndmask_b32_e64 v16, 0, 1, vcc
.LBB32_19:
	s_or_b64 exec, exec, s[4:5]
	v_or_b32_e32 v17, 0x1000, v0
	v_cmp_gt_u32_e32 vcc, s3, v17
                                        ; implicit-def: $vgpr18
	s_and_saveexec_b64 s[4:5], vcc
	s_cbranch_execz .LBB32_21
; %bb.20:
	global_load_ubyte v18, v17, s[10:11]
	s_waitcnt vmcnt(0)
	v_cmp_ne_u16_e32 vcc, 0, v18
	s_nop 1
	v_cndmask_b32_e64 v18, 0, 1, vcc
.LBB32_21:
	s_or_b64 exec, exec, s[4:5]
	v_or_b32_e32 v19, 0x1200, v0
	v_cmp_gt_u32_e32 vcc, s3, v19
                                        ; implicit-def: $vgpr20
	s_and_saveexec_b64 s[4:5], vcc
	s_cbranch_execz .LBB32_23
; %bb.22:
	global_load_ubyte v20, v19, s[10:11]
	s_waitcnt vmcnt(0)
	v_cmp_ne_u16_e32 vcc, 0, v20
	s_nop 1
	v_cndmask_b32_e64 v20, 0, 1, vcc
.LBB32_23:
	s_or_b64 exec, exec, s[4:5]
	v_or_b32_e32 v21, 0x1400, v0
	v_cmp_gt_u32_e32 vcc, s3, v21
                                        ; implicit-def: $vgpr23
	s_and_saveexec_b64 s[4:5], vcc
	s_cbranch_execz .LBB32_25
; %bb.24:
	global_load_ubyte v23, v21, s[10:11]
	s_waitcnt vmcnt(0)
	v_cmp_ne_u16_e32 vcc, 0, v23
	s_nop 1
	v_cndmask_b32_e64 v23, 0, 1, vcc
.LBB32_25:
	s_or_b64 exec, exec, s[4:5]
	v_or_b32_e32 v24, 0x1600, v0
	v_cmp_gt_u32_e32 vcc, s3, v24
                                        ; implicit-def: $vgpr25
	s_and_saveexec_b64 s[4:5], vcc
	s_cbranch_execz .LBB32_27
; %bb.26:
	global_load_ubyte v25, v24, s[10:11]
	s_waitcnt vmcnt(0)
	v_cmp_ne_u16_e32 vcc, 0, v25
	s_nop 1
	v_cndmask_b32_e64 v25, 0, 1, vcc
.LBB32_27:
	s_or_b64 exec, exec, s[4:5]
	v_or_b32_e32 v26, 0x1800, v0
	v_cmp_gt_u32_e32 vcc, s3, v26
                                        ; implicit-def: $vgpr27
	s_and_saveexec_b64 s[4:5], vcc
	s_cbranch_execz .LBB32_29
; %bb.28:
	global_load_ubyte v27, v26, s[10:11]
	s_waitcnt vmcnt(0)
	v_cmp_ne_u16_e32 vcc, 0, v27
	s_nop 1
	v_cndmask_b32_e64 v27, 0, 1, vcc
.LBB32_29:
	s_or_b64 exec, exec, s[4:5]
	v_or_b32_e32 v28, 0x1a00, v0
	v_cmp_gt_u32_e32 vcc, s3, v28
                                        ; implicit-def: $vgpr29
	s_and_saveexec_b64 s[4:5], vcc
	s_cbranch_execz .LBB32_31
; %bb.30:
	global_load_ubyte v29, v28, s[10:11]
	s_waitcnt vmcnt(0)
	v_cmp_ne_u16_e32 vcc, 0, v29
	s_nop 1
	v_cndmask_b32_e64 v29, 0, 1, vcc
.LBB32_31:
	s_or_b64 exec, exec, s[4:5]
	v_or_b32_e32 v30, 0x1c00, v0
	v_cmp_gt_u32_e32 vcc, s3, v30
                                        ; implicit-def: $vgpr31
	s_and_saveexec_b64 s[4:5], vcc
	s_cbranch_execz .LBB32_33
; %bb.32:
	global_load_ubyte v31, v30, s[10:11]
	s_waitcnt vmcnt(0)
	v_cmp_ne_u16_e32 vcc, 0, v31
	s_nop 1
	v_cndmask_b32_e64 v31, 0, 1, vcc
.LBB32_33:
	s_or_b64 exec, exec, s[4:5]
	v_or_b32_e32 v32, 0x1e00, v0
	v_cmp_gt_u32_e32 vcc, s3, v32
                                        ; implicit-def: $vgpr33
	s_and_saveexec_b64 s[4:5], vcc
	s_cbranch_execz .LBB32_35
; %bb.34:
	global_load_ubyte v33, v32, s[10:11]
	s_waitcnt vmcnt(0)
	v_cmp_ne_u16_e32 vcc, 0, v33
	s_nop 1
	v_cndmask_b32_e64 v33, 0, 1, vcc
.LBB32_35:
	s_or_b64 exec, exec, s[4:5]
	v_or_b32_e32 v34, 0x2000, v0
	v_cmp_gt_u32_e32 vcc, s3, v34
                                        ; implicit-def: $vgpr35
	s_and_saveexec_b64 s[4:5], vcc
	s_cbranch_execz .LBB32_37
; %bb.36:
	global_load_ubyte v35, v34, s[10:11]
	s_waitcnt vmcnt(0)
	v_cmp_ne_u16_e32 vcc, 0, v35
	s_nop 1
	v_cndmask_b32_e64 v35, 0, 1, vcc
.LBB32_37:
	s_or_b64 exec, exec, s[4:5]
	v_or_b32_e32 v36, 0x2200, v0
	v_cmp_gt_u32_e32 vcc, s3, v36
                                        ; implicit-def: $vgpr37
	s_and_saveexec_b64 s[4:5], vcc
	s_cbranch_execz .LBB32_39
; %bb.38:
	global_load_ubyte v37, v36, s[10:11]
	s_waitcnt vmcnt(0)
	v_cmp_ne_u16_e32 vcc, 0, v37
	s_nop 1
	v_cndmask_b32_e64 v37, 0, 1, vcc
.LBB32_39:
	s_or_b64 exec, exec, s[4:5]
	v_or_b32_e32 v38, 0x2400, v0
	v_cmp_gt_u32_e32 vcc, s3, v38
                                        ; implicit-def: $vgpr39
	s_and_saveexec_b64 s[4:5], vcc
	s_cbranch_execz .LBB32_41
; %bb.40:
	global_load_ubyte v39, v38, s[10:11]
	s_waitcnt vmcnt(0)
	v_cmp_ne_u16_e32 vcc, 0, v39
	s_nop 1
	v_cndmask_b32_e64 v39, 0, 1, vcc
.LBB32_41:
	s_or_b64 exec, exec, s[4:5]
	v_or_b32_e32 v40, 0x2600, v0
	v_cmp_gt_u32_e32 vcc, s3, v40
                                        ; implicit-def: $vgpr41
	s_and_saveexec_b64 s[4:5], vcc
	s_cbranch_execz .LBB32_43
; %bb.42:
	global_load_ubyte v41, v40, s[10:11]
	s_waitcnt vmcnt(0)
	v_cmp_ne_u16_e32 vcc, 0, v41
	s_nop 1
	v_cndmask_b32_e64 v41, 0, 1, vcc
.LBB32_43:
	s_or_b64 exec, exec, s[4:5]
	v_or_b32_e32 v42, 0x2800, v0
	v_cmp_gt_u32_e32 vcc, s3, v42
                                        ; implicit-def: $vgpr43
	s_and_saveexec_b64 s[4:5], vcc
	s_cbranch_execz .LBB32_45
; %bb.44:
	global_load_ubyte v43, v42, s[10:11]
	s_waitcnt vmcnt(0)
	v_cmp_ne_u16_e32 vcc, 0, v43
	s_nop 1
	v_cndmask_b32_e64 v43, 0, 1, vcc
.LBB32_45:
	s_or_b64 exec, exec, s[4:5]
	v_or_b32_e32 v44, 0x2a00, v0
	v_cmp_gt_u32_e32 vcc, s3, v44
                                        ; implicit-def: $vgpr45
	s_and_saveexec_b64 s[4:5], vcc
	s_cbranch_execz .LBB32_47
; %bb.46:
	global_load_ubyte v45, v44, s[10:11]
	s_waitcnt vmcnt(0)
	v_cmp_ne_u16_e32 vcc, 0, v45
	s_nop 1
	v_cndmask_b32_e64 v45, 0, 1, vcc
.LBB32_47:
	s_or_b64 exec, exec, s[4:5]
	v_or_b32_e32 v46, 0x2c00, v0
	v_cmp_gt_u32_e32 vcc, s3, v46
                                        ; implicit-def: $vgpr47
	s_and_saveexec_b64 s[4:5], vcc
	s_cbranch_execz .LBB32_49
; %bb.48:
	global_load_ubyte v47, v46, s[10:11]
	s_waitcnt vmcnt(0)
	v_cmp_ne_u16_e32 vcc, 0, v47
	s_nop 1
	v_cndmask_b32_e64 v47, 0, 1, vcc
.LBB32_49:
	s_or_b64 exec, exec, s[4:5]
	v_or_b32_e32 v48, 0x2e00, v0
	v_cmp_gt_u32_e32 vcc, s3, v48
                                        ; implicit-def: $vgpr49
	s_and_saveexec_b64 s[4:5], vcc
	s_cbranch_execz .LBB32_51
; %bb.50:
	global_load_ubyte v49, v48, s[10:11]
	s_waitcnt vmcnt(0)
	v_cmp_ne_u16_e32 vcc, 0, v49
	s_nop 1
	v_cndmask_b32_e64 v49, 0, 1, vcc
.LBB32_51:
	s_or_b64 exec, exec, s[4:5]
	v_or_b32_e32 v50, 0x3000, v0
	v_cmp_gt_u32_e32 vcc, s3, v50
                                        ; implicit-def: $vgpr51
	s_and_saveexec_b64 s[4:5], vcc
	s_cbranch_execz .LBB32_53
; %bb.52:
	global_load_ubyte v51, v50, s[10:11]
	s_waitcnt vmcnt(0)
	v_cmp_ne_u16_e32 vcc, 0, v51
	s_nop 1
	v_cndmask_b32_e64 v51, 0, 1, vcc
.LBB32_53:
	s_or_b64 exec, exec, s[4:5]
	v_or_b32_e32 v52, 0x3200, v0
	v_cmp_gt_u32_e32 vcc, s3, v52
                                        ; implicit-def: $vgpr53
	s_and_saveexec_b64 s[4:5], vcc
	s_cbranch_execz .LBB32_55
; %bb.54:
	global_load_ubyte v53, v52, s[10:11]
	s_waitcnt vmcnt(0)
	v_cmp_ne_u16_e32 vcc, 0, v53
	s_nop 1
	v_cndmask_b32_e64 v53, 0, 1, vcc
.LBB32_55:
	s_or_b64 exec, exec, s[4:5]
	v_or_b32_e32 v54, 0x3400, v0
	v_cmp_gt_u32_e32 vcc, s3, v54
                                        ; implicit-def: $vgpr55
	s_and_saveexec_b64 s[4:5], vcc
	s_cbranch_execz .LBB32_57
; %bb.56:
	global_load_ubyte v55, v54, s[10:11]
	s_waitcnt vmcnt(0)
	v_cmp_ne_u16_e32 vcc, 0, v55
	s_nop 1
	v_cndmask_b32_e64 v55, 0, 1, vcc
.LBB32_57:
	s_or_b64 exec, exec, s[4:5]
	v_or_b32_e32 v56, 0x3600, v0
	v_cmp_gt_u32_e32 vcc, s3, v56
                                        ; implicit-def: $vgpr57
	s_and_saveexec_b64 s[4:5], vcc
	s_cbranch_execz .LBB32_59
; %bb.58:
	global_load_ubyte v57, v56, s[10:11]
	s_waitcnt vmcnt(0)
	v_cmp_ne_u16_e32 vcc, 0, v57
	s_nop 1
	v_cndmask_b32_e64 v57, 0, 1, vcc
.LBB32_59:
	s_or_b64 exec, exec, s[4:5]
	v_or_b32_e32 v58, 0x3800, v0
	v_cmp_gt_u32_e32 vcc, s3, v58
                                        ; implicit-def: $vgpr59
	s_and_saveexec_b64 s[4:5], vcc
	s_cbranch_execz .LBB32_61
; %bb.60:
	global_load_ubyte v59, v58, s[10:11]
	s_waitcnt vmcnt(0)
	v_cmp_ne_u16_e32 vcc, 0, v59
	s_nop 1
	v_cndmask_b32_e64 v59, 0, 1, vcc
.LBB32_61:
	s_or_b64 exec, exec, s[4:5]
	v_or_b32_e32 v60, 0x3a00, v0
	v_cmp_gt_u32_e32 vcc, s3, v60
                                        ; implicit-def: $vgpr61
	s_and_saveexec_b64 s[4:5], vcc
	s_cbranch_execz .LBB32_63
; %bb.62:
	global_load_ubyte v61, v60, s[10:11]
	s_waitcnt vmcnt(0)
	v_cmp_ne_u16_e32 vcc, 0, v61
	s_nop 1
	v_cndmask_b32_e64 v61, 0, 1, vcc
.LBB32_63:
	s_or_b64 exec, exec, s[4:5]
	v_or_b32_e32 v62, 0x3c00, v0
	v_cmp_gt_u32_e32 vcc, s3, v62
                                        ; implicit-def: $vgpr63
	s_and_saveexec_b64 s[4:5], vcc
	s_cbranch_execz .LBB32_65
; %bb.64:
	global_load_ubyte v63, v62, s[10:11]
	s_waitcnt vmcnt(0)
	v_cmp_ne_u16_e32 vcc, 0, v63
	s_nop 1
	v_cndmask_b32_e64 v63, 0, 1, vcc
.LBB32_65:
	s_or_b64 exec, exec, s[4:5]
	v_or_b32_e32 v64, 0x3e00, v0
	v_cmp_gt_u32_e32 vcc, s3, v64
                                        ; implicit-def: $vgpr65
	s_and_saveexec_b64 s[4:5], vcc
	s_cbranch_execz .LBB32_67
; %bb.66:
	global_load_ubyte v65, v64, s[10:11]
	s_waitcnt vmcnt(0)
	v_cmp_ne_u16_e32 vcc, 0, v65
	s_nop 1
	v_cndmask_b32_e64 v65, 0, 1, vcc
.LBB32_67:
	s_or_b64 exec, exec, s[4:5]
	v_and_b32_e32 v2, 12, v2
	v_add_u32_e32 v2, v2, v0
	ds_write_b8 v2, v1
	v_lshrrev_b32_e32 v1, 5, v3
	v_and_b32_e32 v1, 28, v1
	v_add_u32_e32 v1, v1, v0
	ds_write_b8 v1, v4 offset:512
	v_lshrrev_b32_e32 v1, 5, v5
	v_and_b32_e32 v1, 60, v1
	v_add_u32_e32 v1, v1, v0
	ds_write_b8 v1, v6 offset:1024
	;; [unrolled: 4-line block ×31, first 2 shown]
	s_waitcnt lgkmcnt(0)
	s_barrier
.LBB32_68:
	v_lshlrev_b32_e32 v10, 5, v0
	v_and_b32_e32 v1, 0x1fc, v0
	v_add_u32_e32 v8, v1, v10
	s_waitcnt lgkmcnt(0)
	ds_read2_b32 v[2:3], v8 offset0:6 offset1:7
	ds_read2_b32 v[4:5], v8 offset0:4 offset1:5
	;; [unrolled: 1-line block ×3, first 2 shown]
	ds_read2_b32 v[8:9], v8 offset1:1
	s_cmp_lg_u32 s2, 0
	s_cselect_b64 s[16:17], -1, 0
	s_cmp_lg_u64 s[8:9], 0
	s_cselect_b64 s[8:9], -1, 0
	s_or_b64 s[8:9], s[16:17], s[8:9]
	s_waitcnt lgkmcnt(3)
	v_lshrrev_b32_e32 v25, 8, v2
	v_lshrrev_b32_e32 v24, 16, v2
	v_lshrrev_b32_e32 v23, 24, v2
	v_lshrrev_b32_e32 v21, 8, v3
	v_lshrrev_b32_e32 v20, 16, v3
	v_lshrrev_b32_e32 v1, 24, v3
	s_waitcnt lgkmcnt(2)
	v_lshrrev_b32_e32 v31, 8, v4
	v_lshrrev_b32_e32 v30, 16, v4
	v_lshrrev_b32_e32 v29, 24, v4
	v_lshrrev_b32_e32 v28, 8, v5
	v_lshrrev_b32_e32 v27, 16, v5
	v_lshrrev_b32_e32 v26, 24, v5
	;; [unrolled: 7-line block ×4, first 2 shown]
	s_mov_b64 s[4:5], 0
	s_and_b64 vcc, exec, s[8:9]
	s_barrier
	s_cbranch_vccz .LBB32_73
; %bb.69:
	v_mov_b32_e32 v11, 0
	global_load_ubyte v11, v11, s[10:11] offset:-1
	s_and_b64 vcc, exec, s[26:27]
	ds_write_b8 v0, v1
	s_waitcnt vmcnt(0)
	v_cmp_ne_u16_e64 s[4:5], 0, v11
	s_nop 1
	v_cndmask_b32_e64 v11, 0, 1, s[4:5]
	s_cbranch_vccz .LBB32_75
; %bb.70:
	v_cndmask_b32_e64 v12, 0, 1, s[4:5]
	v_cmp_ne_u32_e32 vcc, 0, v0
	s_waitcnt lgkmcnt(0)
	s_barrier
	s_and_saveexec_b64 s[4:5], vcc
	s_cbranch_execz .LBB32_72
; %bb.71:
	v_add_u32_e32 v12, -1, v0
	ds_read_u8 v12, v12
.LBB32_72:
	s_or_b64 exec, exec, s[4:5]
	v_cmp_ne_u16_sdwa s[4:5], v20, v1 src0_sel:BYTE_0 src1_sel:DWORD
	s_waitcnt lgkmcnt(0)
	v_cmp_ne_u16_sdwa s[8:9], v12, v8 src0_sel:BYTE_0 src1_sel:BYTE_0
	v_cndmask_b32_e64 v35, 0, 1, s[4:5]
	v_cmp_ne_u16_sdwa s[4:5], v21, v20 src0_sel:BYTE_0 src1_sel:BYTE_0
	s_nop 1
	v_cndmask_b32_e64 v38, 0, 1, s[4:5]
	v_cmp_ne_u16_sdwa s[4:5], v3, v21 src0_sel:BYTE_0 src1_sel:BYTE_0
	s_nop 1
	v_cndmask_b32_e64 v40, 0, 1, s[4:5]
	v_cmp_ne_u16_sdwa s[4:5], v23, v3 src0_sel:DWORD src1_sel:BYTE_0
	s_nop 1
	v_cndmask_b32_e64 v41, 0, 1, s[4:5]
	v_cmp_ne_u16_sdwa s[4:5], v24, v23 src0_sel:BYTE_0 src1_sel:DWORD
	s_nop 1
	v_cndmask_b32_e64 v44, 0, 1, s[4:5]
	v_cmp_ne_u16_sdwa s[4:5], v25, v24 src0_sel:BYTE_0 src1_sel:BYTE_0
	s_nop 1
	v_cndmask_b32_e64 v46, 0, 1, s[4:5]
	v_cmp_ne_u16_sdwa s[4:5], v2, v25 src0_sel:BYTE_0 src1_sel:BYTE_0
	s_nop 1
	v_cndmask_b32_e64 v49, 0, 1, s[4:5]
	v_cmp_ne_u16_sdwa s[4:5], v26, v2 src0_sel:DWORD src1_sel:BYTE_0
	s_nop 1
	v_cndmask_b32_e64 v51, 0, 1, s[4:5]
	v_cmp_ne_u16_sdwa s[4:5], v27, v26 src0_sel:BYTE_0 src1_sel:DWORD
	s_nop 1
	;; [unrolled: 12-line block ×7, first 2 shown]
	v_cndmask_b32_e64 v72, 0, 1, s[4:5]
	v_cmp_ne_u16_sdwa s[4:5], v50, v48 src0_sel:BYTE_0 src1_sel:BYTE_0
	s_nop 1
	v_cndmask_b32_e64 v73, 0, 1, s[4:5]
	v_cmp_ne_u16_sdwa s[4:5], v8, v50 src0_sel:BYTE_0 src1_sel:BYTE_0
	s_nop 1
	v_cndmask_b32_e64 v74, 0, 1, s[4:5]
	s_branch .LBB32_79
.LBB32_73:
                                        ; implicit-def: $sgpr8_sgpr9
                                        ; implicit-def: $vgpr74
                                        ; implicit-def: $vgpr73
                                        ; implicit-def: $vgpr72
                                        ; implicit-def: $vgpr71
                                        ; implicit-def: $vgpr70
                                        ; implicit-def: $vgpr69
                                        ; implicit-def: $vgpr68
                                        ; implicit-def: $vgpr67
                                        ; implicit-def: $vgpr66
                                        ; implicit-def: $vgpr65
                                        ; implicit-def: $vgpr64
                                        ; implicit-def: $vgpr63
                                        ; implicit-def: $vgpr62
                                        ; implicit-def: $vgpr61
                                        ; implicit-def: $vgpr60
                                        ; implicit-def: $vgpr59
                                        ; implicit-def: $vgpr58
                                        ; implicit-def: $vgpr57
                                        ; implicit-def: $vgpr56
                                        ; implicit-def: $vgpr55
                                        ; implicit-def: $vgpr54
                                        ; implicit-def: $vgpr53
                                        ; implicit-def: $vgpr52
                                        ; implicit-def: $vgpr51
                                        ; implicit-def: $vgpr49
                                        ; implicit-def: $vgpr46
                                        ; implicit-def: $vgpr44
                                        ; implicit-def: $vgpr41
                                        ; implicit-def: $vgpr40
                                        ; implicit-def: $vgpr38
                                        ; implicit-def: $vgpr35
	s_branch .LBB32_80
.LBB32_74:
                                        ; implicit-def: $sgpr12
	v_mov_b32_e32 v75, s12
	s_and_saveexec_b64 s[10:11], s[4:5]
	s_cbranch_execnz .LBB32_88
	s_branch .LBB32_89
.LBB32_75:
                                        ; implicit-def: $sgpr8_sgpr9
                                        ; implicit-def: $vgpr74
                                        ; implicit-def: $vgpr73
                                        ; implicit-def: $vgpr72
                                        ; implicit-def: $vgpr71
                                        ; implicit-def: $vgpr70
                                        ; implicit-def: $vgpr69
                                        ; implicit-def: $vgpr68
                                        ; implicit-def: $vgpr67
                                        ; implicit-def: $vgpr66
                                        ; implicit-def: $vgpr65
                                        ; implicit-def: $vgpr64
                                        ; implicit-def: $vgpr63
                                        ; implicit-def: $vgpr62
                                        ; implicit-def: $vgpr61
                                        ; implicit-def: $vgpr60
                                        ; implicit-def: $vgpr59
                                        ; implicit-def: $vgpr58
                                        ; implicit-def: $vgpr57
                                        ; implicit-def: $vgpr56
                                        ; implicit-def: $vgpr55
                                        ; implicit-def: $vgpr54
                                        ; implicit-def: $vgpr53
                                        ; implicit-def: $vgpr52
                                        ; implicit-def: $vgpr51
                                        ; implicit-def: $vgpr49
                                        ; implicit-def: $vgpr46
                                        ; implicit-def: $vgpr44
                                        ; implicit-def: $vgpr41
                                        ; implicit-def: $vgpr40
                                        ; implicit-def: $vgpr38
                                        ; implicit-def: $vgpr35
	s_cbranch_execz .LBB32_79
; %bb.76:
	v_cmp_ne_u32_e32 vcc, 0, v0
	s_waitcnt lgkmcnt(0)
	s_barrier
	s_and_saveexec_b64 s[4:5], vcc
	s_cbranch_execz .LBB32_78
; %bb.77:
	v_add_u32_e32 v11, -1, v0
	ds_read_u8 v11, v11
.LBB32_78:
	s_or_b64 exec, exec, s[4:5]
	v_or_b32_e32 v12, 31, v10
	v_cmp_gt_u32_e32 vcc, s3, v12
	v_cmp_ne_u16_sdwa s[4:5], v20, v1 src0_sel:BYTE_0 src1_sel:DWORD
	s_and_b64 s[4:5], vcc, s[4:5]
	v_or_b32_e32 v12, 30, v10
	v_cndmask_b32_e64 v35, 0, 1, s[4:5]
	v_cmp_gt_u32_e32 vcc, s3, v12
	v_cmp_ne_u16_sdwa s[4:5], v21, v20 src0_sel:BYTE_0 src1_sel:BYTE_0
	s_and_b64 s[4:5], vcc, s[4:5]
	v_or_b32_e32 v12, 29, v10
	v_cndmask_b32_e64 v38, 0, 1, s[4:5]
	v_cmp_gt_u32_e32 vcc, s3, v12
	v_cmp_ne_u16_sdwa s[4:5], v3, v21 src0_sel:BYTE_0 src1_sel:BYTE_0
	s_and_b64 s[4:5], vcc, s[4:5]
	v_or_b32_e32 v12, 28, v10
	v_cndmask_b32_e64 v40, 0, 1, s[4:5]
	v_cmp_gt_u32_e32 vcc, s3, v12
	v_cmp_ne_u16_sdwa s[4:5], v23, v3 src0_sel:DWORD src1_sel:BYTE_0
	s_and_b64 s[4:5], vcc, s[4:5]
	v_or_b32_e32 v12, 27, v10
	v_cndmask_b32_e64 v41, 0, 1, s[4:5]
	v_cmp_gt_u32_e32 vcc, s3, v12
	v_cmp_ne_u16_sdwa s[4:5], v24, v23 src0_sel:BYTE_0 src1_sel:DWORD
	s_and_b64 s[4:5], vcc, s[4:5]
	v_or_b32_e32 v12, 26, v10
	v_cndmask_b32_e64 v44, 0, 1, s[4:5]
	v_cmp_gt_u32_e32 vcc, s3, v12
	v_cmp_ne_u16_sdwa s[4:5], v25, v24 src0_sel:BYTE_0 src1_sel:BYTE_0
	s_and_b64 s[4:5], vcc, s[4:5]
	v_or_b32_e32 v12, 25, v10
	v_cndmask_b32_e64 v46, 0, 1, s[4:5]
	v_cmp_gt_u32_e32 vcc, s3, v12
	v_cmp_ne_u16_sdwa s[4:5], v2, v25 src0_sel:BYTE_0 src1_sel:BYTE_0
	s_and_b64 s[4:5], vcc, s[4:5]
	v_or_b32_e32 v12, 24, v10
	v_cndmask_b32_e64 v49, 0, 1, s[4:5]
	v_cmp_gt_u32_e32 vcc, s3, v12
	v_cmp_ne_u16_sdwa s[4:5], v26, v2 src0_sel:DWORD src1_sel:BYTE_0
	s_and_b64 s[4:5], vcc, s[4:5]
	v_or_b32_e32 v12, 23, v10
	v_cndmask_b32_e64 v51, 0, 1, s[4:5]
	;; [unrolled: 20-line block ×7, first 2 shown]
	v_cmp_gt_u32_e32 vcc, s3, v12
	v_cmp_ne_u16_sdwa s[4:5], v48, v47 src0_sel:BYTE_0 src1_sel:DWORD
	s_and_b64 s[4:5], vcc, s[4:5]
	v_or_b32_e32 v12, 2, v10
	v_cndmask_b32_e64 v72, 0, 1, s[4:5]
	v_cmp_gt_u32_e32 vcc, s3, v12
	v_cmp_ne_u16_sdwa s[4:5], v50, v48 src0_sel:BYTE_0 src1_sel:BYTE_0
	s_and_b64 s[4:5], vcc, s[4:5]
	v_or_b32_e32 v12, 1, v10
	v_cndmask_b32_e64 v73, 0, 1, s[4:5]
	v_cmp_gt_u32_e32 vcc, s3, v12
	v_cmp_ne_u16_sdwa s[4:5], v8, v50 src0_sel:BYTE_0 src1_sel:BYTE_0
	s_and_b64 s[4:5], vcc, s[4:5]
	v_cmp_gt_u32_e32 vcc, s3, v10
	v_cndmask_b32_e64 v74, 0, 1, s[4:5]
	s_waitcnt lgkmcnt(0)
	v_cmp_ne_u16_sdwa s[4:5], v11, v8 src0_sel:BYTE_0 src1_sel:BYTE_0
	s_and_b64 s[8:9], vcc, s[4:5]
.LBB32_79:
	s_mov_b64 s[4:5], -1
	s_cbranch_execnz .LBB32_74
.LBB32_80:
	s_and_b64 vcc, exec, s[26:27]
	v_cmp_ne_u16_sdwa s[8:9], v20, v1 src0_sel:BYTE_0 src1_sel:DWORD
	v_cmp_ne_u16_sdwa s[10:11], v21, v20 src0_sel:BYTE_0 src1_sel:BYTE_0
	v_cmp_ne_u16_sdwa s[12:13], v3, v21 src0_sel:BYTE_0 src1_sel:BYTE_0
	v_cmp_ne_u16_sdwa s[14:15], v23, v3 src0_sel:DWORD src1_sel:BYTE_0
	v_cmp_ne_u16_sdwa s[18:19], v24, v23 src0_sel:BYTE_0 src1_sel:DWORD
	v_cmp_ne_u16_sdwa s[28:29], v25, v24 src0_sel:BYTE_0 src1_sel:BYTE_0
	v_cmp_ne_u16_sdwa s[30:31], v2, v25 src0_sel:BYTE_0 src1_sel:BYTE_0
	v_cmp_ne_u16_sdwa s[34:35], v26, v2 src0_sel:DWORD src1_sel:BYTE_0
	;; [unrolled: 4-line block ×7, first 2 shown]
	v_cmp_ne_u16_sdwa s[76:77], v48, v47 src0_sel:BYTE_0 src1_sel:DWORD
	v_cmp_ne_u16_sdwa s[78:79], v50, v48 src0_sel:BYTE_0 src1_sel:BYTE_0
	v_cmp_ne_u16_sdwa s[80:81], v8, v50 src0_sel:BYTE_0 src1_sel:BYTE_0
	ds_write_b8 v0, v1
	s_cbranch_vccz .LBB32_84
; %bb.81:
	v_cndmask_b32_e64 v35, 0, 1, s[8:9]
	v_cndmask_b32_e64 v38, 0, 1, s[10:11]
	;; [unrolled: 1-line block ×31, first 2 shown]
	v_cmp_ne_u32_e32 vcc, 0, v0
	s_waitcnt lgkmcnt(0)
	s_barrier
	s_waitcnt lgkmcnt(0)
                                        ; implicit-def: $sgpr8_sgpr9
	s_and_saveexec_b64 s[10:11], vcc
	s_xor_b64 s[10:11], exec, s[10:11]
	s_cbranch_execz .LBB32_83
; %bb.82:
	v_add_u32_e32 v11, -1, v0
	ds_read_u8 v11, v11
	s_or_b64 s[4:5], s[4:5], exec
	s_waitcnt lgkmcnt(0)
	v_cmp_ne_u16_sdwa s[8:9], v11, v8 src0_sel:DWORD src1_sel:BYTE_0
	s_and_b64 s[8:9], s[8:9], exec
.LBB32_83:
	s_or_b64 exec, exec, s[10:11]
	s_mov_b32 s12, 1
	s_branch .LBB32_87
.LBB32_84:
                                        ; implicit-def: $sgpr8_sgpr9
                                        ; implicit-def: $vgpr74
                                        ; implicit-def: $vgpr73
                                        ; implicit-def: $vgpr72
                                        ; implicit-def: $vgpr71
                                        ; implicit-def: $vgpr70
                                        ; implicit-def: $vgpr69
                                        ; implicit-def: $vgpr68
                                        ; implicit-def: $vgpr67
                                        ; implicit-def: $vgpr66
                                        ; implicit-def: $vgpr65
                                        ; implicit-def: $vgpr64
                                        ; implicit-def: $vgpr63
                                        ; implicit-def: $vgpr62
                                        ; implicit-def: $vgpr61
                                        ; implicit-def: $vgpr60
                                        ; implicit-def: $vgpr59
                                        ; implicit-def: $vgpr58
                                        ; implicit-def: $vgpr57
                                        ; implicit-def: $vgpr56
                                        ; implicit-def: $vgpr55
                                        ; implicit-def: $vgpr54
                                        ; implicit-def: $vgpr53
                                        ; implicit-def: $vgpr52
                                        ; implicit-def: $vgpr51
                                        ; implicit-def: $vgpr49
                                        ; implicit-def: $vgpr46
                                        ; implicit-def: $vgpr44
                                        ; implicit-def: $vgpr41
                                        ; implicit-def: $vgpr40
                                        ; implicit-def: $vgpr38
                                        ; implicit-def: $vgpr35
                                        ; implicit-def: $sgpr12
	s_cbranch_execz .LBB32_87
; %bb.85:
	v_or_b32_e32 v11, 31, v10
	v_cmp_gt_u32_e32 vcc, s3, v11
	v_cmp_ne_u16_sdwa s[8:9], v20, v1 src0_sel:BYTE_0 src1_sel:DWORD
	s_and_b64 s[8:9], vcc, s[8:9]
	v_or_b32_e32 v11, 30, v10
	v_cndmask_b32_e64 v35, 0, 1, s[8:9]
	v_cmp_gt_u32_e32 vcc, s3, v11
	v_cmp_ne_u16_sdwa s[8:9], v21, v20 src0_sel:BYTE_0 src1_sel:BYTE_0
	s_and_b64 s[8:9], vcc, s[8:9]
	v_or_b32_e32 v11, 29, v10
	v_cndmask_b32_e64 v38, 0, 1, s[8:9]
	v_cmp_gt_u32_e32 vcc, s3, v11
	v_cmp_ne_u16_sdwa s[8:9], v3, v21 src0_sel:BYTE_0 src1_sel:BYTE_0
	s_and_b64 s[8:9], vcc, s[8:9]
	v_or_b32_e32 v11, 28, v10
	v_cndmask_b32_e64 v40, 0, 1, s[8:9]
	v_cmp_gt_u32_e32 vcc, s3, v11
	v_cmp_ne_u16_sdwa s[8:9], v23, v3 src0_sel:DWORD src1_sel:BYTE_0
	s_and_b64 s[8:9], vcc, s[8:9]
	v_or_b32_e32 v11, 27, v10
	v_cndmask_b32_e64 v41, 0, 1, s[8:9]
	v_cmp_gt_u32_e32 vcc, s3, v11
	v_cmp_ne_u16_sdwa s[8:9], v24, v23 src0_sel:BYTE_0 src1_sel:DWORD
	s_and_b64 s[8:9], vcc, s[8:9]
	v_or_b32_e32 v11, 26, v10
	v_cndmask_b32_e64 v44, 0, 1, s[8:9]
	v_cmp_gt_u32_e32 vcc, s3, v11
	v_cmp_ne_u16_sdwa s[8:9], v25, v24 src0_sel:BYTE_0 src1_sel:BYTE_0
	s_and_b64 s[8:9], vcc, s[8:9]
	v_or_b32_e32 v11, 25, v10
	v_cndmask_b32_e64 v46, 0, 1, s[8:9]
	v_cmp_gt_u32_e32 vcc, s3, v11
	v_cmp_ne_u16_sdwa s[8:9], v2, v25 src0_sel:BYTE_0 src1_sel:BYTE_0
	s_and_b64 s[8:9], vcc, s[8:9]
	v_or_b32_e32 v11, 24, v10
	v_cndmask_b32_e64 v49, 0, 1, s[8:9]
	v_cmp_gt_u32_e32 vcc, s3, v11
	v_cmp_ne_u16_sdwa s[8:9], v26, v2 src0_sel:DWORD src1_sel:BYTE_0
	s_and_b64 s[8:9], vcc, s[8:9]
	v_or_b32_e32 v11, 23, v10
	v_cndmask_b32_e64 v51, 0, 1, s[8:9]
	;; [unrolled: 20-line block ×7, first 2 shown]
	v_cmp_gt_u32_e32 vcc, s3, v11
	v_cmp_ne_u16_sdwa s[8:9], v48, v47 src0_sel:BYTE_0 src1_sel:DWORD
	s_and_b64 s[8:9], vcc, s[8:9]
	v_or_b32_e32 v11, 2, v10
	v_cndmask_b32_e64 v72, 0, 1, s[8:9]
	v_cmp_gt_u32_e32 vcc, s3, v11
	v_cmp_ne_u16_sdwa s[8:9], v50, v48 src0_sel:BYTE_0 src1_sel:BYTE_0
	s_and_b64 s[8:9], vcc, s[8:9]
	v_or_b32_e32 v11, 1, v10
	v_cndmask_b32_e64 v73, 0, 1, s[8:9]
	v_cmp_gt_u32_e32 vcc, s3, v11
	v_cmp_ne_u16_sdwa s[8:9], v8, v50 src0_sel:BYTE_0 src1_sel:BYTE_0
	s_and_b64 s[8:9], vcc, s[8:9]
	s_mov_b32 s12, 1
	v_cndmask_b32_e64 v74, 0, 1, s[8:9]
	v_cmp_ne_u32_e32 vcc, 0, v0
	s_waitcnt lgkmcnt(0)
	s_barrier
	s_waitcnt lgkmcnt(0)
                                        ; implicit-def: $sgpr8_sgpr9
	s_and_saveexec_b64 s[10:11], vcc
	s_cbranch_execz .LBB32_311
; %bb.86:
	v_add_u32_e32 v11, -1, v0
	ds_read_u8 v11, v11
	v_cmp_gt_u32_e32 vcc, s3, v10
	s_or_b64 s[4:5], s[4:5], exec
	s_waitcnt lgkmcnt(0)
	v_and_b32_e32 v11, 0xff, v11
	v_cmp_ne_u16_sdwa s[8:9], v11, v8 src0_sel:DWORD src1_sel:BYTE_0
	s_and_b64 s[8:9], vcc, s[8:9]
	s_and_b64 s[8:9], s[8:9], exec
	s_or_b64 exec, exec, s[10:11]
.LBB32_87:
	v_mov_b32_e32 v75, s12
	s_and_saveexec_b64 s[10:11], s[4:5]
.LBB32_88:
	v_cndmask_b32_e64 v75, 0, 1, s[8:9]
.LBB32_89:
	s_or_b64 exec, exec, s[10:11]
	s_load_dwordx2 s[28:29], s[0:1], 0x68
	s_andn2_b64 vcc, exec, s[6:7]
	s_cbranch_vccnz .LBB32_91
; %bb.90:
	v_cmp_gt_u32_e32 vcc, s3, v10
	v_or_b32_e32 v11, 1, v10
	s_nop 0
	v_cndmask_b32_e32 v75, 0, v75, vcc
	v_cmp_gt_u32_e32 vcc, s3, v11
	v_or_b32_e32 v11, 2, v10
	s_nop 0
	v_cndmask_b32_e32 v74, 0, v74, vcc
	;; [unrolled: 4-line block ×29, first 2 shown]
	v_cmp_gt_u32_e32 vcc, s3, v11
	v_or_b32_e32 v11, 30, v10
	v_or_b32_e32 v10, 31, v10
	v_cndmask_b32_e32 v40, 0, v40, vcc
	v_cmp_gt_u32_e32 vcc, s3, v11
	s_nop 1
	v_cndmask_b32_e32 v38, 0, v38, vcc
	v_cmp_gt_u32_e32 vcc, s3, v10
	s_nop 1
	v_cndmask_b32_e32 v35, 0, v35, vcc
.LBB32_91:
	v_and_b32_e32 v116, 0xff, v41
	v_and_b32_e32 v117, 0xff, v40
	v_add_u32_sdwa v10, v38, v35 dst_sel:DWORD dst_unused:UNUSED_PAD src0_sel:BYTE_0 src1_sel:BYTE_0
	v_and_b32_e32 v114, 0xff, v46
	v_and_b32_e32 v115, 0xff, v44
	v_add3_u32 v10, v10, v117, v116
	v_and_b32_e32 v112, 0xff, v51
	v_and_b32_e32 v113, 0xff, v49
	v_add3_u32 v10, v10, v115, v114
	;; [unrolled: 3-line block ×14, first 2 shown]
	v_add3_u32 v90, v10, v77, v76
	v_mbcnt_lo_u32_b32 v10, -1, 0
	v_mbcnt_hi_u32_b32 v88, -1, v10
	v_and_b32_e32 v10, 15, v88
	v_cmp_eq_u32_e64 s[14:15], 0, v10
	v_cmp_lt_u32_e64 s[12:13], 1, v10
	v_cmp_lt_u32_e64 s[10:11], 3, v10
	;; [unrolled: 1-line block ×3, first 2 shown]
	v_and_b32_e32 v10, 16, v88
	v_cmp_eq_u32_e64 s[6:7], 0, v10
	v_or_b32_e32 v10, 63, v0
	v_cmp_lt_u32_e64 s[18:19], 31, v88
	v_lshrrev_b32_e32 v89, 6, v0
	v_cmp_eq_u32_e64 s[4:5], v10, v0
	s_and_b64 vcc, exec, s[16:17]
	s_waitcnt lgkmcnt(0)
	s_barrier
	s_cbranch_vccz .LBB32_122
; %bb.92:
	v_mov_b32_dpp v10, v90 row_shr:1 row_mask:0xf bank_mask:0xf
	v_cndmask_b32_e64 v10, v10, 0, s[14:15]
	v_add_u32_e32 v10, v10, v90
	s_nop 1
	v_mov_b32_dpp v11, v10 row_shr:2 row_mask:0xf bank_mask:0xf
	v_cndmask_b32_e64 v11, 0, v11, s[12:13]
	v_add_u32_e32 v10, v10, v11
	s_nop 1
	;; [unrolled: 4-line block ×4, first 2 shown]
	v_mov_b32_dpp v11, v10 row_bcast:15 row_mask:0xf bank_mask:0xf
	v_cndmask_b32_e64 v11, v11, 0, s[6:7]
	v_add_u32_e32 v10, v10, v11
	s_nop 1
	v_mov_b32_dpp v11, v10 row_bcast:31 row_mask:0xf bank_mask:0xf
	v_cndmask_b32_e64 v11, 0, v11, s[18:19]
	v_add_u32_e32 v10, v10, v11
	s_and_saveexec_b64 s[16:17], s[4:5]
	s_cbranch_execz .LBB32_94
; %bb.93:
	v_lshlrev_b32_e32 v11, 2, v89
	ds_write_b32 v11, v10
.LBB32_94:
	s_or_b64 exec, exec, s[16:17]
	v_cmp_gt_u32_e32 vcc, 8, v0
	s_waitcnt lgkmcnt(0)
	s_barrier
	s_and_saveexec_b64 s[16:17], vcc
	s_cbranch_execz .LBB32_96
; %bb.95:
	v_lshlrev_b32_e32 v11, 2, v0
	ds_read_b32 v12, v11
	v_and_b32_e32 v13, 7, v88
	v_cmp_ne_u32_e32 vcc, 0, v13
	s_waitcnt lgkmcnt(0)
	v_mov_b32_dpp v14, v12 row_shr:1 row_mask:0xf bank_mask:0xf
	v_cndmask_b32_e32 v14, 0, v14, vcc
	v_add_u32_e32 v12, v14, v12
	v_cmp_lt_u32_e32 vcc, 1, v13
	s_nop 0
	v_mov_b32_dpp v14, v12 row_shr:2 row_mask:0xf bank_mask:0xf
	v_cndmask_b32_e32 v14, 0, v14, vcc
	v_add_u32_e32 v12, v12, v14
	v_cmp_lt_u32_e32 vcc, 3, v13
	s_nop 0
	v_mov_b32_dpp v14, v12 row_shr:4 row_mask:0xf bank_mask:0xf
	v_cndmask_b32_e32 v13, 0, v14, vcc
	v_add_u32_e32 v12, v12, v13
	ds_write_b32 v11, v12
.LBB32_96:
	s_or_b64 exec, exec, s[16:17]
	v_cmp_gt_u32_e32 vcc, 64, v0
	v_cmp_lt_u32_e64 s[16:17], 63, v0
	s_waitcnt lgkmcnt(0)
	s_barrier
	s_waitcnt lgkmcnt(0)
                                        ; implicit-def: $vgpr91
	s_and_saveexec_b64 s[30:31], s[16:17]
	s_cbranch_execz .LBB32_98
; %bb.97:
	v_lshl_add_u32 v11, v89, 2, -4
	ds_read_b32 v91, v11
	s_waitcnt lgkmcnt(0)
	v_add_u32_e32 v10, v91, v10
.LBB32_98:
	s_or_b64 exec, exec, s[30:31]
	v_add_u32_e32 v11, -1, v88
	v_and_b32_e32 v12, 64, v88
	v_cmp_lt_i32_e64 s[16:17], v11, v12
	s_nop 1
	v_cndmask_b32_e64 v11, v11, v88, s[16:17]
	v_lshlrev_b32_e32 v11, 2, v11
	ds_bpermute_b32 v92, v11, v10
	v_cmp_eq_u32_e64 s[16:17], 0, v88
	s_and_saveexec_b64 s[30:31], vcc
	s_cbranch_execz .LBB32_121
; %bb.99:
	v_mov_b32_e32 v19, 0
	ds_read_b32 v10, v19 offset:28
	s_and_saveexec_b64 s[34:35], s[16:17]
	s_cbranch_execz .LBB32_101
; %bb.100:
	s_add_i32 s36, s2, 64
	s_mov_b32 s37, 0
	s_lshl_b64 s[36:37], s[36:37], 3
	s_add_u32 s36, s28, s36
	v_mov_b32_e32 v11, 1
	s_addc_u32 s37, s29, s37
	s_waitcnt lgkmcnt(0)
	global_store_dwordx2 v19, v[10:11], s[36:37] sc1
.LBB32_101:
	s_or_b64 exec, exec, s[34:35]
	v_xad_u32 v12, v88, -1, s2
	v_add_u32_e32 v18, 64, v12
	v_lshl_add_u64 v[14:15], v[18:19], 3, s[28:29]
	global_load_dwordx2 v[16:17], v[14:15], off sc1
	s_waitcnt vmcnt(0)
	v_cmp_eq_u16_sdwa s[36:37], v17, v19 src0_sel:BYTE_0 src1_sel:DWORD
	s_and_saveexec_b64 s[34:35], s[36:37]
	s_cbranch_execz .LBB32_107
; %bb.102:
	s_mov_b32 s3, 1
	s_mov_b64 s[36:37], 0
	v_mov_b32_e32 v11, 0
.LBB32_103:                             ; =>This Loop Header: Depth=1
                                        ;     Child Loop BB32_104 Depth 2
	s_max_u32 s33, s3, 1
.LBB32_104:                             ;   Parent Loop BB32_103 Depth=1
                                        ; =>  This Inner Loop Header: Depth=2
	s_add_i32 s33, s33, -1
	s_cmp_eq_u32 s33, 0
	s_sleep 1
	s_cbranch_scc0 .LBB32_104
; %bb.105:                              ;   in Loop: Header=BB32_103 Depth=1
	global_load_dwordx2 v[16:17], v[14:15], off sc1
	s_cmp_lt_u32 s3, 32
	s_cselect_b64 s[38:39], -1, 0
	s_cmp_lg_u64 s[38:39], 0
	s_addc_u32 s3, s3, 0
	s_waitcnt vmcnt(0)
	v_cmp_ne_u16_sdwa s[38:39], v17, v11 src0_sel:BYTE_0 src1_sel:DWORD
	s_or_b64 s[36:37], s[38:39], s[36:37]
	s_andn2_b64 exec, exec, s[36:37]
	s_cbranch_execnz .LBB32_103
; %bb.106:
	s_or_b64 exec, exec, s[36:37]
.LBB32_107:
	s_or_b64 exec, exec, s[34:35]
	v_and_b32_e32 v93, 63, v88
	v_mov_b32_e32 v11, 2
	v_cmp_ne_u32_e32 vcc, 63, v93
	v_cmp_eq_u16_sdwa s[34:35], v17, v11 src0_sel:BYTE_0 src1_sel:DWORD
	v_lshlrev_b64 v[14:15], v88, -1
	v_addc_co_u32_e32 v19, vcc, 0, v88, vcc
	v_and_b32_e32 v13, s35, v15
	v_lshlrev_b32_e32 v94, 2, v19
	v_or_b32_e32 v13, 0x80000000, v13
	ds_bpermute_b32 v19, v94, v16
	v_and_b32_e32 v18, s34, v14
	v_ffbl_b32_e32 v13, v13
	v_add_u32_e32 v13, 32, v13
	v_ffbl_b32_e32 v18, v18
	v_min_u32_e32 v13, v18, v13
	v_cmp_lt_u32_e32 vcc, v93, v13
	v_add_u32_e32 v96, 2, v93
	v_add_u32_e32 v98, 4, v93
	s_waitcnt lgkmcnt(0)
	v_cndmask_b32_e32 v18, 0, v19, vcc
	v_cmp_gt_u32_e32 vcc, 62, v93
	v_add_u32_e32 v16, v18, v16
	v_add_u32_e32 v118, 8, v93
	v_cndmask_b32_e64 v18, 0, 1, vcc
	v_lshlrev_b32_e32 v18, 1, v18
	v_add_lshl_u32 v95, v18, v88, 2
	ds_bpermute_b32 v18, v95, v16
	v_cmp_le_u32_e32 vcc, v96, v13
	v_add_u32_e32 v121, 16, v93
	v_add_u32_e32 v123, 32, v93
	s_waitcnt lgkmcnt(0)
	v_cndmask_b32_e32 v18, 0, v18, vcc
	v_cmp_gt_u32_e32 vcc, 60, v93
	v_add_u32_e32 v16, v16, v18
	s_nop 0
	v_cndmask_b32_e64 v18, 0, 1, vcc
	v_lshlrev_b32_e32 v18, 2, v18
	v_add_lshl_u32 v97, v18, v88, 2
	ds_bpermute_b32 v18, v97, v16
	v_cmp_le_u32_e32 vcc, v98, v13
	s_waitcnt lgkmcnt(0)
	s_nop 0
	v_cndmask_b32_e32 v18, 0, v18, vcc
	v_cmp_gt_u32_e32 vcc, 56, v93
	v_add_u32_e32 v16, v16, v18
	s_nop 0
	v_cndmask_b32_e64 v18, 0, 1, vcc
	v_lshlrev_b32_e32 v18, 3, v18
	v_add_lshl_u32 v99, v18, v88, 2
	ds_bpermute_b32 v18, v99, v16
	v_cmp_le_u32_e32 vcc, v118, v13
	s_waitcnt lgkmcnt(0)
	s_nop 0
	;; [unrolled: 11-line block ×4, first 2 shown]
	v_cndmask_b32_e32 v13, 0, v18, vcc
	v_add_u32_e32 v16, v16, v13
	v_mov_b32_e32 v13, 0
	s_branch .LBB32_109
.LBB32_108:                             ;   in Loop: Header=BB32_109 Depth=1
	s_or_b64 exec, exec, s[34:35]
	v_cmp_eq_u16_sdwa s[34:35], v17, v11 src0_sel:BYTE_0 src1_sel:DWORD
	ds_bpermute_b32 v124, v94, v16
	v_subrev_u32_e32 v12, 64, v12
	v_and_b32_e32 v18, s35, v15
	v_or_b32_e32 v18, 0x80000000, v18
	v_and_b32_e32 v19, s34, v14
	v_ffbl_b32_e32 v18, v18
	v_add_u32_e32 v18, 32, v18
	v_ffbl_b32_e32 v19, v19
	v_min_u32_e32 v18, v19, v18
	v_cmp_lt_u32_e32 vcc, v93, v18
	s_waitcnt lgkmcnt(0)
	s_nop 0
	v_cndmask_b32_e32 v19, 0, v124, vcc
	v_add_u32_e32 v16, v19, v16
	ds_bpermute_b32 v19, v95, v16
	v_cmp_le_u32_e32 vcc, v96, v18
	s_waitcnt lgkmcnt(0)
	s_nop 0
	v_cndmask_b32_e32 v19, 0, v19, vcc
	v_add_u32_e32 v16, v16, v19
	ds_bpermute_b32 v19, v97, v16
	v_cmp_le_u32_e32 vcc, v98, v18
	;; [unrolled: 6-line block ×5, first 2 shown]
	s_waitcnt lgkmcnt(0)
	s_nop 0
	v_cndmask_b32_e32 v18, 0, v19, vcc
	v_add3_u32 v16, v18, v119, v16
.LBB32_109:                             ; =>This Loop Header: Depth=1
                                        ;     Child Loop BB32_112 Depth 2
                                        ;       Child Loop BB32_113 Depth 3
	v_cmp_ne_u16_sdwa s[34:35], v17, v11 src0_sel:BYTE_0 src1_sel:DWORD
	v_mov_b32_e32 v119, v16
	s_nop 0
	v_cndmask_b32_e64 v17, 0, 1, s[34:35]
	;;#ASMSTART
	;;#ASMEND
	s_nop 0
	v_cmp_ne_u32_e32 vcc, 0, v17
	s_cmp_lg_u64 vcc, exec
	s_cbranch_scc1 .LBB32_116
; %bb.110:                              ;   in Loop: Header=BB32_109 Depth=1
	v_lshl_add_u64 v[18:19], v[12:13], 3, s[28:29]
	global_load_dwordx2 v[16:17], v[18:19], off sc1
	s_waitcnt vmcnt(0)
	v_cmp_eq_u16_sdwa s[36:37], v17, v13 src0_sel:BYTE_0 src1_sel:DWORD
	s_and_saveexec_b64 s[34:35], s[36:37]
	s_cbranch_execz .LBB32_108
; %bb.111:                              ;   in Loop: Header=BB32_109 Depth=1
	s_mov_b32 s3, 1
	s_mov_b64 s[36:37], 0
.LBB32_112:                             ;   Parent Loop BB32_109 Depth=1
                                        ; =>  This Loop Header: Depth=2
                                        ;       Child Loop BB32_113 Depth 3
	s_max_u32 s33, s3, 1
.LBB32_113:                             ;   Parent Loop BB32_109 Depth=1
                                        ;     Parent Loop BB32_112 Depth=2
                                        ; =>    This Inner Loop Header: Depth=3
	s_add_i32 s33, s33, -1
	s_cmp_eq_u32 s33, 0
	s_sleep 1
	s_cbranch_scc0 .LBB32_113
; %bb.114:                              ;   in Loop: Header=BB32_112 Depth=2
	global_load_dwordx2 v[16:17], v[18:19], off sc1
	s_cmp_lt_u32 s3, 32
	s_cselect_b64 s[38:39], -1, 0
	s_cmp_lg_u64 s[38:39], 0
	s_addc_u32 s3, s3, 0
	s_waitcnt vmcnt(0)
	v_cmp_ne_u16_sdwa s[38:39], v17, v13 src0_sel:BYTE_0 src1_sel:DWORD
	s_or_b64 s[36:37], s[38:39], s[36:37]
	s_andn2_b64 exec, exec, s[36:37]
	s_cbranch_execnz .LBB32_112
; %bb.115:                              ;   in Loop: Header=BB32_109 Depth=1
	s_or_b64 exec, exec, s[36:37]
	s_branch .LBB32_108
.LBB32_116:                             ;   in Loop: Header=BB32_109 Depth=1
                                        ; implicit-def: $vgpr16
                                        ; implicit-def: $vgpr17
	s_cbranch_execz .LBB32_109
; %bb.117:
	s_and_saveexec_b64 s[34:35], s[16:17]
	s_cbranch_execz .LBB32_119
; %bb.118:
	s_add_i32 s2, s2, 64
	s_mov_b32 s3, 0
	s_lshl_b64 s[2:3], s[2:3], 3
	s_add_u32 s2, s28, s2
	v_add_u32_e32 v12, v119, v10
	v_mov_b32_e32 v13, 2
	s_addc_u32 s3, s29, s3
	v_mov_b32_e32 v11, 0
	global_store_dwordx2 v11, v[12:13], s[2:3] sc1
	s_movk_i32 s2, 0x4000
	v_add_u32_e64 v11, s2, 0
	ds_write2_b32 v11, v10, v119 offset0:128 offset1:130
.LBB32_119:
	s_or_b64 exec, exec, s[34:35]
	v_cmp_eq_u32_e32 vcc, 0, v0
	s_and_b64 exec, exec, vcc
	s_cbranch_execz .LBB32_121
; %bb.120:
	v_mov_b32_e32 v10, 0
	ds_write_b32 v10, v119 offset:28
.LBB32_121:
	s_or_b64 exec, exec, s[30:31]
	s_movk_i32 s2, 0x4000
	v_mov_b32_e32 v11, 0
	v_add_u32_e64 v12, s2, 0
	s_waitcnt lgkmcnt(0)
	s_barrier
	ds_read_b32 v11, v11 offset:28
	s_waitcnt lgkmcnt(0)
	s_barrier
	ds_read2_b32 v[16:17], v12 offset0:128 offset1:130
	v_cndmask_b32_e64 v10, v92, v91, s[16:17]
	v_cmp_ne_u32_e32 vcc, 0, v0
	s_waitcnt lgkmcnt(0)
	v_mov_b32_e32 v18, v17
	v_cndmask_b32_e32 v10, 0, v10, vcc
	v_add_u32_e32 v96, v11, v10
	s_load_dwordx2 s[2:3], s[0:1], 0x30
	s_branch .LBB32_132
.LBB32_122:
                                        ; implicit-def: $vgpr18
                                        ; implicit-def: $vgpr16
                                        ; implicit-def: $vgpr96
	s_load_dwordx2 s[2:3], s[0:1], 0x30
	s_cbranch_execz .LBB32_132
; %bb.123:
	v_mov_b32_dpp v10, v90 row_shr:1 row_mask:0xf bank_mask:0xf
	v_cndmask_b32_e64 v10, v10, 0, s[14:15]
	v_add_u32_e32 v10, v10, v90
	s_nop 1
	v_mov_b32_dpp v11, v10 row_shr:2 row_mask:0xf bank_mask:0xf
	v_cndmask_b32_e64 v11, 0, v11, s[12:13]
	v_add_u32_e32 v10, v10, v11
	s_nop 1
	;; [unrolled: 4-line block ×4, first 2 shown]
	v_mov_b32_dpp v11, v10 row_bcast:15 row_mask:0xf bank_mask:0xf
	v_cndmask_b32_e64 v11, v11, 0, s[6:7]
	v_add_u32_e32 v10, v10, v11
	s_nop 1
	v_mov_b32_dpp v11, v10 row_bcast:31 row_mask:0xf bank_mask:0xf
	v_cndmask_b32_e64 v11, 0, v11, s[18:19]
	v_add_u32_e32 v10, v10, v11
	s_and_saveexec_b64 s[0:1], s[4:5]
	s_cbranch_execz .LBB32_125
; %bb.124:
	v_lshlrev_b32_e32 v11, 2, v89
	ds_write_b32 v11, v10
.LBB32_125:
	s_or_b64 exec, exec, s[0:1]
	v_cmp_gt_u32_e32 vcc, 8, v0
	s_waitcnt lgkmcnt(0)
	s_barrier
	s_and_saveexec_b64 s[0:1], vcc
	s_cbranch_execz .LBB32_127
; %bb.126:
	v_lshlrev_b32_e32 v11, 2, v0
	ds_read_b32 v12, v11
	v_and_b32_e32 v13, 7, v88
	v_cmp_ne_u32_e32 vcc, 0, v13
	s_waitcnt lgkmcnt(0)
	v_mov_b32_dpp v14, v12 row_shr:1 row_mask:0xf bank_mask:0xf
	v_cndmask_b32_e32 v14, 0, v14, vcc
	v_add_u32_e32 v12, v14, v12
	v_cmp_lt_u32_e32 vcc, 1, v13
	s_nop 0
	v_mov_b32_dpp v14, v12 row_shr:2 row_mask:0xf bank_mask:0xf
	v_cndmask_b32_e32 v14, 0, v14, vcc
	v_add_u32_e32 v12, v12, v14
	v_cmp_lt_u32_e32 vcc, 3, v13
	s_nop 0
	v_mov_b32_dpp v14, v12 row_shr:4 row_mask:0xf bank_mask:0xf
	v_cndmask_b32_e32 v13, 0, v14, vcc
	v_add_u32_e32 v12, v12, v13
	ds_write_b32 v11, v12
.LBB32_127:
	s_or_b64 exec, exec, s[0:1]
	v_cmp_lt_u32_e32 vcc, 63, v0
	v_mov_b32_e32 v12, 0
	v_mov_b32_e32 v11, 0
	s_waitcnt lgkmcnt(0)
	s_barrier
	s_and_saveexec_b64 s[0:1], vcc
	s_cbranch_execz .LBB32_129
; %bb.128:
	v_lshl_add_u32 v11, v89, 2, -4
	ds_read_b32 v11, v11
.LBB32_129:
	s_or_b64 exec, exec, s[0:1]
	v_add_u32_e32 v13, -1, v88
	v_and_b32_e32 v14, 64, v88
	v_cmp_lt_i32_e32 vcc, v13, v14
	s_waitcnt lgkmcnt(0)
	v_add_u32_e32 v10, v11, v10
	ds_read_b32 v16, v12 offset:28
	v_cndmask_b32_e32 v13, v13, v88, vcc
	v_lshlrev_b32_e32 v13, 2, v13
	ds_bpermute_b32 v10, v13, v10
	v_cmp_eq_u32_e32 vcc, 0, v0
	s_and_saveexec_b64 s[0:1], vcc
	s_cbranch_execz .LBB32_131
; %bb.130:
	v_mov_b32_e32 v12, 0
	v_mov_b32_e32 v17, 2
	s_waitcnt lgkmcnt(1)
	global_store_dwordx2 v12, v[16:17], s[28:29] offset:512 sc1
.LBB32_131:
	s_or_b64 exec, exec, s[0:1]
	v_cmp_eq_u32_e64 s[0:1], 0, v88
	v_mov_b32_e32 v18, 0
	s_waitcnt lgkmcnt(0)
	v_cndmask_b32_e64 v10, v10, v11, s[0:1]
	v_cndmask_b32_e64 v96, v10, 0, vcc
	s_barrier
.LBB32_132:
	v_add_u32_e32 v99, v96, v76
	v_add_u32_e32 v98, v99, v77
	;; [unrolled: 1-line block ×29, first 2 shown]
	s_movk_i32 s0, 0x201
	v_add_u32_e32 v11, v12, v117
	v_cmp_gt_u32_e32 vcc, s0, v16
	v_add_u32_sdwa v10, v11, v38 dst_sel:DWORD dst_unused:UNUSED_PAD src0_sel:DWORD src1_sel:BYTE_0
	s_mov_b64 s[0:1], -1
	s_cbranch_vccnz .LBB32_136
; %bb.133:
	s_and_b64 vcc, exec, s[0:1]
	s_cbranch_vccnz .LBB32_233
.LBB32_134:
	v_cmp_eq_u32_e32 vcc, 0, v0
	s_and_b64 s[0:1], vcc, s[24:25]
	s_waitcnt lgkmcnt(0)
	s_and_saveexec_b64 s[2:3], s[0:1]
	s_cbranch_execnz .LBB32_310
.LBB32_135:
	s_endpgm
.LBB32_136:
	v_add_u32_e32 v100, v18, v16
	s_waitcnt lgkmcnt(0)
	s_add_u32 s0, s2, s22
	v_cmp_lt_u32_e32 vcc, v96, v100
	s_addc_u32 s1, s3, s23
	s_or_b64 s[6:7], s[26:27], vcc
	s_and_saveexec_b64 s[4:5], s[6:7]
	s_cbranch_execz .LBB32_139
; %bb.137:
	v_and_b32_e32 v101, 1, v75
	v_cmp_eq_u32_e32 vcc, 1, v101
	s_and_b64 exec, exec, vcc
	s_cbranch_execz .LBB32_139
; %bb.138:
	global_store_byte v96, v8, s[0:1]
.LBB32_139:
	s_or_b64 exec, exec, s[4:5]
	v_cmp_lt_u32_e32 vcc, v99, v100
	s_or_b64 s[6:7], s[26:27], vcc
	s_and_saveexec_b64 s[4:5], s[6:7]
	s_cbranch_execz .LBB32_142
; %bb.140:
	v_and_b32_e32 v101, 1, v74
	v_cmp_eq_u32_e32 vcc, 1, v101
	s_and_b64 exec, exec, vcc
	s_cbranch_execz .LBB32_142
; %bb.141:
	global_store_byte v99, v50, s[0:1]
.LBB32_142:
	s_or_b64 exec, exec, s[4:5]
	v_cmp_lt_u32_e32 vcc, v98, v100
	;; [unrolled: 13-line block ×31, first 2 shown]
	s_or_b64 s[6:7], s[26:27], vcc
	s_and_saveexec_b64 s[4:5], s[6:7]
	s_cbranch_execz .LBB32_232
; %bb.230:
	v_and_b32_e32 v100, 1, v35
	v_cmp_eq_u32_e32 vcc, 1, v100
	s_and_b64 exec, exec, vcc
	s_cbranch_execz .LBB32_232
; %bb.231:
	global_store_byte v10, v1, s[0:1]
.LBB32_232:
	s_or_b64 exec, exec, s[4:5]
	s_branch .LBB32_134
.LBB32_233:
	v_and_b32_e32 v75, 1, v75
	v_cmp_eq_u32_e32 vcc, 1, v75
	s_and_saveexec_b64 s[0:1], vcc
	s_cbranch_execz .LBB32_235
; %bb.234:
	v_sub_u32_e32 v75, v96, v18
	ds_write_b8 v75, v8
.LBB32_235:
	s_or_b64 exec, exec, s[0:1]
	v_and_b32_e32 v8, 1, v74
	v_cmp_eq_u32_e32 vcc, 1, v8
	s_and_saveexec_b64 s[0:1], vcc
	s_cbranch_execz .LBB32_237
; %bb.236:
	v_sub_u32_e32 v8, v99, v18
	ds_write_b8 v8, v50
.LBB32_237:
	s_or_b64 exec, exec, s[0:1]
	;; [unrolled: 9-line block ×32, first 2 shown]
	v_cmp_lt_u32_e32 vcc, v0, v16
	s_waitcnt lgkmcnt(0)
	s_barrier
	s_and_saveexec_b64 s[0:1], vcc
	s_cbranch_execz .LBB32_309
; %bb.298:
	s_add_u32 s2, s2, s22
	v_mov_b32_e32 v19, 0
	s_addc_u32 s3, s3, s23
	v_lshl_add_u64 v[20:21], s[2:3], 0, v[18:19]
	v_xad_u32 v1, v0, -1, v16
	s_movk_i32 s2, 0xdff
	v_cmp_lt_u32_e32 vcc, s2, v1
	s_mov_b64 s[4:5], -1
	s_and_saveexec_b64 s[2:3], vcc
	s_cbranch_execz .LBB32_306
; %bb.299:
	v_lshrrev_b32_e32 v17, 9, v1
	v_or_b32_e32 v7, 0xe00, v0
	v_or_b32_e32 v6, 0xc00, v0
	;; [unrolled: 1-line block ×7, first 2 shown]
	v_add_u32_e32 v24, -7, v17
	v_mov_b64_e32 v[14:15], v[6:7]
	v_cmp_lt_u32_e32 vcc, 7, v24
	v_mov_b64_e32 v[12:13], v[4:5]
	v_mov_b64_e32 v[10:11], v[2:3]
	v_mov_b64_e32 v[8:9], v[0:1]
	s_and_saveexec_b64 s[4:5], vcc
	s_cbranch_execz .LBB32_303
; %bb.300:
	v_lshrrev_b32_e32 v8, 3, v24
	v_add_u32_e32 v8, 1, v8
	v_and_b32_e32 v19, 0x3ffffffe, v8
	v_mov_b64_e32 v[14:15], v[6:7]
	s_mov_b32 s8, 0
	s_mov_b64 s[6:7], 0
	v_mov_b32_e32 v23, 0
	v_mov_b32_e32 v25, v0
	v_mov_b64_e32 v[12:13], v[4:5]
	v_mov_b64_e32 v[10:11], v[2:3]
	;; [unrolled: 1-line block ×3, first 2 shown]
.LBB32_301:                             ; =>This Inner Loop Header: Depth=1
	v_mov_b32_e32 v22, v8
	v_lshl_add_u64 v[34:35], v[20:21], 0, v[22:23]
	v_mov_b32_e32 v22, v9
	v_lshl_add_u64 v[36:37], v[20:21], 0, v[22:23]
	;; [unrolled: 2-line block ×3, first 2 shown]
	v_mov_b32_e32 v22, v11
	ds_read_u8 v44, v25
	ds_read_u8 v45, v25 offset:512
	ds_read_u8 v46, v25 offset:1024
	;; [unrolled: 1-line block ×7, first 2 shown]
	v_lshl_add_u64 v[40:41], v[20:21], 0, v[22:23]
	v_mov_b32_e32 v22, v12
	ds_read_u8 v52, v25 offset:4096
	ds_read_u8 v53, v25 offset:4608
	;; [unrolled: 1-line block ×8, first 2 shown]
	v_lshl_add_u64 v[42:43], v[20:21], 0, v[22:23]
	v_mov_b32_e32 v22, v13
	s_waitcnt lgkmcnt(14)
	global_store_byte v[34:35], v44, off
	global_store_byte v[36:37], v45, off
	s_waitcnt lgkmcnt(13)
	global_store_byte v[38:39], v46, off
	s_waitcnt lgkmcnt(12)
	global_store_byte v[40:41], v47, off
	v_lshl_add_u64 v[34:35], v[20:21], 0, v[22:23]
	v_mov_b32_e32 v22, v14
	v_add_u32_e32 v19, -2, v19
	v_lshl_add_u64 v[36:37], v[20:21], 0, v[22:23]
	v_mov_b32_e32 v22, v15
	s_add_i32 s8, s8, 16
	v_cmp_eq_u32_e32 vcc, 0, v19
	s_waitcnt lgkmcnt(11)
	global_store_byte v[42:43], v48, off
	s_waitcnt lgkmcnt(10)
	global_store_byte v[34:35], v49, off
	v_lshl_add_u64 v[34:35], v[20:21], 0, v[22:23]
	v_add_u32_e32 v22, 0x1000, v8
	v_add_u32_e32 v2, 0x1000, v15
	;; [unrolled: 1-line block ×8, first 2 shown]
	v_mov_b32_e32 v33, v23
	v_mov_b32_e32 v31, v23
	;; [unrolled: 1-line block ×7, first 2 shown]
	v_add_u32_e32 v25, 0x2000, v25
	v_add_u32_e32 v9, 0x2000, v9
	v_mov_b32_e32 v1, s8
	v_add_u32_e32 v10, 0x2000, v10
	s_or_b64 s[6:7], vcc, s[6:7]
	v_add_u32_e32 v11, 0x2000, v11
	v_add_u32_e32 v12, 0x2000, v12
	;; [unrolled: 1-line block ×5, first 2 shown]
	s_waitcnt lgkmcnt(9)
	global_store_byte v[36:37], v50, off
	v_add_u32_e32 v8, 0x2000, v8
	s_waitcnt lgkmcnt(8)
	global_store_byte v[34:35], v51, off
	v_lshl_add_u64 v[34:35], v[20:21], 0, v[22:23]
	v_lshl_add_u64 v[32:33], v[20:21], 0, v[32:33]
	v_lshl_add_u64 v[30:31], v[20:21], 0, v[30:31]
	v_lshl_add_u64 v[28:29], v[20:21], 0, v[28:29]
	v_lshl_add_u64 v[26:27], v[20:21], 0, v[26:27]
	v_lshl_add_u64 v[6:7], v[20:21], 0, v[6:7]
	v_lshl_add_u64 v[4:5], v[20:21], 0, v[4:5]
	v_lshl_add_u64 v[2:3], v[20:21], 0, v[2:3]
	s_waitcnt lgkmcnt(7)
	global_store_byte v[34:35], v52, off
	s_waitcnt lgkmcnt(6)
	global_store_byte v[32:33], v53, off
	;; [unrolled: 2-line block ×8, first 2 shown]
	s_andn2_b64 exec, exec, s[6:7]
	s_cbranch_execnz .LBB32_301
; %bb.302:
	s_or_b64 exec, exec, s[6:7]
	v_lshlrev_b32_e32 v19, 9, v1
.LBB32_303:
	s_or_b64 exec, exec, s[4:5]
	v_and_b32_e32 v1, 8, v24
	v_cmp_eq_u32_e32 vcc, 0, v1
	s_and_saveexec_b64 s[4:5], vcc
	s_cbranch_execz .LBB32_305
; %bb.304:
	v_mov_b32_e32 v3, 0
	v_mov_b32_e32 v2, v8
	v_lshl_add_u64 v[4:5], v[20:21], 0, v[2:3]
	v_mov_b32_e32 v2, v9
	v_or_b32_e32 v1, v0, v19
	v_lshl_add_u64 v[6:7], v[20:21], 0, v[2:3]
	v_mov_b32_e32 v2, v10
	ds_read_u8 v19, v1
	ds_read_u8 v26, v1 offset:512
	ds_read_u8 v27, v1 offset:1024
	;; [unrolled: 1-line block ×7, first 2 shown]
	v_lshl_add_u64 v[8:9], v[20:21], 0, v[2:3]
	v_mov_b32_e32 v2, v11
	v_lshl_add_u64 v[10:11], v[20:21], 0, v[2:3]
	v_mov_b32_e32 v2, v12
	;; [unrolled: 2-line block ×5, first 2 shown]
	v_lshl_add_u64 v[2:3], v[20:21], 0, v[2:3]
	s_waitcnt lgkmcnt(7)
	global_store_byte v[4:5], v19, off
	s_waitcnt lgkmcnt(6)
	global_store_byte v[6:7], v26, off
	s_waitcnt lgkmcnt(5)
	global_store_byte v[8:9], v27, off
	s_waitcnt lgkmcnt(4)
	global_store_byte v[10:11], v28, off
	s_waitcnt lgkmcnt(3)
	global_store_byte v[22:23], v29, off
	s_waitcnt lgkmcnt(2)
	global_store_byte v[12:13], v30, off
	s_waitcnt lgkmcnt(1)
	global_store_byte v[24:25], v31, off
	s_waitcnt lgkmcnt(0)
	global_store_byte v[2:3], v1, off
.LBB32_305:
	s_or_b64 exec, exec, s[4:5]
	v_add_u32_e32 v1, 1, v17
	v_and_b32_e32 v2, 0xfffff8, v1
	v_cmp_ne_u32_e32 vcc, v1, v2
	v_lshl_or_b32 v22, v2, 9, v0
	s_orn2_b64 s[4:5], vcc, exec
.LBB32_306:
	s_or_b64 exec, exec, s[2:3]
	s_and_b64 exec, exec, s[4:5]
	s_cbranch_execz .LBB32_309
; %bb.307:
	s_mov_b64 s[2:3], 0
.LBB32_308:                             ; =>This Inner Loop Header: Depth=1
	ds_read_u8 v1, v22
	v_readfirstlane_b32 s4, v20
	v_readfirstlane_b32 s5, v21
	s_waitcnt lgkmcnt(0)
	s_nop 3
	global_store_byte v22, v1, s[4:5]
	v_add_u32_e32 v22, 0x200, v22
	v_cmp_ge_u32_e32 vcc, v22, v16
	s_or_b64 s[2:3], vcc, s[2:3]
	s_andn2_b64 exec, exec, s[2:3]
	s_cbranch_execnz .LBB32_308
.LBB32_309:
	s_or_b64 exec, exec, s[0:1]
	v_cmp_eq_u32_e32 vcc, 0, v0
	s_and_b64 s[0:1], vcc, s[24:25]
	s_and_saveexec_b64 s[2:3], s[0:1]
	s_cbranch_execz .LBB32_135
.LBB32_310:
	v_mov_b32_e32 v17, 0
	v_lshl_add_u64 v[0:1], s[22:23], 0, v[16:17]
	v_mov_b32_e32 v19, v17
	v_lshl_add_u64 v[0:1], v[0:1], 0, v[18:19]
	global_store_dwordx2 v17, v[0:1], s[20:21]
	s_endpgm
.LBB32_311:
	s_or_b64 exec, exec, s[10:11]
	v_mov_b32_e32 v75, s12
	s_and_saveexec_b64 s[10:11], s[4:5]
	s_cbranch_execnz .LBB32_88
	s_branch .LBB32_89
	.section	.rodata,"a",@progbits
	.p2align	6, 0x0
	.amdhsa_kernel _ZN7rocprim17ROCPRIM_400000_NS6detail17trampoline_kernelINS0_14default_configENS1_25partition_config_selectorILNS1_17partition_subalgoE8EbNS0_10empty_typeEbEEZZNS1_14partition_implILS5_8ELb0ES3_jN6hipcub16HIPCUB_304000_NS22TransformInputIteratorIbN2at6native8internal12_GLOBAL__N_110LoadBoolOpEPKhlEEPS6_PKS6_NS0_5tupleIJPbS6_EEENSN_IJSK_SK_EEENS0_18inequality_wrapperINSA_8EqualityEEEPlJS6_EEE10hipError_tPvRmT3_T4_T5_T6_T7_T9_mT8_P12ihipStream_tbDpT10_ENKUlT_T0_E_clISt17integral_constantIbLb1EES1D_IbLb0EEEEDaS19_S1A_EUlS19_E_NS1_11comp_targetILNS1_3genE5ELNS1_11target_archE942ELNS1_3gpuE9ELNS1_3repE0EEENS1_30default_config_static_selectorELNS0_4arch9wavefront6targetE1EEEvT1_
		.amdhsa_group_segment_fixed_size 16908
		.amdhsa_private_segment_fixed_size 0
		.amdhsa_kernarg_size 120
		.amdhsa_user_sgpr_count 2
		.amdhsa_user_sgpr_dispatch_ptr 0
		.amdhsa_user_sgpr_queue_ptr 0
		.amdhsa_user_sgpr_kernarg_segment_ptr 1
		.amdhsa_user_sgpr_dispatch_id 0
		.amdhsa_user_sgpr_kernarg_preload_length 0
		.amdhsa_user_sgpr_kernarg_preload_offset 0
		.amdhsa_user_sgpr_private_segment_size 0
		.amdhsa_uses_dynamic_stack 0
		.amdhsa_enable_private_segment 0
		.amdhsa_system_sgpr_workgroup_id_x 1
		.amdhsa_system_sgpr_workgroup_id_y 0
		.amdhsa_system_sgpr_workgroup_id_z 0
		.amdhsa_system_sgpr_workgroup_info 0
		.amdhsa_system_vgpr_workitem_id 0
		.amdhsa_next_free_vgpr 125
		.amdhsa_next_free_sgpr 82
		.amdhsa_accum_offset 128
		.amdhsa_reserve_vcc 1
		.amdhsa_float_round_mode_32 0
		.amdhsa_float_round_mode_16_64 0
		.amdhsa_float_denorm_mode_32 3
		.amdhsa_float_denorm_mode_16_64 3
		.amdhsa_dx10_clamp 1
		.amdhsa_ieee_mode 1
		.amdhsa_fp16_overflow 0
		.amdhsa_tg_split 0
		.amdhsa_exception_fp_ieee_invalid_op 0
		.amdhsa_exception_fp_denorm_src 0
		.amdhsa_exception_fp_ieee_div_zero 0
		.amdhsa_exception_fp_ieee_overflow 0
		.amdhsa_exception_fp_ieee_underflow 0
		.amdhsa_exception_fp_ieee_inexact 0
		.amdhsa_exception_int_div_zero 0
	.end_amdhsa_kernel
	.section	.text._ZN7rocprim17ROCPRIM_400000_NS6detail17trampoline_kernelINS0_14default_configENS1_25partition_config_selectorILNS1_17partition_subalgoE8EbNS0_10empty_typeEbEEZZNS1_14partition_implILS5_8ELb0ES3_jN6hipcub16HIPCUB_304000_NS22TransformInputIteratorIbN2at6native8internal12_GLOBAL__N_110LoadBoolOpEPKhlEEPS6_PKS6_NS0_5tupleIJPbS6_EEENSN_IJSK_SK_EEENS0_18inequality_wrapperINSA_8EqualityEEEPlJS6_EEE10hipError_tPvRmT3_T4_T5_T6_T7_T9_mT8_P12ihipStream_tbDpT10_ENKUlT_T0_E_clISt17integral_constantIbLb1EES1D_IbLb0EEEEDaS19_S1A_EUlS19_E_NS1_11comp_targetILNS1_3genE5ELNS1_11target_archE942ELNS1_3gpuE9ELNS1_3repE0EEENS1_30default_config_static_selectorELNS0_4arch9wavefront6targetE1EEEvT1_,"axG",@progbits,_ZN7rocprim17ROCPRIM_400000_NS6detail17trampoline_kernelINS0_14default_configENS1_25partition_config_selectorILNS1_17partition_subalgoE8EbNS0_10empty_typeEbEEZZNS1_14partition_implILS5_8ELb0ES3_jN6hipcub16HIPCUB_304000_NS22TransformInputIteratorIbN2at6native8internal12_GLOBAL__N_110LoadBoolOpEPKhlEEPS6_PKS6_NS0_5tupleIJPbS6_EEENSN_IJSK_SK_EEENS0_18inequality_wrapperINSA_8EqualityEEEPlJS6_EEE10hipError_tPvRmT3_T4_T5_T6_T7_T9_mT8_P12ihipStream_tbDpT10_ENKUlT_T0_E_clISt17integral_constantIbLb1EES1D_IbLb0EEEEDaS19_S1A_EUlS19_E_NS1_11comp_targetILNS1_3genE5ELNS1_11target_archE942ELNS1_3gpuE9ELNS1_3repE0EEENS1_30default_config_static_selectorELNS0_4arch9wavefront6targetE1EEEvT1_,comdat
.Lfunc_end32:
	.size	_ZN7rocprim17ROCPRIM_400000_NS6detail17trampoline_kernelINS0_14default_configENS1_25partition_config_selectorILNS1_17partition_subalgoE8EbNS0_10empty_typeEbEEZZNS1_14partition_implILS5_8ELb0ES3_jN6hipcub16HIPCUB_304000_NS22TransformInputIteratorIbN2at6native8internal12_GLOBAL__N_110LoadBoolOpEPKhlEEPS6_PKS6_NS0_5tupleIJPbS6_EEENSN_IJSK_SK_EEENS0_18inequality_wrapperINSA_8EqualityEEEPlJS6_EEE10hipError_tPvRmT3_T4_T5_T6_T7_T9_mT8_P12ihipStream_tbDpT10_ENKUlT_T0_E_clISt17integral_constantIbLb1EES1D_IbLb0EEEEDaS19_S1A_EUlS19_E_NS1_11comp_targetILNS1_3genE5ELNS1_11target_archE942ELNS1_3gpuE9ELNS1_3repE0EEENS1_30default_config_static_selectorELNS0_4arch9wavefront6targetE1EEEvT1_, .Lfunc_end32-_ZN7rocprim17ROCPRIM_400000_NS6detail17trampoline_kernelINS0_14default_configENS1_25partition_config_selectorILNS1_17partition_subalgoE8EbNS0_10empty_typeEbEEZZNS1_14partition_implILS5_8ELb0ES3_jN6hipcub16HIPCUB_304000_NS22TransformInputIteratorIbN2at6native8internal12_GLOBAL__N_110LoadBoolOpEPKhlEEPS6_PKS6_NS0_5tupleIJPbS6_EEENSN_IJSK_SK_EEENS0_18inequality_wrapperINSA_8EqualityEEEPlJS6_EEE10hipError_tPvRmT3_T4_T5_T6_T7_T9_mT8_P12ihipStream_tbDpT10_ENKUlT_T0_E_clISt17integral_constantIbLb1EES1D_IbLb0EEEEDaS19_S1A_EUlS19_E_NS1_11comp_targetILNS1_3genE5ELNS1_11target_archE942ELNS1_3gpuE9ELNS1_3repE0EEENS1_30default_config_static_selectorELNS0_4arch9wavefront6targetE1EEEvT1_
                                        ; -- End function
	.section	.AMDGPU.csdata,"",@progbits
; Kernel info:
; codeLenInByte = 14960
; NumSgprs: 88
; NumVgprs: 125
; NumAgprs: 0
; TotalNumVgprs: 125
; ScratchSize: 0
; MemoryBound: 0
; FloatMode: 240
; IeeeMode: 1
; LDSByteSize: 16908 bytes/workgroup (compile time only)
; SGPRBlocks: 10
; VGPRBlocks: 15
; NumSGPRsForWavesPerEU: 88
; NumVGPRsForWavesPerEU: 125
; AccumOffset: 128
; Occupancy: 4
; WaveLimiterHint : 1
; COMPUTE_PGM_RSRC2:SCRATCH_EN: 0
; COMPUTE_PGM_RSRC2:USER_SGPR: 2
; COMPUTE_PGM_RSRC2:TRAP_HANDLER: 0
; COMPUTE_PGM_RSRC2:TGID_X_EN: 1
; COMPUTE_PGM_RSRC2:TGID_Y_EN: 0
; COMPUTE_PGM_RSRC2:TGID_Z_EN: 0
; COMPUTE_PGM_RSRC2:TIDIG_COMP_CNT: 0
; COMPUTE_PGM_RSRC3_GFX90A:ACCUM_OFFSET: 31
; COMPUTE_PGM_RSRC3_GFX90A:TG_SPLIT: 0
	.section	.text._ZN7rocprim17ROCPRIM_400000_NS6detail17trampoline_kernelINS0_14default_configENS1_25partition_config_selectorILNS1_17partition_subalgoE8EbNS0_10empty_typeEbEEZZNS1_14partition_implILS5_8ELb0ES3_jN6hipcub16HIPCUB_304000_NS22TransformInputIteratorIbN2at6native8internal12_GLOBAL__N_110LoadBoolOpEPKhlEEPS6_PKS6_NS0_5tupleIJPbS6_EEENSN_IJSK_SK_EEENS0_18inequality_wrapperINSA_8EqualityEEEPlJS6_EEE10hipError_tPvRmT3_T4_T5_T6_T7_T9_mT8_P12ihipStream_tbDpT10_ENKUlT_T0_E_clISt17integral_constantIbLb1EES1D_IbLb0EEEEDaS19_S1A_EUlS19_E_NS1_11comp_targetILNS1_3genE4ELNS1_11target_archE910ELNS1_3gpuE8ELNS1_3repE0EEENS1_30default_config_static_selectorELNS0_4arch9wavefront6targetE1EEEvT1_,"axG",@progbits,_ZN7rocprim17ROCPRIM_400000_NS6detail17trampoline_kernelINS0_14default_configENS1_25partition_config_selectorILNS1_17partition_subalgoE8EbNS0_10empty_typeEbEEZZNS1_14partition_implILS5_8ELb0ES3_jN6hipcub16HIPCUB_304000_NS22TransformInputIteratorIbN2at6native8internal12_GLOBAL__N_110LoadBoolOpEPKhlEEPS6_PKS6_NS0_5tupleIJPbS6_EEENSN_IJSK_SK_EEENS0_18inequality_wrapperINSA_8EqualityEEEPlJS6_EEE10hipError_tPvRmT3_T4_T5_T6_T7_T9_mT8_P12ihipStream_tbDpT10_ENKUlT_T0_E_clISt17integral_constantIbLb1EES1D_IbLb0EEEEDaS19_S1A_EUlS19_E_NS1_11comp_targetILNS1_3genE4ELNS1_11target_archE910ELNS1_3gpuE8ELNS1_3repE0EEENS1_30default_config_static_selectorELNS0_4arch9wavefront6targetE1EEEvT1_,comdat
	.globl	_ZN7rocprim17ROCPRIM_400000_NS6detail17trampoline_kernelINS0_14default_configENS1_25partition_config_selectorILNS1_17partition_subalgoE8EbNS0_10empty_typeEbEEZZNS1_14partition_implILS5_8ELb0ES3_jN6hipcub16HIPCUB_304000_NS22TransformInputIteratorIbN2at6native8internal12_GLOBAL__N_110LoadBoolOpEPKhlEEPS6_PKS6_NS0_5tupleIJPbS6_EEENSN_IJSK_SK_EEENS0_18inequality_wrapperINSA_8EqualityEEEPlJS6_EEE10hipError_tPvRmT3_T4_T5_T6_T7_T9_mT8_P12ihipStream_tbDpT10_ENKUlT_T0_E_clISt17integral_constantIbLb1EES1D_IbLb0EEEEDaS19_S1A_EUlS19_E_NS1_11comp_targetILNS1_3genE4ELNS1_11target_archE910ELNS1_3gpuE8ELNS1_3repE0EEENS1_30default_config_static_selectorELNS0_4arch9wavefront6targetE1EEEvT1_ ; -- Begin function _ZN7rocprim17ROCPRIM_400000_NS6detail17trampoline_kernelINS0_14default_configENS1_25partition_config_selectorILNS1_17partition_subalgoE8EbNS0_10empty_typeEbEEZZNS1_14partition_implILS5_8ELb0ES3_jN6hipcub16HIPCUB_304000_NS22TransformInputIteratorIbN2at6native8internal12_GLOBAL__N_110LoadBoolOpEPKhlEEPS6_PKS6_NS0_5tupleIJPbS6_EEENSN_IJSK_SK_EEENS0_18inequality_wrapperINSA_8EqualityEEEPlJS6_EEE10hipError_tPvRmT3_T4_T5_T6_T7_T9_mT8_P12ihipStream_tbDpT10_ENKUlT_T0_E_clISt17integral_constantIbLb1EES1D_IbLb0EEEEDaS19_S1A_EUlS19_E_NS1_11comp_targetILNS1_3genE4ELNS1_11target_archE910ELNS1_3gpuE8ELNS1_3repE0EEENS1_30default_config_static_selectorELNS0_4arch9wavefront6targetE1EEEvT1_
	.p2align	8
	.type	_ZN7rocprim17ROCPRIM_400000_NS6detail17trampoline_kernelINS0_14default_configENS1_25partition_config_selectorILNS1_17partition_subalgoE8EbNS0_10empty_typeEbEEZZNS1_14partition_implILS5_8ELb0ES3_jN6hipcub16HIPCUB_304000_NS22TransformInputIteratorIbN2at6native8internal12_GLOBAL__N_110LoadBoolOpEPKhlEEPS6_PKS6_NS0_5tupleIJPbS6_EEENSN_IJSK_SK_EEENS0_18inequality_wrapperINSA_8EqualityEEEPlJS6_EEE10hipError_tPvRmT3_T4_T5_T6_T7_T9_mT8_P12ihipStream_tbDpT10_ENKUlT_T0_E_clISt17integral_constantIbLb1EES1D_IbLb0EEEEDaS19_S1A_EUlS19_E_NS1_11comp_targetILNS1_3genE4ELNS1_11target_archE910ELNS1_3gpuE8ELNS1_3repE0EEENS1_30default_config_static_selectorELNS0_4arch9wavefront6targetE1EEEvT1_,@function
_ZN7rocprim17ROCPRIM_400000_NS6detail17trampoline_kernelINS0_14default_configENS1_25partition_config_selectorILNS1_17partition_subalgoE8EbNS0_10empty_typeEbEEZZNS1_14partition_implILS5_8ELb0ES3_jN6hipcub16HIPCUB_304000_NS22TransformInputIteratorIbN2at6native8internal12_GLOBAL__N_110LoadBoolOpEPKhlEEPS6_PKS6_NS0_5tupleIJPbS6_EEENSN_IJSK_SK_EEENS0_18inequality_wrapperINSA_8EqualityEEEPlJS6_EEE10hipError_tPvRmT3_T4_T5_T6_T7_T9_mT8_P12ihipStream_tbDpT10_ENKUlT_T0_E_clISt17integral_constantIbLb1EES1D_IbLb0EEEEDaS19_S1A_EUlS19_E_NS1_11comp_targetILNS1_3genE4ELNS1_11target_archE910ELNS1_3gpuE8ELNS1_3repE0EEENS1_30default_config_static_selectorELNS0_4arch9wavefront6targetE1EEEvT1_: ; @_ZN7rocprim17ROCPRIM_400000_NS6detail17trampoline_kernelINS0_14default_configENS1_25partition_config_selectorILNS1_17partition_subalgoE8EbNS0_10empty_typeEbEEZZNS1_14partition_implILS5_8ELb0ES3_jN6hipcub16HIPCUB_304000_NS22TransformInputIteratorIbN2at6native8internal12_GLOBAL__N_110LoadBoolOpEPKhlEEPS6_PKS6_NS0_5tupleIJPbS6_EEENSN_IJSK_SK_EEENS0_18inequality_wrapperINSA_8EqualityEEEPlJS6_EEE10hipError_tPvRmT3_T4_T5_T6_T7_T9_mT8_P12ihipStream_tbDpT10_ENKUlT_T0_E_clISt17integral_constantIbLb1EES1D_IbLb0EEEEDaS19_S1A_EUlS19_E_NS1_11comp_targetILNS1_3genE4ELNS1_11target_archE910ELNS1_3gpuE8ELNS1_3repE0EEENS1_30default_config_static_selectorELNS0_4arch9wavefront6targetE1EEEvT1_
; %bb.0:
	.section	.rodata,"a",@progbits
	.p2align	6, 0x0
	.amdhsa_kernel _ZN7rocprim17ROCPRIM_400000_NS6detail17trampoline_kernelINS0_14default_configENS1_25partition_config_selectorILNS1_17partition_subalgoE8EbNS0_10empty_typeEbEEZZNS1_14partition_implILS5_8ELb0ES3_jN6hipcub16HIPCUB_304000_NS22TransformInputIteratorIbN2at6native8internal12_GLOBAL__N_110LoadBoolOpEPKhlEEPS6_PKS6_NS0_5tupleIJPbS6_EEENSN_IJSK_SK_EEENS0_18inequality_wrapperINSA_8EqualityEEEPlJS6_EEE10hipError_tPvRmT3_T4_T5_T6_T7_T9_mT8_P12ihipStream_tbDpT10_ENKUlT_T0_E_clISt17integral_constantIbLb1EES1D_IbLb0EEEEDaS19_S1A_EUlS19_E_NS1_11comp_targetILNS1_3genE4ELNS1_11target_archE910ELNS1_3gpuE8ELNS1_3repE0EEENS1_30default_config_static_selectorELNS0_4arch9wavefront6targetE1EEEvT1_
		.amdhsa_group_segment_fixed_size 0
		.amdhsa_private_segment_fixed_size 0
		.amdhsa_kernarg_size 120
		.amdhsa_user_sgpr_count 2
		.amdhsa_user_sgpr_dispatch_ptr 0
		.amdhsa_user_sgpr_queue_ptr 0
		.amdhsa_user_sgpr_kernarg_segment_ptr 1
		.amdhsa_user_sgpr_dispatch_id 0
		.amdhsa_user_sgpr_kernarg_preload_length 0
		.amdhsa_user_sgpr_kernarg_preload_offset 0
		.amdhsa_user_sgpr_private_segment_size 0
		.amdhsa_uses_dynamic_stack 0
		.amdhsa_enable_private_segment 0
		.amdhsa_system_sgpr_workgroup_id_x 1
		.amdhsa_system_sgpr_workgroup_id_y 0
		.amdhsa_system_sgpr_workgroup_id_z 0
		.amdhsa_system_sgpr_workgroup_info 0
		.amdhsa_system_vgpr_workitem_id 0
		.amdhsa_next_free_vgpr 1
		.amdhsa_next_free_sgpr 0
		.amdhsa_accum_offset 4
		.amdhsa_reserve_vcc 0
		.amdhsa_float_round_mode_32 0
		.amdhsa_float_round_mode_16_64 0
		.amdhsa_float_denorm_mode_32 3
		.amdhsa_float_denorm_mode_16_64 3
		.amdhsa_dx10_clamp 1
		.amdhsa_ieee_mode 1
		.amdhsa_fp16_overflow 0
		.amdhsa_tg_split 0
		.amdhsa_exception_fp_ieee_invalid_op 0
		.amdhsa_exception_fp_denorm_src 0
		.amdhsa_exception_fp_ieee_div_zero 0
		.amdhsa_exception_fp_ieee_overflow 0
		.amdhsa_exception_fp_ieee_underflow 0
		.amdhsa_exception_fp_ieee_inexact 0
		.amdhsa_exception_int_div_zero 0
	.end_amdhsa_kernel
	.section	.text._ZN7rocprim17ROCPRIM_400000_NS6detail17trampoline_kernelINS0_14default_configENS1_25partition_config_selectorILNS1_17partition_subalgoE8EbNS0_10empty_typeEbEEZZNS1_14partition_implILS5_8ELb0ES3_jN6hipcub16HIPCUB_304000_NS22TransformInputIteratorIbN2at6native8internal12_GLOBAL__N_110LoadBoolOpEPKhlEEPS6_PKS6_NS0_5tupleIJPbS6_EEENSN_IJSK_SK_EEENS0_18inequality_wrapperINSA_8EqualityEEEPlJS6_EEE10hipError_tPvRmT3_T4_T5_T6_T7_T9_mT8_P12ihipStream_tbDpT10_ENKUlT_T0_E_clISt17integral_constantIbLb1EES1D_IbLb0EEEEDaS19_S1A_EUlS19_E_NS1_11comp_targetILNS1_3genE4ELNS1_11target_archE910ELNS1_3gpuE8ELNS1_3repE0EEENS1_30default_config_static_selectorELNS0_4arch9wavefront6targetE1EEEvT1_,"axG",@progbits,_ZN7rocprim17ROCPRIM_400000_NS6detail17trampoline_kernelINS0_14default_configENS1_25partition_config_selectorILNS1_17partition_subalgoE8EbNS0_10empty_typeEbEEZZNS1_14partition_implILS5_8ELb0ES3_jN6hipcub16HIPCUB_304000_NS22TransformInputIteratorIbN2at6native8internal12_GLOBAL__N_110LoadBoolOpEPKhlEEPS6_PKS6_NS0_5tupleIJPbS6_EEENSN_IJSK_SK_EEENS0_18inequality_wrapperINSA_8EqualityEEEPlJS6_EEE10hipError_tPvRmT3_T4_T5_T6_T7_T9_mT8_P12ihipStream_tbDpT10_ENKUlT_T0_E_clISt17integral_constantIbLb1EES1D_IbLb0EEEEDaS19_S1A_EUlS19_E_NS1_11comp_targetILNS1_3genE4ELNS1_11target_archE910ELNS1_3gpuE8ELNS1_3repE0EEENS1_30default_config_static_selectorELNS0_4arch9wavefront6targetE1EEEvT1_,comdat
.Lfunc_end33:
	.size	_ZN7rocprim17ROCPRIM_400000_NS6detail17trampoline_kernelINS0_14default_configENS1_25partition_config_selectorILNS1_17partition_subalgoE8EbNS0_10empty_typeEbEEZZNS1_14partition_implILS5_8ELb0ES3_jN6hipcub16HIPCUB_304000_NS22TransformInputIteratorIbN2at6native8internal12_GLOBAL__N_110LoadBoolOpEPKhlEEPS6_PKS6_NS0_5tupleIJPbS6_EEENSN_IJSK_SK_EEENS0_18inequality_wrapperINSA_8EqualityEEEPlJS6_EEE10hipError_tPvRmT3_T4_T5_T6_T7_T9_mT8_P12ihipStream_tbDpT10_ENKUlT_T0_E_clISt17integral_constantIbLb1EES1D_IbLb0EEEEDaS19_S1A_EUlS19_E_NS1_11comp_targetILNS1_3genE4ELNS1_11target_archE910ELNS1_3gpuE8ELNS1_3repE0EEENS1_30default_config_static_selectorELNS0_4arch9wavefront6targetE1EEEvT1_, .Lfunc_end33-_ZN7rocprim17ROCPRIM_400000_NS6detail17trampoline_kernelINS0_14default_configENS1_25partition_config_selectorILNS1_17partition_subalgoE8EbNS0_10empty_typeEbEEZZNS1_14partition_implILS5_8ELb0ES3_jN6hipcub16HIPCUB_304000_NS22TransformInputIteratorIbN2at6native8internal12_GLOBAL__N_110LoadBoolOpEPKhlEEPS6_PKS6_NS0_5tupleIJPbS6_EEENSN_IJSK_SK_EEENS0_18inequality_wrapperINSA_8EqualityEEEPlJS6_EEE10hipError_tPvRmT3_T4_T5_T6_T7_T9_mT8_P12ihipStream_tbDpT10_ENKUlT_T0_E_clISt17integral_constantIbLb1EES1D_IbLb0EEEEDaS19_S1A_EUlS19_E_NS1_11comp_targetILNS1_3genE4ELNS1_11target_archE910ELNS1_3gpuE8ELNS1_3repE0EEENS1_30default_config_static_selectorELNS0_4arch9wavefront6targetE1EEEvT1_
                                        ; -- End function
	.section	.AMDGPU.csdata,"",@progbits
; Kernel info:
; codeLenInByte = 0
; NumSgprs: 6
; NumVgprs: 0
; NumAgprs: 0
; TotalNumVgprs: 0
; ScratchSize: 0
; MemoryBound: 0
; FloatMode: 240
; IeeeMode: 1
; LDSByteSize: 0 bytes/workgroup (compile time only)
; SGPRBlocks: 0
; VGPRBlocks: 0
; NumSGPRsForWavesPerEU: 6
; NumVGPRsForWavesPerEU: 1
; AccumOffset: 4
; Occupancy: 8
; WaveLimiterHint : 0
; COMPUTE_PGM_RSRC2:SCRATCH_EN: 0
; COMPUTE_PGM_RSRC2:USER_SGPR: 2
; COMPUTE_PGM_RSRC2:TRAP_HANDLER: 0
; COMPUTE_PGM_RSRC2:TGID_X_EN: 1
; COMPUTE_PGM_RSRC2:TGID_Y_EN: 0
; COMPUTE_PGM_RSRC2:TGID_Z_EN: 0
; COMPUTE_PGM_RSRC2:TIDIG_COMP_CNT: 0
; COMPUTE_PGM_RSRC3_GFX90A:ACCUM_OFFSET: 0
; COMPUTE_PGM_RSRC3_GFX90A:TG_SPLIT: 0
	.section	.text._ZN7rocprim17ROCPRIM_400000_NS6detail17trampoline_kernelINS0_14default_configENS1_25partition_config_selectorILNS1_17partition_subalgoE8EbNS0_10empty_typeEbEEZZNS1_14partition_implILS5_8ELb0ES3_jN6hipcub16HIPCUB_304000_NS22TransformInputIteratorIbN2at6native8internal12_GLOBAL__N_110LoadBoolOpEPKhlEEPS6_PKS6_NS0_5tupleIJPbS6_EEENSN_IJSK_SK_EEENS0_18inequality_wrapperINSA_8EqualityEEEPlJS6_EEE10hipError_tPvRmT3_T4_T5_T6_T7_T9_mT8_P12ihipStream_tbDpT10_ENKUlT_T0_E_clISt17integral_constantIbLb1EES1D_IbLb0EEEEDaS19_S1A_EUlS19_E_NS1_11comp_targetILNS1_3genE3ELNS1_11target_archE908ELNS1_3gpuE7ELNS1_3repE0EEENS1_30default_config_static_selectorELNS0_4arch9wavefront6targetE1EEEvT1_,"axG",@progbits,_ZN7rocprim17ROCPRIM_400000_NS6detail17trampoline_kernelINS0_14default_configENS1_25partition_config_selectorILNS1_17partition_subalgoE8EbNS0_10empty_typeEbEEZZNS1_14partition_implILS5_8ELb0ES3_jN6hipcub16HIPCUB_304000_NS22TransformInputIteratorIbN2at6native8internal12_GLOBAL__N_110LoadBoolOpEPKhlEEPS6_PKS6_NS0_5tupleIJPbS6_EEENSN_IJSK_SK_EEENS0_18inequality_wrapperINSA_8EqualityEEEPlJS6_EEE10hipError_tPvRmT3_T4_T5_T6_T7_T9_mT8_P12ihipStream_tbDpT10_ENKUlT_T0_E_clISt17integral_constantIbLb1EES1D_IbLb0EEEEDaS19_S1A_EUlS19_E_NS1_11comp_targetILNS1_3genE3ELNS1_11target_archE908ELNS1_3gpuE7ELNS1_3repE0EEENS1_30default_config_static_selectorELNS0_4arch9wavefront6targetE1EEEvT1_,comdat
	.globl	_ZN7rocprim17ROCPRIM_400000_NS6detail17trampoline_kernelINS0_14default_configENS1_25partition_config_selectorILNS1_17partition_subalgoE8EbNS0_10empty_typeEbEEZZNS1_14partition_implILS5_8ELb0ES3_jN6hipcub16HIPCUB_304000_NS22TransformInputIteratorIbN2at6native8internal12_GLOBAL__N_110LoadBoolOpEPKhlEEPS6_PKS6_NS0_5tupleIJPbS6_EEENSN_IJSK_SK_EEENS0_18inequality_wrapperINSA_8EqualityEEEPlJS6_EEE10hipError_tPvRmT3_T4_T5_T6_T7_T9_mT8_P12ihipStream_tbDpT10_ENKUlT_T0_E_clISt17integral_constantIbLb1EES1D_IbLb0EEEEDaS19_S1A_EUlS19_E_NS1_11comp_targetILNS1_3genE3ELNS1_11target_archE908ELNS1_3gpuE7ELNS1_3repE0EEENS1_30default_config_static_selectorELNS0_4arch9wavefront6targetE1EEEvT1_ ; -- Begin function _ZN7rocprim17ROCPRIM_400000_NS6detail17trampoline_kernelINS0_14default_configENS1_25partition_config_selectorILNS1_17partition_subalgoE8EbNS0_10empty_typeEbEEZZNS1_14partition_implILS5_8ELb0ES3_jN6hipcub16HIPCUB_304000_NS22TransformInputIteratorIbN2at6native8internal12_GLOBAL__N_110LoadBoolOpEPKhlEEPS6_PKS6_NS0_5tupleIJPbS6_EEENSN_IJSK_SK_EEENS0_18inequality_wrapperINSA_8EqualityEEEPlJS6_EEE10hipError_tPvRmT3_T4_T5_T6_T7_T9_mT8_P12ihipStream_tbDpT10_ENKUlT_T0_E_clISt17integral_constantIbLb1EES1D_IbLb0EEEEDaS19_S1A_EUlS19_E_NS1_11comp_targetILNS1_3genE3ELNS1_11target_archE908ELNS1_3gpuE7ELNS1_3repE0EEENS1_30default_config_static_selectorELNS0_4arch9wavefront6targetE1EEEvT1_
	.p2align	8
	.type	_ZN7rocprim17ROCPRIM_400000_NS6detail17trampoline_kernelINS0_14default_configENS1_25partition_config_selectorILNS1_17partition_subalgoE8EbNS0_10empty_typeEbEEZZNS1_14partition_implILS5_8ELb0ES3_jN6hipcub16HIPCUB_304000_NS22TransformInputIteratorIbN2at6native8internal12_GLOBAL__N_110LoadBoolOpEPKhlEEPS6_PKS6_NS0_5tupleIJPbS6_EEENSN_IJSK_SK_EEENS0_18inequality_wrapperINSA_8EqualityEEEPlJS6_EEE10hipError_tPvRmT3_T4_T5_T6_T7_T9_mT8_P12ihipStream_tbDpT10_ENKUlT_T0_E_clISt17integral_constantIbLb1EES1D_IbLb0EEEEDaS19_S1A_EUlS19_E_NS1_11comp_targetILNS1_3genE3ELNS1_11target_archE908ELNS1_3gpuE7ELNS1_3repE0EEENS1_30default_config_static_selectorELNS0_4arch9wavefront6targetE1EEEvT1_,@function
_ZN7rocprim17ROCPRIM_400000_NS6detail17trampoline_kernelINS0_14default_configENS1_25partition_config_selectorILNS1_17partition_subalgoE8EbNS0_10empty_typeEbEEZZNS1_14partition_implILS5_8ELb0ES3_jN6hipcub16HIPCUB_304000_NS22TransformInputIteratorIbN2at6native8internal12_GLOBAL__N_110LoadBoolOpEPKhlEEPS6_PKS6_NS0_5tupleIJPbS6_EEENSN_IJSK_SK_EEENS0_18inequality_wrapperINSA_8EqualityEEEPlJS6_EEE10hipError_tPvRmT3_T4_T5_T6_T7_T9_mT8_P12ihipStream_tbDpT10_ENKUlT_T0_E_clISt17integral_constantIbLb1EES1D_IbLb0EEEEDaS19_S1A_EUlS19_E_NS1_11comp_targetILNS1_3genE3ELNS1_11target_archE908ELNS1_3gpuE7ELNS1_3repE0EEENS1_30default_config_static_selectorELNS0_4arch9wavefront6targetE1EEEvT1_: ; @_ZN7rocprim17ROCPRIM_400000_NS6detail17trampoline_kernelINS0_14default_configENS1_25partition_config_selectorILNS1_17partition_subalgoE8EbNS0_10empty_typeEbEEZZNS1_14partition_implILS5_8ELb0ES3_jN6hipcub16HIPCUB_304000_NS22TransformInputIteratorIbN2at6native8internal12_GLOBAL__N_110LoadBoolOpEPKhlEEPS6_PKS6_NS0_5tupleIJPbS6_EEENSN_IJSK_SK_EEENS0_18inequality_wrapperINSA_8EqualityEEEPlJS6_EEE10hipError_tPvRmT3_T4_T5_T6_T7_T9_mT8_P12ihipStream_tbDpT10_ENKUlT_T0_E_clISt17integral_constantIbLb1EES1D_IbLb0EEEEDaS19_S1A_EUlS19_E_NS1_11comp_targetILNS1_3genE3ELNS1_11target_archE908ELNS1_3gpuE7ELNS1_3repE0EEENS1_30default_config_static_selectorELNS0_4arch9wavefront6targetE1EEEvT1_
; %bb.0:
	.section	.rodata,"a",@progbits
	.p2align	6, 0x0
	.amdhsa_kernel _ZN7rocprim17ROCPRIM_400000_NS6detail17trampoline_kernelINS0_14default_configENS1_25partition_config_selectorILNS1_17partition_subalgoE8EbNS0_10empty_typeEbEEZZNS1_14partition_implILS5_8ELb0ES3_jN6hipcub16HIPCUB_304000_NS22TransformInputIteratorIbN2at6native8internal12_GLOBAL__N_110LoadBoolOpEPKhlEEPS6_PKS6_NS0_5tupleIJPbS6_EEENSN_IJSK_SK_EEENS0_18inequality_wrapperINSA_8EqualityEEEPlJS6_EEE10hipError_tPvRmT3_T4_T5_T6_T7_T9_mT8_P12ihipStream_tbDpT10_ENKUlT_T0_E_clISt17integral_constantIbLb1EES1D_IbLb0EEEEDaS19_S1A_EUlS19_E_NS1_11comp_targetILNS1_3genE3ELNS1_11target_archE908ELNS1_3gpuE7ELNS1_3repE0EEENS1_30default_config_static_selectorELNS0_4arch9wavefront6targetE1EEEvT1_
		.amdhsa_group_segment_fixed_size 0
		.amdhsa_private_segment_fixed_size 0
		.amdhsa_kernarg_size 120
		.amdhsa_user_sgpr_count 2
		.amdhsa_user_sgpr_dispatch_ptr 0
		.amdhsa_user_sgpr_queue_ptr 0
		.amdhsa_user_sgpr_kernarg_segment_ptr 1
		.amdhsa_user_sgpr_dispatch_id 0
		.amdhsa_user_sgpr_kernarg_preload_length 0
		.amdhsa_user_sgpr_kernarg_preload_offset 0
		.amdhsa_user_sgpr_private_segment_size 0
		.amdhsa_uses_dynamic_stack 0
		.amdhsa_enable_private_segment 0
		.amdhsa_system_sgpr_workgroup_id_x 1
		.amdhsa_system_sgpr_workgroup_id_y 0
		.amdhsa_system_sgpr_workgroup_id_z 0
		.amdhsa_system_sgpr_workgroup_info 0
		.amdhsa_system_vgpr_workitem_id 0
		.amdhsa_next_free_vgpr 1
		.amdhsa_next_free_sgpr 0
		.amdhsa_accum_offset 4
		.amdhsa_reserve_vcc 0
		.amdhsa_float_round_mode_32 0
		.amdhsa_float_round_mode_16_64 0
		.amdhsa_float_denorm_mode_32 3
		.amdhsa_float_denorm_mode_16_64 3
		.amdhsa_dx10_clamp 1
		.amdhsa_ieee_mode 1
		.amdhsa_fp16_overflow 0
		.amdhsa_tg_split 0
		.amdhsa_exception_fp_ieee_invalid_op 0
		.amdhsa_exception_fp_denorm_src 0
		.amdhsa_exception_fp_ieee_div_zero 0
		.amdhsa_exception_fp_ieee_overflow 0
		.amdhsa_exception_fp_ieee_underflow 0
		.amdhsa_exception_fp_ieee_inexact 0
		.amdhsa_exception_int_div_zero 0
	.end_amdhsa_kernel
	.section	.text._ZN7rocprim17ROCPRIM_400000_NS6detail17trampoline_kernelINS0_14default_configENS1_25partition_config_selectorILNS1_17partition_subalgoE8EbNS0_10empty_typeEbEEZZNS1_14partition_implILS5_8ELb0ES3_jN6hipcub16HIPCUB_304000_NS22TransformInputIteratorIbN2at6native8internal12_GLOBAL__N_110LoadBoolOpEPKhlEEPS6_PKS6_NS0_5tupleIJPbS6_EEENSN_IJSK_SK_EEENS0_18inequality_wrapperINSA_8EqualityEEEPlJS6_EEE10hipError_tPvRmT3_T4_T5_T6_T7_T9_mT8_P12ihipStream_tbDpT10_ENKUlT_T0_E_clISt17integral_constantIbLb1EES1D_IbLb0EEEEDaS19_S1A_EUlS19_E_NS1_11comp_targetILNS1_3genE3ELNS1_11target_archE908ELNS1_3gpuE7ELNS1_3repE0EEENS1_30default_config_static_selectorELNS0_4arch9wavefront6targetE1EEEvT1_,"axG",@progbits,_ZN7rocprim17ROCPRIM_400000_NS6detail17trampoline_kernelINS0_14default_configENS1_25partition_config_selectorILNS1_17partition_subalgoE8EbNS0_10empty_typeEbEEZZNS1_14partition_implILS5_8ELb0ES3_jN6hipcub16HIPCUB_304000_NS22TransformInputIteratorIbN2at6native8internal12_GLOBAL__N_110LoadBoolOpEPKhlEEPS6_PKS6_NS0_5tupleIJPbS6_EEENSN_IJSK_SK_EEENS0_18inequality_wrapperINSA_8EqualityEEEPlJS6_EEE10hipError_tPvRmT3_T4_T5_T6_T7_T9_mT8_P12ihipStream_tbDpT10_ENKUlT_T0_E_clISt17integral_constantIbLb1EES1D_IbLb0EEEEDaS19_S1A_EUlS19_E_NS1_11comp_targetILNS1_3genE3ELNS1_11target_archE908ELNS1_3gpuE7ELNS1_3repE0EEENS1_30default_config_static_selectorELNS0_4arch9wavefront6targetE1EEEvT1_,comdat
.Lfunc_end34:
	.size	_ZN7rocprim17ROCPRIM_400000_NS6detail17trampoline_kernelINS0_14default_configENS1_25partition_config_selectorILNS1_17partition_subalgoE8EbNS0_10empty_typeEbEEZZNS1_14partition_implILS5_8ELb0ES3_jN6hipcub16HIPCUB_304000_NS22TransformInputIteratorIbN2at6native8internal12_GLOBAL__N_110LoadBoolOpEPKhlEEPS6_PKS6_NS0_5tupleIJPbS6_EEENSN_IJSK_SK_EEENS0_18inequality_wrapperINSA_8EqualityEEEPlJS6_EEE10hipError_tPvRmT3_T4_T5_T6_T7_T9_mT8_P12ihipStream_tbDpT10_ENKUlT_T0_E_clISt17integral_constantIbLb1EES1D_IbLb0EEEEDaS19_S1A_EUlS19_E_NS1_11comp_targetILNS1_3genE3ELNS1_11target_archE908ELNS1_3gpuE7ELNS1_3repE0EEENS1_30default_config_static_selectorELNS0_4arch9wavefront6targetE1EEEvT1_, .Lfunc_end34-_ZN7rocprim17ROCPRIM_400000_NS6detail17trampoline_kernelINS0_14default_configENS1_25partition_config_selectorILNS1_17partition_subalgoE8EbNS0_10empty_typeEbEEZZNS1_14partition_implILS5_8ELb0ES3_jN6hipcub16HIPCUB_304000_NS22TransformInputIteratorIbN2at6native8internal12_GLOBAL__N_110LoadBoolOpEPKhlEEPS6_PKS6_NS0_5tupleIJPbS6_EEENSN_IJSK_SK_EEENS0_18inequality_wrapperINSA_8EqualityEEEPlJS6_EEE10hipError_tPvRmT3_T4_T5_T6_T7_T9_mT8_P12ihipStream_tbDpT10_ENKUlT_T0_E_clISt17integral_constantIbLb1EES1D_IbLb0EEEEDaS19_S1A_EUlS19_E_NS1_11comp_targetILNS1_3genE3ELNS1_11target_archE908ELNS1_3gpuE7ELNS1_3repE0EEENS1_30default_config_static_selectorELNS0_4arch9wavefront6targetE1EEEvT1_
                                        ; -- End function
	.section	.AMDGPU.csdata,"",@progbits
; Kernel info:
; codeLenInByte = 0
; NumSgprs: 6
; NumVgprs: 0
; NumAgprs: 0
; TotalNumVgprs: 0
; ScratchSize: 0
; MemoryBound: 0
; FloatMode: 240
; IeeeMode: 1
; LDSByteSize: 0 bytes/workgroup (compile time only)
; SGPRBlocks: 0
; VGPRBlocks: 0
; NumSGPRsForWavesPerEU: 6
; NumVGPRsForWavesPerEU: 1
; AccumOffset: 4
; Occupancy: 8
; WaveLimiterHint : 0
; COMPUTE_PGM_RSRC2:SCRATCH_EN: 0
; COMPUTE_PGM_RSRC2:USER_SGPR: 2
; COMPUTE_PGM_RSRC2:TRAP_HANDLER: 0
; COMPUTE_PGM_RSRC2:TGID_X_EN: 1
; COMPUTE_PGM_RSRC2:TGID_Y_EN: 0
; COMPUTE_PGM_RSRC2:TGID_Z_EN: 0
; COMPUTE_PGM_RSRC2:TIDIG_COMP_CNT: 0
; COMPUTE_PGM_RSRC3_GFX90A:ACCUM_OFFSET: 0
; COMPUTE_PGM_RSRC3_GFX90A:TG_SPLIT: 0
	.section	.text._ZN7rocprim17ROCPRIM_400000_NS6detail17trampoline_kernelINS0_14default_configENS1_25partition_config_selectorILNS1_17partition_subalgoE8EbNS0_10empty_typeEbEEZZNS1_14partition_implILS5_8ELb0ES3_jN6hipcub16HIPCUB_304000_NS22TransformInputIteratorIbN2at6native8internal12_GLOBAL__N_110LoadBoolOpEPKhlEEPS6_PKS6_NS0_5tupleIJPbS6_EEENSN_IJSK_SK_EEENS0_18inequality_wrapperINSA_8EqualityEEEPlJS6_EEE10hipError_tPvRmT3_T4_T5_T6_T7_T9_mT8_P12ihipStream_tbDpT10_ENKUlT_T0_E_clISt17integral_constantIbLb1EES1D_IbLb0EEEEDaS19_S1A_EUlS19_E_NS1_11comp_targetILNS1_3genE2ELNS1_11target_archE906ELNS1_3gpuE6ELNS1_3repE0EEENS1_30default_config_static_selectorELNS0_4arch9wavefront6targetE1EEEvT1_,"axG",@progbits,_ZN7rocprim17ROCPRIM_400000_NS6detail17trampoline_kernelINS0_14default_configENS1_25partition_config_selectorILNS1_17partition_subalgoE8EbNS0_10empty_typeEbEEZZNS1_14partition_implILS5_8ELb0ES3_jN6hipcub16HIPCUB_304000_NS22TransformInputIteratorIbN2at6native8internal12_GLOBAL__N_110LoadBoolOpEPKhlEEPS6_PKS6_NS0_5tupleIJPbS6_EEENSN_IJSK_SK_EEENS0_18inequality_wrapperINSA_8EqualityEEEPlJS6_EEE10hipError_tPvRmT3_T4_T5_T6_T7_T9_mT8_P12ihipStream_tbDpT10_ENKUlT_T0_E_clISt17integral_constantIbLb1EES1D_IbLb0EEEEDaS19_S1A_EUlS19_E_NS1_11comp_targetILNS1_3genE2ELNS1_11target_archE906ELNS1_3gpuE6ELNS1_3repE0EEENS1_30default_config_static_selectorELNS0_4arch9wavefront6targetE1EEEvT1_,comdat
	.globl	_ZN7rocprim17ROCPRIM_400000_NS6detail17trampoline_kernelINS0_14default_configENS1_25partition_config_selectorILNS1_17partition_subalgoE8EbNS0_10empty_typeEbEEZZNS1_14partition_implILS5_8ELb0ES3_jN6hipcub16HIPCUB_304000_NS22TransformInputIteratorIbN2at6native8internal12_GLOBAL__N_110LoadBoolOpEPKhlEEPS6_PKS6_NS0_5tupleIJPbS6_EEENSN_IJSK_SK_EEENS0_18inequality_wrapperINSA_8EqualityEEEPlJS6_EEE10hipError_tPvRmT3_T4_T5_T6_T7_T9_mT8_P12ihipStream_tbDpT10_ENKUlT_T0_E_clISt17integral_constantIbLb1EES1D_IbLb0EEEEDaS19_S1A_EUlS19_E_NS1_11comp_targetILNS1_3genE2ELNS1_11target_archE906ELNS1_3gpuE6ELNS1_3repE0EEENS1_30default_config_static_selectorELNS0_4arch9wavefront6targetE1EEEvT1_ ; -- Begin function _ZN7rocprim17ROCPRIM_400000_NS6detail17trampoline_kernelINS0_14default_configENS1_25partition_config_selectorILNS1_17partition_subalgoE8EbNS0_10empty_typeEbEEZZNS1_14partition_implILS5_8ELb0ES3_jN6hipcub16HIPCUB_304000_NS22TransformInputIteratorIbN2at6native8internal12_GLOBAL__N_110LoadBoolOpEPKhlEEPS6_PKS6_NS0_5tupleIJPbS6_EEENSN_IJSK_SK_EEENS0_18inequality_wrapperINSA_8EqualityEEEPlJS6_EEE10hipError_tPvRmT3_T4_T5_T6_T7_T9_mT8_P12ihipStream_tbDpT10_ENKUlT_T0_E_clISt17integral_constantIbLb1EES1D_IbLb0EEEEDaS19_S1A_EUlS19_E_NS1_11comp_targetILNS1_3genE2ELNS1_11target_archE906ELNS1_3gpuE6ELNS1_3repE0EEENS1_30default_config_static_selectorELNS0_4arch9wavefront6targetE1EEEvT1_
	.p2align	8
	.type	_ZN7rocprim17ROCPRIM_400000_NS6detail17trampoline_kernelINS0_14default_configENS1_25partition_config_selectorILNS1_17partition_subalgoE8EbNS0_10empty_typeEbEEZZNS1_14partition_implILS5_8ELb0ES3_jN6hipcub16HIPCUB_304000_NS22TransformInputIteratorIbN2at6native8internal12_GLOBAL__N_110LoadBoolOpEPKhlEEPS6_PKS6_NS0_5tupleIJPbS6_EEENSN_IJSK_SK_EEENS0_18inequality_wrapperINSA_8EqualityEEEPlJS6_EEE10hipError_tPvRmT3_T4_T5_T6_T7_T9_mT8_P12ihipStream_tbDpT10_ENKUlT_T0_E_clISt17integral_constantIbLb1EES1D_IbLb0EEEEDaS19_S1A_EUlS19_E_NS1_11comp_targetILNS1_3genE2ELNS1_11target_archE906ELNS1_3gpuE6ELNS1_3repE0EEENS1_30default_config_static_selectorELNS0_4arch9wavefront6targetE1EEEvT1_,@function
_ZN7rocprim17ROCPRIM_400000_NS6detail17trampoline_kernelINS0_14default_configENS1_25partition_config_selectorILNS1_17partition_subalgoE8EbNS0_10empty_typeEbEEZZNS1_14partition_implILS5_8ELb0ES3_jN6hipcub16HIPCUB_304000_NS22TransformInputIteratorIbN2at6native8internal12_GLOBAL__N_110LoadBoolOpEPKhlEEPS6_PKS6_NS0_5tupleIJPbS6_EEENSN_IJSK_SK_EEENS0_18inequality_wrapperINSA_8EqualityEEEPlJS6_EEE10hipError_tPvRmT3_T4_T5_T6_T7_T9_mT8_P12ihipStream_tbDpT10_ENKUlT_T0_E_clISt17integral_constantIbLb1EES1D_IbLb0EEEEDaS19_S1A_EUlS19_E_NS1_11comp_targetILNS1_3genE2ELNS1_11target_archE906ELNS1_3gpuE6ELNS1_3repE0EEENS1_30default_config_static_selectorELNS0_4arch9wavefront6targetE1EEEvT1_: ; @_ZN7rocprim17ROCPRIM_400000_NS6detail17trampoline_kernelINS0_14default_configENS1_25partition_config_selectorILNS1_17partition_subalgoE8EbNS0_10empty_typeEbEEZZNS1_14partition_implILS5_8ELb0ES3_jN6hipcub16HIPCUB_304000_NS22TransformInputIteratorIbN2at6native8internal12_GLOBAL__N_110LoadBoolOpEPKhlEEPS6_PKS6_NS0_5tupleIJPbS6_EEENSN_IJSK_SK_EEENS0_18inequality_wrapperINSA_8EqualityEEEPlJS6_EEE10hipError_tPvRmT3_T4_T5_T6_T7_T9_mT8_P12ihipStream_tbDpT10_ENKUlT_T0_E_clISt17integral_constantIbLb1EES1D_IbLb0EEEEDaS19_S1A_EUlS19_E_NS1_11comp_targetILNS1_3genE2ELNS1_11target_archE906ELNS1_3gpuE6ELNS1_3repE0EEENS1_30default_config_static_selectorELNS0_4arch9wavefront6targetE1EEEvT1_
; %bb.0:
	.section	.rodata,"a",@progbits
	.p2align	6, 0x0
	.amdhsa_kernel _ZN7rocprim17ROCPRIM_400000_NS6detail17trampoline_kernelINS0_14default_configENS1_25partition_config_selectorILNS1_17partition_subalgoE8EbNS0_10empty_typeEbEEZZNS1_14partition_implILS5_8ELb0ES3_jN6hipcub16HIPCUB_304000_NS22TransformInputIteratorIbN2at6native8internal12_GLOBAL__N_110LoadBoolOpEPKhlEEPS6_PKS6_NS0_5tupleIJPbS6_EEENSN_IJSK_SK_EEENS0_18inequality_wrapperINSA_8EqualityEEEPlJS6_EEE10hipError_tPvRmT3_T4_T5_T6_T7_T9_mT8_P12ihipStream_tbDpT10_ENKUlT_T0_E_clISt17integral_constantIbLb1EES1D_IbLb0EEEEDaS19_S1A_EUlS19_E_NS1_11comp_targetILNS1_3genE2ELNS1_11target_archE906ELNS1_3gpuE6ELNS1_3repE0EEENS1_30default_config_static_selectorELNS0_4arch9wavefront6targetE1EEEvT1_
		.amdhsa_group_segment_fixed_size 0
		.amdhsa_private_segment_fixed_size 0
		.amdhsa_kernarg_size 120
		.amdhsa_user_sgpr_count 2
		.amdhsa_user_sgpr_dispatch_ptr 0
		.amdhsa_user_sgpr_queue_ptr 0
		.amdhsa_user_sgpr_kernarg_segment_ptr 1
		.amdhsa_user_sgpr_dispatch_id 0
		.amdhsa_user_sgpr_kernarg_preload_length 0
		.amdhsa_user_sgpr_kernarg_preload_offset 0
		.amdhsa_user_sgpr_private_segment_size 0
		.amdhsa_uses_dynamic_stack 0
		.amdhsa_enable_private_segment 0
		.amdhsa_system_sgpr_workgroup_id_x 1
		.amdhsa_system_sgpr_workgroup_id_y 0
		.amdhsa_system_sgpr_workgroup_id_z 0
		.amdhsa_system_sgpr_workgroup_info 0
		.amdhsa_system_vgpr_workitem_id 0
		.amdhsa_next_free_vgpr 1
		.amdhsa_next_free_sgpr 0
		.amdhsa_accum_offset 4
		.amdhsa_reserve_vcc 0
		.amdhsa_float_round_mode_32 0
		.amdhsa_float_round_mode_16_64 0
		.amdhsa_float_denorm_mode_32 3
		.amdhsa_float_denorm_mode_16_64 3
		.amdhsa_dx10_clamp 1
		.amdhsa_ieee_mode 1
		.amdhsa_fp16_overflow 0
		.amdhsa_tg_split 0
		.amdhsa_exception_fp_ieee_invalid_op 0
		.amdhsa_exception_fp_denorm_src 0
		.amdhsa_exception_fp_ieee_div_zero 0
		.amdhsa_exception_fp_ieee_overflow 0
		.amdhsa_exception_fp_ieee_underflow 0
		.amdhsa_exception_fp_ieee_inexact 0
		.amdhsa_exception_int_div_zero 0
	.end_amdhsa_kernel
	.section	.text._ZN7rocprim17ROCPRIM_400000_NS6detail17trampoline_kernelINS0_14default_configENS1_25partition_config_selectorILNS1_17partition_subalgoE8EbNS0_10empty_typeEbEEZZNS1_14partition_implILS5_8ELb0ES3_jN6hipcub16HIPCUB_304000_NS22TransformInputIteratorIbN2at6native8internal12_GLOBAL__N_110LoadBoolOpEPKhlEEPS6_PKS6_NS0_5tupleIJPbS6_EEENSN_IJSK_SK_EEENS0_18inequality_wrapperINSA_8EqualityEEEPlJS6_EEE10hipError_tPvRmT3_T4_T5_T6_T7_T9_mT8_P12ihipStream_tbDpT10_ENKUlT_T0_E_clISt17integral_constantIbLb1EES1D_IbLb0EEEEDaS19_S1A_EUlS19_E_NS1_11comp_targetILNS1_3genE2ELNS1_11target_archE906ELNS1_3gpuE6ELNS1_3repE0EEENS1_30default_config_static_selectorELNS0_4arch9wavefront6targetE1EEEvT1_,"axG",@progbits,_ZN7rocprim17ROCPRIM_400000_NS6detail17trampoline_kernelINS0_14default_configENS1_25partition_config_selectorILNS1_17partition_subalgoE8EbNS0_10empty_typeEbEEZZNS1_14partition_implILS5_8ELb0ES3_jN6hipcub16HIPCUB_304000_NS22TransformInputIteratorIbN2at6native8internal12_GLOBAL__N_110LoadBoolOpEPKhlEEPS6_PKS6_NS0_5tupleIJPbS6_EEENSN_IJSK_SK_EEENS0_18inequality_wrapperINSA_8EqualityEEEPlJS6_EEE10hipError_tPvRmT3_T4_T5_T6_T7_T9_mT8_P12ihipStream_tbDpT10_ENKUlT_T0_E_clISt17integral_constantIbLb1EES1D_IbLb0EEEEDaS19_S1A_EUlS19_E_NS1_11comp_targetILNS1_3genE2ELNS1_11target_archE906ELNS1_3gpuE6ELNS1_3repE0EEENS1_30default_config_static_selectorELNS0_4arch9wavefront6targetE1EEEvT1_,comdat
.Lfunc_end35:
	.size	_ZN7rocprim17ROCPRIM_400000_NS6detail17trampoline_kernelINS0_14default_configENS1_25partition_config_selectorILNS1_17partition_subalgoE8EbNS0_10empty_typeEbEEZZNS1_14partition_implILS5_8ELb0ES3_jN6hipcub16HIPCUB_304000_NS22TransformInputIteratorIbN2at6native8internal12_GLOBAL__N_110LoadBoolOpEPKhlEEPS6_PKS6_NS0_5tupleIJPbS6_EEENSN_IJSK_SK_EEENS0_18inequality_wrapperINSA_8EqualityEEEPlJS6_EEE10hipError_tPvRmT3_T4_T5_T6_T7_T9_mT8_P12ihipStream_tbDpT10_ENKUlT_T0_E_clISt17integral_constantIbLb1EES1D_IbLb0EEEEDaS19_S1A_EUlS19_E_NS1_11comp_targetILNS1_3genE2ELNS1_11target_archE906ELNS1_3gpuE6ELNS1_3repE0EEENS1_30default_config_static_selectorELNS0_4arch9wavefront6targetE1EEEvT1_, .Lfunc_end35-_ZN7rocprim17ROCPRIM_400000_NS6detail17trampoline_kernelINS0_14default_configENS1_25partition_config_selectorILNS1_17partition_subalgoE8EbNS0_10empty_typeEbEEZZNS1_14partition_implILS5_8ELb0ES3_jN6hipcub16HIPCUB_304000_NS22TransformInputIteratorIbN2at6native8internal12_GLOBAL__N_110LoadBoolOpEPKhlEEPS6_PKS6_NS0_5tupleIJPbS6_EEENSN_IJSK_SK_EEENS0_18inequality_wrapperINSA_8EqualityEEEPlJS6_EEE10hipError_tPvRmT3_T4_T5_T6_T7_T9_mT8_P12ihipStream_tbDpT10_ENKUlT_T0_E_clISt17integral_constantIbLb1EES1D_IbLb0EEEEDaS19_S1A_EUlS19_E_NS1_11comp_targetILNS1_3genE2ELNS1_11target_archE906ELNS1_3gpuE6ELNS1_3repE0EEENS1_30default_config_static_selectorELNS0_4arch9wavefront6targetE1EEEvT1_
                                        ; -- End function
	.section	.AMDGPU.csdata,"",@progbits
; Kernel info:
; codeLenInByte = 0
; NumSgprs: 6
; NumVgprs: 0
; NumAgprs: 0
; TotalNumVgprs: 0
; ScratchSize: 0
; MemoryBound: 0
; FloatMode: 240
; IeeeMode: 1
; LDSByteSize: 0 bytes/workgroup (compile time only)
; SGPRBlocks: 0
; VGPRBlocks: 0
; NumSGPRsForWavesPerEU: 6
; NumVGPRsForWavesPerEU: 1
; AccumOffset: 4
; Occupancy: 8
; WaveLimiterHint : 0
; COMPUTE_PGM_RSRC2:SCRATCH_EN: 0
; COMPUTE_PGM_RSRC2:USER_SGPR: 2
; COMPUTE_PGM_RSRC2:TRAP_HANDLER: 0
; COMPUTE_PGM_RSRC2:TGID_X_EN: 1
; COMPUTE_PGM_RSRC2:TGID_Y_EN: 0
; COMPUTE_PGM_RSRC2:TGID_Z_EN: 0
; COMPUTE_PGM_RSRC2:TIDIG_COMP_CNT: 0
; COMPUTE_PGM_RSRC3_GFX90A:ACCUM_OFFSET: 0
; COMPUTE_PGM_RSRC3_GFX90A:TG_SPLIT: 0
	.section	.text._ZN7rocprim17ROCPRIM_400000_NS6detail17trampoline_kernelINS0_14default_configENS1_25partition_config_selectorILNS1_17partition_subalgoE8EbNS0_10empty_typeEbEEZZNS1_14partition_implILS5_8ELb0ES3_jN6hipcub16HIPCUB_304000_NS22TransformInputIteratorIbN2at6native8internal12_GLOBAL__N_110LoadBoolOpEPKhlEEPS6_PKS6_NS0_5tupleIJPbS6_EEENSN_IJSK_SK_EEENS0_18inequality_wrapperINSA_8EqualityEEEPlJS6_EEE10hipError_tPvRmT3_T4_T5_T6_T7_T9_mT8_P12ihipStream_tbDpT10_ENKUlT_T0_E_clISt17integral_constantIbLb1EES1D_IbLb0EEEEDaS19_S1A_EUlS19_E_NS1_11comp_targetILNS1_3genE10ELNS1_11target_archE1200ELNS1_3gpuE4ELNS1_3repE0EEENS1_30default_config_static_selectorELNS0_4arch9wavefront6targetE1EEEvT1_,"axG",@progbits,_ZN7rocprim17ROCPRIM_400000_NS6detail17trampoline_kernelINS0_14default_configENS1_25partition_config_selectorILNS1_17partition_subalgoE8EbNS0_10empty_typeEbEEZZNS1_14partition_implILS5_8ELb0ES3_jN6hipcub16HIPCUB_304000_NS22TransformInputIteratorIbN2at6native8internal12_GLOBAL__N_110LoadBoolOpEPKhlEEPS6_PKS6_NS0_5tupleIJPbS6_EEENSN_IJSK_SK_EEENS0_18inequality_wrapperINSA_8EqualityEEEPlJS6_EEE10hipError_tPvRmT3_T4_T5_T6_T7_T9_mT8_P12ihipStream_tbDpT10_ENKUlT_T0_E_clISt17integral_constantIbLb1EES1D_IbLb0EEEEDaS19_S1A_EUlS19_E_NS1_11comp_targetILNS1_3genE10ELNS1_11target_archE1200ELNS1_3gpuE4ELNS1_3repE0EEENS1_30default_config_static_selectorELNS0_4arch9wavefront6targetE1EEEvT1_,comdat
	.globl	_ZN7rocprim17ROCPRIM_400000_NS6detail17trampoline_kernelINS0_14default_configENS1_25partition_config_selectorILNS1_17partition_subalgoE8EbNS0_10empty_typeEbEEZZNS1_14partition_implILS5_8ELb0ES3_jN6hipcub16HIPCUB_304000_NS22TransformInputIteratorIbN2at6native8internal12_GLOBAL__N_110LoadBoolOpEPKhlEEPS6_PKS6_NS0_5tupleIJPbS6_EEENSN_IJSK_SK_EEENS0_18inequality_wrapperINSA_8EqualityEEEPlJS6_EEE10hipError_tPvRmT3_T4_T5_T6_T7_T9_mT8_P12ihipStream_tbDpT10_ENKUlT_T0_E_clISt17integral_constantIbLb1EES1D_IbLb0EEEEDaS19_S1A_EUlS19_E_NS1_11comp_targetILNS1_3genE10ELNS1_11target_archE1200ELNS1_3gpuE4ELNS1_3repE0EEENS1_30default_config_static_selectorELNS0_4arch9wavefront6targetE1EEEvT1_ ; -- Begin function _ZN7rocprim17ROCPRIM_400000_NS6detail17trampoline_kernelINS0_14default_configENS1_25partition_config_selectorILNS1_17partition_subalgoE8EbNS0_10empty_typeEbEEZZNS1_14partition_implILS5_8ELb0ES3_jN6hipcub16HIPCUB_304000_NS22TransformInputIteratorIbN2at6native8internal12_GLOBAL__N_110LoadBoolOpEPKhlEEPS6_PKS6_NS0_5tupleIJPbS6_EEENSN_IJSK_SK_EEENS0_18inequality_wrapperINSA_8EqualityEEEPlJS6_EEE10hipError_tPvRmT3_T4_T5_T6_T7_T9_mT8_P12ihipStream_tbDpT10_ENKUlT_T0_E_clISt17integral_constantIbLb1EES1D_IbLb0EEEEDaS19_S1A_EUlS19_E_NS1_11comp_targetILNS1_3genE10ELNS1_11target_archE1200ELNS1_3gpuE4ELNS1_3repE0EEENS1_30default_config_static_selectorELNS0_4arch9wavefront6targetE1EEEvT1_
	.p2align	8
	.type	_ZN7rocprim17ROCPRIM_400000_NS6detail17trampoline_kernelINS0_14default_configENS1_25partition_config_selectorILNS1_17partition_subalgoE8EbNS0_10empty_typeEbEEZZNS1_14partition_implILS5_8ELb0ES3_jN6hipcub16HIPCUB_304000_NS22TransformInputIteratorIbN2at6native8internal12_GLOBAL__N_110LoadBoolOpEPKhlEEPS6_PKS6_NS0_5tupleIJPbS6_EEENSN_IJSK_SK_EEENS0_18inequality_wrapperINSA_8EqualityEEEPlJS6_EEE10hipError_tPvRmT3_T4_T5_T6_T7_T9_mT8_P12ihipStream_tbDpT10_ENKUlT_T0_E_clISt17integral_constantIbLb1EES1D_IbLb0EEEEDaS19_S1A_EUlS19_E_NS1_11comp_targetILNS1_3genE10ELNS1_11target_archE1200ELNS1_3gpuE4ELNS1_3repE0EEENS1_30default_config_static_selectorELNS0_4arch9wavefront6targetE1EEEvT1_,@function
_ZN7rocprim17ROCPRIM_400000_NS6detail17trampoline_kernelINS0_14default_configENS1_25partition_config_selectorILNS1_17partition_subalgoE8EbNS0_10empty_typeEbEEZZNS1_14partition_implILS5_8ELb0ES3_jN6hipcub16HIPCUB_304000_NS22TransformInputIteratorIbN2at6native8internal12_GLOBAL__N_110LoadBoolOpEPKhlEEPS6_PKS6_NS0_5tupleIJPbS6_EEENSN_IJSK_SK_EEENS0_18inequality_wrapperINSA_8EqualityEEEPlJS6_EEE10hipError_tPvRmT3_T4_T5_T6_T7_T9_mT8_P12ihipStream_tbDpT10_ENKUlT_T0_E_clISt17integral_constantIbLb1EES1D_IbLb0EEEEDaS19_S1A_EUlS19_E_NS1_11comp_targetILNS1_3genE10ELNS1_11target_archE1200ELNS1_3gpuE4ELNS1_3repE0EEENS1_30default_config_static_selectorELNS0_4arch9wavefront6targetE1EEEvT1_: ; @_ZN7rocprim17ROCPRIM_400000_NS6detail17trampoline_kernelINS0_14default_configENS1_25partition_config_selectorILNS1_17partition_subalgoE8EbNS0_10empty_typeEbEEZZNS1_14partition_implILS5_8ELb0ES3_jN6hipcub16HIPCUB_304000_NS22TransformInputIteratorIbN2at6native8internal12_GLOBAL__N_110LoadBoolOpEPKhlEEPS6_PKS6_NS0_5tupleIJPbS6_EEENSN_IJSK_SK_EEENS0_18inequality_wrapperINSA_8EqualityEEEPlJS6_EEE10hipError_tPvRmT3_T4_T5_T6_T7_T9_mT8_P12ihipStream_tbDpT10_ENKUlT_T0_E_clISt17integral_constantIbLb1EES1D_IbLb0EEEEDaS19_S1A_EUlS19_E_NS1_11comp_targetILNS1_3genE10ELNS1_11target_archE1200ELNS1_3gpuE4ELNS1_3repE0EEENS1_30default_config_static_selectorELNS0_4arch9wavefront6targetE1EEEvT1_
; %bb.0:
	.section	.rodata,"a",@progbits
	.p2align	6, 0x0
	.amdhsa_kernel _ZN7rocprim17ROCPRIM_400000_NS6detail17trampoline_kernelINS0_14default_configENS1_25partition_config_selectorILNS1_17partition_subalgoE8EbNS0_10empty_typeEbEEZZNS1_14partition_implILS5_8ELb0ES3_jN6hipcub16HIPCUB_304000_NS22TransformInputIteratorIbN2at6native8internal12_GLOBAL__N_110LoadBoolOpEPKhlEEPS6_PKS6_NS0_5tupleIJPbS6_EEENSN_IJSK_SK_EEENS0_18inequality_wrapperINSA_8EqualityEEEPlJS6_EEE10hipError_tPvRmT3_T4_T5_T6_T7_T9_mT8_P12ihipStream_tbDpT10_ENKUlT_T0_E_clISt17integral_constantIbLb1EES1D_IbLb0EEEEDaS19_S1A_EUlS19_E_NS1_11comp_targetILNS1_3genE10ELNS1_11target_archE1200ELNS1_3gpuE4ELNS1_3repE0EEENS1_30default_config_static_selectorELNS0_4arch9wavefront6targetE1EEEvT1_
		.amdhsa_group_segment_fixed_size 0
		.amdhsa_private_segment_fixed_size 0
		.amdhsa_kernarg_size 120
		.amdhsa_user_sgpr_count 2
		.amdhsa_user_sgpr_dispatch_ptr 0
		.amdhsa_user_sgpr_queue_ptr 0
		.amdhsa_user_sgpr_kernarg_segment_ptr 1
		.amdhsa_user_sgpr_dispatch_id 0
		.amdhsa_user_sgpr_kernarg_preload_length 0
		.amdhsa_user_sgpr_kernarg_preload_offset 0
		.amdhsa_user_sgpr_private_segment_size 0
		.amdhsa_uses_dynamic_stack 0
		.amdhsa_enable_private_segment 0
		.amdhsa_system_sgpr_workgroup_id_x 1
		.amdhsa_system_sgpr_workgroup_id_y 0
		.amdhsa_system_sgpr_workgroup_id_z 0
		.amdhsa_system_sgpr_workgroup_info 0
		.amdhsa_system_vgpr_workitem_id 0
		.amdhsa_next_free_vgpr 1
		.amdhsa_next_free_sgpr 0
		.amdhsa_accum_offset 4
		.amdhsa_reserve_vcc 0
		.amdhsa_float_round_mode_32 0
		.amdhsa_float_round_mode_16_64 0
		.amdhsa_float_denorm_mode_32 3
		.amdhsa_float_denorm_mode_16_64 3
		.amdhsa_dx10_clamp 1
		.amdhsa_ieee_mode 1
		.amdhsa_fp16_overflow 0
		.amdhsa_tg_split 0
		.amdhsa_exception_fp_ieee_invalid_op 0
		.amdhsa_exception_fp_denorm_src 0
		.amdhsa_exception_fp_ieee_div_zero 0
		.amdhsa_exception_fp_ieee_overflow 0
		.amdhsa_exception_fp_ieee_underflow 0
		.amdhsa_exception_fp_ieee_inexact 0
		.amdhsa_exception_int_div_zero 0
	.end_amdhsa_kernel
	.section	.text._ZN7rocprim17ROCPRIM_400000_NS6detail17trampoline_kernelINS0_14default_configENS1_25partition_config_selectorILNS1_17partition_subalgoE8EbNS0_10empty_typeEbEEZZNS1_14partition_implILS5_8ELb0ES3_jN6hipcub16HIPCUB_304000_NS22TransformInputIteratorIbN2at6native8internal12_GLOBAL__N_110LoadBoolOpEPKhlEEPS6_PKS6_NS0_5tupleIJPbS6_EEENSN_IJSK_SK_EEENS0_18inequality_wrapperINSA_8EqualityEEEPlJS6_EEE10hipError_tPvRmT3_T4_T5_T6_T7_T9_mT8_P12ihipStream_tbDpT10_ENKUlT_T0_E_clISt17integral_constantIbLb1EES1D_IbLb0EEEEDaS19_S1A_EUlS19_E_NS1_11comp_targetILNS1_3genE10ELNS1_11target_archE1200ELNS1_3gpuE4ELNS1_3repE0EEENS1_30default_config_static_selectorELNS0_4arch9wavefront6targetE1EEEvT1_,"axG",@progbits,_ZN7rocprim17ROCPRIM_400000_NS6detail17trampoline_kernelINS0_14default_configENS1_25partition_config_selectorILNS1_17partition_subalgoE8EbNS0_10empty_typeEbEEZZNS1_14partition_implILS5_8ELb0ES3_jN6hipcub16HIPCUB_304000_NS22TransformInputIteratorIbN2at6native8internal12_GLOBAL__N_110LoadBoolOpEPKhlEEPS6_PKS6_NS0_5tupleIJPbS6_EEENSN_IJSK_SK_EEENS0_18inequality_wrapperINSA_8EqualityEEEPlJS6_EEE10hipError_tPvRmT3_T4_T5_T6_T7_T9_mT8_P12ihipStream_tbDpT10_ENKUlT_T0_E_clISt17integral_constantIbLb1EES1D_IbLb0EEEEDaS19_S1A_EUlS19_E_NS1_11comp_targetILNS1_3genE10ELNS1_11target_archE1200ELNS1_3gpuE4ELNS1_3repE0EEENS1_30default_config_static_selectorELNS0_4arch9wavefront6targetE1EEEvT1_,comdat
.Lfunc_end36:
	.size	_ZN7rocprim17ROCPRIM_400000_NS6detail17trampoline_kernelINS0_14default_configENS1_25partition_config_selectorILNS1_17partition_subalgoE8EbNS0_10empty_typeEbEEZZNS1_14partition_implILS5_8ELb0ES3_jN6hipcub16HIPCUB_304000_NS22TransformInputIteratorIbN2at6native8internal12_GLOBAL__N_110LoadBoolOpEPKhlEEPS6_PKS6_NS0_5tupleIJPbS6_EEENSN_IJSK_SK_EEENS0_18inequality_wrapperINSA_8EqualityEEEPlJS6_EEE10hipError_tPvRmT3_T4_T5_T6_T7_T9_mT8_P12ihipStream_tbDpT10_ENKUlT_T0_E_clISt17integral_constantIbLb1EES1D_IbLb0EEEEDaS19_S1A_EUlS19_E_NS1_11comp_targetILNS1_3genE10ELNS1_11target_archE1200ELNS1_3gpuE4ELNS1_3repE0EEENS1_30default_config_static_selectorELNS0_4arch9wavefront6targetE1EEEvT1_, .Lfunc_end36-_ZN7rocprim17ROCPRIM_400000_NS6detail17trampoline_kernelINS0_14default_configENS1_25partition_config_selectorILNS1_17partition_subalgoE8EbNS0_10empty_typeEbEEZZNS1_14partition_implILS5_8ELb0ES3_jN6hipcub16HIPCUB_304000_NS22TransformInputIteratorIbN2at6native8internal12_GLOBAL__N_110LoadBoolOpEPKhlEEPS6_PKS6_NS0_5tupleIJPbS6_EEENSN_IJSK_SK_EEENS0_18inequality_wrapperINSA_8EqualityEEEPlJS6_EEE10hipError_tPvRmT3_T4_T5_T6_T7_T9_mT8_P12ihipStream_tbDpT10_ENKUlT_T0_E_clISt17integral_constantIbLb1EES1D_IbLb0EEEEDaS19_S1A_EUlS19_E_NS1_11comp_targetILNS1_3genE10ELNS1_11target_archE1200ELNS1_3gpuE4ELNS1_3repE0EEENS1_30default_config_static_selectorELNS0_4arch9wavefront6targetE1EEEvT1_
                                        ; -- End function
	.section	.AMDGPU.csdata,"",@progbits
; Kernel info:
; codeLenInByte = 0
; NumSgprs: 6
; NumVgprs: 0
; NumAgprs: 0
; TotalNumVgprs: 0
; ScratchSize: 0
; MemoryBound: 0
; FloatMode: 240
; IeeeMode: 1
; LDSByteSize: 0 bytes/workgroup (compile time only)
; SGPRBlocks: 0
; VGPRBlocks: 0
; NumSGPRsForWavesPerEU: 6
; NumVGPRsForWavesPerEU: 1
; AccumOffset: 4
; Occupancy: 8
; WaveLimiterHint : 0
; COMPUTE_PGM_RSRC2:SCRATCH_EN: 0
; COMPUTE_PGM_RSRC2:USER_SGPR: 2
; COMPUTE_PGM_RSRC2:TRAP_HANDLER: 0
; COMPUTE_PGM_RSRC2:TGID_X_EN: 1
; COMPUTE_PGM_RSRC2:TGID_Y_EN: 0
; COMPUTE_PGM_RSRC2:TGID_Z_EN: 0
; COMPUTE_PGM_RSRC2:TIDIG_COMP_CNT: 0
; COMPUTE_PGM_RSRC3_GFX90A:ACCUM_OFFSET: 0
; COMPUTE_PGM_RSRC3_GFX90A:TG_SPLIT: 0
	.section	.text._ZN7rocprim17ROCPRIM_400000_NS6detail17trampoline_kernelINS0_14default_configENS1_25partition_config_selectorILNS1_17partition_subalgoE8EbNS0_10empty_typeEbEEZZNS1_14partition_implILS5_8ELb0ES3_jN6hipcub16HIPCUB_304000_NS22TransformInputIteratorIbN2at6native8internal12_GLOBAL__N_110LoadBoolOpEPKhlEEPS6_PKS6_NS0_5tupleIJPbS6_EEENSN_IJSK_SK_EEENS0_18inequality_wrapperINSA_8EqualityEEEPlJS6_EEE10hipError_tPvRmT3_T4_T5_T6_T7_T9_mT8_P12ihipStream_tbDpT10_ENKUlT_T0_E_clISt17integral_constantIbLb1EES1D_IbLb0EEEEDaS19_S1A_EUlS19_E_NS1_11comp_targetILNS1_3genE9ELNS1_11target_archE1100ELNS1_3gpuE3ELNS1_3repE0EEENS1_30default_config_static_selectorELNS0_4arch9wavefront6targetE1EEEvT1_,"axG",@progbits,_ZN7rocprim17ROCPRIM_400000_NS6detail17trampoline_kernelINS0_14default_configENS1_25partition_config_selectorILNS1_17partition_subalgoE8EbNS0_10empty_typeEbEEZZNS1_14partition_implILS5_8ELb0ES3_jN6hipcub16HIPCUB_304000_NS22TransformInputIteratorIbN2at6native8internal12_GLOBAL__N_110LoadBoolOpEPKhlEEPS6_PKS6_NS0_5tupleIJPbS6_EEENSN_IJSK_SK_EEENS0_18inequality_wrapperINSA_8EqualityEEEPlJS6_EEE10hipError_tPvRmT3_T4_T5_T6_T7_T9_mT8_P12ihipStream_tbDpT10_ENKUlT_T0_E_clISt17integral_constantIbLb1EES1D_IbLb0EEEEDaS19_S1A_EUlS19_E_NS1_11comp_targetILNS1_3genE9ELNS1_11target_archE1100ELNS1_3gpuE3ELNS1_3repE0EEENS1_30default_config_static_selectorELNS0_4arch9wavefront6targetE1EEEvT1_,comdat
	.globl	_ZN7rocprim17ROCPRIM_400000_NS6detail17trampoline_kernelINS0_14default_configENS1_25partition_config_selectorILNS1_17partition_subalgoE8EbNS0_10empty_typeEbEEZZNS1_14partition_implILS5_8ELb0ES3_jN6hipcub16HIPCUB_304000_NS22TransformInputIteratorIbN2at6native8internal12_GLOBAL__N_110LoadBoolOpEPKhlEEPS6_PKS6_NS0_5tupleIJPbS6_EEENSN_IJSK_SK_EEENS0_18inequality_wrapperINSA_8EqualityEEEPlJS6_EEE10hipError_tPvRmT3_T4_T5_T6_T7_T9_mT8_P12ihipStream_tbDpT10_ENKUlT_T0_E_clISt17integral_constantIbLb1EES1D_IbLb0EEEEDaS19_S1A_EUlS19_E_NS1_11comp_targetILNS1_3genE9ELNS1_11target_archE1100ELNS1_3gpuE3ELNS1_3repE0EEENS1_30default_config_static_selectorELNS0_4arch9wavefront6targetE1EEEvT1_ ; -- Begin function _ZN7rocprim17ROCPRIM_400000_NS6detail17trampoline_kernelINS0_14default_configENS1_25partition_config_selectorILNS1_17partition_subalgoE8EbNS0_10empty_typeEbEEZZNS1_14partition_implILS5_8ELb0ES3_jN6hipcub16HIPCUB_304000_NS22TransformInputIteratorIbN2at6native8internal12_GLOBAL__N_110LoadBoolOpEPKhlEEPS6_PKS6_NS0_5tupleIJPbS6_EEENSN_IJSK_SK_EEENS0_18inequality_wrapperINSA_8EqualityEEEPlJS6_EEE10hipError_tPvRmT3_T4_T5_T6_T7_T9_mT8_P12ihipStream_tbDpT10_ENKUlT_T0_E_clISt17integral_constantIbLb1EES1D_IbLb0EEEEDaS19_S1A_EUlS19_E_NS1_11comp_targetILNS1_3genE9ELNS1_11target_archE1100ELNS1_3gpuE3ELNS1_3repE0EEENS1_30default_config_static_selectorELNS0_4arch9wavefront6targetE1EEEvT1_
	.p2align	8
	.type	_ZN7rocprim17ROCPRIM_400000_NS6detail17trampoline_kernelINS0_14default_configENS1_25partition_config_selectorILNS1_17partition_subalgoE8EbNS0_10empty_typeEbEEZZNS1_14partition_implILS5_8ELb0ES3_jN6hipcub16HIPCUB_304000_NS22TransformInputIteratorIbN2at6native8internal12_GLOBAL__N_110LoadBoolOpEPKhlEEPS6_PKS6_NS0_5tupleIJPbS6_EEENSN_IJSK_SK_EEENS0_18inequality_wrapperINSA_8EqualityEEEPlJS6_EEE10hipError_tPvRmT3_T4_T5_T6_T7_T9_mT8_P12ihipStream_tbDpT10_ENKUlT_T0_E_clISt17integral_constantIbLb1EES1D_IbLb0EEEEDaS19_S1A_EUlS19_E_NS1_11comp_targetILNS1_3genE9ELNS1_11target_archE1100ELNS1_3gpuE3ELNS1_3repE0EEENS1_30default_config_static_selectorELNS0_4arch9wavefront6targetE1EEEvT1_,@function
_ZN7rocprim17ROCPRIM_400000_NS6detail17trampoline_kernelINS0_14default_configENS1_25partition_config_selectorILNS1_17partition_subalgoE8EbNS0_10empty_typeEbEEZZNS1_14partition_implILS5_8ELb0ES3_jN6hipcub16HIPCUB_304000_NS22TransformInputIteratorIbN2at6native8internal12_GLOBAL__N_110LoadBoolOpEPKhlEEPS6_PKS6_NS0_5tupleIJPbS6_EEENSN_IJSK_SK_EEENS0_18inequality_wrapperINSA_8EqualityEEEPlJS6_EEE10hipError_tPvRmT3_T4_T5_T6_T7_T9_mT8_P12ihipStream_tbDpT10_ENKUlT_T0_E_clISt17integral_constantIbLb1EES1D_IbLb0EEEEDaS19_S1A_EUlS19_E_NS1_11comp_targetILNS1_3genE9ELNS1_11target_archE1100ELNS1_3gpuE3ELNS1_3repE0EEENS1_30default_config_static_selectorELNS0_4arch9wavefront6targetE1EEEvT1_: ; @_ZN7rocprim17ROCPRIM_400000_NS6detail17trampoline_kernelINS0_14default_configENS1_25partition_config_selectorILNS1_17partition_subalgoE8EbNS0_10empty_typeEbEEZZNS1_14partition_implILS5_8ELb0ES3_jN6hipcub16HIPCUB_304000_NS22TransformInputIteratorIbN2at6native8internal12_GLOBAL__N_110LoadBoolOpEPKhlEEPS6_PKS6_NS0_5tupleIJPbS6_EEENSN_IJSK_SK_EEENS0_18inequality_wrapperINSA_8EqualityEEEPlJS6_EEE10hipError_tPvRmT3_T4_T5_T6_T7_T9_mT8_P12ihipStream_tbDpT10_ENKUlT_T0_E_clISt17integral_constantIbLb1EES1D_IbLb0EEEEDaS19_S1A_EUlS19_E_NS1_11comp_targetILNS1_3genE9ELNS1_11target_archE1100ELNS1_3gpuE3ELNS1_3repE0EEENS1_30default_config_static_selectorELNS0_4arch9wavefront6targetE1EEEvT1_
; %bb.0:
	.section	.rodata,"a",@progbits
	.p2align	6, 0x0
	.amdhsa_kernel _ZN7rocprim17ROCPRIM_400000_NS6detail17trampoline_kernelINS0_14default_configENS1_25partition_config_selectorILNS1_17partition_subalgoE8EbNS0_10empty_typeEbEEZZNS1_14partition_implILS5_8ELb0ES3_jN6hipcub16HIPCUB_304000_NS22TransformInputIteratorIbN2at6native8internal12_GLOBAL__N_110LoadBoolOpEPKhlEEPS6_PKS6_NS0_5tupleIJPbS6_EEENSN_IJSK_SK_EEENS0_18inequality_wrapperINSA_8EqualityEEEPlJS6_EEE10hipError_tPvRmT3_T4_T5_T6_T7_T9_mT8_P12ihipStream_tbDpT10_ENKUlT_T0_E_clISt17integral_constantIbLb1EES1D_IbLb0EEEEDaS19_S1A_EUlS19_E_NS1_11comp_targetILNS1_3genE9ELNS1_11target_archE1100ELNS1_3gpuE3ELNS1_3repE0EEENS1_30default_config_static_selectorELNS0_4arch9wavefront6targetE1EEEvT1_
		.amdhsa_group_segment_fixed_size 0
		.amdhsa_private_segment_fixed_size 0
		.amdhsa_kernarg_size 120
		.amdhsa_user_sgpr_count 2
		.amdhsa_user_sgpr_dispatch_ptr 0
		.amdhsa_user_sgpr_queue_ptr 0
		.amdhsa_user_sgpr_kernarg_segment_ptr 1
		.amdhsa_user_sgpr_dispatch_id 0
		.amdhsa_user_sgpr_kernarg_preload_length 0
		.amdhsa_user_sgpr_kernarg_preload_offset 0
		.amdhsa_user_sgpr_private_segment_size 0
		.amdhsa_uses_dynamic_stack 0
		.amdhsa_enable_private_segment 0
		.amdhsa_system_sgpr_workgroup_id_x 1
		.amdhsa_system_sgpr_workgroup_id_y 0
		.amdhsa_system_sgpr_workgroup_id_z 0
		.amdhsa_system_sgpr_workgroup_info 0
		.amdhsa_system_vgpr_workitem_id 0
		.amdhsa_next_free_vgpr 1
		.amdhsa_next_free_sgpr 0
		.amdhsa_accum_offset 4
		.amdhsa_reserve_vcc 0
		.amdhsa_float_round_mode_32 0
		.amdhsa_float_round_mode_16_64 0
		.amdhsa_float_denorm_mode_32 3
		.amdhsa_float_denorm_mode_16_64 3
		.amdhsa_dx10_clamp 1
		.amdhsa_ieee_mode 1
		.amdhsa_fp16_overflow 0
		.amdhsa_tg_split 0
		.amdhsa_exception_fp_ieee_invalid_op 0
		.amdhsa_exception_fp_denorm_src 0
		.amdhsa_exception_fp_ieee_div_zero 0
		.amdhsa_exception_fp_ieee_overflow 0
		.amdhsa_exception_fp_ieee_underflow 0
		.amdhsa_exception_fp_ieee_inexact 0
		.amdhsa_exception_int_div_zero 0
	.end_amdhsa_kernel
	.section	.text._ZN7rocprim17ROCPRIM_400000_NS6detail17trampoline_kernelINS0_14default_configENS1_25partition_config_selectorILNS1_17partition_subalgoE8EbNS0_10empty_typeEbEEZZNS1_14partition_implILS5_8ELb0ES3_jN6hipcub16HIPCUB_304000_NS22TransformInputIteratorIbN2at6native8internal12_GLOBAL__N_110LoadBoolOpEPKhlEEPS6_PKS6_NS0_5tupleIJPbS6_EEENSN_IJSK_SK_EEENS0_18inequality_wrapperINSA_8EqualityEEEPlJS6_EEE10hipError_tPvRmT3_T4_T5_T6_T7_T9_mT8_P12ihipStream_tbDpT10_ENKUlT_T0_E_clISt17integral_constantIbLb1EES1D_IbLb0EEEEDaS19_S1A_EUlS19_E_NS1_11comp_targetILNS1_3genE9ELNS1_11target_archE1100ELNS1_3gpuE3ELNS1_3repE0EEENS1_30default_config_static_selectorELNS0_4arch9wavefront6targetE1EEEvT1_,"axG",@progbits,_ZN7rocprim17ROCPRIM_400000_NS6detail17trampoline_kernelINS0_14default_configENS1_25partition_config_selectorILNS1_17partition_subalgoE8EbNS0_10empty_typeEbEEZZNS1_14partition_implILS5_8ELb0ES3_jN6hipcub16HIPCUB_304000_NS22TransformInputIteratorIbN2at6native8internal12_GLOBAL__N_110LoadBoolOpEPKhlEEPS6_PKS6_NS0_5tupleIJPbS6_EEENSN_IJSK_SK_EEENS0_18inequality_wrapperINSA_8EqualityEEEPlJS6_EEE10hipError_tPvRmT3_T4_T5_T6_T7_T9_mT8_P12ihipStream_tbDpT10_ENKUlT_T0_E_clISt17integral_constantIbLb1EES1D_IbLb0EEEEDaS19_S1A_EUlS19_E_NS1_11comp_targetILNS1_3genE9ELNS1_11target_archE1100ELNS1_3gpuE3ELNS1_3repE0EEENS1_30default_config_static_selectorELNS0_4arch9wavefront6targetE1EEEvT1_,comdat
.Lfunc_end37:
	.size	_ZN7rocprim17ROCPRIM_400000_NS6detail17trampoline_kernelINS0_14default_configENS1_25partition_config_selectorILNS1_17partition_subalgoE8EbNS0_10empty_typeEbEEZZNS1_14partition_implILS5_8ELb0ES3_jN6hipcub16HIPCUB_304000_NS22TransformInputIteratorIbN2at6native8internal12_GLOBAL__N_110LoadBoolOpEPKhlEEPS6_PKS6_NS0_5tupleIJPbS6_EEENSN_IJSK_SK_EEENS0_18inequality_wrapperINSA_8EqualityEEEPlJS6_EEE10hipError_tPvRmT3_T4_T5_T6_T7_T9_mT8_P12ihipStream_tbDpT10_ENKUlT_T0_E_clISt17integral_constantIbLb1EES1D_IbLb0EEEEDaS19_S1A_EUlS19_E_NS1_11comp_targetILNS1_3genE9ELNS1_11target_archE1100ELNS1_3gpuE3ELNS1_3repE0EEENS1_30default_config_static_selectorELNS0_4arch9wavefront6targetE1EEEvT1_, .Lfunc_end37-_ZN7rocprim17ROCPRIM_400000_NS6detail17trampoline_kernelINS0_14default_configENS1_25partition_config_selectorILNS1_17partition_subalgoE8EbNS0_10empty_typeEbEEZZNS1_14partition_implILS5_8ELb0ES3_jN6hipcub16HIPCUB_304000_NS22TransformInputIteratorIbN2at6native8internal12_GLOBAL__N_110LoadBoolOpEPKhlEEPS6_PKS6_NS0_5tupleIJPbS6_EEENSN_IJSK_SK_EEENS0_18inequality_wrapperINSA_8EqualityEEEPlJS6_EEE10hipError_tPvRmT3_T4_T5_T6_T7_T9_mT8_P12ihipStream_tbDpT10_ENKUlT_T0_E_clISt17integral_constantIbLb1EES1D_IbLb0EEEEDaS19_S1A_EUlS19_E_NS1_11comp_targetILNS1_3genE9ELNS1_11target_archE1100ELNS1_3gpuE3ELNS1_3repE0EEENS1_30default_config_static_selectorELNS0_4arch9wavefront6targetE1EEEvT1_
                                        ; -- End function
	.section	.AMDGPU.csdata,"",@progbits
; Kernel info:
; codeLenInByte = 0
; NumSgprs: 6
; NumVgprs: 0
; NumAgprs: 0
; TotalNumVgprs: 0
; ScratchSize: 0
; MemoryBound: 0
; FloatMode: 240
; IeeeMode: 1
; LDSByteSize: 0 bytes/workgroup (compile time only)
; SGPRBlocks: 0
; VGPRBlocks: 0
; NumSGPRsForWavesPerEU: 6
; NumVGPRsForWavesPerEU: 1
; AccumOffset: 4
; Occupancy: 8
; WaveLimiterHint : 0
; COMPUTE_PGM_RSRC2:SCRATCH_EN: 0
; COMPUTE_PGM_RSRC2:USER_SGPR: 2
; COMPUTE_PGM_RSRC2:TRAP_HANDLER: 0
; COMPUTE_PGM_RSRC2:TGID_X_EN: 1
; COMPUTE_PGM_RSRC2:TGID_Y_EN: 0
; COMPUTE_PGM_RSRC2:TGID_Z_EN: 0
; COMPUTE_PGM_RSRC2:TIDIG_COMP_CNT: 0
; COMPUTE_PGM_RSRC3_GFX90A:ACCUM_OFFSET: 0
; COMPUTE_PGM_RSRC3_GFX90A:TG_SPLIT: 0
	.section	.text._ZN7rocprim17ROCPRIM_400000_NS6detail17trampoline_kernelINS0_14default_configENS1_25partition_config_selectorILNS1_17partition_subalgoE8EbNS0_10empty_typeEbEEZZNS1_14partition_implILS5_8ELb0ES3_jN6hipcub16HIPCUB_304000_NS22TransformInputIteratorIbN2at6native8internal12_GLOBAL__N_110LoadBoolOpEPKhlEEPS6_PKS6_NS0_5tupleIJPbS6_EEENSN_IJSK_SK_EEENS0_18inequality_wrapperINSA_8EqualityEEEPlJS6_EEE10hipError_tPvRmT3_T4_T5_T6_T7_T9_mT8_P12ihipStream_tbDpT10_ENKUlT_T0_E_clISt17integral_constantIbLb1EES1D_IbLb0EEEEDaS19_S1A_EUlS19_E_NS1_11comp_targetILNS1_3genE8ELNS1_11target_archE1030ELNS1_3gpuE2ELNS1_3repE0EEENS1_30default_config_static_selectorELNS0_4arch9wavefront6targetE1EEEvT1_,"axG",@progbits,_ZN7rocprim17ROCPRIM_400000_NS6detail17trampoline_kernelINS0_14default_configENS1_25partition_config_selectorILNS1_17partition_subalgoE8EbNS0_10empty_typeEbEEZZNS1_14partition_implILS5_8ELb0ES3_jN6hipcub16HIPCUB_304000_NS22TransformInputIteratorIbN2at6native8internal12_GLOBAL__N_110LoadBoolOpEPKhlEEPS6_PKS6_NS0_5tupleIJPbS6_EEENSN_IJSK_SK_EEENS0_18inequality_wrapperINSA_8EqualityEEEPlJS6_EEE10hipError_tPvRmT3_T4_T5_T6_T7_T9_mT8_P12ihipStream_tbDpT10_ENKUlT_T0_E_clISt17integral_constantIbLb1EES1D_IbLb0EEEEDaS19_S1A_EUlS19_E_NS1_11comp_targetILNS1_3genE8ELNS1_11target_archE1030ELNS1_3gpuE2ELNS1_3repE0EEENS1_30default_config_static_selectorELNS0_4arch9wavefront6targetE1EEEvT1_,comdat
	.globl	_ZN7rocprim17ROCPRIM_400000_NS6detail17trampoline_kernelINS0_14default_configENS1_25partition_config_selectorILNS1_17partition_subalgoE8EbNS0_10empty_typeEbEEZZNS1_14partition_implILS5_8ELb0ES3_jN6hipcub16HIPCUB_304000_NS22TransformInputIteratorIbN2at6native8internal12_GLOBAL__N_110LoadBoolOpEPKhlEEPS6_PKS6_NS0_5tupleIJPbS6_EEENSN_IJSK_SK_EEENS0_18inequality_wrapperINSA_8EqualityEEEPlJS6_EEE10hipError_tPvRmT3_T4_T5_T6_T7_T9_mT8_P12ihipStream_tbDpT10_ENKUlT_T0_E_clISt17integral_constantIbLb1EES1D_IbLb0EEEEDaS19_S1A_EUlS19_E_NS1_11comp_targetILNS1_3genE8ELNS1_11target_archE1030ELNS1_3gpuE2ELNS1_3repE0EEENS1_30default_config_static_selectorELNS0_4arch9wavefront6targetE1EEEvT1_ ; -- Begin function _ZN7rocprim17ROCPRIM_400000_NS6detail17trampoline_kernelINS0_14default_configENS1_25partition_config_selectorILNS1_17partition_subalgoE8EbNS0_10empty_typeEbEEZZNS1_14partition_implILS5_8ELb0ES3_jN6hipcub16HIPCUB_304000_NS22TransformInputIteratorIbN2at6native8internal12_GLOBAL__N_110LoadBoolOpEPKhlEEPS6_PKS6_NS0_5tupleIJPbS6_EEENSN_IJSK_SK_EEENS0_18inequality_wrapperINSA_8EqualityEEEPlJS6_EEE10hipError_tPvRmT3_T4_T5_T6_T7_T9_mT8_P12ihipStream_tbDpT10_ENKUlT_T0_E_clISt17integral_constantIbLb1EES1D_IbLb0EEEEDaS19_S1A_EUlS19_E_NS1_11comp_targetILNS1_3genE8ELNS1_11target_archE1030ELNS1_3gpuE2ELNS1_3repE0EEENS1_30default_config_static_selectorELNS0_4arch9wavefront6targetE1EEEvT1_
	.p2align	8
	.type	_ZN7rocprim17ROCPRIM_400000_NS6detail17trampoline_kernelINS0_14default_configENS1_25partition_config_selectorILNS1_17partition_subalgoE8EbNS0_10empty_typeEbEEZZNS1_14partition_implILS5_8ELb0ES3_jN6hipcub16HIPCUB_304000_NS22TransformInputIteratorIbN2at6native8internal12_GLOBAL__N_110LoadBoolOpEPKhlEEPS6_PKS6_NS0_5tupleIJPbS6_EEENSN_IJSK_SK_EEENS0_18inequality_wrapperINSA_8EqualityEEEPlJS6_EEE10hipError_tPvRmT3_T4_T5_T6_T7_T9_mT8_P12ihipStream_tbDpT10_ENKUlT_T0_E_clISt17integral_constantIbLb1EES1D_IbLb0EEEEDaS19_S1A_EUlS19_E_NS1_11comp_targetILNS1_3genE8ELNS1_11target_archE1030ELNS1_3gpuE2ELNS1_3repE0EEENS1_30default_config_static_selectorELNS0_4arch9wavefront6targetE1EEEvT1_,@function
_ZN7rocprim17ROCPRIM_400000_NS6detail17trampoline_kernelINS0_14default_configENS1_25partition_config_selectorILNS1_17partition_subalgoE8EbNS0_10empty_typeEbEEZZNS1_14partition_implILS5_8ELb0ES3_jN6hipcub16HIPCUB_304000_NS22TransformInputIteratorIbN2at6native8internal12_GLOBAL__N_110LoadBoolOpEPKhlEEPS6_PKS6_NS0_5tupleIJPbS6_EEENSN_IJSK_SK_EEENS0_18inequality_wrapperINSA_8EqualityEEEPlJS6_EEE10hipError_tPvRmT3_T4_T5_T6_T7_T9_mT8_P12ihipStream_tbDpT10_ENKUlT_T0_E_clISt17integral_constantIbLb1EES1D_IbLb0EEEEDaS19_S1A_EUlS19_E_NS1_11comp_targetILNS1_3genE8ELNS1_11target_archE1030ELNS1_3gpuE2ELNS1_3repE0EEENS1_30default_config_static_selectorELNS0_4arch9wavefront6targetE1EEEvT1_: ; @_ZN7rocprim17ROCPRIM_400000_NS6detail17trampoline_kernelINS0_14default_configENS1_25partition_config_selectorILNS1_17partition_subalgoE8EbNS0_10empty_typeEbEEZZNS1_14partition_implILS5_8ELb0ES3_jN6hipcub16HIPCUB_304000_NS22TransformInputIteratorIbN2at6native8internal12_GLOBAL__N_110LoadBoolOpEPKhlEEPS6_PKS6_NS0_5tupleIJPbS6_EEENSN_IJSK_SK_EEENS0_18inequality_wrapperINSA_8EqualityEEEPlJS6_EEE10hipError_tPvRmT3_T4_T5_T6_T7_T9_mT8_P12ihipStream_tbDpT10_ENKUlT_T0_E_clISt17integral_constantIbLb1EES1D_IbLb0EEEEDaS19_S1A_EUlS19_E_NS1_11comp_targetILNS1_3genE8ELNS1_11target_archE1030ELNS1_3gpuE2ELNS1_3repE0EEENS1_30default_config_static_selectorELNS0_4arch9wavefront6targetE1EEEvT1_
; %bb.0:
	.section	.rodata,"a",@progbits
	.p2align	6, 0x0
	.amdhsa_kernel _ZN7rocprim17ROCPRIM_400000_NS6detail17trampoline_kernelINS0_14default_configENS1_25partition_config_selectorILNS1_17partition_subalgoE8EbNS0_10empty_typeEbEEZZNS1_14partition_implILS5_8ELb0ES3_jN6hipcub16HIPCUB_304000_NS22TransformInputIteratorIbN2at6native8internal12_GLOBAL__N_110LoadBoolOpEPKhlEEPS6_PKS6_NS0_5tupleIJPbS6_EEENSN_IJSK_SK_EEENS0_18inequality_wrapperINSA_8EqualityEEEPlJS6_EEE10hipError_tPvRmT3_T4_T5_T6_T7_T9_mT8_P12ihipStream_tbDpT10_ENKUlT_T0_E_clISt17integral_constantIbLb1EES1D_IbLb0EEEEDaS19_S1A_EUlS19_E_NS1_11comp_targetILNS1_3genE8ELNS1_11target_archE1030ELNS1_3gpuE2ELNS1_3repE0EEENS1_30default_config_static_selectorELNS0_4arch9wavefront6targetE1EEEvT1_
		.amdhsa_group_segment_fixed_size 0
		.amdhsa_private_segment_fixed_size 0
		.amdhsa_kernarg_size 120
		.amdhsa_user_sgpr_count 2
		.amdhsa_user_sgpr_dispatch_ptr 0
		.amdhsa_user_sgpr_queue_ptr 0
		.amdhsa_user_sgpr_kernarg_segment_ptr 1
		.amdhsa_user_sgpr_dispatch_id 0
		.amdhsa_user_sgpr_kernarg_preload_length 0
		.amdhsa_user_sgpr_kernarg_preload_offset 0
		.amdhsa_user_sgpr_private_segment_size 0
		.amdhsa_uses_dynamic_stack 0
		.amdhsa_enable_private_segment 0
		.amdhsa_system_sgpr_workgroup_id_x 1
		.amdhsa_system_sgpr_workgroup_id_y 0
		.amdhsa_system_sgpr_workgroup_id_z 0
		.amdhsa_system_sgpr_workgroup_info 0
		.amdhsa_system_vgpr_workitem_id 0
		.amdhsa_next_free_vgpr 1
		.amdhsa_next_free_sgpr 0
		.amdhsa_accum_offset 4
		.amdhsa_reserve_vcc 0
		.amdhsa_float_round_mode_32 0
		.amdhsa_float_round_mode_16_64 0
		.amdhsa_float_denorm_mode_32 3
		.amdhsa_float_denorm_mode_16_64 3
		.amdhsa_dx10_clamp 1
		.amdhsa_ieee_mode 1
		.amdhsa_fp16_overflow 0
		.amdhsa_tg_split 0
		.amdhsa_exception_fp_ieee_invalid_op 0
		.amdhsa_exception_fp_denorm_src 0
		.amdhsa_exception_fp_ieee_div_zero 0
		.amdhsa_exception_fp_ieee_overflow 0
		.amdhsa_exception_fp_ieee_underflow 0
		.amdhsa_exception_fp_ieee_inexact 0
		.amdhsa_exception_int_div_zero 0
	.end_amdhsa_kernel
	.section	.text._ZN7rocprim17ROCPRIM_400000_NS6detail17trampoline_kernelINS0_14default_configENS1_25partition_config_selectorILNS1_17partition_subalgoE8EbNS0_10empty_typeEbEEZZNS1_14partition_implILS5_8ELb0ES3_jN6hipcub16HIPCUB_304000_NS22TransformInputIteratorIbN2at6native8internal12_GLOBAL__N_110LoadBoolOpEPKhlEEPS6_PKS6_NS0_5tupleIJPbS6_EEENSN_IJSK_SK_EEENS0_18inequality_wrapperINSA_8EqualityEEEPlJS6_EEE10hipError_tPvRmT3_T4_T5_T6_T7_T9_mT8_P12ihipStream_tbDpT10_ENKUlT_T0_E_clISt17integral_constantIbLb1EES1D_IbLb0EEEEDaS19_S1A_EUlS19_E_NS1_11comp_targetILNS1_3genE8ELNS1_11target_archE1030ELNS1_3gpuE2ELNS1_3repE0EEENS1_30default_config_static_selectorELNS0_4arch9wavefront6targetE1EEEvT1_,"axG",@progbits,_ZN7rocprim17ROCPRIM_400000_NS6detail17trampoline_kernelINS0_14default_configENS1_25partition_config_selectorILNS1_17partition_subalgoE8EbNS0_10empty_typeEbEEZZNS1_14partition_implILS5_8ELb0ES3_jN6hipcub16HIPCUB_304000_NS22TransformInputIteratorIbN2at6native8internal12_GLOBAL__N_110LoadBoolOpEPKhlEEPS6_PKS6_NS0_5tupleIJPbS6_EEENSN_IJSK_SK_EEENS0_18inequality_wrapperINSA_8EqualityEEEPlJS6_EEE10hipError_tPvRmT3_T4_T5_T6_T7_T9_mT8_P12ihipStream_tbDpT10_ENKUlT_T0_E_clISt17integral_constantIbLb1EES1D_IbLb0EEEEDaS19_S1A_EUlS19_E_NS1_11comp_targetILNS1_3genE8ELNS1_11target_archE1030ELNS1_3gpuE2ELNS1_3repE0EEENS1_30default_config_static_selectorELNS0_4arch9wavefront6targetE1EEEvT1_,comdat
.Lfunc_end38:
	.size	_ZN7rocprim17ROCPRIM_400000_NS6detail17trampoline_kernelINS0_14default_configENS1_25partition_config_selectorILNS1_17partition_subalgoE8EbNS0_10empty_typeEbEEZZNS1_14partition_implILS5_8ELb0ES3_jN6hipcub16HIPCUB_304000_NS22TransformInputIteratorIbN2at6native8internal12_GLOBAL__N_110LoadBoolOpEPKhlEEPS6_PKS6_NS0_5tupleIJPbS6_EEENSN_IJSK_SK_EEENS0_18inequality_wrapperINSA_8EqualityEEEPlJS6_EEE10hipError_tPvRmT3_T4_T5_T6_T7_T9_mT8_P12ihipStream_tbDpT10_ENKUlT_T0_E_clISt17integral_constantIbLb1EES1D_IbLb0EEEEDaS19_S1A_EUlS19_E_NS1_11comp_targetILNS1_3genE8ELNS1_11target_archE1030ELNS1_3gpuE2ELNS1_3repE0EEENS1_30default_config_static_selectorELNS0_4arch9wavefront6targetE1EEEvT1_, .Lfunc_end38-_ZN7rocprim17ROCPRIM_400000_NS6detail17trampoline_kernelINS0_14default_configENS1_25partition_config_selectorILNS1_17partition_subalgoE8EbNS0_10empty_typeEbEEZZNS1_14partition_implILS5_8ELb0ES3_jN6hipcub16HIPCUB_304000_NS22TransformInputIteratorIbN2at6native8internal12_GLOBAL__N_110LoadBoolOpEPKhlEEPS6_PKS6_NS0_5tupleIJPbS6_EEENSN_IJSK_SK_EEENS0_18inequality_wrapperINSA_8EqualityEEEPlJS6_EEE10hipError_tPvRmT3_T4_T5_T6_T7_T9_mT8_P12ihipStream_tbDpT10_ENKUlT_T0_E_clISt17integral_constantIbLb1EES1D_IbLb0EEEEDaS19_S1A_EUlS19_E_NS1_11comp_targetILNS1_3genE8ELNS1_11target_archE1030ELNS1_3gpuE2ELNS1_3repE0EEENS1_30default_config_static_selectorELNS0_4arch9wavefront6targetE1EEEvT1_
                                        ; -- End function
	.section	.AMDGPU.csdata,"",@progbits
; Kernel info:
; codeLenInByte = 0
; NumSgprs: 6
; NumVgprs: 0
; NumAgprs: 0
; TotalNumVgprs: 0
; ScratchSize: 0
; MemoryBound: 0
; FloatMode: 240
; IeeeMode: 1
; LDSByteSize: 0 bytes/workgroup (compile time only)
; SGPRBlocks: 0
; VGPRBlocks: 0
; NumSGPRsForWavesPerEU: 6
; NumVGPRsForWavesPerEU: 1
; AccumOffset: 4
; Occupancy: 8
; WaveLimiterHint : 0
; COMPUTE_PGM_RSRC2:SCRATCH_EN: 0
; COMPUTE_PGM_RSRC2:USER_SGPR: 2
; COMPUTE_PGM_RSRC2:TRAP_HANDLER: 0
; COMPUTE_PGM_RSRC2:TGID_X_EN: 1
; COMPUTE_PGM_RSRC2:TGID_Y_EN: 0
; COMPUTE_PGM_RSRC2:TGID_Z_EN: 0
; COMPUTE_PGM_RSRC2:TIDIG_COMP_CNT: 0
; COMPUTE_PGM_RSRC3_GFX90A:ACCUM_OFFSET: 0
; COMPUTE_PGM_RSRC3_GFX90A:TG_SPLIT: 0
	.section	.text._ZN7rocprim17ROCPRIM_400000_NS6detail31init_lookback_scan_state_kernelINS1_19lookback_scan_stateIjLb0ELb1EEENS1_16block_id_wrapperIjLb1EEEEEvT_jT0_jPNS7_10value_typeE,"axG",@progbits,_ZN7rocprim17ROCPRIM_400000_NS6detail31init_lookback_scan_state_kernelINS1_19lookback_scan_stateIjLb0ELb1EEENS1_16block_id_wrapperIjLb1EEEEEvT_jT0_jPNS7_10value_typeE,comdat
	.protected	_ZN7rocprim17ROCPRIM_400000_NS6detail31init_lookback_scan_state_kernelINS1_19lookback_scan_stateIjLb0ELb1EEENS1_16block_id_wrapperIjLb1EEEEEvT_jT0_jPNS7_10value_typeE ; -- Begin function _ZN7rocprim17ROCPRIM_400000_NS6detail31init_lookback_scan_state_kernelINS1_19lookback_scan_stateIjLb0ELb1EEENS1_16block_id_wrapperIjLb1EEEEEvT_jT0_jPNS7_10value_typeE
	.globl	_ZN7rocprim17ROCPRIM_400000_NS6detail31init_lookback_scan_state_kernelINS1_19lookback_scan_stateIjLb0ELb1EEENS1_16block_id_wrapperIjLb1EEEEEvT_jT0_jPNS7_10value_typeE
	.p2align	8
	.type	_ZN7rocprim17ROCPRIM_400000_NS6detail31init_lookback_scan_state_kernelINS1_19lookback_scan_stateIjLb0ELb1EEENS1_16block_id_wrapperIjLb1EEEEEvT_jT0_jPNS7_10value_typeE,@function
_ZN7rocprim17ROCPRIM_400000_NS6detail31init_lookback_scan_state_kernelINS1_19lookback_scan_stateIjLb0ELb1EEENS1_16block_id_wrapperIjLb1EEEEEvT_jT0_jPNS7_10value_typeE: ; @_ZN7rocprim17ROCPRIM_400000_NS6detail31init_lookback_scan_state_kernelINS1_19lookback_scan_stateIjLb0ELb1EEENS1_16block_id_wrapperIjLb1EEEEEvT_jT0_jPNS7_10value_typeE
; %bb.0:
	s_load_dword s3, s[0:1], 0x34
	s_load_dwordx2 s[6:7], s[0:1], 0x20
	s_load_dwordx2 s[4:5], s[0:1], 0x0
	s_load_dword s10, s[0:1], 0x8
	s_waitcnt lgkmcnt(0)
	s_and_b32 s3, s3, 0xffff
	s_mul_i32 s2, s2, s3
	s_cmp_eq_u64 s[6:7], 0
	v_add_u32_e32 v0, s2, v0
	s_cbranch_scc1 .LBB39_6
; %bb.1:
	s_load_dword s8, s[0:1], 0x18
	s_mov_b32 s9, 0
	s_waitcnt lgkmcnt(0)
	s_cmp_lt_u32 s8, s10
	s_cselect_b32 s2, s8, 0
	v_cmp_eq_u32_e32 vcc, s2, v0
	s_and_saveexec_b64 s[2:3], vcc
	s_cbranch_execz .LBB39_5
; %bb.2:
	s_add_i32 s8, s8, 64
	s_lshl_b64 s[8:9], s[8:9], 3
	s_add_u32 s8, s4, s8
	s_addc_u32 s9, s5, s9
	v_mov_b32_e32 v4, 0
	global_load_dwordx2 v[2:3], v4, s[8:9] sc1
	s_waitcnt vmcnt(0)
	v_and_b32_e32 v5, 0xff, v3
	v_cmp_ne_u64_e32 vcc, 0, v[4:5]
	s_cbranch_vccnz .LBB39_4
.LBB39_3:                               ; =>This Inner Loop Header: Depth=1
	global_load_dwordx2 v[2:3], v4, s[8:9] sc1
	s_waitcnt vmcnt(0)
	v_and_b32_e32 v5, 0xff, v3
	v_cmp_eq_u64_e32 vcc, 0, v[4:5]
	s_cbranch_vccnz .LBB39_3
.LBB39_4:
	v_mov_b32_e32 v1, 0
	global_store_dword v1, v2, s[6:7]
.LBB39_5:
	s_or_b64 exec, exec, s[2:3]
.LBB39_6:
	v_cmp_eq_u32_e32 vcc, 0, v0
	s_and_saveexec_b64 s[2:3], vcc
	s_cbranch_execnz .LBB39_10
; %bb.7:
	s_or_b64 exec, exec, s[2:3]
	v_cmp_gt_u32_e32 vcc, s10, v0
	s_and_saveexec_b64 s[0:1], vcc
	s_cbranch_execnz .LBB39_11
.LBB39_8:
	s_or_b64 exec, exec, s[0:1]
	v_cmp_gt_u32_e32 vcc, 64, v0
	s_and_saveexec_b64 s[0:1], vcc
	s_cbranch_execnz .LBB39_12
.LBB39_9:
	s_endpgm
.LBB39_10:
	s_load_dwordx2 s[0:1], s[0:1], 0x10
	v_mov_b32_e32 v1, 0
	s_waitcnt lgkmcnt(0)
	global_store_dword v1, v1, s[0:1]
	s_or_b64 exec, exec, s[2:3]
	v_cmp_gt_u32_e32 vcc, s10, v0
	s_and_saveexec_b64 s[0:1], vcc
	s_cbranch_execz .LBB39_8
.LBB39_11:
	v_add_u32_e32 v2, 64, v0
	v_mov_b32_e32 v3, 0
	v_lshl_add_u64 v[4:5], v[2:3], 3, s[4:5]
	v_mov_b32_e32 v2, v3
	global_store_dwordx2 v[4:5], v[2:3], off
	s_or_b64 exec, exec, s[0:1]
	v_cmp_gt_u32_e32 vcc, 64, v0
	s_and_saveexec_b64 s[0:1], vcc
	s_cbranch_execz .LBB39_9
.LBB39_12:
	v_mov_b32_e32 v1, 0
	v_lshl_add_u64 v[2:3], v[0:1], 3, s[4:5]
	v_mov_b32_e32 v5, 0xff
	v_mov_b32_e32 v4, v1
	global_store_dwordx2 v[2:3], v[4:5], off
	s_endpgm
	.section	.rodata,"a",@progbits
	.p2align	6, 0x0
	.amdhsa_kernel _ZN7rocprim17ROCPRIM_400000_NS6detail31init_lookback_scan_state_kernelINS1_19lookback_scan_stateIjLb0ELb1EEENS1_16block_id_wrapperIjLb1EEEEEvT_jT0_jPNS7_10value_typeE
		.amdhsa_group_segment_fixed_size 0
		.amdhsa_private_segment_fixed_size 0
		.amdhsa_kernarg_size 296
		.amdhsa_user_sgpr_count 2
		.amdhsa_user_sgpr_dispatch_ptr 0
		.amdhsa_user_sgpr_queue_ptr 0
		.amdhsa_user_sgpr_kernarg_segment_ptr 1
		.amdhsa_user_sgpr_dispatch_id 0
		.amdhsa_user_sgpr_kernarg_preload_length 0
		.amdhsa_user_sgpr_kernarg_preload_offset 0
		.amdhsa_user_sgpr_private_segment_size 0
		.amdhsa_uses_dynamic_stack 0
		.amdhsa_enable_private_segment 0
		.amdhsa_system_sgpr_workgroup_id_x 1
		.amdhsa_system_sgpr_workgroup_id_y 0
		.amdhsa_system_sgpr_workgroup_id_z 0
		.amdhsa_system_sgpr_workgroup_info 0
		.amdhsa_system_vgpr_workitem_id 0
		.amdhsa_next_free_vgpr 6
		.amdhsa_next_free_sgpr 11
		.amdhsa_accum_offset 8
		.amdhsa_reserve_vcc 1
		.amdhsa_float_round_mode_32 0
		.amdhsa_float_round_mode_16_64 0
		.amdhsa_float_denorm_mode_32 3
		.amdhsa_float_denorm_mode_16_64 3
		.amdhsa_dx10_clamp 1
		.amdhsa_ieee_mode 1
		.amdhsa_fp16_overflow 0
		.amdhsa_tg_split 0
		.amdhsa_exception_fp_ieee_invalid_op 0
		.amdhsa_exception_fp_denorm_src 0
		.amdhsa_exception_fp_ieee_div_zero 0
		.amdhsa_exception_fp_ieee_overflow 0
		.amdhsa_exception_fp_ieee_underflow 0
		.amdhsa_exception_fp_ieee_inexact 0
		.amdhsa_exception_int_div_zero 0
	.end_amdhsa_kernel
	.section	.text._ZN7rocprim17ROCPRIM_400000_NS6detail31init_lookback_scan_state_kernelINS1_19lookback_scan_stateIjLb0ELb1EEENS1_16block_id_wrapperIjLb1EEEEEvT_jT0_jPNS7_10value_typeE,"axG",@progbits,_ZN7rocprim17ROCPRIM_400000_NS6detail31init_lookback_scan_state_kernelINS1_19lookback_scan_stateIjLb0ELb1EEENS1_16block_id_wrapperIjLb1EEEEEvT_jT0_jPNS7_10value_typeE,comdat
.Lfunc_end39:
	.size	_ZN7rocprim17ROCPRIM_400000_NS6detail31init_lookback_scan_state_kernelINS1_19lookback_scan_stateIjLb0ELb1EEENS1_16block_id_wrapperIjLb1EEEEEvT_jT0_jPNS7_10value_typeE, .Lfunc_end39-_ZN7rocprim17ROCPRIM_400000_NS6detail31init_lookback_scan_state_kernelINS1_19lookback_scan_stateIjLb0ELb1EEENS1_16block_id_wrapperIjLb1EEEEEvT_jT0_jPNS7_10value_typeE
                                        ; -- End function
	.section	.AMDGPU.csdata,"",@progbits
; Kernel info:
; codeLenInByte = 356
; NumSgprs: 17
; NumVgprs: 6
; NumAgprs: 0
; TotalNumVgprs: 6
; ScratchSize: 0
; MemoryBound: 0
; FloatMode: 240
; IeeeMode: 1
; LDSByteSize: 0 bytes/workgroup (compile time only)
; SGPRBlocks: 2
; VGPRBlocks: 0
; NumSGPRsForWavesPerEU: 17
; NumVGPRsForWavesPerEU: 6
; AccumOffset: 8
; Occupancy: 8
; WaveLimiterHint : 0
; COMPUTE_PGM_RSRC2:SCRATCH_EN: 0
; COMPUTE_PGM_RSRC2:USER_SGPR: 2
; COMPUTE_PGM_RSRC2:TRAP_HANDLER: 0
; COMPUTE_PGM_RSRC2:TGID_X_EN: 1
; COMPUTE_PGM_RSRC2:TGID_Y_EN: 0
; COMPUTE_PGM_RSRC2:TGID_Z_EN: 0
; COMPUTE_PGM_RSRC2:TIDIG_COMP_CNT: 0
; COMPUTE_PGM_RSRC3_GFX90A:ACCUM_OFFSET: 1
; COMPUTE_PGM_RSRC3_GFX90A:TG_SPLIT: 0
	.section	.text._ZN7rocprim17ROCPRIM_400000_NS6detail17trampoline_kernelINS0_14default_configENS1_25partition_config_selectorILNS1_17partition_subalgoE8EbNS0_10empty_typeEbEEZZNS1_14partition_implILS5_8ELb0ES3_jN6hipcub16HIPCUB_304000_NS22TransformInputIteratorIbN2at6native8internal12_GLOBAL__N_110LoadBoolOpEPKhlEEPS6_PKS6_NS0_5tupleIJPbS6_EEENSN_IJSK_SK_EEENS0_18inequality_wrapperINSA_8EqualityEEEPlJS6_EEE10hipError_tPvRmT3_T4_T5_T6_T7_T9_mT8_P12ihipStream_tbDpT10_ENKUlT_T0_E_clISt17integral_constantIbLb0EES1D_IbLb1EEEEDaS19_S1A_EUlS19_E_NS1_11comp_targetILNS1_3genE0ELNS1_11target_archE4294967295ELNS1_3gpuE0ELNS1_3repE0EEENS1_30default_config_static_selectorELNS0_4arch9wavefront6targetE1EEEvT1_,"axG",@progbits,_ZN7rocprim17ROCPRIM_400000_NS6detail17trampoline_kernelINS0_14default_configENS1_25partition_config_selectorILNS1_17partition_subalgoE8EbNS0_10empty_typeEbEEZZNS1_14partition_implILS5_8ELb0ES3_jN6hipcub16HIPCUB_304000_NS22TransformInputIteratorIbN2at6native8internal12_GLOBAL__N_110LoadBoolOpEPKhlEEPS6_PKS6_NS0_5tupleIJPbS6_EEENSN_IJSK_SK_EEENS0_18inequality_wrapperINSA_8EqualityEEEPlJS6_EEE10hipError_tPvRmT3_T4_T5_T6_T7_T9_mT8_P12ihipStream_tbDpT10_ENKUlT_T0_E_clISt17integral_constantIbLb0EES1D_IbLb1EEEEDaS19_S1A_EUlS19_E_NS1_11comp_targetILNS1_3genE0ELNS1_11target_archE4294967295ELNS1_3gpuE0ELNS1_3repE0EEENS1_30default_config_static_selectorELNS0_4arch9wavefront6targetE1EEEvT1_,comdat
	.globl	_ZN7rocprim17ROCPRIM_400000_NS6detail17trampoline_kernelINS0_14default_configENS1_25partition_config_selectorILNS1_17partition_subalgoE8EbNS0_10empty_typeEbEEZZNS1_14partition_implILS5_8ELb0ES3_jN6hipcub16HIPCUB_304000_NS22TransformInputIteratorIbN2at6native8internal12_GLOBAL__N_110LoadBoolOpEPKhlEEPS6_PKS6_NS0_5tupleIJPbS6_EEENSN_IJSK_SK_EEENS0_18inequality_wrapperINSA_8EqualityEEEPlJS6_EEE10hipError_tPvRmT3_T4_T5_T6_T7_T9_mT8_P12ihipStream_tbDpT10_ENKUlT_T0_E_clISt17integral_constantIbLb0EES1D_IbLb1EEEEDaS19_S1A_EUlS19_E_NS1_11comp_targetILNS1_3genE0ELNS1_11target_archE4294967295ELNS1_3gpuE0ELNS1_3repE0EEENS1_30default_config_static_selectorELNS0_4arch9wavefront6targetE1EEEvT1_ ; -- Begin function _ZN7rocprim17ROCPRIM_400000_NS6detail17trampoline_kernelINS0_14default_configENS1_25partition_config_selectorILNS1_17partition_subalgoE8EbNS0_10empty_typeEbEEZZNS1_14partition_implILS5_8ELb0ES3_jN6hipcub16HIPCUB_304000_NS22TransformInputIteratorIbN2at6native8internal12_GLOBAL__N_110LoadBoolOpEPKhlEEPS6_PKS6_NS0_5tupleIJPbS6_EEENSN_IJSK_SK_EEENS0_18inequality_wrapperINSA_8EqualityEEEPlJS6_EEE10hipError_tPvRmT3_T4_T5_T6_T7_T9_mT8_P12ihipStream_tbDpT10_ENKUlT_T0_E_clISt17integral_constantIbLb0EES1D_IbLb1EEEEDaS19_S1A_EUlS19_E_NS1_11comp_targetILNS1_3genE0ELNS1_11target_archE4294967295ELNS1_3gpuE0ELNS1_3repE0EEENS1_30default_config_static_selectorELNS0_4arch9wavefront6targetE1EEEvT1_
	.p2align	8
	.type	_ZN7rocprim17ROCPRIM_400000_NS6detail17trampoline_kernelINS0_14default_configENS1_25partition_config_selectorILNS1_17partition_subalgoE8EbNS0_10empty_typeEbEEZZNS1_14partition_implILS5_8ELb0ES3_jN6hipcub16HIPCUB_304000_NS22TransformInputIteratorIbN2at6native8internal12_GLOBAL__N_110LoadBoolOpEPKhlEEPS6_PKS6_NS0_5tupleIJPbS6_EEENSN_IJSK_SK_EEENS0_18inequality_wrapperINSA_8EqualityEEEPlJS6_EEE10hipError_tPvRmT3_T4_T5_T6_T7_T9_mT8_P12ihipStream_tbDpT10_ENKUlT_T0_E_clISt17integral_constantIbLb0EES1D_IbLb1EEEEDaS19_S1A_EUlS19_E_NS1_11comp_targetILNS1_3genE0ELNS1_11target_archE4294967295ELNS1_3gpuE0ELNS1_3repE0EEENS1_30default_config_static_selectorELNS0_4arch9wavefront6targetE1EEEvT1_,@function
_ZN7rocprim17ROCPRIM_400000_NS6detail17trampoline_kernelINS0_14default_configENS1_25partition_config_selectorILNS1_17partition_subalgoE8EbNS0_10empty_typeEbEEZZNS1_14partition_implILS5_8ELb0ES3_jN6hipcub16HIPCUB_304000_NS22TransformInputIteratorIbN2at6native8internal12_GLOBAL__N_110LoadBoolOpEPKhlEEPS6_PKS6_NS0_5tupleIJPbS6_EEENSN_IJSK_SK_EEENS0_18inequality_wrapperINSA_8EqualityEEEPlJS6_EEE10hipError_tPvRmT3_T4_T5_T6_T7_T9_mT8_P12ihipStream_tbDpT10_ENKUlT_T0_E_clISt17integral_constantIbLb0EES1D_IbLb1EEEEDaS19_S1A_EUlS19_E_NS1_11comp_targetILNS1_3genE0ELNS1_11target_archE4294967295ELNS1_3gpuE0ELNS1_3repE0EEENS1_30default_config_static_selectorELNS0_4arch9wavefront6targetE1EEEvT1_: ; @_ZN7rocprim17ROCPRIM_400000_NS6detail17trampoline_kernelINS0_14default_configENS1_25partition_config_selectorILNS1_17partition_subalgoE8EbNS0_10empty_typeEbEEZZNS1_14partition_implILS5_8ELb0ES3_jN6hipcub16HIPCUB_304000_NS22TransformInputIteratorIbN2at6native8internal12_GLOBAL__N_110LoadBoolOpEPKhlEEPS6_PKS6_NS0_5tupleIJPbS6_EEENSN_IJSK_SK_EEENS0_18inequality_wrapperINSA_8EqualityEEEPlJS6_EEE10hipError_tPvRmT3_T4_T5_T6_T7_T9_mT8_P12ihipStream_tbDpT10_ENKUlT_T0_E_clISt17integral_constantIbLb0EES1D_IbLb1EEEEDaS19_S1A_EUlS19_E_NS1_11comp_targetILNS1_3genE0ELNS1_11target_archE4294967295ELNS1_3gpuE0ELNS1_3repE0EEENS1_30default_config_static_selectorELNS0_4arch9wavefront6targetE1EEEvT1_
; %bb.0:
	.section	.rodata,"a",@progbits
	.p2align	6, 0x0
	.amdhsa_kernel _ZN7rocprim17ROCPRIM_400000_NS6detail17trampoline_kernelINS0_14default_configENS1_25partition_config_selectorILNS1_17partition_subalgoE8EbNS0_10empty_typeEbEEZZNS1_14partition_implILS5_8ELb0ES3_jN6hipcub16HIPCUB_304000_NS22TransformInputIteratorIbN2at6native8internal12_GLOBAL__N_110LoadBoolOpEPKhlEEPS6_PKS6_NS0_5tupleIJPbS6_EEENSN_IJSK_SK_EEENS0_18inequality_wrapperINSA_8EqualityEEEPlJS6_EEE10hipError_tPvRmT3_T4_T5_T6_T7_T9_mT8_P12ihipStream_tbDpT10_ENKUlT_T0_E_clISt17integral_constantIbLb0EES1D_IbLb1EEEEDaS19_S1A_EUlS19_E_NS1_11comp_targetILNS1_3genE0ELNS1_11target_archE4294967295ELNS1_3gpuE0ELNS1_3repE0EEENS1_30default_config_static_selectorELNS0_4arch9wavefront6targetE1EEEvT1_
		.amdhsa_group_segment_fixed_size 0
		.amdhsa_private_segment_fixed_size 0
		.amdhsa_kernarg_size 136
		.amdhsa_user_sgpr_count 2
		.amdhsa_user_sgpr_dispatch_ptr 0
		.amdhsa_user_sgpr_queue_ptr 0
		.amdhsa_user_sgpr_kernarg_segment_ptr 1
		.amdhsa_user_sgpr_dispatch_id 0
		.amdhsa_user_sgpr_kernarg_preload_length 0
		.amdhsa_user_sgpr_kernarg_preload_offset 0
		.amdhsa_user_sgpr_private_segment_size 0
		.amdhsa_uses_dynamic_stack 0
		.amdhsa_enable_private_segment 0
		.amdhsa_system_sgpr_workgroup_id_x 1
		.amdhsa_system_sgpr_workgroup_id_y 0
		.amdhsa_system_sgpr_workgroup_id_z 0
		.amdhsa_system_sgpr_workgroup_info 0
		.amdhsa_system_vgpr_workitem_id 0
		.amdhsa_next_free_vgpr 1
		.amdhsa_next_free_sgpr 0
		.amdhsa_accum_offset 4
		.amdhsa_reserve_vcc 0
		.amdhsa_float_round_mode_32 0
		.amdhsa_float_round_mode_16_64 0
		.amdhsa_float_denorm_mode_32 3
		.amdhsa_float_denorm_mode_16_64 3
		.amdhsa_dx10_clamp 1
		.amdhsa_ieee_mode 1
		.amdhsa_fp16_overflow 0
		.amdhsa_tg_split 0
		.amdhsa_exception_fp_ieee_invalid_op 0
		.amdhsa_exception_fp_denorm_src 0
		.amdhsa_exception_fp_ieee_div_zero 0
		.amdhsa_exception_fp_ieee_overflow 0
		.amdhsa_exception_fp_ieee_underflow 0
		.amdhsa_exception_fp_ieee_inexact 0
		.amdhsa_exception_int_div_zero 0
	.end_amdhsa_kernel
	.section	.text._ZN7rocprim17ROCPRIM_400000_NS6detail17trampoline_kernelINS0_14default_configENS1_25partition_config_selectorILNS1_17partition_subalgoE8EbNS0_10empty_typeEbEEZZNS1_14partition_implILS5_8ELb0ES3_jN6hipcub16HIPCUB_304000_NS22TransformInputIteratorIbN2at6native8internal12_GLOBAL__N_110LoadBoolOpEPKhlEEPS6_PKS6_NS0_5tupleIJPbS6_EEENSN_IJSK_SK_EEENS0_18inequality_wrapperINSA_8EqualityEEEPlJS6_EEE10hipError_tPvRmT3_T4_T5_T6_T7_T9_mT8_P12ihipStream_tbDpT10_ENKUlT_T0_E_clISt17integral_constantIbLb0EES1D_IbLb1EEEEDaS19_S1A_EUlS19_E_NS1_11comp_targetILNS1_3genE0ELNS1_11target_archE4294967295ELNS1_3gpuE0ELNS1_3repE0EEENS1_30default_config_static_selectorELNS0_4arch9wavefront6targetE1EEEvT1_,"axG",@progbits,_ZN7rocprim17ROCPRIM_400000_NS6detail17trampoline_kernelINS0_14default_configENS1_25partition_config_selectorILNS1_17partition_subalgoE8EbNS0_10empty_typeEbEEZZNS1_14partition_implILS5_8ELb0ES3_jN6hipcub16HIPCUB_304000_NS22TransformInputIteratorIbN2at6native8internal12_GLOBAL__N_110LoadBoolOpEPKhlEEPS6_PKS6_NS0_5tupleIJPbS6_EEENSN_IJSK_SK_EEENS0_18inequality_wrapperINSA_8EqualityEEEPlJS6_EEE10hipError_tPvRmT3_T4_T5_T6_T7_T9_mT8_P12ihipStream_tbDpT10_ENKUlT_T0_E_clISt17integral_constantIbLb0EES1D_IbLb1EEEEDaS19_S1A_EUlS19_E_NS1_11comp_targetILNS1_3genE0ELNS1_11target_archE4294967295ELNS1_3gpuE0ELNS1_3repE0EEENS1_30default_config_static_selectorELNS0_4arch9wavefront6targetE1EEEvT1_,comdat
.Lfunc_end40:
	.size	_ZN7rocprim17ROCPRIM_400000_NS6detail17trampoline_kernelINS0_14default_configENS1_25partition_config_selectorILNS1_17partition_subalgoE8EbNS0_10empty_typeEbEEZZNS1_14partition_implILS5_8ELb0ES3_jN6hipcub16HIPCUB_304000_NS22TransformInputIteratorIbN2at6native8internal12_GLOBAL__N_110LoadBoolOpEPKhlEEPS6_PKS6_NS0_5tupleIJPbS6_EEENSN_IJSK_SK_EEENS0_18inequality_wrapperINSA_8EqualityEEEPlJS6_EEE10hipError_tPvRmT3_T4_T5_T6_T7_T9_mT8_P12ihipStream_tbDpT10_ENKUlT_T0_E_clISt17integral_constantIbLb0EES1D_IbLb1EEEEDaS19_S1A_EUlS19_E_NS1_11comp_targetILNS1_3genE0ELNS1_11target_archE4294967295ELNS1_3gpuE0ELNS1_3repE0EEENS1_30default_config_static_selectorELNS0_4arch9wavefront6targetE1EEEvT1_, .Lfunc_end40-_ZN7rocprim17ROCPRIM_400000_NS6detail17trampoline_kernelINS0_14default_configENS1_25partition_config_selectorILNS1_17partition_subalgoE8EbNS0_10empty_typeEbEEZZNS1_14partition_implILS5_8ELb0ES3_jN6hipcub16HIPCUB_304000_NS22TransformInputIteratorIbN2at6native8internal12_GLOBAL__N_110LoadBoolOpEPKhlEEPS6_PKS6_NS0_5tupleIJPbS6_EEENSN_IJSK_SK_EEENS0_18inequality_wrapperINSA_8EqualityEEEPlJS6_EEE10hipError_tPvRmT3_T4_T5_T6_T7_T9_mT8_P12ihipStream_tbDpT10_ENKUlT_T0_E_clISt17integral_constantIbLb0EES1D_IbLb1EEEEDaS19_S1A_EUlS19_E_NS1_11comp_targetILNS1_3genE0ELNS1_11target_archE4294967295ELNS1_3gpuE0ELNS1_3repE0EEENS1_30default_config_static_selectorELNS0_4arch9wavefront6targetE1EEEvT1_
                                        ; -- End function
	.section	.AMDGPU.csdata,"",@progbits
; Kernel info:
; codeLenInByte = 0
; NumSgprs: 6
; NumVgprs: 0
; NumAgprs: 0
; TotalNumVgprs: 0
; ScratchSize: 0
; MemoryBound: 0
; FloatMode: 240
; IeeeMode: 1
; LDSByteSize: 0 bytes/workgroup (compile time only)
; SGPRBlocks: 0
; VGPRBlocks: 0
; NumSGPRsForWavesPerEU: 6
; NumVGPRsForWavesPerEU: 1
; AccumOffset: 4
; Occupancy: 8
; WaveLimiterHint : 0
; COMPUTE_PGM_RSRC2:SCRATCH_EN: 0
; COMPUTE_PGM_RSRC2:USER_SGPR: 2
; COMPUTE_PGM_RSRC2:TRAP_HANDLER: 0
; COMPUTE_PGM_RSRC2:TGID_X_EN: 1
; COMPUTE_PGM_RSRC2:TGID_Y_EN: 0
; COMPUTE_PGM_RSRC2:TGID_Z_EN: 0
; COMPUTE_PGM_RSRC2:TIDIG_COMP_CNT: 0
; COMPUTE_PGM_RSRC3_GFX90A:ACCUM_OFFSET: 0
; COMPUTE_PGM_RSRC3_GFX90A:TG_SPLIT: 0
	.section	.text._ZN7rocprim17ROCPRIM_400000_NS6detail17trampoline_kernelINS0_14default_configENS1_25partition_config_selectorILNS1_17partition_subalgoE8EbNS0_10empty_typeEbEEZZNS1_14partition_implILS5_8ELb0ES3_jN6hipcub16HIPCUB_304000_NS22TransformInputIteratorIbN2at6native8internal12_GLOBAL__N_110LoadBoolOpEPKhlEEPS6_PKS6_NS0_5tupleIJPbS6_EEENSN_IJSK_SK_EEENS0_18inequality_wrapperINSA_8EqualityEEEPlJS6_EEE10hipError_tPvRmT3_T4_T5_T6_T7_T9_mT8_P12ihipStream_tbDpT10_ENKUlT_T0_E_clISt17integral_constantIbLb0EES1D_IbLb1EEEEDaS19_S1A_EUlS19_E_NS1_11comp_targetILNS1_3genE5ELNS1_11target_archE942ELNS1_3gpuE9ELNS1_3repE0EEENS1_30default_config_static_selectorELNS0_4arch9wavefront6targetE1EEEvT1_,"axG",@progbits,_ZN7rocprim17ROCPRIM_400000_NS6detail17trampoline_kernelINS0_14default_configENS1_25partition_config_selectorILNS1_17partition_subalgoE8EbNS0_10empty_typeEbEEZZNS1_14partition_implILS5_8ELb0ES3_jN6hipcub16HIPCUB_304000_NS22TransformInputIteratorIbN2at6native8internal12_GLOBAL__N_110LoadBoolOpEPKhlEEPS6_PKS6_NS0_5tupleIJPbS6_EEENSN_IJSK_SK_EEENS0_18inequality_wrapperINSA_8EqualityEEEPlJS6_EEE10hipError_tPvRmT3_T4_T5_T6_T7_T9_mT8_P12ihipStream_tbDpT10_ENKUlT_T0_E_clISt17integral_constantIbLb0EES1D_IbLb1EEEEDaS19_S1A_EUlS19_E_NS1_11comp_targetILNS1_3genE5ELNS1_11target_archE942ELNS1_3gpuE9ELNS1_3repE0EEENS1_30default_config_static_selectorELNS0_4arch9wavefront6targetE1EEEvT1_,comdat
	.globl	_ZN7rocprim17ROCPRIM_400000_NS6detail17trampoline_kernelINS0_14default_configENS1_25partition_config_selectorILNS1_17partition_subalgoE8EbNS0_10empty_typeEbEEZZNS1_14partition_implILS5_8ELb0ES3_jN6hipcub16HIPCUB_304000_NS22TransformInputIteratorIbN2at6native8internal12_GLOBAL__N_110LoadBoolOpEPKhlEEPS6_PKS6_NS0_5tupleIJPbS6_EEENSN_IJSK_SK_EEENS0_18inequality_wrapperINSA_8EqualityEEEPlJS6_EEE10hipError_tPvRmT3_T4_T5_T6_T7_T9_mT8_P12ihipStream_tbDpT10_ENKUlT_T0_E_clISt17integral_constantIbLb0EES1D_IbLb1EEEEDaS19_S1A_EUlS19_E_NS1_11comp_targetILNS1_3genE5ELNS1_11target_archE942ELNS1_3gpuE9ELNS1_3repE0EEENS1_30default_config_static_selectorELNS0_4arch9wavefront6targetE1EEEvT1_ ; -- Begin function _ZN7rocprim17ROCPRIM_400000_NS6detail17trampoline_kernelINS0_14default_configENS1_25partition_config_selectorILNS1_17partition_subalgoE8EbNS0_10empty_typeEbEEZZNS1_14partition_implILS5_8ELb0ES3_jN6hipcub16HIPCUB_304000_NS22TransformInputIteratorIbN2at6native8internal12_GLOBAL__N_110LoadBoolOpEPKhlEEPS6_PKS6_NS0_5tupleIJPbS6_EEENSN_IJSK_SK_EEENS0_18inequality_wrapperINSA_8EqualityEEEPlJS6_EEE10hipError_tPvRmT3_T4_T5_T6_T7_T9_mT8_P12ihipStream_tbDpT10_ENKUlT_T0_E_clISt17integral_constantIbLb0EES1D_IbLb1EEEEDaS19_S1A_EUlS19_E_NS1_11comp_targetILNS1_3genE5ELNS1_11target_archE942ELNS1_3gpuE9ELNS1_3repE0EEENS1_30default_config_static_selectorELNS0_4arch9wavefront6targetE1EEEvT1_
	.p2align	8
	.type	_ZN7rocprim17ROCPRIM_400000_NS6detail17trampoline_kernelINS0_14default_configENS1_25partition_config_selectorILNS1_17partition_subalgoE8EbNS0_10empty_typeEbEEZZNS1_14partition_implILS5_8ELb0ES3_jN6hipcub16HIPCUB_304000_NS22TransformInputIteratorIbN2at6native8internal12_GLOBAL__N_110LoadBoolOpEPKhlEEPS6_PKS6_NS0_5tupleIJPbS6_EEENSN_IJSK_SK_EEENS0_18inequality_wrapperINSA_8EqualityEEEPlJS6_EEE10hipError_tPvRmT3_T4_T5_T6_T7_T9_mT8_P12ihipStream_tbDpT10_ENKUlT_T0_E_clISt17integral_constantIbLb0EES1D_IbLb1EEEEDaS19_S1A_EUlS19_E_NS1_11comp_targetILNS1_3genE5ELNS1_11target_archE942ELNS1_3gpuE9ELNS1_3repE0EEENS1_30default_config_static_selectorELNS0_4arch9wavefront6targetE1EEEvT1_,@function
_ZN7rocprim17ROCPRIM_400000_NS6detail17trampoline_kernelINS0_14default_configENS1_25partition_config_selectorILNS1_17partition_subalgoE8EbNS0_10empty_typeEbEEZZNS1_14partition_implILS5_8ELb0ES3_jN6hipcub16HIPCUB_304000_NS22TransformInputIteratorIbN2at6native8internal12_GLOBAL__N_110LoadBoolOpEPKhlEEPS6_PKS6_NS0_5tupleIJPbS6_EEENSN_IJSK_SK_EEENS0_18inequality_wrapperINSA_8EqualityEEEPlJS6_EEE10hipError_tPvRmT3_T4_T5_T6_T7_T9_mT8_P12ihipStream_tbDpT10_ENKUlT_T0_E_clISt17integral_constantIbLb0EES1D_IbLb1EEEEDaS19_S1A_EUlS19_E_NS1_11comp_targetILNS1_3genE5ELNS1_11target_archE942ELNS1_3gpuE9ELNS1_3repE0EEENS1_30default_config_static_selectorELNS0_4arch9wavefront6targetE1EEEvT1_: ; @_ZN7rocprim17ROCPRIM_400000_NS6detail17trampoline_kernelINS0_14default_configENS1_25partition_config_selectorILNS1_17partition_subalgoE8EbNS0_10empty_typeEbEEZZNS1_14partition_implILS5_8ELb0ES3_jN6hipcub16HIPCUB_304000_NS22TransformInputIteratorIbN2at6native8internal12_GLOBAL__N_110LoadBoolOpEPKhlEEPS6_PKS6_NS0_5tupleIJPbS6_EEENSN_IJSK_SK_EEENS0_18inequality_wrapperINSA_8EqualityEEEPlJS6_EEE10hipError_tPvRmT3_T4_T5_T6_T7_T9_mT8_P12ihipStream_tbDpT10_ENKUlT_T0_E_clISt17integral_constantIbLb0EES1D_IbLb1EEEEDaS19_S1A_EUlS19_E_NS1_11comp_targetILNS1_3genE5ELNS1_11target_archE942ELNS1_3gpuE9ELNS1_3repE0EEENS1_30default_config_static_selectorELNS0_4arch9wavefront6targetE1EEEvT1_
; %bb.0:
	s_load_dwordx2 s[4:5], s[0:1], 0x8
	s_load_dwordx2 s[6:7], s[0:1], 0x18
	;; [unrolled: 1-line block ×3, first 2 shown]
	s_load_dwordx4 s[20:23], s[0:1], 0x48
	s_load_dwordx2 s[28:29], s[0:1], 0x68
	v_cmp_ne_u32_e64 s[2:3], 0, v0
	v_cmp_eq_u32_e64 s[18:19], 0, v0
	s_and_saveexec_b64 s[10:11], s[18:19]
	s_cbranch_execz .LBB41_4
; %bb.1:
	s_mov_b64 s[14:15], exec
	v_mbcnt_lo_u32_b32 v1, s14, 0
	v_mbcnt_hi_u32_b32 v1, s15, v1
	v_cmp_eq_u32_e32 vcc, 0, v1
                                        ; implicit-def: $vgpr2
	s_and_saveexec_b64 s[12:13], vcc
	s_cbranch_execz .LBB41_3
; %bb.2:
	s_load_dwordx2 s[16:17], s[0:1], 0x78
	s_bcnt1_i32_b64 s14, s[14:15]
	v_mov_b32_e32 v2, 0
	v_mov_b32_e32 v3, s14
	s_waitcnt lgkmcnt(0)
	global_atomic_add v2, v2, v3, s[16:17] sc0
.LBB41_3:
	s_or_b64 exec, exec, s[12:13]
	s_waitcnt vmcnt(0)
	v_readfirstlane_b32 s12, v2
	v_mov_b32_e32 v2, 0
	s_nop 0
	v_add_u32_e32 v1, s12, v1
	ds_write_b32 v2, v1
.LBB41_4:
	s_or_b64 exec, exec, s[10:11]
	v_mov_b32_e32 v3, 0
	s_load_dwordx2 s[24:25], s[0:1], 0x30
	s_load_dword s10, s[0:1], 0x70
	s_waitcnt lgkmcnt(0)
	s_barrier
	ds_read_b32 v1, v3
	s_waitcnt lgkmcnt(0)
	s_barrier
	global_load_dwordx2 v[16:17], v3, s[22:23]
	s_add_u32 s12, s4, s6
	s_addc_u32 s13, s5, s7
	s_add_i32 s4, s10, -1
	s_lshl_b32 s0, s4, 14
	v_mov_b32_e32 v5, s9
	s_add_i32 s9, s6, s0
	s_lshl_b32 s0, s10, 14
	s_add_u32 s0, s6, s0
	v_readfirstlane_b32 s33, v1
	s_addc_u32 s1, s7, 0
	v_mov_b32_e32 v4, s8
	s_cmp_eq_u32 s33, s4
	v_cmp_ge_u64_e32 vcc, s[0:1], v[4:5]
	s_cselect_b64 s[22:23], -1, 0
	s_and_b64 s[4:5], vcc, s[22:23]
	v_lshlrev_b32_e32 v2, 14, v1
	s_xor_b64 s[26:27], s[4:5], -1
	s_mov_b64 s[0:1], -1
	v_lshl_add_u64 v[10:11], s[12:13], 0, v[2:3]
	s_and_b64 vcc, exec, s[26:27]
	v_lshrrev_b32_e32 v2, 5, v0
	s_cbranch_vccz .LBB41_6
; %bb.5:
	v_mov_b32_e32 v1, v3
	v_readfirstlane_b32 s0, v10
	v_readfirstlane_b32 s1, v11
	v_lshl_add_u64 v[4:5], v[10:11], 0, v[0:1]
	s_nop 3
	global_load_ubyte v1, v0, s[0:1]
	global_load_ubyte v3, v0, s[0:1] offset:512
	global_load_ubyte v12, v0, s[0:1] offset:1024
	;; [unrolled: 1-line block ×4, first 2 shown]
	s_movk_i32 s11, 0x2000
	v_add_co_u32_e32 v6, vcc, s11, v4
	s_movk_i32 s10, 0x1000
	s_nop 0
	v_addc_co_u32_e32 v7, vcc, 0, v5, vcc
	global_load_ubyte v15, v0, s[0:1] offset:2560
	global_load_ubyte v18, v0, s[0:1] offset:3072
	;; [unrolled: 1-line block ×3, first 2 shown]
	global_load_ubyte v20, v[6:7], off offset:-4096
	v_add_co_u32_e32 v8, vcc, s10, v4
	s_movk_i32 s0, 0x3000
	s_nop 0
	v_addc_co_u32_e32 v9, vcc, 0, v5, vcc
	global_load_ubyte v21, v[8:9], off offset:512
	global_load_ubyte v22, v[8:9], off offset:1024
	;; [unrolled: 1-line block ×7, first 2 shown]
	global_load_ubyte v28, v[6:7], off
	global_load_ubyte v29, v[6:7], off offset:512
	global_load_ubyte v30, v[6:7], off offset:1024
	global_load_ubyte v31, v[6:7], off offset:1536
	s_nop 0
	global_load_ubyte v8, v[6:7], off offset:2048
	global_load_ubyte v9, v[6:7], off offset:2560
	;; [unrolled: 1-line block ×4, first 2 shown]
	v_add_co_u32_e32 v4, vcc, s0, v4
	s_mov_b64 s[0:1], 0
	s_nop 0
	v_addc_co_u32_e32 v5, vcc, 0, v5, vcc
	global_load_ubyte v6, v[4:5], off
	global_load_ubyte v7, v[4:5], off offset:512
	global_load_ubyte v34, v[4:5], off offset:1024
	;; [unrolled: 1-line block ×7, first 2 shown]
	s_waitcnt vmcnt(31)
	v_cmp_ne_u16_e32 vcc, 0, v1
	s_nop 1
	v_cndmask_b32_e64 v1, 0, 1, vcc
	s_waitcnt vmcnt(30)
	v_cmp_ne_u16_e32 vcc, 0, v3
	s_nop 1
	v_cndmask_b32_e64 v3, 0, 1, vcc
	;; [unrolled: 4-line block ×30, first 2 shown]
	s_waitcnt vmcnt(1)
	v_cmp_ne_u16_e32 vcc, 0, v38
	v_and_b32_e32 v38, 12, v2
	v_add_u32_e32 v38, v38, v0
	ds_write_b8 v38, v1
	v_or_b32_e32 v1, 0x200, v0
	v_lshrrev_b32_e32 v1, 5, v1
	v_and_b32_e32 v1, 28, v1
	v_add_u32_e32 v1, v1, v0
	ds_write_b8 v1, v3 offset:512
	v_or_b32_e32 v1, 0x400, v0
	v_lshrrev_b32_e32 v1, 5, v1
	v_and_b32_e32 v1, 44, v1
	v_add_u32_e32 v1, v1, v0
	ds_write_b8 v1, v4 offset:1024
	;; [unrolled: 5-line block ×29, first 2 shown]
	v_or_b32_e32 v1, 0x3c00, v0
	v_lshrrev_b32_e32 v1, 5, v1
	v_and_b32_e32 v1, 0x1ec, v1
	v_cndmask_b32_e64 v36, 0, 1, vcc
	v_add_u32_e32 v1, v1, v0
	ds_write_b8 v1, v36 offset:15360
	v_or_b32_e32 v1, 0x3e00, v0
	v_lshrrev_b32_e32 v1, 5, v1
	s_waitcnt vmcnt(0)
	v_cmp_ne_u16_e32 vcc, 0, v39
	v_and_b32_e32 v1, 0x1fc, v1
	v_add_u32_e32 v1, v1, v0
	v_cndmask_b32_e64 v37, 0, 1, vcc
	ds_write_b8 v1, v37 offset:15872
	s_waitcnt lgkmcnt(0)
	s_barrier
.LBB41_6:
	s_andn2_b64 vcc, exec, s[0:1]
	s_sub_i32 s84, s8, s9
	s_cbranch_vccnz .LBB41_72
; %bb.7:
	v_cmp_gt_u32_e32 vcc, s84, v0
                                        ; implicit-def: $vgpr1
	s_and_saveexec_b64 s[0:1], vcc
	s_cbranch_execz .LBB41_9
; %bb.8:
	v_readfirstlane_b32 s8, v10
	v_readfirstlane_b32 s9, v11
	s_nop 4
	global_load_ubyte v1, v0, s[8:9]
	s_waitcnt vmcnt(0)
	v_cmp_ne_u16_e32 vcc, 0, v1
	s_nop 1
	v_cndmask_b32_e64 v1, 0, 1, vcc
.LBB41_9:
	s_or_b64 exec, exec, s[0:1]
	v_or_b32_e32 v3, 0x200, v0
	v_cmp_gt_u32_e32 vcc, s84, v3
                                        ; implicit-def: $vgpr4
	s_and_saveexec_b64 s[0:1], vcc
	s_cbranch_execz .LBB41_11
; %bb.10:
	v_readfirstlane_b32 s8, v10
	v_readfirstlane_b32 s9, v11
	s_nop 4
	global_load_ubyte v4, v0, s[8:9] offset:512
	s_waitcnt vmcnt(0)
	v_cmp_ne_u16_e32 vcc, 0, v4
	s_nop 1
	v_cndmask_b32_e64 v4, 0, 1, vcc
.LBB41_11:
	s_or_b64 exec, exec, s[0:1]
	v_or_b32_e32 v5, 0x400, v0
	v_cmp_gt_u32_e32 vcc, s84, v5
                                        ; implicit-def: $vgpr6
	s_and_saveexec_b64 s[0:1], vcc
	s_cbranch_execz .LBB41_13
; %bb.12:
	v_readfirstlane_b32 s8, v10
	v_readfirstlane_b32 s9, v11
	s_nop 4
	global_load_ubyte v6, v0, s[8:9] offset:1024
	s_waitcnt vmcnt(0)
	v_cmp_ne_u16_e32 vcc, 0, v6
	s_nop 1
	v_cndmask_b32_e64 v6, 0, 1, vcc
.LBB41_13:
	s_or_b64 exec, exec, s[0:1]
	v_or_b32_e32 v7, 0x600, v0
	v_cmp_gt_u32_e32 vcc, s84, v7
                                        ; implicit-def: $vgpr8
	s_and_saveexec_b64 s[0:1], vcc
	s_cbranch_execz .LBB41_15
; %bb.14:
	v_readfirstlane_b32 s8, v10
	v_readfirstlane_b32 s9, v11
	s_nop 4
	global_load_ubyte v8, v0, s[8:9] offset:1536
	s_waitcnt vmcnt(0)
	v_cmp_ne_u16_e32 vcc, 0, v8
	s_nop 1
	v_cndmask_b32_e64 v8, 0, 1, vcc
.LBB41_15:
	s_or_b64 exec, exec, s[0:1]
	v_or_b32_e32 v9, 0x800, v0
	v_cmp_gt_u32_e32 vcc, s84, v9
                                        ; implicit-def: $vgpr12
	s_and_saveexec_b64 s[0:1], vcc
	s_cbranch_execz .LBB41_17
; %bb.16:
	v_readfirstlane_b32 s8, v10
	v_readfirstlane_b32 s9, v11
	s_nop 4
	global_load_ubyte v12, v0, s[8:9] offset:2048
	s_waitcnt vmcnt(0)
	v_cmp_ne_u16_e32 vcc, 0, v12
	s_nop 1
	v_cndmask_b32_e64 v12, 0, 1, vcc
.LBB41_17:
	s_or_b64 exec, exec, s[0:1]
	v_or_b32_e32 v13, 0xa00, v0
	v_cmp_gt_u32_e32 vcc, s84, v13
                                        ; implicit-def: $vgpr14
	s_and_saveexec_b64 s[0:1], vcc
	s_cbranch_execz .LBB41_19
; %bb.18:
	v_readfirstlane_b32 s8, v10
	v_readfirstlane_b32 s9, v11
	s_nop 4
	global_load_ubyte v14, v0, s[8:9] offset:2560
	s_waitcnt vmcnt(0)
	v_cmp_ne_u16_e32 vcc, 0, v14
	s_nop 1
	v_cndmask_b32_e64 v14, 0, 1, vcc
.LBB41_19:
	s_or_b64 exec, exec, s[0:1]
	v_or_b32_e32 v15, 0xc00, v0
	v_cmp_gt_u32_e32 vcc, s84, v15
                                        ; implicit-def: $vgpr18
	s_and_saveexec_b64 s[0:1], vcc
	s_cbranch_execz .LBB41_21
; %bb.20:
	v_readfirstlane_b32 s8, v10
	v_readfirstlane_b32 s9, v11
	s_nop 4
	global_load_ubyte v18, v0, s[8:9] offset:3072
	s_waitcnt vmcnt(0)
	v_cmp_ne_u16_e32 vcc, 0, v18
	s_nop 1
	v_cndmask_b32_e64 v18, 0, 1, vcc
.LBB41_21:
	s_or_b64 exec, exec, s[0:1]
	v_or_b32_e32 v19, 0xe00, v0
	v_cmp_gt_u32_e32 vcc, s84, v19
                                        ; implicit-def: $vgpr20
	s_and_saveexec_b64 s[0:1], vcc
	s_cbranch_execz .LBB41_23
; %bb.22:
	v_readfirstlane_b32 s8, v10
	v_readfirstlane_b32 s9, v11
	s_nop 4
	global_load_ubyte v20, v0, s[8:9] offset:3584
	s_waitcnt vmcnt(0)
	v_cmp_ne_u16_e32 vcc, 0, v20
	s_nop 1
	v_cndmask_b32_e64 v20, 0, 1, vcc
.LBB41_23:
	s_or_b64 exec, exec, s[0:1]
	v_or_b32_e32 v21, 0x1000, v0
	v_cmp_gt_u32_e32 vcc, s84, v21
                                        ; implicit-def: $vgpr22
	s_and_saveexec_b64 s[0:1], vcc
	s_cbranch_execz .LBB41_25
; %bb.24:
	v_readfirstlane_b32 s8, v10
	v_readfirstlane_b32 s9, v11
	s_nop 4
	global_load_ubyte v22, v21, s[8:9]
	s_waitcnt vmcnt(0)
	v_cmp_ne_u16_e32 vcc, 0, v22
	s_nop 1
	v_cndmask_b32_e64 v22, 0, 1, vcc
.LBB41_25:
	s_or_b64 exec, exec, s[0:1]
	v_or_b32_e32 v23, 0x1200, v0
	v_cmp_gt_u32_e32 vcc, s84, v23
                                        ; implicit-def: $vgpr24
	s_and_saveexec_b64 s[0:1], vcc
	s_cbranch_execz .LBB41_27
; %bb.26:
	v_readfirstlane_b32 s8, v10
	v_readfirstlane_b32 s9, v11
	s_nop 4
	global_load_ubyte v24, v23, s[8:9]
	s_waitcnt vmcnt(0)
	v_cmp_ne_u16_e32 vcc, 0, v24
	s_nop 1
	v_cndmask_b32_e64 v24, 0, 1, vcc
.LBB41_27:
	s_or_b64 exec, exec, s[0:1]
	v_or_b32_e32 v25, 0x1400, v0
	v_cmp_gt_u32_e32 vcc, s84, v25
                                        ; implicit-def: $vgpr26
	s_and_saveexec_b64 s[0:1], vcc
	s_cbranch_execz .LBB41_29
; %bb.28:
	v_readfirstlane_b32 s8, v10
	v_readfirstlane_b32 s9, v11
	s_nop 4
	global_load_ubyte v26, v25, s[8:9]
	s_waitcnt vmcnt(0)
	v_cmp_ne_u16_e32 vcc, 0, v26
	s_nop 1
	v_cndmask_b32_e64 v26, 0, 1, vcc
.LBB41_29:
	s_or_b64 exec, exec, s[0:1]
	v_or_b32_e32 v27, 0x1600, v0
	v_cmp_gt_u32_e32 vcc, s84, v27
                                        ; implicit-def: $vgpr28
	s_and_saveexec_b64 s[0:1], vcc
	s_cbranch_execz .LBB41_31
; %bb.30:
	v_readfirstlane_b32 s8, v10
	v_readfirstlane_b32 s9, v11
	s_nop 4
	global_load_ubyte v28, v27, s[8:9]
	s_waitcnt vmcnt(0)
	v_cmp_ne_u16_e32 vcc, 0, v28
	s_nop 1
	v_cndmask_b32_e64 v28, 0, 1, vcc
.LBB41_31:
	s_or_b64 exec, exec, s[0:1]
	v_or_b32_e32 v29, 0x1800, v0
	v_cmp_gt_u32_e32 vcc, s84, v29
                                        ; implicit-def: $vgpr30
	s_and_saveexec_b64 s[0:1], vcc
	s_cbranch_execz .LBB41_33
; %bb.32:
	v_readfirstlane_b32 s8, v10
	v_readfirstlane_b32 s9, v11
	s_nop 4
	global_load_ubyte v30, v29, s[8:9]
	s_waitcnt vmcnt(0)
	v_cmp_ne_u16_e32 vcc, 0, v30
	s_nop 1
	v_cndmask_b32_e64 v30, 0, 1, vcc
.LBB41_33:
	s_or_b64 exec, exec, s[0:1]
	v_or_b32_e32 v31, 0x1a00, v0
	v_cmp_gt_u32_e32 vcc, s84, v31
                                        ; implicit-def: $vgpr32
	s_and_saveexec_b64 s[0:1], vcc
	s_cbranch_execz .LBB41_35
; %bb.34:
	v_readfirstlane_b32 s8, v10
	v_readfirstlane_b32 s9, v11
	s_nop 4
	global_load_ubyte v32, v31, s[8:9]
	s_waitcnt vmcnt(0)
	v_cmp_ne_u16_e32 vcc, 0, v32
	s_nop 1
	v_cndmask_b32_e64 v32, 0, 1, vcc
.LBB41_35:
	s_or_b64 exec, exec, s[0:1]
	v_or_b32_e32 v33, 0x1c00, v0
	v_cmp_gt_u32_e32 vcc, s84, v33
                                        ; implicit-def: $vgpr34
	s_and_saveexec_b64 s[0:1], vcc
	s_cbranch_execz .LBB41_37
; %bb.36:
	v_readfirstlane_b32 s8, v10
	v_readfirstlane_b32 s9, v11
	s_nop 4
	global_load_ubyte v34, v33, s[8:9]
	s_waitcnt vmcnt(0)
	v_cmp_ne_u16_e32 vcc, 0, v34
	s_nop 1
	v_cndmask_b32_e64 v34, 0, 1, vcc
.LBB41_37:
	s_or_b64 exec, exec, s[0:1]
	v_or_b32_e32 v35, 0x1e00, v0
	v_cmp_gt_u32_e32 vcc, s84, v35
                                        ; implicit-def: $vgpr36
	s_and_saveexec_b64 s[0:1], vcc
	s_cbranch_execz .LBB41_39
; %bb.38:
	v_readfirstlane_b32 s8, v10
	v_readfirstlane_b32 s9, v11
	s_nop 4
	global_load_ubyte v36, v35, s[8:9]
	s_waitcnt vmcnt(0)
	v_cmp_ne_u16_e32 vcc, 0, v36
	s_nop 1
	v_cndmask_b32_e64 v36, 0, 1, vcc
.LBB41_39:
	s_or_b64 exec, exec, s[0:1]
	v_or_b32_e32 v37, 0x2000, v0
	v_cmp_gt_u32_e32 vcc, s84, v37
                                        ; implicit-def: $vgpr38
	s_and_saveexec_b64 s[0:1], vcc
	s_cbranch_execz .LBB41_41
; %bb.40:
	v_readfirstlane_b32 s8, v10
	v_readfirstlane_b32 s9, v11
	s_nop 4
	global_load_ubyte v38, v37, s[8:9]
	s_waitcnt vmcnt(0)
	v_cmp_ne_u16_e32 vcc, 0, v38
	s_nop 1
	v_cndmask_b32_e64 v38, 0, 1, vcc
.LBB41_41:
	s_or_b64 exec, exec, s[0:1]
	v_or_b32_e32 v39, 0x2200, v0
	v_cmp_gt_u32_e32 vcc, s84, v39
                                        ; implicit-def: $vgpr40
	s_and_saveexec_b64 s[0:1], vcc
	s_cbranch_execz .LBB41_43
; %bb.42:
	v_readfirstlane_b32 s8, v10
	v_readfirstlane_b32 s9, v11
	s_nop 4
	global_load_ubyte v40, v39, s[8:9]
	s_waitcnt vmcnt(0)
	v_cmp_ne_u16_e32 vcc, 0, v40
	s_nop 1
	v_cndmask_b32_e64 v40, 0, 1, vcc
.LBB41_43:
	s_or_b64 exec, exec, s[0:1]
	v_or_b32_e32 v41, 0x2400, v0
	v_cmp_gt_u32_e32 vcc, s84, v41
                                        ; implicit-def: $vgpr42
	s_and_saveexec_b64 s[0:1], vcc
	s_cbranch_execz .LBB41_45
; %bb.44:
	v_readfirstlane_b32 s8, v10
	v_readfirstlane_b32 s9, v11
	s_nop 4
	global_load_ubyte v42, v41, s[8:9]
	s_waitcnt vmcnt(0)
	v_cmp_ne_u16_e32 vcc, 0, v42
	s_nop 1
	v_cndmask_b32_e64 v42, 0, 1, vcc
.LBB41_45:
	s_or_b64 exec, exec, s[0:1]
	v_or_b32_e32 v43, 0x2600, v0
	v_cmp_gt_u32_e32 vcc, s84, v43
                                        ; implicit-def: $vgpr44
	s_and_saveexec_b64 s[0:1], vcc
	s_cbranch_execz .LBB41_47
; %bb.46:
	v_readfirstlane_b32 s8, v10
	v_readfirstlane_b32 s9, v11
	s_nop 4
	global_load_ubyte v44, v43, s[8:9]
	s_waitcnt vmcnt(0)
	v_cmp_ne_u16_e32 vcc, 0, v44
	s_nop 1
	v_cndmask_b32_e64 v44, 0, 1, vcc
.LBB41_47:
	s_or_b64 exec, exec, s[0:1]
	v_or_b32_e32 v45, 0x2800, v0
	v_cmp_gt_u32_e32 vcc, s84, v45
                                        ; implicit-def: $vgpr46
	s_and_saveexec_b64 s[0:1], vcc
	s_cbranch_execz .LBB41_49
; %bb.48:
	v_readfirstlane_b32 s8, v10
	v_readfirstlane_b32 s9, v11
	s_nop 4
	global_load_ubyte v46, v45, s[8:9]
	s_waitcnt vmcnt(0)
	v_cmp_ne_u16_e32 vcc, 0, v46
	s_nop 1
	v_cndmask_b32_e64 v46, 0, 1, vcc
.LBB41_49:
	s_or_b64 exec, exec, s[0:1]
	v_or_b32_e32 v47, 0x2a00, v0
	v_cmp_gt_u32_e32 vcc, s84, v47
                                        ; implicit-def: $vgpr48
	s_and_saveexec_b64 s[0:1], vcc
	s_cbranch_execz .LBB41_51
; %bb.50:
	v_readfirstlane_b32 s8, v10
	v_readfirstlane_b32 s9, v11
	s_nop 4
	global_load_ubyte v48, v47, s[8:9]
	s_waitcnt vmcnt(0)
	v_cmp_ne_u16_e32 vcc, 0, v48
	s_nop 1
	v_cndmask_b32_e64 v48, 0, 1, vcc
.LBB41_51:
	s_or_b64 exec, exec, s[0:1]
	v_or_b32_e32 v49, 0x2c00, v0
	v_cmp_gt_u32_e32 vcc, s84, v49
                                        ; implicit-def: $vgpr50
	s_and_saveexec_b64 s[0:1], vcc
	s_cbranch_execz .LBB41_53
; %bb.52:
	v_readfirstlane_b32 s8, v10
	v_readfirstlane_b32 s9, v11
	s_nop 4
	global_load_ubyte v50, v49, s[8:9]
	s_waitcnt vmcnt(0)
	v_cmp_ne_u16_e32 vcc, 0, v50
	s_nop 1
	v_cndmask_b32_e64 v50, 0, 1, vcc
.LBB41_53:
	s_or_b64 exec, exec, s[0:1]
	v_or_b32_e32 v51, 0x2e00, v0
	v_cmp_gt_u32_e32 vcc, s84, v51
                                        ; implicit-def: $vgpr52
	s_and_saveexec_b64 s[0:1], vcc
	s_cbranch_execz .LBB41_55
; %bb.54:
	v_readfirstlane_b32 s8, v10
	v_readfirstlane_b32 s9, v11
	s_nop 4
	global_load_ubyte v52, v51, s[8:9]
	s_waitcnt vmcnt(0)
	v_cmp_ne_u16_e32 vcc, 0, v52
	s_nop 1
	v_cndmask_b32_e64 v52, 0, 1, vcc
.LBB41_55:
	s_or_b64 exec, exec, s[0:1]
	v_or_b32_e32 v53, 0x3000, v0
	v_cmp_gt_u32_e32 vcc, s84, v53
                                        ; implicit-def: $vgpr54
	s_and_saveexec_b64 s[0:1], vcc
	s_cbranch_execz .LBB41_57
; %bb.56:
	v_readfirstlane_b32 s8, v10
	v_readfirstlane_b32 s9, v11
	s_nop 4
	global_load_ubyte v54, v53, s[8:9]
	s_waitcnt vmcnt(0)
	v_cmp_ne_u16_e32 vcc, 0, v54
	s_nop 1
	v_cndmask_b32_e64 v54, 0, 1, vcc
.LBB41_57:
	s_or_b64 exec, exec, s[0:1]
	v_or_b32_e32 v55, 0x3200, v0
	v_cmp_gt_u32_e32 vcc, s84, v55
                                        ; implicit-def: $vgpr56
	s_and_saveexec_b64 s[0:1], vcc
	s_cbranch_execz .LBB41_59
; %bb.58:
	v_readfirstlane_b32 s8, v10
	v_readfirstlane_b32 s9, v11
	s_nop 4
	global_load_ubyte v56, v55, s[8:9]
	s_waitcnt vmcnt(0)
	v_cmp_ne_u16_e32 vcc, 0, v56
	s_nop 1
	v_cndmask_b32_e64 v56, 0, 1, vcc
.LBB41_59:
	s_or_b64 exec, exec, s[0:1]
	v_or_b32_e32 v57, 0x3400, v0
	v_cmp_gt_u32_e32 vcc, s84, v57
                                        ; implicit-def: $vgpr58
	s_and_saveexec_b64 s[0:1], vcc
	s_cbranch_execz .LBB41_61
; %bb.60:
	v_readfirstlane_b32 s8, v10
	v_readfirstlane_b32 s9, v11
	s_nop 4
	global_load_ubyte v58, v57, s[8:9]
	s_waitcnt vmcnt(0)
	v_cmp_ne_u16_e32 vcc, 0, v58
	s_nop 1
	v_cndmask_b32_e64 v58, 0, 1, vcc
.LBB41_61:
	s_or_b64 exec, exec, s[0:1]
	v_or_b32_e32 v59, 0x3600, v0
	v_cmp_gt_u32_e32 vcc, s84, v59
                                        ; implicit-def: $vgpr60
	s_and_saveexec_b64 s[0:1], vcc
	s_cbranch_execz .LBB41_63
; %bb.62:
	v_readfirstlane_b32 s8, v10
	v_readfirstlane_b32 s9, v11
	s_nop 4
	global_load_ubyte v60, v59, s[8:9]
	s_waitcnt vmcnt(0)
	v_cmp_ne_u16_e32 vcc, 0, v60
	s_nop 1
	v_cndmask_b32_e64 v60, 0, 1, vcc
.LBB41_63:
	s_or_b64 exec, exec, s[0:1]
	v_or_b32_e32 v61, 0x3800, v0
	v_cmp_gt_u32_e32 vcc, s84, v61
                                        ; implicit-def: $vgpr62
	s_and_saveexec_b64 s[0:1], vcc
	s_cbranch_execz .LBB41_65
; %bb.64:
	v_readfirstlane_b32 s8, v10
	v_readfirstlane_b32 s9, v11
	s_nop 4
	global_load_ubyte v62, v61, s[8:9]
	s_waitcnt vmcnt(0)
	v_cmp_ne_u16_e32 vcc, 0, v62
	s_nop 1
	v_cndmask_b32_e64 v62, 0, 1, vcc
.LBB41_65:
	s_or_b64 exec, exec, s[0:1]
	v_or_b32_e32 v63, 0x3a00, v0
	v_cmp_gt_u32_e32 vcc, s84, v63
                                        ; implicit-def: $vgpr64
	s_and_saveexec_b64 s[0:1], vcc
	s_cbranch_execz .LBB41_67
; %bb.66:
	v_readfirstlane_b32 s8, v10
	v_readfirstlane_b32 s9, v11
	s_nop 4
	global_load_ubyte v64, v63, s[8:9]
	s_waitcnt vmcnt(0)
	v_cmp_ne_u16_e32 vcc, 0, v64
	s_nop 1
	v_cndmask_b32_e64 v64, 0, 1, vcc
.LBB41_67:
	s_or_b64 exec, exec, s[0:1]
	v_or_b32_e32 v65, 0x3c00, v0
	v_cmp_gt_u32_e32 vcc, s84, v65
                                        ; implicit-def: $vgpr66
	s_and_saveexec_b64 s[0:1], vcc
	s_cbranch_execz .LBB41_69
; %bb.68:
	v_readfirstlane_b32 s8, v10
	v_readfirstlane_b32 s9, v11
	s_nop 4
	global_load_ubyte v66, v65, s[8:9]
	s_waitcnt vmcnt(0)
	v_cmp_ne_u16_e32 vcc, 0, v66
	s_nop 1
	v_cndmask_b32_e64 v66, 0, 1, vcc
.LBB41_69:
	s_or_b64 exec, exec, s[0:1]
	v_or_b32_e32 v67, 0x3e00, v0
	v_cmp_gt_u32_e32 vcc, s84, v67
                                        ; implicit-def: $vgpr68
	s_and_saveexec_b64 s[0:1], vcc
	s_cbranch_execz .LBB41_71
; %bb.70:
	v_readfirstlane_b32 s8, v10
	v_readfirstlane_b32 s9, v11
	s_nop 4
	global_load_ubyte v68, v67, s[8:9]
	s_waitcnt vmcnt(0)
	v_cmp_ne_u16_e32 vcc, 0, v68
	s_nop 1
	v_cndmask_b32_e64 v68, 0, 1, vcc
.LBB41_71:
	s_or_b64 exec, exec, s[0:1]
	v_and_b32_e32 v2, 12, v2
	v_add_u32_e32 v2, v2, v0
	ds_write_b8 v2, v1
	v_lshrrev_b32_e32 v1, 5, v3
	v_and_b32_e32 v1, 28, v1
	v_add_u32_e32 v1, v1, v0
	ds_write_b8 v1, v4 offset:512
	v_lshrrev_b32_e32 v1, 5, v5
	v_and_b32_e32 v1, 60, v1
	v_add_u32_e32 v1, v1, v0
	ds_write_b8 v1, v6 offset:1024
	;; [unrolled: 4-line block ×31, first 2 shown]
	s_waitcnt lgkmcnt(0)
	s_barrier
.LBB41_72:
	v_lshlrev_b32_e32 v12, 5, v0
	v_and_b32_e32 v1, 0x1fc, v0
	v_add_u32_e32 v8, v1, v12
	ds_read2_b32 v[2:3], v8 offset0:6 offset1:7
	ds_read2_b32 v[4:5], v8 offset0:4 offset1:5
	ds_read2_b32 v[6:7], v8 offset0:2 offset1:3
	ds_read2_b32 v[8:9], v8 offset1:1
	s_cmp_lg_u32 s33, 0
	s_cselect_b64 s[16:17], -1, 0
	s_cmp_lg_u64 s[6:7], 0
	s_cselect_b64 s[6:7], -1, 0
	s_or_b64 s[6:7], s[6:7], s[16:17]
	s_waitcnt lgkmcnt(3)
	v_lshrrev_b32_e32 v26, 8, v2
	v_lshrrev_b32_e32 v25, 16, v2
	v_lshrrev_b32_e32 v24, 24, v2
	v_lshrrev_b32_e32 v23, 8, v3
	v_lshrrev_b32_e32 v22, 16, v3
	v_lshrrev_b32_e32 v1, 24, v3
	s_waitcnt lgkmcnt(2)
	v_lshrrev_b32_e32 v32, 8, v4
	v_lshrrev_b32_e32 v31, 16, v4
	v_lshrrev_b32_e32 v30, 24, v4
	v_lshrrev_b32_e32 v29, 8, v5
	v_lshrrev_b32_e32 v28, 16, v5
	v_lshrrev_b32_e32 v27, 24, v5
	;; [unrolled: 7-line block ×4, first 2 shown]
	s_mov_b64 s[0:1], 0
	s_and_b64 vcc, exec, s[6:7]
	s_barrier
	s_cbranch_vccz .LBB41_77
; %bb.73:
	global_load_ubyte v10, v[10:11], off offset:-1
	s_and_b64 vcc, exec, s[26:27]
	ds_write_b8 v0, v1
	s_waitcnt vmcnt(0)
	v_cmp_ne_u16_e64 s[0:1], 0, v10
	s_nop 1
	v_cndmask_b32_e64 v10, 0, 1, s[0:1]
	s_cbranch_vccz .LBB41_79
; %bb.74:
	v_cndmask_b32_e64 v11, 0, 1, s[0:1]
	s_waitcnt lgkmcnt(0)
	s_barrier
	s_and_saveexec_b64 s[0:1], s[2:3]
	s_cbranch_execz .LBB41_76
; %bb.75:
	v_add_u32_e32 v11, -1, v0
	ds_read_u8 v11, v11
.LBB41_76:
	s_or_b64 exec, exec, s[0:1]
	v_cmp_ne_u16_sdwa s[0:1], v22, v1 src0_sel:BYTE_0 src1_sel:DWORD
	s_waitcnt lgkmcnt(0)
	v_cmp_ne_u16_sdwa s[6:7], v11, v8 src0_sel:BYTE_0 src1_sel:BYTE_0
	v_cndmask_b32_e64 v36, 0, 1, s[0:1]
	v_cmp_ne_u16_sdwa s[0:1], v23, v22 src0_sel:BYTE_0 src1_sel:BYTE_0
	s_nop 1
	v_cndmask_b32_e64 v38, 0, 1, s[0:1]
	v_cmp_ne_u16_sdwa s[0:1], v3, v23 src0_sel:BYTE_0 src1_sel:BYTE_0
	s_nop 1
	v_cndmask_b32_e64 v41, 0, 1, s[0:1]
	v_cmp_ne_u16_sdwa s[0:1], v24, v3 src0_sel:DWORD src1_sel:BYTE_0
	s_nop 1
	v_cndmask_b32_e64 v42, 0, 1, s[0:1]
	v_cmp_ne_u16_sdwa s[0:1], v25, v24 src0_sel:BYTE_0 src1_sel:DWORD
	s_nop 1
	v_cndmask_b32_e64 v45, 0, 1, s[0:1]
	v_cmp_ne_u16_sdwa s[0:1], v26, v25 src0_sel:BYTE_0 src1_sel:BYTE_0
	s_nop 1
	v_cndmask_b32_e64 v47, 0, 1, s[0:1]
	v_cmp_ne_u16_sdwa s[0:1], v2, v26 src0_sel:BYTE_0 src1_sel:BYTE_0
	s_nop 1
	v_cndmask_b32_e64 v50, 0, 1, s[0:1]
	v_cmp_ne_u16_sdwa s[0:1], v27, v2 src0_sel:DWORD src1_sel:BYTE_0
	s_nop 1
	v_cndmask_b32_e64 v52, 0, 1, s[0:1]
	v_cmp_ne_u16_sdwa s[0:1], v28, v27 src0_sel:BYTE_0 src1_sel:DWORD
	s_nop 1
	;; [unrolled: 12-line block ×7, first 2 shown]
	v_cndmask_b32_e64 v73, 0, 1, s[0:1]
	v_cmp_ne_u16_sdwa s[0:1], v51, v49 src0_sel:BYTE_0 src1_sel:BYTE_0
	s_nop 1
	v_cndmask_b32_e64 v74, 0, 1, s[0:1]
	v_cmp_ne_u16_sdwa s[0:1], v8, v51 src0_sel:BYTE_0 src1_sel:BYTE_0
	s_nop 1
	v_cndmask_b32_e64 v75, 0, 1, s[0:1]
	s_branch .LBB41_83
.LBB41_77:
                                        ; implicit-def: $sgpr6_sgpr7
                                        ; implicit-def: $vgpr75
                                        ; implicit-def: $vgpr74
                                        ; implicit-def: $vgpr73
                                        ; implicit-def: $vgpr72
                                        ; implicit-def: $vgpr71
                                        ; implicit-def: $vgpr70
                                        ; implicit-def: $vgpr69
                                        ; implicit-def: $vgpr68
                                        ; implicit-def: $vgpr67
                                        ; implicit-def: $vgpr66
                                        ; implicit-def: $vgpr65
                                        ; implicit-def: $vgpr64
                                        ; implicit-def: $vgpr63
                                        ; implicit-def: $vgpr62
                                        ; implicit-def: $vgpr61
                                        ; implicit-def: $vgpr60
                                        ; implicit-def: $vgpr59
                                        ; implicit-def: $vgpr58
                                        ; implicit-def: $vgpr57
                                        ; implicit-def: $vgpr56
                                        ; implicit-def: $vgpr55
                                        ; implicit-def: $vgpr54
                                        ; implicit-def: $vgpr53
                                        ; implicit-def: $vgpr52
                                        ; implicit-def: $vgpr50
                                        ; implicit-def: $vgpr47
                                        ; implicit-def: $vgpr45
                                        ; implicit-def: $vgpr42
                                        ; implicit-def: $vgpr41
                                        ; implicit-def: $vgpr38
                                        ; implicit-def: $vgpr36
	s_branch .LBB41_84
.LBB41_78:
                                        ; implicit-def: $sgpr10
	v_mov_b32_e32 v76, s10
	s_and_saveexec_b64 s[2:3], s[0:1]
	s_cbranch_execnz .LBB41_92
	s_branch .LBB41_93
.LBB41_79:
                                        ; implicit-def: $sgpr6_sgpr7
                                        ; implicit-def: $vgpr75
                                        ; implicit-def: $vgpr74
                                        ; implicit-def: $vgpr73
                                        ; implicit-def: $vgpr72
                                        ; implicit-def: $vgpr71
                                        ; implicit-def: $vgpr70
                                        ; implicit-def: $vgpr69
                                        ; implicit-def: $vgpr68
                                        ; implicit-def: $vgpr67
                                        ; implicit-def: $vgpr66
                                        ; implicit-def: $vgpr65
                                        ; implicit-def: $vgpr64
                                        ; implicit-def: $vgpr63
                                        ; implicit-def: $vgpr62
                                        ; implicit-def: $vgpr61
                                        ; implicit-def: $vgpr60
                                        ; implicit-def: $vgpr59
                                        ; implicit-def: $vgpr58
                                        ; implicit-def: $vgpr57
                                        ; implicit-def: $vgpr56
                                        ; implicit-def: $vgpr55
                                        ; implicit-def: $vgpr54
                                        ; implicit-def: $vgpr53
                                        ; implicit-def: $vgpr52
                                        ; implicit-def: $vgpr50
                                        ; implicit-def: $vgpr47
                                        ; implicit-def: $vgpr45
                                        ; implicit-def: $vgpr42
                                        ; implicit-def: $vgpr41
                                        ; implicit-def: $vgpr38
                                        ; implicit-def: $vgpr36
	s_cbranch_execz .LBB41_83
; %bb.80:
	s_waitcnt lgkmcnt(0)
	s_barrier
	s_and_saveexec_b64 s[0:1], s[2:3]
	s_cbranch_execz .LBB41_82
; %bb.81:
	v_add_u32_e32 v10, -1, v0
	ds_read_u8 v10, v10
.LBB41_82:
	s_or_b64 exec, exec, s[0:1]
	v_or_b32_e32 v11, 31, v12
	v_cmp_gt_u32_e32 vcc, s84, v11
	v_cmp_ne_u16_sdwa s[0:1], v22, v1 src0_sel:BYTE_0 src1_sel:DWORD
	s_and_b64 s[0:1], vcc, s[0:1]
	v_or_b32_e32 v11, 30, v12
	v_cndmask_b32_e64 v36, 0, 1, s[0:1]
	v_cmp_gt_u32_e32 vcc, s84, v11
	v_cmp_ne_u16_sdwa s[0:1], v23, v22 src0_sel:BYTE_0 src1_sel:BYTE_0
	s_and_b64 s[0:1], vcc, s[0:1]
	v_or_b32_e32 v11, 29, v12
	v_cndmask_b32_e64 v38, 0, 1, s[0:1]
	v_cmp_gt_u32_e32 vcc, s84, v11
	v_cmp_ne_u16_sdwa s[0:1], v3, v23 src0_sel:BYTE_0 src1_sel:BYTE_0
	s_and_b64 s[0:1], vcc, s[0:1]
	v_or_b32_e32 v11, 28, v12
	v_cndmask_b32_e64 v41, 0, 1, s[0:1]
	v_cmp_gt_u32_e32 vcc, s84, v11
	v_cmp_ne_u16_sdwa s[0:1], v24, v3 src0_sel:DWORD src1_sel:BYTE_0
	s_and_b64 s[0:1], vcc, s[0:1]
	v_or_b32_e32 v11, 27, v12
	v_cndmask_b32_e64 v42, 0, 1, s[0:1]
	v_cmp_gt_u32_e32 vcc, s84, v11
	v_cmp_ne_u16_sdwa s[0:1], v25, v24 src0_sel:BYTE_0 src1_sel:DWORD
	s_and_b64 s[0:1], vcc, s[0:1]
	v_or_b32_e32 v11, 26, v12
	v_cndmask_b32_e64 v45, 0, 1, s[0:1]
	v_cmp_gt_u32_e32 vcc, s84, v11
	v_cmp_ne_u16_sdwa s[0:1], v26, v25 src0_sel:BYTE_0 src1_sel:BYTE_0
	s_and_b64 s[0:1], vcc, s[0:1]
	v_or_b32_e32 v11, 25, v12
	v_cndmask_b32_e64 v47, 0, 1, s[0:1]
	v_cmp_gt_u32_e32 vcc, s84, v11
	v_cmp_ne_u16_sdwa s[0:1], v2, v26 src0_sel:BYTE_0 src1_sel:BYTE_0
	s_and_b64 s[0:1], vcc, s[0:1]
	v_or_b32_e32 v11, 24, v12
	v_cndmask_b32_e64 v50, 0, 1, s[0:1]
	v_cmp_gt_u32_e32 vcc, s84, v11
	v_cmp_ne_u16_sdwa s[0:1], v27, v2 src0_sel:DWORD src1_sel:BYTE_0
	s_and_b64 s[0:1], vcc, s[0:1]
	v_or_b32_e32 v11, 23, v12
	v_cndmask_b32_e64 v52, 0, 1, s[0:1]
	;; [unrolled: 20-line block ×7, first 2 shown]
	v_cmp_gt_u32_e32 vcc, s84, v11
	v_cmp_ne_u16_sdwa s[0:1], v49, v48 src0_sel:BYTE_0 src1_sel:DWORD
	s_and_b64 s[0:1], vcc, s[0:1]
	v_or_b32_e32 v11, 2, v12
	v_cndmask_b32_e64 v73, 0, 1, s[0:1]
	v_cmp_gt_u32_e32 vcc, s84, v11
	v_cmp_ne_u16_sdwa s[0:1], v51, v49 src0_sel:BYTE_0 src1_sel:BYTE_0
	s_and_b64 s[0:1], vcc, s[0:1]
	v_or_b32_e32 v11, 1, v12
	v_cndmask_b32_e64 v74, 0, 1, s[0:1]
	v_cmp_gt_u32_e32 vcc, s84, v11
	v_cmp_ne_u16_sdwa s[0:1], v8, v51 src0_sel:BYTE_0 src1_sel:BYTE_0
	s_and_b64 s[0:1], vcc, s[0:1]
	v_cmp_gt_u32_e32 vcc, s84, v12
	v_cndmask_b32_e64 v75, 0, 1, s[0:1]
	s_waitcnt lgkmcnt(0)
	v_cmp_ne_u16_sdwa s[0:1], v10, v8 src0_sel:BYTE_0 src1_sel:BYTE_0
	s_and_b64 s[6:7], vcc, s[0:1]
.LBB41_83:
	s_mov_b64 s[0:1], -1
	s_cbranch_execnz .LBB41_78
.LBB41_84:
	s_and_b64 vcc, exec, s[26:27]
	v_cmp_ne_u16_sdwa s[6:7], v22, v1 src0_sel:BYTE_0 src1_sel:DWORD
	v_cmp_ne_u16_sdwa s[8:9], v23, v22 src0_sel:BYTE_0 src1_sel:BYTE_0
	v_cmp_ne_u16_sdwa s[10:11], v3, v23 src0_sel:BYTE_0 src1_sel:BYTE_0
	v_cmp_ne_u16_sdwa s[12:13], v24, v3 src0_sel:DWORD src1_sel:BYTE_0
	v_cmp_ne_u16_sdwa s[14:15], v25, v24 src0_sel:BYTE_0 src1_sel:DWORD
	v_cmp_ne_u16_sdwa s[30:31], v26, v25 src0_sel:BYTE_0 src1_sel:BYTE_0
	v_cmp_ne_u16_sdwa s[34:35], v2, v26 src0_sel:BYTE_0 src1_sel:BYTE_0
	v_cmp_ne_u16_sdwa s[36:37], v27, v2 src0_sel:DWORD src1_sel:BYTE_0
	;; [unrolled: 4-line block ×7, first 2 shown]
	v_cmp_ne_u16_sdwa s[78:79], v49, v48 src0_sel:BYTE_0 src1_sel:DWORD
	v_cmp_ne_u16_sdwa s[80:81], v51, v49 src0_sel:BYTE_0 src1_sel:BYTE_0
	v_cmp_ne_u16_sdwa s[82:83], v8, v51 src0_sel:BYTE_0 src1_sel:BYTE_0
	ds_write_b8 v0, v1
	s_cbranch_vccz .LBB41_88
; %bb.85:
	v_cndmask_b32_e64 v36, 0, 1, s[6:7]
	v_cndmask_b32_e64 v38, 0, 1, s[8:9]
	;; [unrolled: 1-line block ×31, first 2 shown]
	s_waitcnt lgkmcnt(0)
	s_barrier
	s_waitcnt lgkmcnt(0)
                                        ; implicit-def: $sgpr6_sgpr7
	s_and_saveexec_b64 s[8:9], s[2:3]
	s_xor_b64 s[8:9], exec, s[8:9]
	s_cbranch_execz .LBB41_87
; %bb.86:
	v_add_u32_e32 v10, -1, v0
	ds_read_u8 v10, v10
	s_or_b64 s[0:1], s[0:1], exec
	s_waitcnt lgkmcnt(0)
	v_cmp_ne_u16_sdwa s[6:7], v10, v8 src0_sel:DWORD src1_sel:BYTE_0
	s_and_b64 s[6:7], s[6:7], exec
.LBB41_87:
	s_or_b64 exec, exec, s[8:9]
	s_mov_b32 s10, 1
	s_branch .LBB41_91
.LBB41_88:
                                        ; implicit-def: $sgpr6_sgpr7
                                        ; implicit-def: $vgpr75
                                        ; implicit-def: $vgpr74
                                        ; implicit-def: $vgpr73
                                        ; implicit-def: $vgpr72
                                        ; implicit-def: $vgpr71
                                        ; implicit-def: $vgpr70
                                        ; implicit-def: $vgpr69
                                        ; implicit-def: $vgpr68
                                        ; implicit-def: $vgpr67
                                        ; implicit-def: $vgpr66
                                        ; implicit-def: $vgpr65
                                        ; implicit-def: $vgpr64
                                        ; implicit-def: $vgpr63
                                        ; implicit-def: $vgpr62
                                        ; implicit-def: $vgpr61
                                        ; implicit-def: $vgpr60
                                        ; implicit-def: $vgpr59
                                        ; implicit-def: $vgpr58
                                        ; implicit-def: $vgpr57
                                        ; implicit-def: $vgpr56
                                        ; implicit-def: $vgpr55
                                        ; implicit-def: $vgpr54
                                        ; implicit-def: $vgpr53
                                        ; implicit-def: $vgpr52
                                        ; implicit-def: $vgpr50
                                        ; implicit-def: $vgpr47
                                        ; implicit-def: $vgpr45
                                        ; implicit-def: $vgpr42
                                        ; implicit-def: $vgpr41
                                        ; implicit-def: $vgpr38
                                        ; implicit-def: $vgpr36
                                        ; implicit-def: $sgpr10
	s_cbranch_execz .LBB41_91
; %bb.89:
	v_or_b32_e32 v10, 31, v12
	v_cmp_gt_u32_e32 vcc, s84, v10
	v_cmp_ne_u16_sdwa s[6:7], v22, v1 src0_sel:BYTE_0 src1_sel:DWORD
	s_and_b64 s[6:7], vcc, s[6:7]
	v_or_b32_e32 v10, 30, v12
	v_cndmask_b32_e64 v36, 0, 1, s[6:7]
	v_cmp_gt_u32_e32 vcc, s84, v10
	v_cmp_ne_u16_sdwa s[6:7], v23, v22 src0_sel:BYTE_0 src1_sel:BYTE_0
	s_and_b64 s[6:7], vcc, s[6:7]
	v_or_b32_e32 v10, 29, v12
	v_cndmask_b32_e64 v38, 0, 1, s[6:7]
	v_cmp_gt_u32_e32 vcc, s84, v10
	v_cmp_ne_u16_sdwa s[6:7], v3, v23 src0_sel:BYTE_0 src1_sel:BYTE_0
	s_and_b64 s[6:7], vcc, s[6:7]
	v_or_b32_e32 v10, 28, v12
	v_cndmask_b32_e64 v41, 0, 1, s[6:7]
	v_cmp_gt_u32_e32 vcc, s84, v10
	v_cmp_ne_u16_sdwa s[6:7], v24, v3 src0_sel:DWORD src1_sel:BYTE_0
	s_and_b64 s[6:7], vcc, s[6:7]
	v_or_b32_e32 v10, 27, v12
	v_cndmask_b32_e64 v42, 0, 1, s[6:7]
	v_cmp_gt_u32_e32 vcc, s84, v10
	v_cmp_ne_u16_sdwa s[6:7], v25, v24 src0_sel:BYTE_0 src1_sel:DWORD
	s_and_b64 s[6:7], vcc, s[6:7]
	v_or_b32_e32 v10, 26, v12
	v_cndmask_b32_e64 v45, 0, 1, s[6:7]
	v_cmp_gt_u32_e32 vcc, s84, v10
	v_cmp_ne_u16_sdwa s[6:7], v26, v25 src0_sel:BYTE_0 src1_sel:BYTE_0
	s_and_b64 s[6:7], vcc, s[6:7]
	v_or_b32_e32 v10, 25, v12
	v_cndmask_b32_e64 v47, 0, 1, s[6:7]
	v_cmp_gt_u32_e32 vcc, s84, v10
	v_cmp_ne_u16_sdwa s[6:7], v2, v26 src0_sel:BYTE_0 src1_sel:BYTE_0
	s_and_b64 s[6:7], vcc, s[6:7]
	v_or_b32_e32 v10, 24, v12
	v_cndmask_b32_e64 v50, 0, 1, s[6:7]
	v_cmp_gt_u32_e32 vcc, s84, v10
	v_cmp_ne_u16_sdwa s[6:7], v27, v2 src0_sel:DWORD src1_sel:BYTE_0
	s_and_b64 s[6:7], vcc, s[6:7]
	v_or_b32_e32 v10, 23, v12
	v_cndmask_b32_e64 v52, 0, 1, s[6:7]
	;; [unrolled: 20-line block ×7, first 2 shown]
	v_cmp_gt_u32_e32 vcc, s84, v10
	v_cmp_ne_u16_sdwa s[6:7], v49, v48 src0_sel:BYTE_0 src1_sel:DWORD
	s_and_b64 s[6:7], vcc, s[6:7]
	v_or_b32_e32 v10, 2, v12
	v_cndmask_b32_e64 v73, 0, 1, s[6:7]
	v_cmp_gt_u32_e32 vcc, s84, v10
	v_cmp_ne_u16_sdwa s[6:7], v51, v49 src0_sel:BYTE_0 src1_sel:BYTE_0
	s_and_b64 s[6:7], vcc, s[6:7]
	v_or_b32_e32 v10, 1, v12
	v_cndmask_b32_e64 v74, 0, 1, s[6:7]
	v_cmp_gt_u32_e32 vcc, s84, v10
	v_cmp_ne_u16_sdwa s[6:7], v8, v51 src0_sel:BYTE_0 src1_sel:BYTE_0
	s_and_b64 s[6:7], vcc, s[6:7]
	s_mov_b32 s10, 1
	v_cndmask_b32_e64 v75, 0, 1, s[6:7]
	s_waitcnt lgkmcnt(0)
	s_barrier
	s_waitcnt lgkmcnt(0)
                                        ; implicit-def: $sgpr6_sgpr7
	s_and_saveexec_b64 s[8:9], s[2:3]
	s_cbranch_execz .LBB41_311
; %bb.90:
	v_add_u32_e32 v10, -1, v0
	ds_read_u8 v10, v10
	v_cmp_gt_u32_e32 vcc, s84, v12
	s_or_b64 s[0:1], s[0:1], exec
	s_waitcnt lgkmcnt(0)
	v_and_b32_e32 v10, 0xff, v10
	v_cmp_ne_u16_sdwa s[2:3], v10, v8 src0_sel:DWORD src1_sel:BYTE_0
	s_and_b64 s[2:3], vcc, s[2:3]
	s_and_b64 s[6:7], s[2:3], exec
	s_or_b64 exec, exec, s[8:9]
.LBB41_91:
	v_mov_b32_e32 v76, s10
	s_and_saveexec_b64 s[2:3], s[0:1]
.LBB41_92:
	v_cndmask_b32_e64 v76, 0, 1, s[6:7]
.LBB41_93:
	s_or_b64 exec, exec, s[2:3]
	s_andn2_b64 vcc, exec, s[4:5]
	s_cbranch_vccnz .LBB41_95
; %bb.94:
	v_cmp_gt_u32_e32 vcc, s84, v12
	v_or_b32_e32 v10, 1, v12
	s_nop 0
	v_cndmask_b32_e32 v76, 0, v76, vcc
	v_cmp_gt_u32_e32 vcc, s84, v10
	v_or_b32_e32 v10, 2, v12
	s_nop 0
	v_cndmask_b32_e32 v75, 0, v75, vcc
	;; [unrolled: 4-line block ×31, first 2 shown]
	v_cmp_gt_u32_e32 vcc, s84, v10
	s_nop 1
	v_cndmask_b32_e32 v36, 0, v36, vcc
.LBB41_95:
	v_and_b32_e32 v118, 0xff, v42
	v_and_b32_e32 v119, 0xff, v41
	v_add_u32_sdwa v10, v38, v36 dst_sel:DWORD dst_unused:UNUSED_PAD src0_sel:BYTE_0 src1_sel:BYTE_0
	v_and_b32_e32 v116, 0xff, v47
	v_and_b32_e32 v117, 0xff, v45
	v_add3_u32 v10, v10, v119, v118
	v_and_b32_e32 v114, 0xff, v52
	v_and_b32_e32 v115, 0xff, v50
	v_add3_u32 v10, v10, v117, v116
	;; [unrolled: 3-line block ×14, first 2 shown]
	v_add3_u32 v92, v10, v78, v77
	v_mbcnt_lo_u32_b32 v10, -1, 0
	v_mbcnt_hi_u32_b32 v90, -1, v10
	v_and_b32_e32 v10, 15, v90
	v_cmp_eq_u32_e64 s[14:15], 0, v10
	v_cmp_lt_u32_e64 s[12:13], 1, v10
	v_cmp_lt_u32_e64 s[10:11], 3, v10
	;; [unrolled: 1-line block ×3, first 2 shown]
	v_and_b32_e32 v10, 16, v90
	v_cmp_eq_u32_e64 s[6:7], 0, v10
	v_or_b32_e32 v10, 63, v0
	v_cmp_lt_u32_e64 s[2:3], 31, v90
	v_lshrrev_b32_e32 v91, 6, v0
	v_cmp_eq_u32_e64 s[4:5], v10, v0
	s_and_b64 vcc, exec, s[16:17]
	s_waitcnt lgkmcnt(0)
	s_barrier
	s_cbranch_vccz .LBB41_122
; %bb.96:
	v_mov_b32_dpp v10, v92 row_shr:1 row_mask:0xf bank_mask:0xf
	v_cndmask_b32_e64 v10, v10, 0, s[14:15]
	v_add_u32_e32 v10, v10, v92
	s_nop 1
	v_mov_b32_dpp v11, v10 row_shr:2 row_mask:0xf bank_mask:0xf
	v_cndmask_b32_e64 v11, 0, v11, s[12:13]
	v_add_u32_e32 v10, v10, v11
	s_nop 1
	;; [unrolled: 4-line block ×4, first 2 shown]
	v_mov_b32_dpp v11, v10 row_bcast:15 row_mask:0xf bank_mask:0xf
	v_cndmask_b32_e64 v11, v11, 0, s[6:7]
	v_add_u32_e32 v10, v10, v11
	s_nop 1
	v_mov_b32_dpp v11, v10 row_bcast:31 row_mask:0xf bank_mask:0xf
	v_cndmask_b32_e64 v11, 0, v11, s[2:3]
	v_add_u32_e32 v10, v10, v11
	s_and_saveexec_b64 s[0:1], s[4:5]
	s_cbranch_execz .LBB41_98
; %bb.97:
	v_lshlrev_b32_e32 v11, 2, v91
	ds_write_b32 v11, v10
.LBB41_98:
	s_or_b64 exec, exec, s[0:1]
	v_cmp_gt_u32_e32 vcc, 8, v0
	s_waitcnt lgkmcnt(0)
	s_barrier
	s_and_saveexec_b64 s[0:1], vcc
	s_cbranch_execz .LBB41_100
; %bb.99:
	v_lshlrev_b32_e32 v11, 2, v0
	ds_read_b32 v12, v11
	v_and_b32_e32 v13, 7, v90
	v_cmp_ne_u32_e32 vcc, 0, v13
	s_waitcnt lgkmcnt(0)
	v_mov_b32_dpp v14, v12 row_shr:1 row_mask:0xf bank_mask:0xf
	v_cndmask_b32_e32 v14, 0, v14, vcc
	v_add_u32_e32 v12, v14, v12
	v_cmp_lt_u32_e32 vcc, 1, v13
	s_nop 0
	v_mov_b32_dpp v14, v12 row_shr:2 row_mask:0xf bank_mask:0xf
	v_cndmask_b32_e32 v14, 0, v14, vcc
	v_add_u32_e32 v12, v12, v14
	v_cmp_lt_u32_e32 vcc, 3, v13
	s_nop 0
	v_mov_b32_dpp v14, v12 row_shr:4 row_mask:0xf bank_mask:0xf
	v_cndmask_b32_e32 v13, 0, v14, vcc
	v_add_u32_e32 v12, v12, v13
	ds_write_b32 v11, v12
.LBB41_100:
	s_or_b64 exec, exec, s[0:1]
	v_cmp_gt_u32_e32 vcc, 64, v0
	v_cmp_lt_u32_e64 s[0:1], 63, v0
	s_waitcnt lgkmcnt(0)
	s_barrier
	s_waitcnt lgkmcnt(0)
                                        ; implicit-def: $vgpr93
	s_and_saveexec_b64 s[16:17], s[0:1]
	s_cbranch_execz .LBB41_102
; %bb.101:
	v_lshl_add_u32 v11, v91, 2, -4
	ds_read_b32 v93, v11
	s_waitcnt lgkmcnt(0)
	v_add_u32_e32 v10, v93, v10
.LBB41_102:
	s_or_b64 exec, exec, s[16:17]
	v_add_u32_e32 v11, -1, v90
	v_and_b32_e32 v12, 64, v90
	v_cmp_lt_i32_e64 s[0:1], v11, v12
	v_cmp_eq_u32_e64 s[16:17], 0, v90
	s_nop 0
	v_cndmask_b32_e64 v11, v11, v90, s[0:1]
	v_lshlrev_b32_e32 v11, 2, v11
	ds_bpermute_b32 v94, v11, v10
	s_and_saveexec_b64 s[0:1], vcc
	s_cbranch_execz .LBB41_121
; %bb.103:
	v_mov_b32_e32 v19, 0
	ds_read_b32 v10, v19 offset:28
	s_and_saveexec_b64 s[30:31], s[16:17]
	s_cbranch_execz .LBB41_105
; %bb.104:
	s_add_i32 s34, s33, 64
	s_mov_b32 s35, 0
	s_lshl_b64 s[34:35], s[34:35], 3
	s_add_u32 s34, s28, s34
	v_mov_b32_e32 v11, 1
	s_addc_u32 s35, s29, s35
	s_waitcnt lgkmcnt(0)
	global_store_dwordx2 v19, v[10:11], s[34:35] sc1
.LBB41_105:
	s_or_b64 exec, exec, s[30:31]
	v_xad_u32 v12, v90, -1, s33
	v_add_u32_e32 v18, 64, v12
	v_lshl_add_u64 v[20:21], v[18:19], 3, s[28:29]
	global_load_dwordx2 v[14:15], v[20:21], off sc1
	s_waitcnt vmcnt(0)
	v_cmp_eq_u16_sdwa s[34:35], v15, v19 src0_sel:BYTE_0 src1_sel:DWORD
	s_and_saveexec_b64 s[30:31], s[34:35]
	s_cbranch_execz .LBB41_109
; %bb.106:
	s_mov_b64 s[34:35], 0
	v_mov_b32_e32 v11, 0
.LBB41_107:                             ; =>This Inner Loop Header: Depth=1
	global_load_dwordx2 v[14:15], v[20:21], off sc1
	s_waitcnt vmcnt(0)
	v_cmp_ne_u16_sdwa s[36:37], v15, v11 src0_sel:BYTE_0 src1_sel:DWORD
	s_or_b64 s[34:35], s[36:37], s[34:35]
	s_andn2_b64 exec, exec, s[34:35]
	s_cbranch_execnz .LBB41_107
; %bb.108:
	s_or_b64 exec, exec, s[34:35]
.LBB41_109:
	s_or_b64 exec, exec, s[30:31]
	v_and_b32_e32 v95, 63, v90
	v_mov_b32_e32 v11, 2
	v_cmp_ne_u32_e32 vcc, 63, v95
	v_cmp_eq_u16_sdwa s[30:31], v15, v11 src0_sel:BYTE_0 src1_sel:DWORD
	v_lshlrev_b64 v[18:19], v90, -1
	v_addc_co_u32_e32 v21, vcc, 0, v90, vcc
	v_and_b32_e32 v13, s31, v19
	v_lshlrev_b32_e32 v96, 2, v21
	v_or_b32_e32 v13, 0x80000000, v13
	ds_bpermute_b32 v21, v96, v14
	v_and_b32_e32 v20, s30, v18
	v_ffbl_b32_e32 v13, v13
	v_add_u32_e32 v13, 32, v13
	v_ffbl_b32_e32 v20, v20
	v_min_u32_e32 v13, v20, v13
	v_cmp_lt_u32_e32 vcc, v95, v13
	v_add_u32_e32 v98, 2, v95
	v_add_u32_e32 v100, 4, v95
	s_waitcnt lgkmcnt(0)
	v_cndmask_b32_e32 v20, 0, v21, vcc
	v_cmp_gt_u32_e32 vcc, 62, v95
	v_add_u32_e32 v14, v20, v14
	v_add_u32_e32 v102, 8, v95
	v_cndmask_b32_e64 v20, 0, 1, vcc
	v_lshlrev_b32_e32 v20, 1, v20
	v_add_lshl_u32 v97, v20, v90, 2
	ds_bpermute_b32 v20, v97, v14
	v_cmp_le_u32_e32 vcc, v98, v13
	v_add_u32_e32 v122, 16, v95
	v_add_u32_e32 v124, 32, v95
	s_waitcnt lgkmcnt(0)
	v_cndmask_b32_e32 v20, 0, v20, vcc
	v_cmp_gt_u32_e32 vcc, 60, v95
	v_add_u32_e32 v14, v14, v20
	s_nop 0
	v_cndmask_b32_e64 v20, 0, 1, vcc
	v_lshlrev_b32_e32 v20, 2, v20
	v_add_lshl_u32 v99, v20, v90, 2
	ds_bpermute_b32 v20, v99, v14
	v_cmp_le_u32_e32 vcc, v100, v13
	s_waitcnt lgkmcnt(0)
	s_nop 0
	v_cndmask_b32_e32 v20, 0, v20, vcc
	v_cmp_gt_u32_e32 vcc, 56, v95
	v_add_u32_e32 v14, v14, v20
	s_nop 0
	v_cndmask_b32_e64 v20, 0, 1, vcc
	v_lshlrev_b32_e32 v20, 3, v20
	v_add_lshl_u32 v101, v20, v90, 2
	ds_bpermute_b32 v20, v101, v14
	v_cmp_le_u32_e32 vcc, v102, v13
	s_waitcnt lgkmcnt(0)
	s_nop 0
	;; [unrolled: 11-line block ×4, first 2 shown]
	v_cndmask_b32_e32 v13, 0, v20, vcc
	v_add_u32_e32 v14, v14, v13
	v_mov_b32_e32 v13, 0
	s_branch .LBB41_111
.LBB41_110:                             ;   in Loop: Header=BB41_111 Depth=1
	s_or_b64 exec, exec, s[30:31]
	v_cmp_eq_u16_sdwa s[30:31], v15, v11 src0_sel:BYTE_0 src1_sel:DWORD
	ds_bpermute_b32 v125, v96, v14
	v_subrev_u32_e32 v12, 64, v12
	v_and_b32_e32 v20, s31, v19
	v_or_b32_e32 v20, 0x80000000, v20
	v_and_b32_e32 v21, s30, v18
	v_ffbl_b32_e32 v20, v20
	v_add_u32_e32 v20, 32, v20
	v_ffbl_b32_e32 v21, v21
	v_min_u32_e32 v20, v21, v20
	v_cmp_lt_u32_e32 vcc, v95, v20
	s_waitcnt lgkmcnt(0)
	s_nop 0
	v_cndmask_b32_e32 v21, 0, v125, vcc
	v_add_u32_e32 v14, v21, v14
	ds_bpermute_b32 v21, v97, v14
	v_cmp_le_u32_e32 vcc, v98, v20
	s_waitcnt lgkmcnt(0)
	s_nop 0
	v_cndmask_b32_e32 v21, 0, v21, vcc
	v_add_u32_e32 v14, v14, v21
	ds_bpermute_b32 v21, v99, v14
	v_cmp_le_u32_e32 vcc, v100, v20
	;; [unrolled: 6-line block ×5, first 2 shown]
	s_waitcnt lgkmcnt(0)
	s_nop 0
	v_cndmask_b32_e32 v20, 0, v21, vcc
	v_add3_u32 v14, v20, v120, v14
.LBB41_111:                             ; =>This Loop Header: Depth=1
                                        ;     Child Loop BB41_114 Depth 2
	v_cmp_ne_u16_sdwa s[30:31], v15, v11 src0_sel:BYTE_0 src1_sel:DWORD
	v_mov_b32_e32 v120, v14
	s_nop 0
	v_cndmask_b32_e64 v15, 0, 1, s[30:31]
	;;#ASMSTART
	;;#ASMEND
	s_nop 0
	v_cmp_ne_u32_e32 vcc, 0, v15
	s_cmp_lg_u64 vcc, exec
	s_cbranch_scc1 .LBB41_116
; %bb.112:                              ;   in Loop: Header=BB41_111 Depth=1
	v_lshl_add_u64 v[20:21], v[12:13], 3, s[28:29]
	global_load_dwordx2 v[14:15], v[20:21], off sc1
	s_waitcnt vmcnt(0)
	v_cmp_eq_u16_sdwa s[34:35], v15, v13 src0_sel:BYTE_0 src1_sel:DWORD
	s_and_saveexec_b64 s[30:31], s[34:35]
	s_cbranch_execz .LBB41_110
; %bb.113:                              ;   in Loop: Header=BB41_111 Depth=1
	s_mov_b64 s[34:35], 0
.LBB41_114:                             ;   Parent Loop BB41_111 Depth=1
                                        ; =>  This Inner Loop Header: Depth=2
	global_load_dwordx2 v[14:15], v[20:21], off sc1
	s_waitcnt vmcnt(0)
	v_cmp_ne_u16_sdwa s[36:37], v15, v13 src0_sel:BYTE_0 src1_sel:DWORD
	s_or_b64 s[34:35], s[36:37], s[34:35]
	s_andn2_b64 exec, exec, s[34:35]
	s_cbranch_execnz .LBB41_114
; %bb.115:                              ;   in Loop: Header=BB41_111 Depth=1
	s_or_b64 exec, exec, s[34:35]
	s_branch .LBB41_110
.LBB41_116:                             ;   in Loop: Header=BB41_111 Depth=1
                                        ; implicit-def: $vgpr14
                                        ; implicit-def: $vgpr15
	s_cbranch_execz .LBB41_111
; %bb.117:
	s_and_saveexec_b64 s[30:31], s[16:17]
	s_cbranch_execz .LBB41_119
; %bb.118:
	s_add_i32 s34, s33, 64
	s_mov_b32 s35, 0
	s_lshl_b64 s[34:35], s[34:35], 3
	s_add_u32 s34, s28, s34
	v_add_u32_e32 v12, v120, v10
	v_mov_b32_e32 v13, 2
	s_addc_u32 s35, s29, s35
	v_mov_b32_e32 v11, 0
	s_movk_i32 s33, 0x4000
	global_store_dwordx2 v11, v[12:13], s[34:35] sc1
	v_add_u32_e64 v11, s33, 0
	ds_write2_b32 v11, v10, v120 offset0:128 offset1:130
.LBB41_119:
	s_or_b64 exec, exec, s[30:31]
	s_and_b64 exec, exec, s[18:19]
	s_cbranch_execz .LBB41_121
; %bb.120:
	v_mov_b32_e32 v10, 0
	ds_write_b32 v10, v120 offset:28
.LBB41_121:
	s_or_b64 exec, exec, s[0:1]
	s_movk_i32 s0, 0x4000
	v_mov_b32_e32 v10, 0
	v_add_u32_e64 v11, s0, 0
	s_waitcnt lgkmcnt(0)
	s_barrier
	ds_read_b32 v10, v10 offset:28
	s_waitcnt lgkmcnt(0)
	s_barrier
	ds_read2_b32 v[18:19], v11 offset0:128 offset1:130
	v_cndmask_b32_e64 v11, v94, v93, s[16:17]
	v_cndmask_b32_e64 v11, v11, 0, s[18:19]
	v_add_u32_e32 v99, v10, v11
	s_waitcnt lgkmcnt(0)
	v_mov_b32_e32 v20, v19
	s_branch .LBB41_132
.LBB41_122:
                                        ; implicit-def: $vgpr20
                                        ; implicit-def: $vgpr18
                                        ; implicit-def: $vgpr99
	s_cbranch_execz .LBB41_132
; %bb.123:
	v_mov_b32_dpp v10, v92 row_shr:1 row_mask:0xf bank_mask:0xf
	v_cndmask_b32_e64 v10, v10, 0, s[14:15]
	v_add_u32_e32 v10, v10, v92
	s_nop 1
	v_mov_b32_dpp v11, v10 row_shr:2 row_mask:0xf bank_mask:0xf
	v_cndmask_b32_e64 v11, 0, v11, s[12:13]
	v_add_u32_e32 v10, v10, v11
	s_nop 1
	v_mov_b32_dpp v11, v10 row_shr:4 row_mask:0xf bank_mask:0xf
	v_cndmask_b32_e64 v11, 0, v11, s[10:11]
	v_add_u32_e32 v10, v10, v11
	s_nop 1
	v_mov_b32_dpp v11, v10 row_shr:8 row_mask:0xf bank_mask:0xf
	v_cndmask_b32_e64 v11, 0, v11, s[8:9]
	v_add_u32_e32 v10, v10, v11
	s_nop 1
	v_mov_b32_dpp v11, v10 row_bcast:15 row_mask:0xf bank_mask:0xf
	v_cndmask_b32_e64 v11, v11, 0, s[6:7]
	v_add_u32_e32 v10, v10, v11
	s_nop 1
	v_mov_b32_dpp v11, v10 row_bcast:31 row_mask:0xf bank_mask:0xf
	v_cndmask_b32_e64 v11, 0, v11, s[2:3]
	v_add_u32_e32 v10, v10, v11
	s_and_saveexec_b64 s[0:1], s[4:5]
	s_cbranch_execz .LBB41_125
; %bb.124:
	v_lshlrev_b32_e32 v11, 2, v91
	ds_write_b32 v11, v10
.LBB41_125:
	s_or_b64 exec, exec, s[0:1]
	v_cmp_gt_u32_e32 vcc, 8, v0
	s_waitcnt lgkmcnt(0)
	s_barrier
	s_and_saveexec_b64 s[0:1], vcc
	s_cbranch_execz .LBB41_127
; %bb.126:
	v_lshlrev_b32_e32 v11, 2, v0
	ds_read_b32 v12, v11
	v_and_b32_e32 v13, 7, v90
	v_cmp_ne_u32_e32 vcc, 0, v13
	s_waitcnt lgkmcnt(0)
	v_mov_b32_dpp v14, v12 row_shr:1 row_mask:0xf bank_mask:0xf
	v_cndmask_b32_e32 v14, 0, v14, vcc
	v_add_u32_e32 v12, v14, v12
	v_cmp_lt_u32_e32 vcc, 1, v13
	s_nop 0
	v_mov_b32_dpp v14, v12 row_shr:2 row_mask:0xf bank_mask:0xf
	v_cndmask_b32_e32 v14, 0, v14, vcc
	v_add_u32_e32 v12, v12, v14
	v_cmp_lt_u32_e32 vcc, 3, v13
	s_nop 0
	v_mov_b32_dpp v14, v12 row_shr:4 row_mask:0xf bank_mask:0xf
	v_cndmask_b32_e32 v13, 0, v14, vcc
	v_add_u32_e32 v12, v12, v13
	ds_write_b32 v11, v12
.LBB41_127:
	s_or_b64 exec, exec, s[0:1]
	v_cmp_lt_u32_e32 vcc, 63, v0
	v_mov_b32_e32 v12, 0
	v_mov_b32_e32 v11, 0
	s_waitcnt lgkmcnt(0)
	s_barrier
	s_and_saveexec_b64 s[0:1], vcc
	s_cbranch_execz .LBB41_129
; %bb.128:
	v_lshl_add_u32 v11, v91, 2, -4
	ds_read_b32 v11, v11
.LBB41_129:
	s_or_b64 exec, exec, s[0:1]
	v_add_u32_e32 v13, -1, v90
	v_and_b32_e32 v14, 64, v90
	v_cmp_lt_i32_e32 vcc, v13, v14
	s_waitcnt lgkmcnt(0)
	v_add_u32_e32 v10, v11, v10
	ds_read_b32 v18, v12 offset:28
	v_cndmask_b32_e32 v13, v13, v90, vcc
	v_lshlrev_b32_e32 v13, 2, v13
	ds_bpermute_b32 v10, v13, v10
	s_and_saveexec_b64 s[0:1], s[18:19]
	s_cbranch_execz .LBB41_131
; %bb.130:
	v_mov_b32_e32 v12, 0
	v_mov_b32_e32 v19, 2
	s_waitcnt lgkmcnt(1)
	global_store_dwordx2 v12, v[18:19], s[28:29] offset:512 sc1
.LBB41_131:
	s_or_b64 exec, exec, s[0:1]
	v_cmp_eq_u32_e32 vcc, 0, v90
	v_mov_b32_e32 v20, 0
	s_waitcnt lgkmcnt(0)
	v_cndmask_b32_e32 v10, v10, v11, vcc
	v_cndmask_b32_e64 v99, v10, 0, s[18:19]
	s_barrier
.LBB41_132:
	v_add_u32_e32 v102, v99, v77
	v_add_u32_e32 v101, v102, v78
	;; [unrolled: 1-line block ×29, first 2 shown]
	s_movk_i32 s0, 0x201
	v_add_u32_e32 v13, v14, v119
	v_cmp_gt_u32_e32 vcc, s0, v18
	v_add_u32_sdwa v12, v13, v38 dst_sel:DWORD dst_unused:UNUSED_PAD src0_sel:DWORD src1_sel:BYTE_0
	s_mov_b64 s[0:1], -1
	s_cbranch_vccnz .LBB41_136
; %bb.133:
	s_and_b64 vcc, exec, s[0:1]
	s_cbranch_vccnz .LBB41_233
.LBB41_134:
	s_and_b64 s[0:1], s[18:19], s[22:23]
	s_and_saveexec_b64 s[2:3], s[0:1]
	s_cbranch_execnz .LBB41_310
.LBB41_135:
	s_endpgm
.LBB41_136:
	v_add_u32_e32 v103, v20, v18
	v_cmp_lt_u32_e32 vcc, v99, v103
	s_waitcnt vmcnt(0)
	v_lshl_add_u64 v[10:11], s[24:25], 0, v[16:17]
	s_or_b64 s[2:3], s[26:27], vcc
	s_and_saveexec_b64 s[0:1], s[2:3]
	s_cbranch_execz .LBB41_139
; %bb.137:
	v_and_b32_e32 v104, 1, v76
	v_cmp_eq_u32_e32 vcc, 1, v104
	s_and_b64 exec, exec, vcc
	s_cbranch_execz .LBB41_139
; %bb.138:
	v_readfirstlane_b32 s2, v10
	v_readfirstlane_b32 s3, v11
	s_nop 4
	global_store_byte v99, v8, s[2:3]
.LBB41_139:
	s_or_b64 exec, exec, s[0:1]
	v_cmp_lt_u32_e32 vcc, v102, v103
	s_or_b64 s[2:3], s[26:27], vcc
	s_and_saveexec_b64 s[0:1], s[2:3]
	s_cbranch_execz .LBB41_142
; %bb.140:
	v_and_b32_e32 v104, 1, v75
	v_cmp_eq_u32_e32 vcc, 1, v104
	s_and_b64 exec, exec, vcc
	s_cbranch_execz .LBB41_142
; %bb.141:
	v_readfirstlane_b32 s2, v10
	v_readfirstlane_b32 s3, v11
	s_nop 4
	global_store_byte v102, v51, s[2:3]
.LBB41_142:
	s_or_b64 exec, exec, s[0:1]
	v_cmp_lt_u32_e32 vcc, v101, v103
	;; [unrolled: 16-line block ×31, first 2 shown]
	s_or_b64 s[2:3], s[26:27], vcc
	s_and_saveexec_b64 s[0:1], s[2:3]
	s_cbranch_execz .LBB41_232
; %bb.230:
	v_and_b32_e32 v103, 1, v36
	v_cmp_eq_u32_e32 vcc, 1, v103
	s_and_b64 exec, exec, vcc
	s_cbranch_execz .LBB41_232
; %bb.231:
	v_readfirstlane_b32 s2, v10
	v_readfirstlane_b32 s3, v11
	s_nop 4
	global_store_byte v12, v1, s[2:3]
.LBB41_232:
	s_or_b64 exec, exec, s[0:1]
	s_branch .LBB41_134
.LBB41_233:
	v_and_b32_e32 v10, 1, v76
	v_cmp_eq_u32_e32 vcc, 1, v10
	s_and_saveexec_b64 s[0:1], vcc
	s_cbranch_execz .LBB41_235
; %bb.234:
	v_sub_u32_e32 v10, v99, v20
	ds_write_b8 v10, v8
.LBB41_235:
	s_or_b64 exec, exec, s[0:1]
	v_and_b32_e32 v8, 1, v75
	v_cmp_eq_u32_e32 vcc, 1, v8
	s_and_saveexec_b64 s[0:1], vcc
	s_cbranch_execz .LBB41_237
; %bb.236:
	v_sub_u32_e32 v8, v102, v20
	ds_write_b8 v8, v51
.LBB41_237:
	s_or_b64 exec, exec, s[0:1]
	;; [unrolled: 9-line block ×32, first 2 shown]
	v_cmp_lt_u32_e32 vcc, v0, v18
	s_waitcnt lgkmcnt(0)
	s_barrier
	s_and_saveexec_b64 s[0:1], vcc
	s_cbranch_execz .LBB41_309
; %bb.298:
	v_mov_b32_e32 v21, 0
	s_waitcnt vmcnt(0)
	v_lshl_add_u64 v[2:3], s[24:25], 0, v[16:17]
	v_xad_u32 v1, v0, -1, v18
	s_movk_i32 s2, 0xdff
	v_lshl_add_u64 v[22:23], v[2:3], 0, v[20:21]
	v_cmp_lt_u32_e32 vcc, s2, v1
	s_mov_b64 s[4:5], -1
	s_and_saveexec_b64 s[2:3], vcc
	s_cbranch_execz .LBB41_306
; %bb.299:
	v_lshrrev_b32_e32 v19, 9, v1
	v_or_b32_e32 v7, 0xe00, v0
	v_or_b32_e32 v6, 0xc00, v0
	;; [unrolled: 1-line block ×7, first 2 shown]
	v_add_u32_e32 v26, -7, v19
	v_mov_b64_e32 v[14:15], v[6:7]
	v_cmp_lt_u32_e32 vcc, 7, v26
	v_mov_b64_e32 v[12:13], v[4:5]
	v_mov_b64_e32 v[10:11], v[2:3]
	;; [unrolled: 1-line block ×3, first 2 shown]
	s_and_saveexec_b64 s[4:5], vcc
	s_cbranch_execz .LBB41_303
; %bb.300:
	v_lshrrev_b32_e32 v8, 3, v26
	v_add_u32_e32 v8, 1, v8
	v_and_b32_e32 v21, 0x3ffffffe, v8
	v_mov_b64_e32 v[14:15], v[6:7]
	s_mov_b32 s8, 0
	s_mov_b64 s[6:7], 0
	v_mov_b32_e32 v25, 0
	v_mov_b32_e32 v27, v0
	v_mov_b64_e32 v[12:13], v[4:5]
	v_mov_b64_e32 v[10:11], v[2:3]
	;; [unrolled: 1-line block ×3, first 2 shown]
.LBB41_301:                             ; =>This Inner Loop Header: Depth=1
	v_mov_b32_e32 v24, v8
	v_lshl_add_u64 v[36:37], v[22:23], 0, v[24:25]
	v_mov_b32_e32 v24, v9
	v_lshl_add_u64 v[38:39], v[22:23], 0, v[24:25]
	;; [unrolled: 2-line block ×3, first 2 shown]
	v_mov_b32_e32 v24, v11
	ds_read_u8 v46, v27
	ds_read_u8 v47, v27 offset:512
	ds_read_u8 v48, v27 offset:1024
	;; [unrolled: 1-line block ×7, first 2 shown]
	v_lshl_add_u64 v[42:43], v[22:23], 0, v[24:25]
	v_mov_b32_e32 v24, v12
	ds_read_u8 v54, v27 offset:4096
	ds_read_u8 v55, v27 offset:4608
	;; [unrolled: 1-line block ×8, first 2 shown]
	v_lshl_add_u64 v[44:45], v[22:23], 0, v[24:25]
	v_mov_b32_e32 v24, v13
	s_waitcnt lgkmcnt(14)
	global_store_byte v[36:37], v46, off
	global_store_byte v[38:39], v47, off
	s_waitcnt lgkmcnt(13)
	global_store_byte v[40:41], v48, off
	s_waitcnt lgkmcnt(12)
	global_store_byte v[42:43], v49, off
	v_lshl_add_u64 v[36:37], v[22:23], 0, v[24:25]
	v_mov_b32_e32 v24, v14
	v_add_u32_e32 v21, -2, v21
	v_lshl_add_u64 v[38:39], v[22:23], 0, v[24:25]
	v_mov_b32_e32 v24, v15
	s_add_i32 s8, s8, 16
	v_cmp_eq_u32_e32 vcc, 0, v21
	s_waitcnt lgkmcnt(11)
	global_store_byte v[44:45], v50, off
	s_waitcnt lgkmcnt(10)
	global_store_byte v[36:37], v51, off
	v_lshl_add_u64 v[36:37], v[22:23], 0, v[24:25]
	v_add_u32_e32 v24, 0x1000, v8
	v_add_u32_e32 v2, 0x1000, v15
	;; [unrolled: 1-line block ×8, first 2 shown]
	v_mov_b32_e32 v35, v25
	v_mov_b32_e32 v33, v25
	;; [unrolled: 1-line block ×7, first 2 shown]
	v_add_u32_e32 v27, 0x2000, v27
	v_add_u32_e32 v9, 0x2000, v9
	v_mov_b32_e32 v1, s8
	v_add_u32_e32 v10, 0x2000, v10
	s_or_b64 s[6:7], vcc, s[6:7]
	v_add_u32_e32 v11, 0x2000, v11
	v_add_u32_e32 v12, 0x2000, v12
	;; [unrolled: 1-line block ×5, first 2 shown]
	s_waitcnt lgkmcnt(9)
	global_store_byte v[38:39], v52, off
	v_add_u32_e32 v8, 0x2000, v8
	s_waitcnt lgkmcnt(8)
	global_store_byte v[36:37], v53, off
	v_lshl_add_u64 v[36:37], v[22:23], 0, v[24:25]
	v_lshl_add_u64 v[34:35], v[22:23], 0, v[34:35]
	;; [unrolled: 1-line block ×8, first 2 shown]
	s_waitcnt lgkmcnt(7)
	global_store_byte v[36:37], v54, off
	s_waitcnt lgkmcnt(6)
	global_store_byte v[34:35], v55, off
	;; [unrolled: 2-line block ×8, first 2 shown]
	s_andn2_b64 exec, exec, s[6:7]
	s_cbranch_execnz .LBB41_301
; %bb.302:
	s_or_b64 exec, exec, s[6:7]
	v_lshlrev_b32_e32 v21, 9, v1
.LBB41_303:
	s_or_b64 exec, exec, s[4:5]
	v_and_b32_e32 v1, 8, v26
	v_cmp_eq_u32_e32 vcc, 0, v1
	s_and_saveexec_b64 s[4:5], vcc
	s_cbranch_execz .LBB41_305
; %bb.304:
	v_mov_b32_e32 v3, 0
	v_mov_b32_e32 v2, v8
	v_lshl_add_u64 v[4:5], v[22:23], 0, v[2:3]
	v_mov_b32_e32 v2, v9
	v_or_b32_e32 v1, v0, v21
	v_lshl_add_u64 v[6:7], v[22:23], 0, v[2:3]
	v_mov_b32_e32 v2, v10
	ds_read_u8 v21, v1
	ds_read_u8 v28, v1 offset:512
	ds_read_u8 v29, v1 offset:1024
	;; [unrolled: 1-line block ×7, first 2 shown]
	v_lshl_add_u64 v[8:9], v[22:23], 0, v[2:3]
	v_mov_b32_e32 v2, v11
	v_lshl_add_u64 v[10:11], v[22:23], 0, v[2:3]
	v_mov_b32_e32 v2, v12
	;; [unrolled: 2-line block ×5, first 2 shown]
	v_lshl_add_u64 v[2:3], v[22:23], 0, v[2:3]
	s_waitcnt lgkmcnt(7)
	global_store_byte v[4:5], v21, off
	s_waitcnt lgkmcnt(6)
	global_store_byte v[6:7], v28, off
	s_waitcnt lgkmcnt(5)
	global_store_byte v[8:9], v29, off
	s_waitcnt lgkmcnt(4)
	global_store_byte v[10:11], v30, off
	s_waitcnt lgkmcnt(3)
	global_store_byte v[24:25], v31, off
	s_waitcnt lgkmcnt(2)
	global_store_byte v[12:13], v32, off
	s_waitcnt lgkmcnt(1)
	global_store_byte v[26:27], v33, off
	s_waitcnt lgkmcnt(0)
	global_store_byte v[2:3], v1, off
.LBB41_305:
	s_or_b64 exec, exec, s[4:5]
	v_add_u32_e32 v1, 1, v19
	v_and_b32_e32 v2, 0xfffff8, v1
	v_cmp_ne_u32_e32 vcc, v1, v2
	v_lshl_or_b32 v0, v2, 9, v0
	s_orn2_b64 s[4:5], vcc, exec
.LBB41_306:
	s_or_b64 exec, exec, s[2:3]
	s_and_b64 exec, exec, s[4:5]
	s_cbranch_execz .LBB41_309
; %bb.307:
	s_mov_b64 s[2:3], 0
.LBB41_308:                             ; =>This Inner Loop Header: Depth=1
	ds_read_u8 v1, v0
	v_readfirstlane_b32 s4, v22
	v_readfirstlane_b32 s5, v23
	s_waitcnt lgkmcnt(0)
	s_nop 3
	global_store_byte v0, v1, s[4:5]
	v_add_u32_e32 v0, 0x200, v0
	v_cmp_ge_u32_e32 vcc, v0, v18
	s_or_b64 s[2:3], vcc, s[2:3]
	s_andn2_b64 exec, exec, s[2:3]
	s_cbranch_execnz .LBB41_308
.LBB41_309:
	s_or_b64 exec, exec, s[0:1]
	s_and_b64 s[0:1], s[18:19], s[22:23]
	s_and_saveexec_b64 s[2:3], s[0:1]
	s_cbranch_execz .LBB41_135
.LBB41_310:
	v_mov_b32_e32 v19, 0
	s_waitcnt vmcnt(0)
	v_lshl_add_u64 v[0:1], v[16:17], 0, v[18:19]
	v_mov_b32_e32 v21, v19
	v_lshl_add_u64 v[0:1], v[0:1], 0, v[20:21]
	global_store_dwordx2 v19, v[0:1], s[20:21]
	s_endpgm
.LBB41_311:
	s_or_b64 exec, exec, s[8:9]
	v_mov_b32_e32 v76, s10
	s_and_saveexec_b64 s[2:3], s[0:1]
	s_cbranch_execnz .LBB41_92
	s_branch .LBB41_93
	.section	.rodata,"a",@progbits
	.p2align	6, 0x0
	.amdhsa_kernel _ZN7rocprim17ROCPRIM_400000_NS6detail17trampoline_kernelINS0_14default_configENS1_25partition_config_selectorILNS1_17partition_subalgoE8EbNS0_10empty_typeEbEEZZNS1_14partition_implILS5_8ELb0ES3_jN6hipcub16HIPCUB_304000_NS22TransformInputIteratorIbN2at6native8internal12_GLOBAL__N_110LoadBoolOpEPKhlEEPS6_PKS6_NS0_5tupleIJPbS6_EEENSN_IJSK_SK_EEENS0_18inequality_wrapperINSA_8EqualityEEEPlJS6_EEE10hipError_tPvRmT3_T4_T5_T6_T7_T9_mT8_P12ihipStream_tbDpT10_ENKUlT_T0_E_clISt17integral_constantIbLb0EES1D_IbLb1EEEEDaS19_S1A_EUlS19_E_NS1_11comp_targetILNS1_3genE5ELNS1_11target_archE942ELNS1_3gpuE9ELNS1_3repE0EEENS1_30default_config_static_selectorELNS0_4arch9wavefront6targetE1EEEvT1_
		.amdhsa_group_segment_fixed_size 16908
		.amdhsa_private_segment_fixed_size 0
		.amdhsa_kernarg_size 136
		.amdhsa_user_sgpr_count 2
		.amdhsa_user_sgpr_dispatch_ptr 0
		.amdhsa_user_sgpr_queue_ptr 0
		.amdhsa_user_sgpr_kernarg_segment_ptr 1
		.amdhsa_user_sgpr_dispatch_id 0
		.amdhsa_user_sgpr_kernarg_preload_length 0
		.amdhsa_user_sgpr_kernarg_preload_offset 0
		.amdhsa_user_sgpr_private_segment_size 0
		.amdhsa_uses_dynamic_stack 0
		.amdhsa_enable_private_segment 0
		.amdhsa_system_sgpr_workgroup_id_x 1
		.amdhsa_system_sgpr_workgroup_id_y 0
		.amdhsa_system_sgpr_workgroup_id_z 0
		.amdhsa_system_sgpr_workgroup_info 0
		.amdhsa_system_vgpr_workitem_id 0
		.amdhsa_next_free_vgpr 126
		.amdhsa_next_free_sgpr 85
		.amdhsa_accum_offset 128
		.amdhsa_reserve_vcc 1
		.amdhsa_float_round_mode_32 0
		.amdhsa_float_round_mode_16_64 0
		.amdhsa_float_denorm_mode_32 3
		.amdhsa_float_denorm_mode_16_64 3
		.amdhsa_dx10_clamp 1
		.amdhsa_ieee_mode 1
		.amdhsa_fp16_overflow 0
		.amdhsa_tg_split 0
		.amdhsa_exception_fp_ieee_invalid_op 0
		.amdhsa_exception_fp_denorm_src 0
		.amdhsa_exception_fp_ieee_div_zero 0
		.amdhsa_exception_fp_ieee_overflow 0
		.amdhsa_exception_fp_ieee_underflow 0
		.amdhsa_exception_fp_ieee_inexact 0
		.amdhsa_exception_int_div_zero 0
	.end_amdhsa_kernel
	.section	.text._ZN7rocprim17ROCPRIM_400000_NS6detail17trampoline_kernelINS0_14default_configENS1_25partition_config_selectorILNS1_17partition_subalgoE8EbNS0_10empty_typeEbEEZZNS1_14partition_implILS5_8ELb0ES3_jN6hipcub16HIPCUB_304000_NS22TransformInputIteratorIbN2at6native8internal12_GLOBAL__N_110LoadBoolOpEPKhlEEPS6_PKS6_NS0_5tupleIJPbS6_EEENSN_IJSK_SK_EEENS0_18inequality_wrapperINSA_8EqualityEEEPlJS6_EEE10hipError_tPvRmT3_T4_T5_T6_T7_T9_mT8_P12ihipStream_tbDpT10_ENKUlT_T0_E_clISt17integral_constantIbLb0EES1D_IbLb1EEEEDaS19_S1A_EUlS19_E_NS1_11comp_targetILNS1_3genE5ELNS1_11target_archE942ELNS1_3gpuE9ELNS1_3repE0EEENS1_30default_config_static_selectorELNS0_4arch9wavefront6targetE1EEEvT1_,"axG",@progbits,_ZN7rocprim17ROCPRIM_400000_NS6detail17trampoline_kernelINS0_14default_configENS1_25partition_config_selectorILNS1_17partition_subalgoE8EbNS0_10empty_typeEbEEZZNS1_14partition_implILS5_8ELb0ES3_jN6hipcub16HIPCUB_304000_NS22TransformInputIteratorIbN2at6native8internal12_GLOBAL__N_110LoadBoolOpEPKhlEEPS6_PKS6_NS0_5tupleIJPbS6_EEENSN_IJSK_SK_EEENS0_18inequality_wrapperINSA_8EqualityEEEPlJS6_EEE10hipError_tPvRmT3_T4_T5_T6_T7_T9_mT8_P12ihipStream_tbDpT10_ENKUlT_T0_E_clISt17integral_constantIbLb0EES1D_IbLb1EEEEDaS19_S1A_EUlS19_E_NS1_11comp_targetILNS1_3genE5ELNS1_11target_archE942ELNS1_3gpuE9ELNS1_3repE0EEENS1_30default_config_static_selectorELNS0_4arch9wavefront6targetE1EEEvT1_,comdat
.Lfunc_end41:
	.size	_ZN7rocprim17ROCPRIM_400000_NS6detail17trampoline_kernelINS0_14default_configENS1_25partition_config_selectorILNS1_17partition_subalgoE8EbNS0_10empty_typeEbEEZZNS1_14partition_implILS5_8ELb0ES3_jN6hipcub16HIPCUB_304000_NS22TransformInputIteratorIbN2at6native8internal12_GLOBAL__N_110LoadBoolOpEPKhlEEPS6_PKS6_NS0_5tupleIJPbS6_EEENSN_IJSK_SK_EEENS0_18inequality_wrapperINSA_8EqualityEEEPlJS6_EEE10hipError_tPvRmT3_T4_T5_T6_T7_T9_mT8_P12ihipStream_tbDpT10_ENKUlT_T0_E_clISt17integral_constantIbLb0EES1D_IbLb1EEEEDaS19_S1A_EUlS19_E_NS1_11comp_targetILNS1_3genE5ELNS1_11target_archE942ELNS1_3gpuE9ELNS1_3repE0EEENS1_30default_config_static_selectorELNS0_4arch9wavefront6targetE1EEEvT1_, .Lfunc_end41-_ZN7rocprim17ROCPRIM_400000_NS6detail17trampoline_kernelINS0_14default_configENS1_25partition_config_selectorILNS1_17partition_subalgoE8EbNS0_10empty_typeEbEEZZNS1_14partition_implILS5_8ELb0ES3_jN6hipcub16HIPCUB_304000_NS22TransformInputIteratorIbN2at6native8internal12_GLOBAL__N_110LoadBoolOpEPKhlEEPS6_PKS6_NS0_5tupleIJPbS6_EEENSN_IJSK_SK_EEENS0_18inequality_wrapperINSA_8EqualityEEEPlJS6_EEE10hipError_tPvRmT3_T4_T5_T6_T7_T9_mT8_P12ihipStream_tbDpT10_ENKUlT_T0_E_clISt17integral_constantIbLb0EES1D_IbLb1EEEEDaS19_S1A_EUlS19_E_NS1_11comp_targetILNS1_3genE5ELNS1_11target_archE942ELNS1_3gpuE9ELNS1_3repE0EEENS1_30default_config_static_selectorELNS0_4arch9wavefront6targetE1EEEvT1_
                                        ; -- End function
	.section	.AMDGPU.csdata,"",@progbits
; Kernel info:
; codeLenInByte = 15756
; NumSgprs: 91
; NumVgprs: 126
; NumAgprs: 0
; TotalNumVgprs: 126
; ScratchSize: 0
; MemoryBound: 0
; FloatMode: 240
; IeeeMode: 1
; LDSByteSize: 16908 bytes/workgroup (compile time only)
; SGPRBlocks: 11
; VGPRBlocks: 15
; NumSGPRsForWavesPerEU: 91
; NumVGPRsForWavesPerEU: 126
; AccumOffset: 128
; Occupancy: 4
; WaveLimiterHint : 1
; COMPUTE_PGM_RSRC2:SCRATCH_EN: 0
; COMPUTE_PGM_RSRC2:USER_SGPR: 2
; COMPUTE_PGM_RSRC2:TRAP_HANDLER: 0
; COMPUTE_PGM_RSRC2:TGID_X_EN: 1
; COMPUTE_PGM_RSRC2:TGID_Y_EN: 0
; COMPUTE_PGM_RSRC2:TGID_Z_EN: 0
; COMPUTE_PGM_RSRC2:TIDIG_COMP_CNT: 0
; COMPUTE_PGM_RSRC3_GFX90A:ACCUM_OFFSET: 31
; COMPUTE_PGM_RSRC3_GFX90A:TG_SPLIT: 0
	.section	.text._ZN7rocprim17ROCPRIM_400000_NS6detail17trampoline_kernelINS0_14default_configENS1_25partition_config_selectorILNS1_17partition_subalgoE8EbNS0_10empty_typeEbEEZZNS1_14partition_implILS5_8ELb0ES3_jN6hipcub16HIPCUB_304000_NS22TransformInputIteratorIbN2at6native8internal12_GLOBAL__N_110LoadBoolOpEPKhlEEPS6_PKS6_NS0_5tupleIJPbS6_EEENSN_IJSK_SK_EEENS0_18inequality_wrapperINSA_8EqualityEEEPlJS6_EEE10hipError_tPvRmT3_T4_T5_T6_T7_T9_mT8_P12ihipStream_tbDpT10_ENKUlT_T0_E_clISt17integral_constantIbLb0EES1D_IbLb1EEEEDaS19_S1A_EUlS19_E_NS1_11comp_targetILNS1_3genE4ELNS1_11target_archE910ELNS1_3gpuE8ELNS1_3repE0EEENS1_30default_config_static_selectorELNS0_4arch9wavefront6targetE1EEEvT1_,"axG",@progbits,_ZN7rocprim17ROCPRIM_400000_NS6detail17trampoline_kernelINS0_14default_configENS1_25partition_config_selectorILNS1_17partition_subalgoE8EbNS0_10empty_typeEbEEZZNS1_14partition_implILS5_8ELb0ES3_jN6hipcub16HIPCUB_304000_NS22TransformInputIteratorIbN2at6native8internal12_GLOBAL__N_110LoadBoolOpEPKhlEEPS6_PKS6_NS0_5tupleIJPbS6_EEENSN_IJSK_SK_EEENS0_18inequality_wrapperINSA_8EqualityEEEPlJS6_EEE10hipError_tPvRmT3_T4_T5_T6_T7_T9_mT8_P12ihipStream_tbDpT10_ENKUlT_T0_E_clISt17integral_constantIbLb0EES1D_IbLb1EEEEDaS19_S1A_EUlS19_E_NS1_11comp_targetILNS1_3genE4ELNS1_11target_archE910ELNS1_3gpuE8ELNS1_3repE0EEENS1_30default_config_static_selectorELNS0_4arch9wavefront6targetE1EEEvT1_,comdat
	.globl	_ZN7rocprim17ROCPRIM_400000_NS6detail17trampoline_kernelINS0_14default_configENS1_25partition_config_selectorILNS1_17partition_subalgoE8EbNS0_10empty_typeEbEEZZNS1_14partition_implILS5_8ELb0ES3_jN6hipcub16HIPCUB_304000_NS22TransformInputIteratorIbN2at6native8internal12_GLOBAL__N_110LoadBoolOpEPKhlEEPS6_PKS6_NS0_5tupleIJPbS6_EEENSN_IJSK_SK_EEENS0_18inequality_wrapperINSA_8EqualityEEEPlJS6_EEE10hipError_tPvRmT3_T4_T5_T6_T7_T9_mT8_P12ihipStream_tbDpT10_ENKUlT_T0_E_clISt17integral_constantIbLb0EES1D_IbLb1EEEEDaS19_S1A_EUlS19_E_NS1_11comp_targetILNS1_3genE4ELNS1_11target_archE910ELNS1_3gpuE8ELNS1_3repE0EEENS1_30default_config_static_selectorELNS0_4arch9wavefront6targetE1EEEvT1_ ; -- Begin function _ZN7rocprim17ROCPRIM_400000_NS6detail17trampoline_kernelINS0_14default_configENS1_25partition_config_selectorILNS1_17partition_subalgoE8EbNS0_10empty_typeEbEEZZNS1_14partition_implILS5_8ELb0ES3_jN6hipcub16HIPCUB_304000_NS22TransformInputIteratorIbN2at6native8internal12_GLOBAL__N_110LoadBoolOpEPKhlEEPS6_PKS6_NS0_5tupleIJPbS6_EEENSN_IJSK_SK_EEENS0_18inequality_wrapperINSA_8EqualityEEEPlJS6_EEE10hipError_tPvRmT3_T4_T5_T6_T7_T9_mT8_P12ihipStream_tbDpT10_ENKUlT_T0_E_clISt17integral_constantIbLb0EES1D_IbLb1EEEEDaS19_S1A_EUlS19_E_NS1_11comp_targetILNS1_3genE4ELNS1_11target_archE910ELNS1_3gpuE8ELNS1_3repE0EEENS1_30default_config_static_selectorELNS0_4arch9wavefront6targetE1EEEvT1_
	.p2align	8
	.type	_ZN7rocprim17ROCPRIM_400000_NS6detail17trampoline_kernelINS0_14default_configENS1_25partition_config_selectorILNS1_17partition_subalgoE8EbNS0_10empty_typeEbEEZZNS1_14partition_implILS5_8ELb0ES3_jN6hipcub16HIPCUB_304000_NS22TransformInputIteratorIbN2at6native8internal12_GLOBAL__N_110LoadBoolOpEPKhlEEPS6_PKS6_NS0_5tupleIJPbS6_EEENSN_IJSK_SK_EEENS0_18inequality_wrapperINSA_8EqualityEEEPlJS6_EEE10hipError_tPvRmT3_T4_T5_T6_T7_T9_mT8_P12ihipStream_tbDpT10_ENKUlT_T0_E_clISt17integral_constantIbLb0EES1D_IbLb1EEEEDaS19_S1A_EUlS19_E_NS1_11comp_targetILNS1_3genE4ELNS1_11target_archE910ELNS1_3gpuE8ELNS1_3repE0EEENS1_30default_config_static_selectorELNS0_4arch9wavefront6targetE1EEEvT1_,@function
_ZN7rocprim17ROCPRIM_400000_NS6detail17trampoline_kernelINS0_14default_configENS1_25partition_config_selectorILNS1_17partition_subalgoE8EbNS0_10empty_typeEbEEZZNS1_14partition_implILS5_8ELb0ES3_jN6hipcub16HIPCUB_304000_NS22TransformInputIteratorIbN2at6native8internal12_GLOBAL__N_110LoadBoolOpEPKhlEEPS6_PKS6_NS0_5tupleIJPbS6_EEENSN_IJSK_SK_EEENS0_18inequality_wrapperINSA_8EqualityEEEPlJS6_EEE10hipError_tPvRmT3_T4_T5_T6_T7_T9_mT8_P12ihipStream_tbDpT10_ENKUlT_T0_E_clISt17integral_constantIbLb0EES1D_IbLb1EEEEDaS19_S1A_EUlS19_E_NS1_11comp_targetILNS1_3genE4ELNS1_11target_archE910ELNS1_3gpuE8ELNS1_3repE0EEENS1_30default_config_static_selectorELNS0_4arch9wavefront6targetE1EEEvT1_: ; @_ZN7rocprim17ROCPRIM_400000_NS6detail17trampoline_kernelINS0_14default_configENS1_25partition_config_selectorILNS1_17partition_subalgoE8EbNS0_10empty_typeEbEEZZNS1_14partition_implILS5_8ELb0ES3_jN6hipcub16HIPCUB_304000_NS22TransformInputIteratorIbN2at6native8internal12_GLOBAL__N_110LoadBoolOpEPKhlEEPS6_PKS6_NS0_5tupleIJPbS6_EEENSN_IJSK_SK_EEENS0_18inequality_wrapperINSA_8EqualityEEEPlJS6_EEE10hipError_tPvRmT3_T4_T5_T6_T7_T9_mT8_P12ihipStream_tbDpT10_ENKUlT_T0_E_clISt17integral_constantIbLb0EES1D_IbLb1EEEEDaS19_S1A_EUlS19_E_NS1_11comp_targetILNS1_3genE4ELNS1_11target_archE910ELNS1_3gpuE8ELNS1_3repE0EEENS1_30default_config_static_selectorELNS0_4arch9wavefront6targetE1EEEvT1_
; %bb.0:
	.section	.rodata,"a",@progbits
	.p2align	6, 0x0
	.amdhsa_kernel _ZN7rocprim17ROCPRIM_400000_NS6detail17trampoline_kernelINS0_14default_configENS1_25partition_config_selectorILNS1_17partition_subalgoE8EbNS0_10empty_typeEbEEZZNS1_14partition_implILS5_8ELb0ES3_jN6hipcub16HIPCUB_304000_NS22TransformInputIteratorIbN2at6native8internal12_GLOBAL__N_110LoadBoolOpEPKhlEEPS6_PKS6_NS0_5tupleIJPbS6_EEENSN_IJSK_SK_EEENS0_18inequality_wrapperINSA_8EqualityEEEPlJS6_EEE10hipError_tPvRmT3_T4_T5_T6_T7_T9_mT8_P12ihipStream_tbDpT10_ENKUlT_T0_E_clISt17integral_constantIbLb0EES1D_IbLb1EEEEDaS19_S1A_EUlS19_E_NS1_11comp_targetILNS1_3genE4ELNS1_11target_archE910ELNS1_3gpuE8ELNS1_3repE0EEENS1_30default_config_static_selectorELNS0_4arch9wavefront6targetE1EEEvT1_
		.amdhsa_group_segment_fixed_size 0
		.amdhsa_private_segment_fixed_size 0
		.amdhsa_kernarg_size 136
		.amdhsa_user_sgpr_count 2
		.amdhsa_user_sgpr_dispatch_ptr 0
		.amdhsa_user_sgpr_queue_ptr 0
		.amdhsa_user_sgpr_kernarg_segment_ptr 1
		.amdhsa_user_sgpr_dispatch_id 0
		.amdhsa_user_sgpr_kernarg_preload_length 0
		.amdhsa_user_sgpr_kernarg_preload_offset 0
		.amdhsa_user_sgpr_private_segment_size 0
		.amdhsa_uses_dynamic_stack 0
		.amdhsa_enable_private_segment 0
		.amdhsa_system_sgpr_workgroup_id_x 1
		.amdhsa_system_sgpr_workgroup_id_y 0
		.amdhsa_system_sgpr_workgroup_id_z 0
		.amdhsa_system_sgpr_workgroup_info 0
		.amdhsa_system_vgpr_workitem_id 0
		.amdhsa_next_free_vgpr 1
		.amdhsa_next_free_sgpr 0
		.amdhsa_accum_offset 4
		.amdhsa_reserve_vcc 0
		.amdhsa_float_round_mode_32 0
		.amdhsa_float_round_mode_16_64 0
		.amdhsa_float_denorm_mode_32 3
		.amdhsa_float_denorm_mode_16_64 3
		.amdhsa_dx10_clamp 1
		.amdhsa_ieee_mode 1
		.amdhsa_fp16_overflow 0
		.amdhsa_tg_split 0
		.amdhsa_exception_fp_ieee_invalid_op 0
		.amdhsa_exception_fp_denorm_src 0
		.amdhsa_exception_fp_ieee_div_zero 0
		.amdhsa_exception_fp_ieee_overflow 0
		.amdhsa_exception_fp_ieee_underflow 0
		.amdhsa_exception_fp_ieee_inexact 0
		.amdhsa_exception_int_div_zero 0
	.end_amdhsa_kernel
	.section	.text._ZN7rocprim17ROCPRIM_400000_NS6detail17trampoline_kernelINS0_14default_configENS1_25partition_config_selectorILNS1_17partition_subalgoE8EbNS0_10empty_typeEbEEZZNS1_14partition_implILS5_8ELb0ES3_jN6hipcub16HIPCUB_304000_NS22TransformInputIteratorIbN2at6native8internal12_GLOBAL__N_110LoadBoolOpEPKhlEEPS6_PKS6_NS0_5tupleIJPbS6_EEENSN_IJSK_SK_EEENS0_18inequality_wrapperINSA_8EqualityEEEPlJS6_EEE10hipError_tPvRmT3_T4_T5_T6_T7_T9_mT8_P12ihipStream_tbDpT10_ENKUlT_T0_E_clISt17integral_constantIbLb0EES1D_IbLb1EEEEDaS19_S1A_EUlS19_E_NS1_11comp_targetILNS1_3genE4ELNS1_11target_archE910ELNS1_3gpuE8ELNS1_3repE0EEENS1_30default_config_static_selectorELNS0_4arch9wavefront6targetE1EEEvT1_,"axG",@progbits,_ZN7rocprim17ROCPRIM_400000_NS6detail17trampoline_kernelINS0_14default_configENS1_25partition_config_selectorILNS1_17partition_subalgoE8EbNS0_10empty_typeEbEEZZNS1_14partition_implILS5_8ELb0ES3_jN6hipcub16HIPCUB_304000_NS22TransformInputIteratorIbN2at6native8internal12_GLOBAL__N_110LoadBoolOpEPKhlEEPS6_PKS6_NS0_5tupleIJPbS6_EEENSN_IJSK_SK_EEENS0_18inequality_wrapperINSA_8EqualityEEEPlJS6_EEE10hipError_tPvRmT3_T4_T5_T6_T7_T9_mT8_P12ihipStream_tbDpT10_ENKUlT_T0_E_clISt17integral_constantIbLb0EES1D_IbLb1EEEEDaS19_S1A_EUlS19_E_NS1_11comp_targetILNS1_3genE4ELNS1_11target_archE910ELNS1_3gpuE8ELNS1_3repE0EEENS1_30default_config_static_selectorELNS0_4arch9wavefront6targetE1EEEvT1_,comdat
.Lfunc_end42:
	.size	_ZN7rocprim17ROCPRIM_400000_NS6detail17trampoline_kernelINS0_14default_configENS1_25partition_config_selectorILNS1_17partition_subalgoE8EbNS0_10empty_typeEbEEZZNS1_14partition_implILS5_8ELb0ES3_jN6hipcub16HIPCUB_304000_NS22TransformInputIteratorIbN2at6native8internal12_GLOBAL__N_110LoadBoolOpEPKhlEEPS6_PKS6_NS0_5tupleIJPbS6_EEENSN_IJSK_SK_EEENS0_18inequality_wrapperINSA_8EqualityEEEPlJS6_EEE10hipError_tPvRmT3_T4_T5_T6_T7_T9_mT8_P12ihipStream_tbDpT10_ENKUlT_T0_E_clISt17integral_constantIbLb0EES1D_IbLb1EEEEDaS19_S1A_EUlS19_E_NS1_11comp_targetILNS1_3genE4ELNS1_11target_archE910ELNS1_3gpuE8ELNS1_3repE0EEENS1_30default_config_static_selectorELNS0_4arch9wavefront6targetE1EEEvT1_, .Lfunc_end42-_ZN7rocprim17ROCPRIM_400000_NS6detail17trampoline_kernelINS0_14default_configENS1_25partition_config_selectorILNS1_17partition_subalgoE8EbNS0_10empty_typeEbEEZZNS1_14partition_implILS5_8ELb0ES3_jN6hipcub16HIPCUB_304000_NS22TransformInputIteratorIbN2at6native8internal12_GLOBAL__N_110LoadBoolOpEPKhlEEPS6_PKS6_NS0_5tupleIJPbS6_EEENSN_IJSK_SK_EEENS0_18inequality_wrapperINSA_8EqualityEEEPlJS6_EEE10hipError_tPvRmT3_T4_T5_T6_T7_T9_mT8_P12ihipStream_tbDpT10_ENKUlT_T0_E_clISt17integral_constantIbLb0EES1D_IbLb1EEEEDaS19_S1A_EUlS19_E_NS1_11comp_targetILNS1_3genE4ELNS1_11target_archE910ELNS1_3gpuE8ELNS1_3repE0EEENS1_30default_config_static_selectorELNS0_4arch9wavefront6targetE1EEEvT1_
                                        ; -- End function
	.section	.AMDGPU.csdata,"",@progbits
; Kernel info:
; codeLenInByte = 0
; NumSgprs: 6
; NumVgprs: 0
; NumAgprs: 0
; TotalNumVgprs: 0
; ScratchSize: 0
; MemoryBound: 0
; FloatMode: 240
; IeeeMode: 1
; LDSByteSize: 0 bytes/workgroup (compile time only)
; SGPRBlocks: 0
; VGPRBlocks: 0
; NumSGPRsForWavesPerEU: 6
; NumVGPRsForWavesPerEU: 1
; AccumOffset: 4
; Occupancy: 8
; WaveLimiterHint : 0
; COMPUTE_PGM_RSRC2:SCRATCH_EN: 0
; COMPUTE_PGM_RSRC2:USER_SGPR: 2
; COMPUTE_PGM_RSRC2:TRAP_HANDLER: 0
; COMPUTE_PGM_RSRC2:TGID_X_EN: 1
; COMPUTE_PGM_RSRC2:TGID_Y_EN: 0
; COMPUTE_PGM_RSRC2:TGID_Z_EN: 0
; COMPUTE_PGM_RSRC2:TIDIG_COMP_CNT: 0
; COMPUTE_PGM_RSRC3_GFX90A:ACCUM_OFFSET: 0
; COMPUTE_PGM_RSRC3_GFX90A:TG_SPLIT: 0
	.section	.text._ZN7rocprim17ROCPRIM_400000_NS6detail17trampoline_kernelINS0_14default_configENS1_25partition_config_selectorILNS1_17partition_subalgoE8EbNS0_10empty_typeEbEEZZNS1_14partition_implILS5_8ELb0ES3_jN6hipcub16HIPCUB_304000_NS22TransformInputIteratorIbN2at6native8internal12_GLOBAL__N_110LoadBoolOpEPKhlEEPS6_PKS6_NS0_5tupleIJPbS6_EEENSN_IJSK_SK_EEENS0_18inequality_wrapperINSA_8EqualityEEEPlJS6_EEE10hipError_tPvRmT3_T4_T5_T6_T7_T9_mT8_P12ihipStream_tbDpT10_ENKUlT_T0_E_clISt17integral_constantIbLb0EES1D_IbLb1EEEEDaS19_S1A_EUlS19_E_NS1_11comp_targetILNS1_3genE3ELNS1_11target_archE908ELNS1_3gpuE7ELNS1_3repE0EEENS1_30default_config_static_selectorELNS0_4arch9wavefront6targetE1EEEvT1_,"axG",@progbits,_ZN7rocprim17ROCPRIM_400000_NS6detail17trampoline_kernelINS0_14default_configENS1_25partition_config_selectorILNS1_17partition_subalgoE8EbNS0_10empty_typeEbEEZZNS1_14partition_implILS5_8ELb0ES3_jN6hipcub16HIPCUB_304000_NS22TransformInputIteratorIbN2at6native8internal12_GLOBAL__N_110LoadBoolOpEPKhlEEPS6_PKS6_NS0_5tupleIJPbS6_EEENSN_IJSK_SK_EEENS0_18inequality_wrapperINSA_8EqualityEEEPlJS6_EEE10hipError_tPvRmT3_T4_T5_T6_T7_T9_mT8_P12ihipStream_tbDpT10_ENKUlT_T0_E_clISt17integral_constantIbLb0EES1D_IbLb1EEEEDaS19_S1A_EUlS19_E_NS1_11comp_targetILNS1_3genE3ELNS1_11target_archE908ELNS1_3gpuE7ELNS1_3repE0EEENS1_30default_config_static_selectorELNS0_4arch9wavefront6targetE1EEEvT1_,comdat
	.globl	_ZN7rocprim17ROCPRIM_400000_NS6detail17trampoline_kernelINS0_14default_configENS1_25partition_config_selectorILNS1_17partition_subalgoE8EbNS0_10empty_typeEbEEZZNS1_14partition_implILS5_8ELb0ES3_jN6hipcub16HIPCUB_304000_NS22TransformInputIteratorIbN2at6native8internal12_GLOBAL__N_110LoadBoolOpEPKhlEEPS6_PKS6_NS0_5tupleIJPbS6_EEENSN_IJSK_SK_EEENS0_18inequality_wrapperINSA_8EqualityEEEPlJS6_EEE10hipError_tPvRmT3_T4_T5_T6_T7_T9_mT8_P12ihipStream_tbDpT10_ENKUlT_T0_E_clISt17integral_constantIbLb0EES1D_IbLb1EEEEDaS19_S1A_EUlS19_E_NS1_11comp_targetILNS1_3genE3ELNS1_11target_archE908ELNS1_3gpuE7ELNS1_3repE0EEENS1_30default_config_static_selectorELNS0_4arch9wavefront6targetE1EEEvT1_ ; -- Begin function _ZN7rocprim17ROCPRIM_400000_NS6detail17trampoline_kernelINS0_14default_configENS1_25partition_config_selectorILNS1_17partition_subalgoE8EbNS0_10empty_typeEbEEZZNS1_14partition_implILS5_8ELb0ES3_jN6hipcub16HIPCUB_304000_NS22TransformInputIteratorIbN2at6native8internal12_GLOBAL__N_110LoadBoolOpEPKhlEEPS6_PKS6_NS0_5tupleIJPbS6_EEENSN_IJSK_SK_EEENS0_18inequality_wrapperINSA_8EqualityEEEPlJS6_EEE10hipError_tPvRmT3_T4_T5_T6_T7_T9_mT8_P12ihipStream_tbDpT10_ENKUlT_T0_E_clISt17integral_constantIbLb0EES1D_IbLb1EEEEDaS19_S1A_EUlS19_E_NS1_11comp_targetILNS1_3genE3ELNS1_11target_archE908ELNS1_3gpuE7ELNS1_3repE0EEENS1_30default_config_static_selectorELNS0_4arch9wavefront6targetE1EEEvT1_
	.p2align	8
	.type	_ZN7rocprim17ROCPRIM_400000_NS6detail17trampoline_kernelINS0_14default_configENS1_25partition_config_selectorILNS1_17partition_subalgoE8EbNS0_10empty_typeEbEEZZNS1_14partition_implILS5_8ELb0ES3_jN6hipcub16HIPCUB_304000_NS22TransformInputIteratorIbN2at6native8internal12_GLOBAL__N_110LoadBoolOpEPKhlEEPS6_PKS6_NS0_5tupleIJPbS6_EEENSN_IJSK_SK_EEENS0_18inequality_wrapperINSA_8EqualityEEEPlJS6_EEE10hipError_tPvRmT3_T4_T5_T6_T7_T9_mT8_P12ihipStream_tbDpT10_ENKUlT_T0_E_clISt17integral_constantIbLb0EES1D_IbLb1EEEEDaS19_S1A_EUlS19_E_NS1_11comp_targetILNS1_3genE3ELNS1_11target_archE908ELNS1_3gpuE7ELNS1_3repE0EEENS1_30default_config_static_selectorELNS0_4arch9wavefront6targetE1EEEvT1_,@function
_ZN7rocprim17ROCPRIM_400000_NS6detail17trampoline_kernelINS0_14default_configENS1_25partition_config_selectorILNS1_17partition_subalgoE8EbNS0_10empty_typeEbEEZZNS1_14partition_implILS5_8ELb0ES3_jN6hipcub16HIPCUB_304000_NS22TransformInputIteratorIbN2at6native8internal12_GLOBAL__N_110LoadBoolOpEPKhlEEPS6_PKS6_NS0_5tupleIJPbS6_EEENSN_IJSK_SK_EEENS0_18inequality_wrapperINSA_8EqualityEEEPlJS6_EEE10hipError_tPvRmT3_T4_T5_T6_T7_T9_mT8_P12ihipStream_tbDpT10_ENKUlT_T0_E_clISt17integral_constantIbLb0EES1D_IbLb1EEEEDaS19_S1A_EUlS19_E_NS1_11comp_targetILNS1_3genE3ELNS1_11target_archE908ELNS1_3gpuE7ELNS1_3repE0EEENS1_30default_config_static_selectorELNS0_4arch9wavefront6targetE1EEEvT1_: ; @_ZN7rocprim17ROCPRIM_400000_NS6detail17trampoline_kernelINS0_14default_configENS1_25partition_config_selectorILNS1_17partition_subalgoE8EbNS0_10empty_typeEbEEZZNS1_14partition_implILS5_8ELb0ES3_jN6hipcub16HIPCUB_304000_NS22TransformInputIteratorIbN2at6native8internal12_GLOBAL__N_110LoadBoolOpEPKhlEEPS6_PKS6_NS0_5tupleIJPbS6_EEENSN_IJSK_SK_EEENS0_18inequality_wrapperINSA_8EqualityEEEPlJS6_EEE10hipError_tPvRmT3_T4_T5_T6_T7_T9_mT8_P12ihipStream_tbDpT10_ENKUlT_T0_E_clISt17integral_constantIbLb0EES1D_IbLb1EEEEDaS19_S1A_EUlS19_E_NS1_11comp_targetILNS1_3genE3ELNS1_11target_archE908ELNS1_3gpuE7ELNS1_3repE0EEENS1_30default_config_static_selectorELNS0_4arch9wavefront6targetE1EEEvT1_
; %bb.0:
	.section	.rodata,"a",@progbits
	.p2align	6, 0x0
	.amdhsa_kernel _ZN7rocprim17ROCPRIM_400000_NS6detail17trampoline_kernelINS0_14default_configENS1_25partition_config_selectorILNS1_17partition_subalgoE8EbNS0_10empty_typeEbEEZZNS1_14partition_implILS5_8ELb0ES3_jN6hipcub16HIPCUB_304000_NS22TransformInputIteratorIbN2at6native8internal12_GLOBAL__N_110LoadBoolOpEPKhlEEPS6_PKS6_NS0_5tupleIJPbS6_EEENSN_IJSK_SK_EEENS0_18inequality_wrapperINSA_8EqualityEEEPlJS6_EEE10hipError_tPvRmT3_T4_T5_T6_T7_T9_mT8_P12ihipStream_tbDpT10_ENKUlT_T0_E_clISt17integral_constantIbLb0EES1D_IbLb1EEEEDaS19_S1A_EUlS19_E_NS1_11comp_targetILNS1_3genE3ELNS1_11target_archE908ELNS1_3gpuE7ELNS1_3repE0EEENS1_30default_config_static_selectorELNS0_4arch9wavefront6targetE1EEEvT1_
		.amdhsa_group_segment_fixed_size 0
		.amdhsa_private_segment_fixed_size 0
		.amdhsa_kernarg_size 136
		.amdhsa_user_sgpr_count 2
		.amdhsa_user_sgpr_dispatch_ptr 0
		.amdhsa_user_sgpr_queue_ptr 0
		.amdhsa_user_sgpr_kernarg_segment_ptr 1
		.amdhsa_user_sgpr_dispatch_id 0
		.amdhsa_user_sgpr_kernarg_preload_length 0
		.amdhsa_user_sgpr_kernarg_preload_offset 0
		.amdhsa_user_sgpr_private_segment_size 0
		.amdhsa_uses_dynamic_stack 0
		.amdhsa_enable_private_segment 0
		.amdhsa_system_sgpr_workgroup_id_x 1
		.amdhsa_system_sgpr_workgroup_id_y 0
		.amdhsa_system_sgpr_workgroup_id_z 0
		.amdhsa_system_sgpr_workgroup_info 0
		.amdhsa_system_vgpr_workitem_id 0
		.amdhsa_next_free_vgpr 1
		.amdhsa_next_free_sgpr 0
		.amdhsa_accum_offset 4
		.amdhsa_reserve_vcc 0
		.amdhsa_float_round_mode_32 0
		.amdhsa_float_round_mode_16_64 0
		.amdhsa_float_denorm_mode_32 3
		.amdhsa_float_denorm_mode_16_64 3
		.amdhsa_dx10_clamp 1
		.amdhsa_ieee_mode 1
		.amdhsa_fp16_overflow 0
		.amdhsa_tg_split 0
		.amdhsa_exception_fp_ieee_invalid_op 0
		.amdhsa_exception_fp_denorm_src 0
		.amdhsa_exception_fp_ieee_div_zero 0
		.amdhsa_exception_fp_ieee_overflow 0
		.amdhsa_exception_fp_ieee_underflow 0
		.amdhsa_exception_fp_ieee_inexact 0
		.amdhsa_exception_int_div_zero 0
	.end_amdhsa_kernel
	.section	.text._ZN7rocprim17ROCPRIM_400000_NS6detail17trampoline_kernelINS0_14default_configENS1_25partition_config_selectorILNS1_17partition_subalgoE8EbNS0_10empty_typeEbEEZZNS1_14partition_implILS5_8ELb0ES3_jN6hipcub16HIPCUB_304000_NS22TransformInputIteratorIbN2at6native8internal12_GLOBAL__N_110LoadBoolOpEPKhlEEPS6_PKS6_NS0_5tupleIJPbS6_EEENSN_IJSK_SK_EEENS0_18inequality_wrapperINSA_8EqualityEEEPlJS6_EEE10hipError_tPvRmT3_T4_T5_T6_T7_T9_mT8_P12ihipStream_tbDpT10_ENKUlT_T0_E_clISt17integral_constantIbLb0EES1D_IbLb1EEEEDaS19_S1A_EUlS19_E_NS1_11comp_targetILNS1_3genE3ELNS1_11target_archE908ELNS1_3gpuE7ELNS1_3repE0EEENS1_30default_config_static_selectorELNS0_4arch9wavefront6targetE1EEEvT1_,"axG",@progbits,_ZN7rocprim17ROCPRIM_400000_NS6detail17trampoline_kernelINS0_14default_configENS1_25partition_config_selectorILNS1_17partition_subalgoE8EbNS0_10empty_typeEbEEZZNS1_14partition_implILS5_8ELb0ES3_jN6hipcub16HIPCUB_304000_NS22TransformInputIteratorIbN2at6native8internal12_GLOBAL__N_110LoadBoolOpEPKhlEEPS6_PKS6_NS0_5tupleIJPbS6_EEENSN_IJSK_SK_EEENS0_18inequality_wrapperINSA_8EqualityEEEPlJS6_EEE10hipError_tPvRmT3_T4_T5_T6_T7_T9_mT8_P12ihipStream_tbDpT10_ENKUlT_T0_E_clISt17integral_constantIbLb0EES1D_IbLb1EEEEDaS19_S1A_EUlS19_E_NS1_11comp_targetILNS1_3genE3ELNS1_11target_archE908ELNS1_3gpuE7ELNS1_3repE0EEENS1_30default_config_static_selectorELNS0_4arch9wavefront6targetE1EEEvT1_,comdat
.Lfunc_end43:
	.size	_ZN7rocprim17ROCPRIM_400000_NS6detail17trampoline_kernelINS0_14default_configENS1_25partition_config_selectorILNS1_17partition_subalgoE8EbNS0_10empty_typeEbEEZZNS1_14partition_implILS5_8ELb0ES3_jN6hipcub16HIPCUB_304000_NS22TransformInputIteratorIbN2at6native8internal12_GLOBAL__N_110LoadBoolOpEPKhlEEPS6_PKS6_NS0_5tupleIJPbS6_EEENSN_IJSK_SK_EEENS0_18inequality_wrapperINSA_8EqualityEEEPlJS6_EEE10hipError_tPvRmT3_T4_T5_T6_T7_T9_mT8_P12ihipStream_tbDpT10_ENKUlT_T0_E_clISt17integral_constantIbLb0EES1D_IbLb1EEEEDaS19_S1A_EUlS19_E_NS1_11comp_targetILNS1_3genE3ELNS1_11target_archE908ELNS1_3gpuE7ELNS1_3repE0EEENS1_30default_config_static_selectorELNS0_4arch9wavefront6targetE1EEEvT1_, .Lfunc_end43-_ZN7rocprim17ROCPRIM_400000_NS6detail17trampoline_kernelINS0_14default_configENS1_25partition_config_selectorILNS1_17partition_subalgoE8EbNS0_10empty_typeEbEEZZNS1_14partition_implILS5_8ELb0ES3_jN6hipcub16HIPCUB_304000_NS22TransformInputIteratorIbN2at6native8internal12_GLOBAL__N_110LoadBoolOpEPKhlEEPS6_PKS6_NS0_5tupleIJPbS6_EEENSN_IJSK_SK_EEENS0_18inequality_wrapperINSA_8EqualityEEEPlJS6_EEE10hipError_tPvRmT3_T4_T5_T6_T7_T9_mT8_P12ihipStream_tbDpT10_ENKUlT_T0_E_clISt17integral_constantIbLb0EES1D_IbLb1EEEEDaS19_S1A_EUlS19_E_NS1_11comp_targetILNS1_3genE3ELNS1_11target_archE908ELNS1_3gpuE7ELNS1_3repE0EEENS1_30default_config_static_selectorELNS0_4arch9wavefront6targetE1EEEvT1_
                                        ; -- End function
	.section	.AMDGPU.csdata,"",@progbits
; Kernel info:
; codeLenInByte = 0
; NumSgprs: 6
; NumVgprs: 0
; NumAgprs: 0
; TotalNumVgprs: 0
; ScratchSize: 0
; MemoryBound: 0
; FloatMode: 240
; IeeeMode: 1
; LDSByteSize: 0 bytes/workgroup (compile time only)
; SGPRBlocks: 0
; VGPRBlocks: 0
; NumSGPRsForWavesPerEU: 6
; NumVGPRsForWavesPerEU: 1
; AccumOffset: 4
; Occupancy: 8
; WaveLimiterHint : 0
; COMPUTE_PGM_RSRC2:SCRATCH_EN: 0
; COMPUTE_PGM_RSRC2:USER_SGPR: 2
; COMPUTE_PGM_RSRC2:TRAP_HANDLER: 0
; COMPUTE_PGM_RSRC2:TGID_X_EN: 1
; COMPUTE_PGM_RSRC2:TGID_Y_EN: 0
; COMPUTE_PGM_RSRC2:TGID_Z_EN: 0
; COMPUTE_PGM_RSRC2:TIDIG_COMP_CNT: 0
; COMPUTE_PGM_RSRC3_GFX90A:ACCUM_OFFSET: 0
; COMPUTE_PGM_RSRC3_GFX90A:TG_SPLIT: 0
	.section	.text._ZN7rocprim17ROCPRIM_400000_NS6detail17trampoline_kernelINS0_14default_configENS1_25partition_config_selectorILNS1_17partition_subalgoE8EbNS0_10empty_typeEbEEZZNS1_14partition_implILS5_8ELb0ES3_jN6hipcub16HIPCUB_304000_NS22TransformInputIteratorIbN2at6native8internal12_GLOBAL__N_110LoadBoolOpEPKhlEEPS6_PKS6_NS0_5tupleIJPbS6_EEENSN_IJSK_SK_EEENS0_18inequality_wrapperINSA_8EqualityEEEPlJS6_EEE10hipError_tPvRmT3_T4_T5_T6_T7_T9_mT8_P12ihipStream_tbDpT10_ENKUlT_T0_E_clISt17integral_constantIbLb0EES1D_IbLb1EEEEDaS19_S1A_EUlS19_E_NS1_11comp_targetILNS1_3genE2ELNS1_11target_archE906ELNS1_3gpuE6ELNS1_3repE0EEENS1_30default_config_static_selectorELNS0_4arch9wavefront6targetE1EEEvT1_,"axG",@progbits,_ZN7rocprim17ROCPRIM_400000_NS6detail17trampoline_kernelINS0_14default_configENS1_25partition_config_selectorILNS1_17partition_subalgoE8EbNS0_10empty_typeEbEEZZNS1_14partition_implILS5_8ELb0ES3_jN6hipcub16HIPCUB_304000_NS22TransformInputIteratorIbN2at6native8internal12_GLOBAL__N_110LoadBoolOpEPKhlEEPS6_PKS6_NS0_5tupleIJPbS6_EEENSN_IJSK_SK_EEENS0_18inequality_wrapperINSA_8EqualityEEEPlJS6_EEE10hipError_tPvRmT3_T4_T5_T6_T7_T9_mT8_P12ihipStream_tbDpT10_ENKUlT_T0_E_clISt17integral_constantIbLb0EES1D_IbLb1EEEEDaS19_S1A_EUlS19_E_NS1_11comp_targetILNS1_3genE2ELNS1_11target_archE906ELNS1_3gpuE6ELNS1_3repE0EEENS1_30default_config_static_selectorELNS0_4arch9wavefront6targetE1EEEvT1_,comdat
	.globl	_ZN7rocprim17ROCPRIM_400000_NS6detail17trampoline_kernelINS0_14default_configENS1_25partition_config_selectorILNS1_17partition_subalgoE8EbNS0_10empty_typeEbEEZZNS1_14partition_implILS5_8ELb0ES3_jN6hipcub16HIPCUB_304000_NS22TransformInputIteratorIbN2at6native8internal12_GLOBAL__N_110LoadBoolOpEPKhlEEPS6_PKS6_NS0_5tupleIJPbS6_EEENSN_IJSK_SK_EEENS0_18inequality_wrapperINSA_8EqualityEEEPlJS6_EEE10hipError_tPvRmT3_T4_T5_T6_T7_T9_mT8_P12ihipStream_tbDpT10_ENKUlT_T0_E_clISt17integral_constantIbLb0EES1D_IbLb1EEEEDaS19_S1A_EUlS19_E_NS1_11comp_targetILNS1_3genE2ELNS1_11target_archE906ELNS1_3gpuE6ELNS1_3repE0EEENS1_30default_config_static_selectorELNS0_4arch9wavefront6targetE1EEEvT1_ ; -- Begin function _ZN7rocprim17ROCPRIM_400000_NS6detail17trampoline_kernelINS0_14default_configENS1_25partition_config_selectorILNS1_17partition_subalgoE8EbNS0_10empty_typeEbEEZZNS1_14partition_implILS5_8ELb0ES3_jN6hipcub16HIPCUB_304000_NS22TransformInputIteratorIbN2at6native8internal12_GLOBAL__N_110LoadBoolOpEPKhlEEPS6_PKS6_NS0_5tupleIJPbS6_EEENSN_IJSK_SK_EEENS0_18inequality_wrapperINSA_8EqualityEEEPlJS6_EEE10hipError_tPvRmT3_T4_T5_T6_T7_T9_mT8_P12ihipStream_tbDpT10_ENKUlT_T0_E_clISt17integral_constantIbLb0EES1D_IbLb1EEEEDaS19_S1A_EUlS19_E_NS1_11comp_targetILNS1_3genE2ELNS1_11target_archE906ELNS1_3gpuE6ELNS1_3repE0EEENS1_30default_config_static_selectorELNS0_4arch9wavefront6targetE1EEEvT1_
	.p2align	8
	.type	_ZN7rocprim17ROCPRIM_400000_NS6detail17trampoline_kernelINS0_14default_configENS1_25partition_config_selectorILNS1_17partition_subalgoE8EbNS0_10empty_typeEbEEZZNS1_14partition_implILS5_8ELb0ES3_jN6hipcub16HIPCUB_304000_NS22TransformInputIteratorIbN2at6native8internal12_GLOBAL__N_110LoadBoolOpEPKhlEEPS6_PKS6_NS0_5tupleIJPbS6_EEENSN_IJSK_SK_EEENS0_18inequality_wrapperINSA_8EqualityEEEPlJS6_EEE10hipError_tPvRmT3_T4_T5_T6_T7_T9_mT8_P12ihipStream_tbDpT10_ENKUlT_T0_E_clISt17integral_constantIbLb0EES1D_IbLb1EEEEDaS19_S1A_EUlS19_E_NS1_11comp_targetILNS1_3genE2ELNS1_11target_archE906ELNS1_3gpuE6ELNS1_3repE0EEENS1_30default_config_static_selectorELNS0_4arch9wavefront6targetE1EEEvT1_,@function
_ZN7rocprim17ROCPRIM_400000_NS6detail17trampoline_kernelINS0_14default_configENS1_25partition_config_selectorILNS1_17partition_subalgoE8EbNS0_10empty_typeEbEEZZNS1_14partition_implILS5_8ELb0ES3_jN6hipcub16HIPCUB_304000_NS22TransformInputIteratorIbN2at6native8internal12_GLOBAL__N_110LoadBoolOpEPKhlEEPS6_PKS6_NS0_5tupleIJPbS6_EEENSN_IJSK_SK_EEENS0_18inequality_wrapperINSA_8EqualityEEEPlJS6_EEE10hipError_tPvRmT3_T4_T5_T6_T7_T9_mT8_P12ihipStream_tbDpT10_ENKUlT_T0_E_clISt17integral_constantIbLb0EES1D_IbLb1EEEEDaS19_S1A_EUlS19_E_NS1_11comp_targetILNS1_3genE2ELNS1_11target_archE906ELNS1_3gpuE6ELNS1_3repE0EEENS1_30default_config_static_selectorELNS0_4arch9wavefront6targetE1EEEvT1_: ; @_ZN7rocprim17ROCPRIM_400000_NS6detail17trampoline_kernelINS0_14default_configENS1_25partition_config_selectorILNS1_17partition_subalgoE8EbNS0_10empty_typeEbEEZZNS1_14partition_implILS5_8ELb0ES3_jN6hipcub16HIPCUB_304000_NS22TransformInputIteratorIbN2at6native8internal12_GLOBAL__N_110LoadBoolOpEPKhlEEPS6_PKS6_NS0_5tupleIJPbS6_EEENSN_IJSK_SK_EEENS0_18inequality_wrapperINSA_8EqualityEEEPlJS6_EEE10hipError_tPvRmT3_T4_T5_T6_T7_T9_mT8_P12ihipStream_tbDpT10_ENKUlT_T0_E_clISt17integral_constantIbLb0EES1D_IbLb1EEEEDaS19_S1A_EUlS19_E_NS1_11comp_targetILNS1_3genE2ELNS1_11target_archE906ELNS1_3gpuE6ELNS1_3repE0EEENS1_30default_config_static_selectorELNS0_4arch9wavefront6targetE1EEEvT1_
; %bb.0:
	.section	.rodata,"a",@progbits
	.p2align	6, 0x0
	.amdhsa_kernel _ZN7rocprim17ROCPRIM_400000_NS6detail17trampoline_kernelINS0_14default_configENS1_25partition_config_selectorILNS1_17partition_subalgoE8EbNS0_10empty_typeEbEEZZNS1_14partition_implILS5_8ELb0ES3_jN6hipcub16HIPCUB_304000_NS22TransformInputIteratorIbN2at6native8internal12_GLOBAL__N_110LoadBoolOpEPKhlEEPS6_PKS6_NS0_5tupleIJPbS6_EEENSN_IJSK_SK_EEENS0_18inequality_wrapperINSA_8EqualityEEEPlJS6_EEE10hipError_tPvRmT3_T4_T5_T6_T7_T9_mT8_P12ihipStream_tbDpT10_ENKUlT_T0_E_clISt17integral_constantIbLb0EES1D_IbLb1EEEEDaS19_S1A_EUlS19_E_NS1_11comp_targetILNS1_3genE2ELNS1_11target_archE906ELNS1_3gpuE6ELNS1_3repE0EEENS1_30default_config_static_selectorELNS0_4arch9wavefront6targetE1EEEvT1_
		.amdhsa_group_segment_fixed_size 0
		.amdhsa_private_segment_fixed_size 0
		.amdhsa_kernarg_size 136
		.amdhsa_user_sgpr_count 2
		.amdhsa_user_sgpr_dispatch_ptr 0
		.amdhsa_user_sgpr_queue_ptr 0
		.amdhsa_user_sgpr_kernarg_segment_ptr 1
		.amdhsa_user_sgpr_dispatch_id 0
		.amdhsa_user_sgpr_kernarg_preload_length 0
		.amdhsa_user_sgpr_kernarg_preload_offset 0
		.amdhsa_user_sgpr_private_segment_size 0
		.amdhsa_uses_dynamic_stack 0
		.amdhsa_enable_private_segment 0
		.amdhsa_system_sgpr_workgroup_id_x 1
		.amdhsa_system_sgpr_workgroup_id_y 0
		.amdhsa_system_sgpr_workgroup_id_z 0
		.amdhsa_system_sgpr_workgroup_info 0
		.amdhsa_system_vgpr_workitem_id 0
		.amdhsa_next_free_vgpr 1
		.amdhsa_next_free_sgpr 0
		.amdhsa_accum_offset 4
		.amdhsa_reserve_vcc 0
		.amdhsa_float_round_mode_32 0
		.amdhsa_float_round_mode_16_64 0
		.amdhsa_float_denorm_mode_32 3
		.amdhsa_float_denorm_mode_16_64 3
		.amdhsa_dx10_clamp 1
		.amdhsa_ieee_mode 1
		.amdhsa_fp16_overflow 0
		.amdhsa_tg_split 0
		.amdhsa_exception_fp_ieee_invalid_op 0
		.amdhsa_exception_fp_denorm_src 0
		.amdhsa_exception_fp_ieee_div_zero 0
		.amdhsa_exception_fp_ieee_overflow 0
		.amdhsa_exception_fp_ieee_underflow 0
		.amdhsa_exception_fp_ieee_inexact 0
		.amdhsa_exception_int_div_zero 0
	.end_amdhsa_kernel
	.section	.text._ZN7rocprim17ROCPRIM_400000_NS6detail17trampoline_kernelINS0_14default_configENS1_25partition_config_selectorILNS1_17partition_subalgoE8EbNS0_10empty_typeEbEEZZNS1_14partition_implILS5_8ELb0ES3_jN6hipcub16HIPCUB_304000_NS22TransformInputIteratorIbN2at6native8internal12_GLOBAL__N_110LoadBoolOpEPKhlEEPS6_PKS6_NS0_5tupleIJPbS6_EEENSN_IJSK_SK_EEENS0_18inequality_wrapperINSA_8EqualityEEEPlJS6_EEE10hipError_tPvRmT3_T4_T5_T6_T7_T9_mT8_P12ihipStream_tbDpT10_ENKUlT_T0_E_clISt17integral_constantIbLb0EES1D_IbLb1EEEEDaS19_S1A_EUlS19_E_NS1_11comp_targetILNS1_3genE2ELNS1_11target_archE906ELNS1_3gpuE6ELNS1_3repE0EEENS1_30default_config_static_selectorELNS0_4arch9wavefront6targetE1EEEvT1_,"axG",@progbits,_ZN7rocprim17ROCPRIM_400000_NS6detail17trampoline_kernelINS0_14default_configENS1_25partition_config_selectorILNS1_17partition_subalgoE8EbNS0_10empty_typeEbEEZZNS1_14partition_implILS5_8ELb0ES3_jN6hipcub16HIPCUB_304000_NS22TransformInputIteratorIbN2at6native8internal12_GLOBAL__N_110LoadBoolOpEPKhlEEPS6_PKS6_NS0_5tupleIJPbS6_EEENSN_IJSK_SK_EEENS0_18inequality_wrapperINSA_8EqualityEEEPlJS6_EEE10hipError_tPvRmT3_T4_T5_T6_T7_T9_mT8_P12ihipStream_tbDpT10_ENKUlT_T0_E_clISt17integral_constantIbLb0EES1D_IbLb1EEEEDaS19_S1A_EUlS19_E_NS1_11comp_targetILNS1_3genE2ELNS1_11target_archE906ELNS1_3gpuE6ELNS1_3repE0EEENS1_30default_config_static_selectorELNS0_4arch9wavefront6targetE1EEEvT1_,comdat
.Lfunc_end44:
	.size	_ZN7rocprim17ROCPRIM_400000_NS6detail17trampoline_kernelINS0_14default_configENS1_25partition_config_selectorILNS1_17partition_subalgoE8EbNS0_10empty_typeEbEEZZNS1_14partition_implILS5_8ELb0ES3_jN6hipcub16HIPCUB_304000_NS22TransformInputIteratorIbN2at6native8internal12_GLOBAL__N_110LoadBoolOpEPKhlEEPS6_PKS6_NS0_5tupleIJPbS6_EEENSN_IJSK_SK_EEENS0_18inequality_wrapperINSA_8EqualityEEEPlJS6_EEE10hipError_tPvRmT3_T4_T5_T6_T7_T9_mT8_P12ihipStream_tbDpT10_ENKUlT_T0_E_clISt17integral_constantIbLb0EES1D_IbLb1EEEEDaS19_S1A_EUlS19_E_NS1_11comp_targetILNS1_3genE2ELNS1_11target_archE906ELNS1_3gpuE6ELNS1_3repE0EEENS1_30default_config_static_selectorELNS0_4arch9wavefront6targetE1EEEvT1_, .Lfunc_end44-_ZN7rocprim17ROCPRIM_400000_NS6detail17trampoline_kernelINS0_14default_configENS1_25partition_config_selectorILNS1_17partition_subalgoE8EbNS0_10empty_typeEbEEZZNS1_14partition_implILS5_8ELb0ES3_jN6hipcub16HIPCUB_304000_NS22TransformInputIteratorIbN2at6native8internal12_GLOBAL__N_110LoadBoolOpEPKhlEEPS6_PKS6_NS0_5tupleIJPbS6_EEENSN_IJSK_SK_EEENS0_18inequality_wrapperINSA_8EqualityEEEPlJS6_EEE10hipError_tPvRmT3_T4_T5_T6_T7_T9_mT8_P12ihipStream_tbDpT10_ENKUlT_T0_E_clISt17integral_constantIbLb0EES1D_IbLb1EEEEDaS19_S1A_EUlS19_E_NS1_11comp_targetILNS1_3genE2ELNS1_11target_archE906ELNS1_3gpuE6ELNS1_3repE0EEENS1_30default_config_static_selectorELNS0_4arch9wavefront6targetE1EEEvT1_
                                        ; -- End function
	.section	.AMDGPU.csdata,"",@progbits
; Kernel info:
; codeLenInByte = 0
; NumSgprs: 6
; NumVgprs: 0
; NumAgprs: 0
; TotalNumVgprs: 0
; ScratchSize: 0
; MemoryBound: 0
; FloatMode: 240
; IeeeMode: 1
; LDSByteSize: 0 bytes/workgroup (compile time only)
; SGPRBlocks: 0
; VGPRBlocks: 0
; NumSGPRsForWavesPerEU: 6
; NumVGPRsForWavesPerEU: 1
; AccumOffset: 4
; Occupancy: 8
; WaveLimiterHint : 0
; COMPUTE_PGM_RSRC2:SCRATCH_EN: 0
; COMPUTE_PGM_RSRC2:USER_SGPR: 2
; COMPUTE_PGM_RSRC2:TRAP_HANDLER: 0
; COMPUTE_PGM_RSRC2:TGID_X_EN: 1
; COMPUTE_PGM_RSRC2:TGID_Y_EN: 0
; COMPUTE_PGM_RSRC2:TGID_Z_EN: 0
; COMPUTE_PGM_RSRC2:TIDIG_COMP_CNT: 0
; COMPUTE_PGM_RSRC3_GFX90A:ACCUM_OFFSET: 0
; COMPUTE_PGM_RSRC3_GFX90A:TG_SPLIT: 0
	.section	.text._ZN7rocprim17ROCPRIM_400000_NS6detail17trampoline_kernelINS0_14default_configENS1_25partition_config_selectorILNS1_17partition_subalgoE8EbNS0_10empty_typeEbEEZZNS1_14partition_implILS5_8ELb0ES3_jN6hipcub16HIPCUB_304000_NS22TransformInputIteratorIbN2at6native8internal12_GLOBAL__N_110LoadBoolOpEPKhlEEPS6_PKS6_NS0_5tupleIJPbS6_EEENSN_IJSK_SK_EEENS0_18inequality_wrapperINSA_8EqualityEEEPlJS6_EEE10hipError_tPvRmT3_T4_T5_T6_T7_T9_mT8_P12ihipStream_tbDpT10_ENKUlT_T0_E_clISt17integral_constantIbLb0EES1D_IbLb1EEEEDaS19_S1A_EUlS19_E_NS1_11comp_targetILNS1_3genE10ELNS1_11target_archE1200ELNS1_3gpuE4ELNS1_3repE0EEENS1_30default_config_static_selectorELNS0_4arch9wavefront6targetE1EEEvT1_,"axG",@progbits,_ZN7rocprim17ROCPRIM_400000_NS6detail17trampoline_kernelINS0_14default_configENS1_25partition_config_selectorILNS1_17partition_subalgoE8EbNS0_10empty_typeEbEEZZNS1_14partition_implILS5_8ELb0ES3_jN6hipcub16HIPCUB_304000_NS22TransformInputIteratorIbN2at6native8internal12_GLOBAL__N_110LoadBoolOpEPKhlEEPS6_PKS6_NS0_5tupleIJPbS6_EEENSN_IJSK_SK_EEENS0_18inequality_wrapperINSA_8EqualityEEEPlJS6_EEE10hipError_tPvRmT3_T4_T5_T6_T7_T9_mT8_P12ihipStream_tbDpT10_ENKUlT_T0_E_clISt17integral_constantIbLb0EES1D_IbLb1EEEEDaS19_S1A_EUlS19_E_NS1_11comp_targetILNS1_3genE10ELNS1_11target_archE1200ELNS1_3gpuE4ELNS1_3repE0EEENS1_30default_config_static_selectorELNS0_4arch9wavefront6targetE1EEEvT1_,comdat
	.globl	_ZN7rocprim17ROCPRIM_400000_NS6detail17trampoline_kernelINS0_14default_configENS1_25partition_config_selectorILNS1_17partition_subalgoE8EbNS0_10empty_typeEbEEZZNS1_14partition_implILS5_8ELb0ES3_jN6hipcub16HIPCUB_304000_NS22TransformInputIteratorIbN2at6native8internal12_GLOBAL__N_110LoadBoolOpEPKhlEEPS6_PKS6_NS0_5tupleIJPbS6_EEENSN_IJSK_SK_EEENS0_18inequality_wrapperINSA_8EqualityEEEPlJS6_EEE10hipError_tPvRmT3_T4_T5_T6_T7_T9_mT8_P12ihipStream_tbDpT10_ENKUlT_T0_E_clISt17integral_constantIbLb0EES1D_IbLb1EEEEDaS19_S1A_EUlS19_E_NS1_11comp_targetILNS1_3genE10ELNS1_11target_archE1200ELNS1_3gpuE4ELNS1_3repE0EEENS1_30default_config_static_selectorELNS0_4arch9wavefront6targetE1EEEvT1_ ; -- Begin function _ZN7rocprim17ROCPRIM_400000_NS6detail17trampoline_kernelINS0_14default_configENS1_25partition_config_selectorILNS1_17partition_subalgoE8EbNS0_10empty_typeEbEEZZNS1_14partition_implILS5_8ELb0ES3_jN6hipcub16HIPCUB_304000_NS22TransformInputIteratorIbN2at6native8internal12_GLOBAL__N_110LoadBoolOpEPKhlEEPS6_PKS6_NS0_5tupleIJPbS6_EEENSN_IJSK_SK_EEENS0_18inequality_wrapperINSA_8EqualityEEEPlJS6_EEE10hipError_tPvRmT3_T4_T5_T6_T7_T9_mT8_P12ihipStream_tbDpT10_ENKUlT_T0_E_clISt17integral_constantIbLb0EES1D_IbLb1EEEEDaS19_S1A_EUlS19_E_NS1_11comp_targetILNS1_3genE10ELNS1_11target_archE1200ELNS1_3gpuE4ELNS1_3repE0EEENS1_30default_config_static_selectorELNS0_4arch9wavefront6targetE1EEEvT1_
	.p2align	8
	.type	_ZN7rocprim17ROCPRIM_400000_NS6detail17trampoline_kernelINS0_14default_configENS1_25partition_config_selectorILNS1_17partition_subalgoE8EbNS0_10empty_typeEbEEZZNS1_14partition_implILS5_8ELb0ES3_jN6hipcub16HIPCUB_304000_NS22TransformInputIteratorIbN2at6native8internal12_GLOBAL__N_110LoadBoolOpEPKhlEEPS6_PKS6_NS0_5tupleIJPbS6_EEENSN_IJSK_SK_EEENS0_18inequality_wrapperINSA_8EqualityEEEPlJS6_EEE10hipError_tPvRmT3_T4_T5_T6_T7_T9_mT8_P12ihipStream_tbDpT10_ENKUlT_T0_E_clISt17integral_constantIbLb0EES1D_IbLb1EEEEDaS19_S1A_EUlS19_E_NS1_11comp_targetILNS1_3genE10ELNS1_11target_archE1200ELNS1_3gpuE4ELNS1_3repE0EEENS1_30default_config_static_selectorELNS0_4arch9wavefront6targetE1EEEvT1_,@function
_ZN7rocprim17ROCPRIM_400000_NS6detail17trampoline_kernelINS0_14default_configENS1_25partition_config_selectorILNS1_17partition_subalgoE8EbNS0_10empty_typeEbEEZZNS1_14partition_implILS5_8ELb0ES3_jN6hipcub16HIPCUB_304000_NS22TransformInputIteratorIbN2at6native8internal12_GLOBAL__N_110LoadBoolOpEPKhlEEPS6_PKS6_NS0_5tupleIJPbS6_EEENSN_IJSK_SK_EEENS0_18inequality_wrapperINSA_8EqualityEEEPlJS6_EEE10hipError_tPvRmT3_T4_T5_T6_T7_T9_mT8_P12ihipStream_tbDpT10_ENKUlT_T0_E_clISt17integral_constantIbLb0EES1D_IbLb1EEEEDaS19_S1A_EUlS19_E_NS1_11comp_targetILNS1_3genE10ELNS1_11target_archE1200ELNS1_3gpuE4ELNS1_3repE0EEENS1_30default_config_static_selectorELNS0_4arch9wavefront6targetE1EEEvT1_: ; @_ZN7rocprim17ROCPRIM_400000_NS6detail17trampoline_kernelINS0_14default_configENS1_25partition_config_selectorILNS1_17partition_subalgoE8EbNS0_10empty_typeEbEEZZNS1_14partition_implILS5_8ELb0ES3_jN6hipcub16HIPCUB_304000_NS22TransformInputIteratorIbN2at6native8internal12_GLOBAL__N_110LoadBoolOpEPKhlEEPS6_PKS6_NS0_5tupleIJPbS6_EEENSN_IJSK_SK_EEENS0_18inequality_wrapperINSA_8EqualityEEEPlJS6_EEE10hipError_tPvRmT3_T4_T5_T6_T7_T9_mT8_P12ihipStream_tbDpT10_ENKUlT_T0_E_clISt17integral_constantIbLb0EES1D_IbLb1EEEEDaS19_S1A_EUlS19_E_NS1_11comp_targetILNS1_3genE10ELNS1_11target_archE1200ELNS1_3gpuE4ELNS1_3repE0EEENS1_30default_config_static_selectorELNS0_4arch9wavefront6targetE1EEEvT1_
; %bb.0:
	.section	.rodata,"a",@progbits
	.p2align	6, 0x0
	.amdhsa_kernel _ZN7rocprim17ROCPRIM_400000_NS6detail17trampoline_kernelINS0_14default_configENS1_25partition_config_selectorILNS1_17partition_subalgoE8EbNS0_10empty_typeEbEEZZNS1_14partition_implILS5_8ELb0ES3_jN6hipcub16HIPCUB_304000_NS22TransformInputIteratorIbN2at6native8internal12_GLOBAL__N_110LoadBoolOpEPKhlEEPS6_PKS6_NS0_5tupleIJPbS6_EEENSN_IJSK_SK_EEENS0_18inequality_wrapperINSA_8EqualityEEEPlJS6_EEE10hipError_tPvRmT3_T4_T5_T6_T7_T9_mT8_P12ihipStream_tbDpT10_ENKUlT_T0_E_clISt17integral_constantIbLb0EES1D_IbLb1EEEEDaS19_S1A_EUlS19_E_NS1_11comp_targetILNS1_3genE10ELNS1_11target_archE1200ELNS1_3gpuE4ELNS1_3repE0EEENS1_30default_config_static_selectorELNS0_4arch9wavefront6targetE1EEEvT1_
		.amdhsa_group_segment_fixed_size 0
		.amdhsa_private_segment_fixed_size 0
		.amdhsa_kernarg_size 136
		.amdhsa_user_sgpr_count 2
		.amdhsa_user_sgpr_dispatch_ptr 0
		.amdhsa_user_sgpr_queue_ptr 0
		.amdhsa_user_sgpr_kernarg_segment_ptr 1
		.amdhsa_user_sgpr_dispatch_id 0
		.amdhsa_user_sgpr_kernarg_preload_length 0
		.amdhsa_user_sgpr_kernarg_preload_offset 0
		.amdhsa_user_sgpr_private_segment_size 0
		.amdhsa_uses_dynamic_stack 0
		.amdhsa_enable_private_segment 0
		.amdhsa_system_sgpr_workgroup_id_x 1
		.amdhsa_system_sgpr_workgroup_id_y 0
		.amdhsa_system_sgpr_workgroup_id_z 0
		.amdhsa_system_sgpr_workgroup_info 0
		.amdhsa_system_vgpr_workitem_id 0
		.amdhsa_next_free_vgpr 1
		.amdhsa_next_free_sgpr 0
		.amdhsa_accum_offset 4
		.amdhsa_reserve_vcc 0
		.amdhsa_float_round_mode_32 0
		.amdhsa_float_round_mode_16_64 0
		.amdhsa_float_denorm_mode_32 3
		.amdhsa_float_denorm_mode_16_64 3
		.amdhsa_dx10_clamp 1
		.amdhsa_ieee_mode 1
		.amdhsa_fp16_overflow 0
		.amdhsa_tg_split 0
		.amdhsa_exception_fp_ieee_invalid_op 0
		.amdhsa_exception_fp_denorm_src 0
		.amdhsa_exception_fp_ieee_div_zero 0
		.amdhsa_exception_fp_ieee_overflow 0
		.amdhsa_exception_fp_ieee_underflow 0
		.amdhsa_exception_fp_ieee_inexact 0
		.amdhsa_exception_int_div_zero 0
	.end_amdhsa_kernel
	.section	.text._ZN7rocprim17ROCPRIM_400000_NS6detail17trampoline_kernelINS0_14default_configENS1_25partition_config_selectorILNS1_17partition_subalgoE8EbNS0_10empty_typeEbEEZZNS1_14partition_implILS5_8ELb0ES3_jN6hipcub16HIPCUB_304000_NS22TransformInputIteratorIbN2at6native8internal12_GLOBAL__N_110LoadBoolOpEPKhlEEPS6_PKS6_NS0_5tupleIJPbS6_EEENSN_IJSK_SK_EEENS0_18inequality_wrapperINSA_8EqualityEEEPlJS6_EEE10hipError_tPvRmT3_T4_T5_T6_T7_T9_mT8_P12ihipStream_tbDpT10_ENKUlT_T0_E_clISt17integral_constantIbLb0EES1D_IbLb1EEEEDaS19_S1A_EUlS19_E_NS1_11comp_targetILNS1_3genE10ELNS1_11target_archE1200ELNS1_3gpuE4ELNS1_3repE0EEENS1_30default_config_static_selectorELNS0_4arch9wavefront6targetE1EEEvT1_,"axG",@progbits,_ZN7rocprim17ROCPRIM_400000_NS6detail17trampoline_kernelINS0_14default_configENS1_25partition_config_selectorILNS1_17partition_subalgoE8EbNS0_10empty_typeEbEEZZNS1_14partition_implILS5_8ELb0ES3_jN6hipcub16HIPCUB_304000_NS22TransformInputIteratorIbN2at6native8internal12_GLOBAL__N_110LoadBoolOpEPKhlEEPS6_PKS6_NS0_5tupleIJPbS6_EEENSN_IJSK_SK_EEENS0_18inequality_wrapperINSA_8EqualityEEEPlJS6_EEE10hipError_tPvRmT3_T4_T5_T6_T7_T9_mT8_P12ihipStream_tbDpT10_ENKUlT_T0_E_clISt17integral_constantIbLb0EES1D_IbLb1EEEEDaS19_S1A_EUlS19_E_NS1_11comp_targetILNS1_3genE10ELNS1_11target_archE1200ELNS1_3gpuE4ELNS1_3repE0EEENS1_30default_config_static_selectorELNS0_4arch9wavefront6targetE1EEEvT1_,comdat
.Lfunc_end45:
	.size	_ZN7rocprim17ROCPRIM_400000_NS6detail17trampoline_kernelINS0_14default_configENS1_25partition_config_selectorILNS1_17partition_subalgoE8EbNS0_10empty_typeEbEEZZNS1_14partition_implILS5_8ELb0ES3_jN6hipcub16HIPCUB_304000_NS22TransformInputIteratorIbN2at6native8internal12_GLOBAL__N_110LoadBoolOpEPKhlEEPS6_PKS6_NS0_5tupleIJPbS6_EEENSN_IJSK_SK_EEENS0_18inequality_wrapperINSA_8EqualityEEEPlJS6_EEE10hipError_tPvRmT3_T4_T5_T6_T7_T9_mT8_P12ihipStream_tbDpT10_ENKUlT_T0_E_clISt17integral_constantIbLb0EES1D_IbLb1EEEEDaS19_S1A_EUlS19_E_NS1_11comp_targetILNS1_3genE10ELNS1_11target_archE1200ELNS1_3gpuE4ELNS1_3repE0EEENS1_30default_config_static_selectorELNS0_4arch9wavefront6targetE1EEEvT1_, .Lfunc_end45-_ZN7rocprim17ROCPRIM_400000_NS6detail17trampoline_kernelINS0_14default_configENS1_25partition_config_selectorILNS1_17partition_subalgoE8EbNS0_10empty_typeEbEEZZNS1_14partition_implILS5_8ELb0ES3_jN6hipcub16HIPCUB_304000_NS22TransformInputIteratorIbN2at6native8internal12_GLOBAL__N_110LoadBoolOpEPKhlEEPS6_PKS6_NS0_5tupleIJPbS6_EEENSN_IJSK_SK_EEENS0_18inequality_wrapperINSA_8EqualityEEEPlJS6_EEE10hipError_tPvRmT3_T4_T5_T6_T7_T9_mT8_P12ihipStream_tbDpT10_ENKUlT_T0_E_clISt17integral_constantIbLb0EES1D_IbLb1EEEEDaS19_S1A_EUlS19_E_NS1_11comp_targetILNS1_3genE10ELNS1_11target_archE1200ELNS1_3gpuE4ELNS1_3repE0EEENS1_30default_config_static_selectorELNS0_4arch9wavefront6targetE1EEEvT1_
                                        ; -- End function
	.section	.AMDGPU.csdata,"",@progbits
; Kernel info:
; codeLenInByte = 0
; NumSgprs: 6
; NumVgprs: 0
; NumAgprs: 0
; TotalNumVgprs: 0
; ScratchSize: 0
; MemoryBound: 0
; FloatMode: 240
; IeeeMode: 1
; LDSByteSize: 0 bytes/workgroup (compile time only)
; SGPRBlocks: 0
; VGPRBlocks: 0
; NumSGPRsForWavesPerEU: 6
; NumVGPRsForWavesPerEU: 1
; AccumOffset: 4
; Occupancy: 8
; WaveLimiterHint : 0
; COMPUTE_PGM_RSRC2:SCRATCH_EN: 0
; COMPUTE_PGM_RSRC2:USER_SGPR: 2
; COMPUTE_PGM_RSRC2:TRAP_HANDLER: 0
; COMPUTE_PGM_RSRC2:TGID_X_EN: 1
; COMPUTE_PGM_RSRC2:TGID_Y_EN: 0
; COMPUTE_PGM_RSRC2:TGID_Z_EN: 0
; COMPUTE_PGM_RSRC2:TIDIG_COMP_CNT: 0
; COMPUTE_PGM_RSRC3_GFX90A:ACCUM_OFFSET: 0
; COMPUTE_PGM_RSRC3_GFX90A:TG_SPLIT: 0
	.section	.text._ZN7rocprim17ROCPRIM_400000_NS6detail17trampoline_kernelINS0_14default_configENS1_25partition_config_selectorILNS1_17partition_subalgoE8EbNS0_10empty_typeEbEEZZNS1_14partition_implILS5_8ELb0ES3_jN6hipcub16HIPCUB_304000_NS22TransformInputIteratorIbN2at6native8internal12_GLOBAL__N_110LoadBoolOpEPKhlEEPS6_PKS6_NS0_5tupleIJPbS6_EEENSN_IJSK_SK_EEENS0_18inequality_wrapperINSA_8EqualityEEEPlJS6_EEE10hipError_tPvRmT3_T4_T5_T6_T7_T9_mT8_P12ihipStream_tbDpT10_ENKUlT_T0_E_clISt17integral_constantIbLb0EES1D_IbLb1EEEEDaS19_S1A_EUlS19_E_NS1_11comp_targetILNS1_3genE9ELNS1_11target_archE1100ELNS1_3gpuE3ELNS1_3repE0EEENS1_30default_config_static_selectorELNS0_4arch9wavefront6targetE1EEEvT1_,"axG",@progbits,_ZN7rocprim17ROCPRIM_400000_NS6detail17trampoline_kernelINS0_14default_configENS1_25partition_config_selectorILNS1_17partition_subalgoE8EbNS0_10empty_typeEbEEZZNS1_14partition_implILS5_8ELb0ES3_jN6hipcub16HIPCUB_304000_NS22TransformInputIteratorIbN2at6native8internal12_GLOBAL__N_110LoadBoolOpEPKhlEEPS6_PKS6_NS0_5tupleIJPbS6_EEENSN_IJSK_SK_EEENS0_18inequality_wrapperINSA_8EqualityEEEPlJS6_EEE10hipError_tPvRmT3_T4_T5_T6_T7_T9_mT8_P12ihipStream_tbDpT10_ENKUlT_T0_E_clISt17integral_constantIbLb0EES1D_IbLb1EEEEDaS19_S1A_EUlS19_E_NS1_11comp_targetILNS1_3genE9ELNS1_11target_archE1100ELNS1_3gpuE3ELNS1_3repE0EEENS1_30default_config_static_selectorELNS0_4arch9wavefront6targetE1EEEvT1_,comdat
	.globl	_ZN7rocprim17ROCPRIM_400000_NS6detail17trampoline_kernelINS0_14default_configENS1_25partition_config_selectorILNS1_17partition_subalgoE8EbNS0_10empty_typeEbEEZZNS1_14partition_implILS5_8ELb0ES3_jN6hipcub16HIPCUB_304000_NS22TransformInputIteratorIbN2at6native8internal12_GLOBAL__N_110LoadBoolOpEPKhlEEPS6_PKS6_NS0_5tupleIJPbS6_EEENSN_IJSK_SK_EEENS0_18inequality_wrapperINSA_8EqualityEEEPlJS6_EEE10hipError_tPvRmT3_T4_T5_T6_T7_T9_mT8_P12ihipStream_tbDpT10_ENKUlT_T0_E_clISt17integral_constantIbLb0EES1D_IbLb1EEEEDaS19_S1A_EUlS19_E_NS1_11comp_targetILNS1_3genE9ELNS1_11target_archE1100ELNS1_3gpuE3ELNS1_3repE0EEENS1_30default_config_static_selectorELNS0_4arch9wavefront6targetE1EEEvT1_ ; -- Begin function _ZN7rocprim17ROCPRIM_400000_NS6detail17trampoline_kernelINS0_14default_configENS1_25partition_config_selectorILNS1_17partition_subalgoE8EbNS0_10empty_typeEbEEZZNS1_14partition_implILS5_8ELb0ES3_jN6hipcub16HIPCUB_304000_NS22TransformInputIteratorIbN2at6native8internal12_GLOBAL__N_110LoadBoolOpEPKhlEEPS6_PKS6_NS0_5tupleIJPbS6_EEENSN_IJSK_SK_EEENS0_18inequality_wrapperINSA_8EqualityEEEPlJS6_EEE10hipError_tPvRmT3_T4_T5_T6_T7_T9_mT8_P12ihipStream_tbDpT10_ENKUlT_T0_E_clISt17integral_constantIbLb0EES1D_IbLb1EEEEDaS19_S1A_EUlS19_E_NS1_11comp_targetILNS1_3genE9ELNS1_11target_archE1100ELNS1_3gpuE3ELNS1_3repE0EEENS1_30default_config_static_selectorELNS0_4arch9wavefront6targetE1EEEvT1_
	.p2align	8
	.type	_ZN7rocprim17ROCPRIM_400000_NS6detail17trampoline_kernelINS0_14default_configENS1_25partition_config_selectorILNS1_17partition_subalgoE8EbNS0_10empty_typeEbEEZZNS1_14partition_implILS5_8ELb0ES3_jN6hipcub16HIPCUB_304000_NS22TransformInputIteratorIbN2at6native8internal12_GLOBAL__N_110LoadBoolOpEPKhlEEPS6_PKS6_NS0_5tupleIJPbS6_EEENSN_IJSK_SK_EEENS0_18inequality_wrapperINSA_8EqualityEEEPlJS6_EEE10hipError_tPvRmT3_T4_T5_T6_T7_T9_mT8_P12ihipStream_tbDpT10_ENKUlT_T0_E_clISt17integral_constantIbLb0EES1D_IbLb1EEEEDaS19_S1A_EUlS19_E_NS1_11comp_targetILNS1_3genE9ELNS1_11target_archE1100ELNS1_3gpuE3ELNS1_3repE0EEENS1_30default_config_static_selectorELNS0_4arch9wavefront6targetE1EEEvT1_,@function
_ZN7rocprim17ROCPRIM_400000_NS6detail17trampoline_kernelINS0_14default_configENS1_25partition_config_selectorILNS1_17partition_subalgoE8EbNS0_10empty_typeEbEEZZNS1_14partition_implILS5_8ELb0ES3_jN6hipcub16HIPCUB_304000_NS22TransformInputIteratorIbN2at6native8internal12_GLOBAL__N_110LoadBoolOpEPKhlEEPS6_PKS6_NS0_5tupleIJPbS6_EEENSN_IJSK_SK_EEENS0_18inequality_wrapperINSA_8EqualityEEEPlJS6_EEE10hipError_tPvRmT3_T4_T5_T6_T7_T9_mT8_P12ihipStream_tbDpT10_ENKUlT_T0_E_clISt17integral_constantIbLb0EES1D_IbLb1EEEEDaS19_S1A_EUlS19_E_NS1_11comp_targetILNS1_3genE9ELNS1_11target_archE1100ELNS1_3gpuE3ELNS1_3repE0EEENS1_30default_config_static_selectorELNS0_4arch9wavefront6targetE1EEEvT1_: ; @_ZN7rocprim17ROCPRIM_400000_NS6detail17trampoline_kernelINS0_14default_configENS1_25partition_config_selectorILNS1_17partition_subalgoE8EbNS0_10empty_typeEbEEZZNS1_14partition_implILS5_8ELb0ES3_jN6hipcub16HIPCUB_304000_NS22TransformInputIteratorIbN2at6native8internal12_GLOBAL__N_110LoadBoolOpEPKhlEEPS6_PKS6_NS0_5tupleIJPbS6_EEENSN_IJSK_SK_EEENS0_18inequality_wrapperINSA_8EqualityEEEPlJS6_EEE10hipError_tPvRmT3_T4_T5_T6_T7_T9_mT8_P12ihipStream_tbDpT10_ENKUlT_T0_E_clISt17integral_constantIbLb0EES1D_IbLb1EEEEDaS19_S1A_EUlS19_E_NS1_11comp_targetILNS1_3genE9ELNS1_11target_archE1100ELNS1_3gpuE3ELNS1_3repE0EEENS1_30default_config_static_selectorELNS0_4arch9wavefront6targetE1EEEvT1_
; %bb.0:
	.section	.rodata,"a",@progbits
	.p2align	6, 0x0
	.amdhsa_kernel _ZN7rocprim17ROCPRIM_400000_NS6detail17trampoline_kernelINS0_14default_configENS1_25partition_config_selectorILNS1_17partition_subalgoE8EbNS0_10empty_typeEbEEZZNS1_14partition_implILS5_8ELb0ES3_jN6hipcub16HIPCUB_304000_NS22TransformInputIteratorIbN2at6native8internal12_GLOBAL__N_110LoadBoolOpEPKhlEEPS6_PKS6_NS0_5tupleIJPbS6_EEENSN_IJSK_SK_EEENS0_18inequality_wrapperINSA_8EqualityEEEPlJS6_EEE10hipError_tPvRmT3_T4_T5_T6_T7_T9_mT8_P12ihipStream_tbDpT10_ENKUlT_T0_E_clISt17integral_constantIbLb0EES1D_IbLb1EEEEDaS19_S1A_EUlS19_E_NS1_11comp_targetILNS1_3genE9ELNS1_11target_archE1100ELNS1_3gpuE3ELNS1_3repE0EEENS1_30default_config_static_selectorELNS0_4arch9wavefront6targetE1EEEvT1_
		.amdhsa_group_segment_fixed_size 0
		.amdhsa_private_segment_fixed_size 0
		.amdhsa_kernarg_size 136
		.amdhsa_user_sgpr_count 2
		.amdhsa_user_sgpr_dispatch_ptr 0
		.amdhsa_user_sgpr_queue_ptr 0
		.amdhsa_user_sgpr_kernarg_segment_ptr 1
		.amdhsa_user_sgpr_dispatch_id 0
		.amdhsa_user_sgpr_kernarg_preload_length 0
		.amdhsa_user_sgpr_kernarg_preload_offset 0
		.amdhsa_user_sgpr_private_segment_size 0
		.amdhsa_uses_dynamic_stack 0
		.amdhsa_enable_private_segment 0
		.amdhsa_system_sgpr_workgroup_id_x 1
		.amdhsa_system_sgpr_workgroup_id_y 0
		.amdhsa_system_sgpr_workgroup_id_z 0
		.amdhsa_system_sgpr_workgroup_info 0
		.amdhsa_system_vgpr_workitem_id 0
		.amdhsa_next_free_vgpr 1
		.amdhsa_next_free_sgpr 0
		.amdhsa_accum_offset 4
		.amdhsa_reserve_vcc 0
		.amdhsa_float_round_mode_32 0
		.amdhsa_float_round_mode_16_64 0
		.amdhsa_float_denorm_mode_32 3
		.amdhsa_float_denorm_mode_16_64 3
		.amdhsa_dx10_clamp 1
		.amdhsa_ieee_mode 1
		.amdhsa_fp16_overflow 0
		.amdhsa_tg_split 0
		.amdhsa_exception_fp_ieee_invalid_op 0
		.amdhsa_exception_fp_denorm_src 0
		.amdhsa_exception_fp_ieee_div_zero 0
		.amdhsa_exception_fp_ieee_overflow 0
		.amdhsa_exception_fp_ieee_underflow 0
		.amdhsa_exception_fp_ieee_inexact 0
		.amdhsa_exception_int_div_zero 0
	.end_amdhsa_kernel
	.section	.text._ZN7rocprim17ROCPRIM_400000_NS6detail17trampoline_kernelINS0_14default_configENS1_25partition_config_selectorILNS1_17partition_subalgoE8EbNS0_10empty_typeEbEEZZNS1_14partition_implILS5_8ELb0ES3_jN6hipcub16HIPCUB_304000_NS22TransformInputIteratorIbN2at6native8internal12_GLOBAL__N_110LoadBoolOpEPKhlEEPS6_PKS6_NS0_5tupleIJPbS6_EEENSN_IJSK_SK_EEENS0_18inequality_wrapperINSA_8EqualityEEEPlJS6_EEE10hipError_tPvRmT3_T4_T5_T6_T7_T9_mT8_P12ihipStream_tbDpT10_ENKUlT_T0_E_clISt17integral_constantIbLb0EES1D_IbLb1EEEEDaS19_S1A_EUlS19_E_NS1_11comp_targetILNS1_3genE9ELNS1_11target_archE1100ELNS1_3gpuE3ELNS1_3repE0EEENS1_30default_config_static_selectorELNS0_4arch9wavefront6targetE1EEEvT1_,"axG",@progbits,_ZN7rocprim17ROCPRIM_400000_NS6detail17trampoline_kernelINS0_14default_configENS1_25partition_config_selectorILNS1_17partition_subalgoE8EbNS0_10empty_typeEbEEZZNS1_14partition_implILS5_8ELb0ES3_jN6hipcub16HIPCUB_304000_NS22TransformInputIteratorIbN2at6native8internal12_GLOBAL__N_110LoadBoolOpEPKhlEEPS6_PKS6_NS0_5tupleIJPbS6_EEENSN_IJSK_SK_EEENS0_18inequality_wrapperINSA_8EqualityEEEPlJS6_EEE10hipError_tPvRmT3_T4_T5_T6_T7_T9_mT8_P12ihipStream_tbDpT10_ENKUlT_T0_E_clISt17integral_constantIbLb0EES1D_IbLb1EEEEDaS19_S1A_EUlS19_E_NS1_11comp_targetILNS1_3genE9ELNS1_11target_archE1100ELNS1_3gpuE3ELNS1_3repE0EEENS1_30default_config_static_selectorELNS0_4arch9wavefront6targetE1EEEvT1_,comdat
.Lfunc_end46:
	.size	_ZN7rocprim17ROCPRIM_400000_NS6detail17trampoline_kernelINS0_14default_configENS1_25partition_config_selectorILNS1_17partition_subalgoE8EbNS0_10empty_typeEbEEZZNS1_14partition_implILS5_8ELb0ES3_jN6hipcub16HIPCUB_304000_NS22TransformInputIteratorIbN2at6native8internal12_GLOBAL__N_110LoadBoolOpEPKhlEEPS6_PKS6_NS0_5tupleIJPbS6_EEENSN_IJSK_SK_EEENS0_18inequality_wrapperINSA_8EqualityEEEPlJS6_EEE10hipError_tPvRmT3_T4_T5_T6_T7_T9_mT8_P12ihipStream_tbDpT10_ENKUlT_T0_E_clISt17integral_constantIbLb0EES1D_IbLb1EEEEDaS19_S1A_EUlS19_E_NS1_11comp_targetILNS1_3genE9ELNS1_11target_archE1100ELNS1_3gpuE3ELNS1_3repE0EEENS1_30default_config_static_selectorELNS0_4arch9wavefront6targetE1EEEvT1_, .Lfunc_end46-_ZN7rocprim17ROCPRIM_400000_NS6detail17trampoline_kernelINS0_14default_configENS1_25partition_config_selectorILNS1_17partition_subalgoE8EbNS0_10empty_typeEbEEZZNS1_14partition_implILS5_8ELb0ES3_jN6hipcub16HIPCUB_304000_NS22TransformInputIteratorIbN2at6native8internal12_GLOBAL__N_110LoadBoolOpEPKhlEEPS6_PKS6_NS0_5tupleIJPbS6_EEENSN_IJSK_SK_EEENS0_18inequality_wrapperINSA_8EqualityEEEPlJS6_EEE10hipError_tPvRmT3_T4_T5_T6_T7_T9_mT8_P12ihipStream_tbDpT10_ENKUlT_T0_E_clISt17integral_constantIbLb0EES1D_IbLb1EEEEDaS19_S1A_EUlS19_E_NS1_11comp_targetILNS1_3genE9ELNS1_11target_archE1100ELNS1_3gpuE3ELNS1_3repE0EEENS1_30default_config_static_selectorELNS0_4arch9wavefront6targetE1EEEvT1_
                                        ; -- End function
	.section	.AMDGPU.csdata,"",@progbits
; Kernel info:
; codeLenInByte = 0
; NumSgprs: 6
; NumVgprs: 0
; NumAgprs: 0
; TotalNumVgprs: 0
; ScratchSize: 0
; MemoryBound: 0
; FloatMode: 240
; IeeeMode: 1
; LDSByteSize: 0 bytes/workgroup (compile time only)
; SGPRBlocks: 0
; VGPRBlocks: 0
; NumSGPRsForWavesPerEU: 6
; NumVGPRsForWavesPerEU: 1
; AccumOffset: 4
; Occupancy: 8
; WaveLimiterHint : 0
; COMPUTE_PGM_RSRC2:SCRATCH_EN: 0
; COMPUTE_PGM_RSRC2:USER_SGPR: 2
; COMPUTE_PGM_RSRC2:TRAP_HANDLER: 0
; COMPUTE_PGM_RSRC2:TGID_X_EN: 1
; COMPUTE_PGM_RSRC2:TGID_Y_EN: 0
; COMPUTE_PGM_RSRC2:TGID_Z_EN: 0
; COMPUTE_PGM_RSRC2:TIDIG_COMP_CNT: 0
; COMPUTE_PGM_RSRC3_GFX90A:ACCUM_OFFSET: 0
; COMPUTE_PGM_RSRC3_GFX90A:TG_SPLIT: 0
	.section	.text._ZN7rocprim17ROCPRIM_400000_NS6detail17trampoline_kernelINS0_14default_configENS1_25partition_config_selectorILNS1_17partition_subalgoE8EbNS0_10empty_typeEbEEZZNS1_14partition_implILS5_8ELb0ES3_jN6hipcub16HIPCUB_304000_NS22TransformInputIteratorIbN2at6native8internal12_GLOBAL__N_110LoadBoolOpEPKhlEEPS6_PKS6_NS0_5tupleIJPbS6_EEENSN_IJSK_SK_EEENS0_18inequality_wrapperINSA_8EqualityEEEPlJS6_EEE10hipError_tPvRmT3_T4_T5_T6_T7_T9_mT8_P12ihipStream_tbDpT10_ENKUlT_T0_E_clISt17integral_constantIbLb0EES1D_IbLb1EEEEDaS19_S1A_EUlS19_E_NS1_11comp_targetILNS1_3genE8ELNS1_11target_archE1030ELNS1_3gpuE2ELNS1_3repE0EEENS1_30default_config_static_selectorELNS0_4arch9wavefront6targetE1EEEvT1_,"axG",@progbits,_ZN7rocprim17ROCPRIM_400000_NS6detail17trampoline_kernelINS0_14default_configENS1_25partition_config_selectorILNS1_17partition_subalgoE8EbNS0_10empty_typeEbEEZZNS1_14partition_implILS5_8ELb0ES3_jN6hipcub16HIPCUB_304000_NS22TransformInputIteratorIbN2at6native8internal12_GLOBAL__N_110LoadBoolOpEPKhlEEPS6_PKS6_NS0_5tupleIJPbS6_EEENSN_IJSK_SK_EEENS0_18inequality_wrapperINSA_8EqualityEEEPlJS6_EEE10hipError_tPvRmT3_T4_T5_T6_T7_T9_mT8_P12ihipStream_tbDpT10_ENKUlT_T0_E_clISt17integral_constantIbLb0EES1D_IbLb1EEEEDaS19_S1A_EUlS19_E_NS1_11comp_targetILNS1_3genE8ELNS1_11target_archE1030ELNS1_3gpuE2ELNS1_3repE0EEENS1_30default_config_static_selectorELNS0_4arch9wavefront6targetE1EEEvT1_,comdat
	.globl	_ZN7rocprim17ROCPRIM_400000_NS6detail17trampoline_kernelINS0_14default_configENS1_25partition_config_selectorILNS1_17partition_subalgoE8EbNS0_10empty_typeEbEEZZNS1_14partition_implILS5_8ELb0ES3_jN6hipcub16HIPCUB_304000_NS22TransformInputIteratorIbN2at6native8internal12_GLOBAL__N_110LoadBoolOpEPKhlEEPS6_PKS6_NS0_5tupleIJPbS6_EEENSN_IJSK_SK_EEENS0_18inequality_wrapperINSA_8EqualityEEEPlJS6_EEE10hipError_tPvRmT3_T4_T5_T6_T7_T9_mT8_P12ihipStream_tbDpT10_ENKUlT_T0_E_clISt17integral_constantIbLb0EES1D_IbLb1EEEEDaS19_S1A_EUlS19_E_NS1_11comp_targetILNS1_3genE8ELNS1_11target_archE1030ELNS1_3gpuE2ELNS1_3repE0EEENS1_30default_config_static_selectorELNS0_4arch9wavefront6targetE1EEEvT1_ ; -- Begin function _ZN7rocprim17ROCPRIM_400000_NS6detail17trampoline_kernelINS0_14default_configENS1_25partition_config_selectorILNS1_17partition_subalgoE8EbNS0_10empty_typeEbEEZZNS1_14partition_implILS5_8ELb0ES3_jN6hipcub16HIPCUB_304000_NS22TransformInputIteratorIbN2at6native8internal12_GLOBAL__N_110LoadBoolOpEPKhlEEPS6_PKS6_NS0_5tupleIJPbS6_EEENSN_IJSK_SK_EEENS0_18inequality_wrapperINSA_8EqualityEEEPlJS6_EEE10hipError_tPvRmT3_T4_T5_T6_T7_T9_mT8_P12ihipStream_tbDpT10_ENKUlT_T0_E_clISt17integral_constantIbLb0EES1D_IbLb1EEEEDaS19_S1A_EUlS19_E_NS1_11comp_targetILNS1_3genE8ELNS1_11target_archE1030ELNS1_3gpuE2ELNS1_3repE0EEENS1_30default_config_static_selectorELNS0_4arch9wavefront6targetE1EEEvT1_
	.p2align	8
	.type	_ZN7rocprim17ROCPRIM_400000_NS6detail17trampoline_kernelINS0_14default_configENS1_25partition_config_selectorILNS1_17partition_subalgoE8EbNS0_10empty_typeEbEEZZNS1_14partition_implILS5_8ELb0ES3_jN6hipcub16HIPCUB_304000_NS22TransformInputIteratorIbN2at6native8internal12_GLOBAL__N_110LoadBoolOpEPKhlEEPS6_PKS6_NS0_5tupleIJPbS6_EEENSN_IJSK_SK_EEENS0_18inequality_wrapperINSA_8EqualityEEEPlJS6_EEE10hipError_tPvRmT3_T4_T5_T6_T7_T9_mT8_P12ihipStream_tbDpT10_ENKUlT_T0_E_clISt17integral_constantIbLb0EES1D_IbLb1EEEEDaS19_S1A_EUlS19_E_NS1_11comp_targetILNS1_3genE8ELNS1_11target_archE1030ELNS1_3gpuE2ELNS1_3repE0EEENS1_30default_config_static_selectorELNS0_4arch9wavefront6targetE1EEEvT1_,@function
_ZN7rocprim17ROCPRIM_400000_NS6detail17trampoline_kernelINS0_14default_configENS1_25partition_config_selectorILNS1_17partition_subalgoE8EbNS0_10empty_typeEbEEZZNS1_14partition_implILS5_8ELb0ES3_jN6hipcub16HIPCUB_304000_NS22TransformInputIteratorIbN2at6native8internal12_GLOBAL__N_110LoadBoolOpEPKhlEEPS6_PKS6_NS0_5tupleIJPbS6_EEENSN_IJSK_SK_EEENS0_18inequality_wrapperINSA_8EqualityEEEPlJS6_EEE10hipError_tPvRmT3_T4_T5_T6_T7_T9_mT8_P12ihipStream_tbDpT10_ENKUlT_T0_E_clISt17integral_constantIbLb0EES1D_IbLb1EEEEDaS19_S1A_EUlS19_E_NS1_11comp_targetILNS1_3genE8ELNS1_11target_archE1030ELNS1_3gpuE2ELNS1_3repE0EEENS1_30default_config_static_selectorELNS0_4arch9wavefront6targetE1EEEvT1_: ; @_ZN7rocprim17ROCPRIM_400000_NS6detail17trampoline_kernelINS0_14default_configENS1_25partition_config_selectorILNS1_17partition_subalgoE8EbNS0_10empty_typeEbEEZZNS1_14partition_implILS5_8ELb0ES3_jN6hipcub16HIPCUB_304000_NS22TransformInputIteratorIbN2at6native8internal12_GLOBAL__N_110LoadBoolOpEPKhlEEPS6_PKS6_NS0_5tupleIJPbS6_EEENSN_IJSK_SK_EEENS0_18inequality_wrapperINSA_8EqualityEEEPlJS6_EEE10hipError_tPvRmT3_T4_T5_T6_T7_T9_mT8_P12ihipStream_tbDpT10_ENKUlT_T0_E_clISt17integral_constantIbLb0EES1D_IbLb1EEEEDaS19_S1A_EUlS19_E_NS1_11comp_targetILNS1_3genE8ELNS1_11target_archE1030ELNS1_3gpuE2ELNS1_3repE0EEENS1_30default_config_static_selectorELNS0_4arch9wavefront6targetE1EEEvT1_
; %bb.0:
	.section	.rodata,"a",@progbits
	.p2align	6, 0x0
	.amdhsa_kernel _ZN7rocprim17ROCPRIM_400000_NS6detail17trampoline_kernelINS0_14default_configENS1_25partition_config_selectorILNS1_17partition_subalgoE8EbNS0_10empty_typeEbEEZZNS1_14partition_implILS5_8ELb0ES3_jN6hipcub16HIPCUB_304000_NS22TransformInputIteratorIbN2at6native8internal12_GLOBAL__N_110LoadBoolOpEPKhlEEPS6_PKS6_NS0_5tupleIJPbS6_EEENSN_IJSK_SK_EEENS0_18inequality_wrapperINSA_8EqualityEEEPlJS6_EEE10hipError_tPvRmT3_T4_T5_T6_T7_T9_mT8_P12ihipStream_tbDpT10_ENKUlT_T0_E_clISt17integral_constantIbLb0EES1D_IbLb1EEEEDaS19_S1A_EUlS19_E_NS1_11comp_targetILNS1_3genE8ELNS1_11target_archE1030ELNS1_3gpuE2ELNS1_3repE0EEENS1_30default_config_static_selectorELNS0_4arch9wavefront6targetE1EEEvT1_
		.amdhsa_group_segment_fixed_size 0
		.amdhsa_private_segment_fixed_size 0
		.amdhsa_kernarg_size 136
		.amdhsa_user_sgpr_count 2
		.amdhsa_user_sgpr_dispatch_ptr 0
		.amdhsa_user_sgpr_queue_ptr 0
		.amdhsa_user_sgpr_kernarg_segment_ptr 1
		.amdhsa_user_sgpr_dispatch_id 0
		.amdhsa_user_sgpr_kernarg_preload_length 0
		.amdhsa_user_sgpr_kernarg_preload_offset 0
		.amdhsa_user_sgpr_private_segment_size 0
		.amdhsa_uses_dynamic_stack 0
		.amdhsa_enable_private_segment 0
		.amdhsa_system_sgpr_workgroup_id_x 1
		.amdhsa_system_sgpr_workgroup_id_y 0
		.amdhsa_system_sgpr_workgroup_id_z 0
		.amdhsa_system_sgpr_workgroup_info 0
		.amdhsa_system_vgpr_workitem_id 0
		.amdhsa_next_free_vgpr 1
		.amdhsa_next_free_sgpr 0
		.amdhsa_accum_offset 4
		.amdhsa_reserve_vcc 0
		.amdhsa_float_round_mode_32 0
		.amdhsa_float_round_mode_16_64 0
		.amdhsa_float_denorm_mode_32 3
		.amdhsa_float_denorm_mode_16_64 3
		.amdhsa_dx10_clamp 1
		.amdhsa_ieee_mode 1
		.amdhsa_fp16_overflow 0
		.amdhsa_tg_split 0
		.amdhsa_exception_fp_ieee_invalid_op 0
		.amdhsa_exception_fp_denorm_src 0
		.amdhsa_exception_fp_ieee_div_zero 0
		.amdhsa_exception_fp_ieee_overflow 0
		.amdhsa_exception_fp_ieee_underflow 0
		.amdhsa_exception_fp_ieee_inexact 0
		.amdhsa_exception_int_div_zero 0
	.end_amdhsa_kernel
	.section	.text._ZN7rocprim17ROCPRIM_400000_NS6detail17trampoline_kernelINS0_14default_configENS1_25partition_config_selectorILNS1_17partition_subalgoE8EbNS0_10empty_typeEbEEZZNS1_14partition_implILS5_8ELb0ES3_jN6hipcub16HIPCUB_304000_NS22TransformInputIteratorIbN2at6native8internal12_GLOBAL__N_110LoadBoolOpEPKhlEEPS6_PKS6_NS0_5tupleIJPbS6_EEENSN_IJSK_SK_EEENS0_18inequality_wrapperINSA_8EqualityEEEPlJS6_EEE10hipError_tPvRmT3_T4_T5_T6_T7_T9_mT8_P12ihipStream_tbDpT10_ENKUlT_T0_E_clISt17integral_constantIbLb0EES1D_IbLb1EEEEDaS19_S1A_EUlS19_E_NS1_11comp_targetILNS1_3genE8ELNS1_11target_archE1030ELNS1_3gpuE2ELNS1_3repE0EEENS1_30default_config_static_selectorELNS0_4arch9wavefront6targetE1EEEvT1_,"axG",@progbits,_ZN7rocprim17ROCPRIM_400000_NS6detail17trampoline_kernelINS0_14default_configENS1_25partition_config_selectorILNS1_17partition_subalgoE8EbNS0_10empty_typeEbEEZZNS1_14partition_implILS5_8ELb0ES3_jN6hipcub16HIPCUB_304000_NS22TransformInputIteratorIbN2at6native8internal12_GLOBAL__N_110LoadBoolOpEPKhlEEPS6_PKS6_NS0_5tupleIJPbS6_EEENSN_IJSK_SK_EEENS0_18inequality_wrapperINSA_8EqualityEEEPlJS6_EEE10hipError_tPvRmT3_T4_T5_T6_T7_T9_mT8_P12ihipStream_tbDpT10_ENKUlT_T0_E_clISt17integral_constantIbLb0EES1D_IbLb1EEEEDaS19_S1A_EUlS19_E_NS1_11comp_targetILNS1_3genE8ELNS1_11target_archE1030ELNS1_3gpuE2ELNS1_3repE0EEENS1_30default_config_static_selectorELNS0_4arch9wavefront6targetE1EEEvT1_,comdat
.Lfunc_end47:
	.size	_ZN7rocprim17ROCPRIM_400000_NS6detail17trampoline_kernelINS0_14default_configENS1_25partition_config_selectorILNS1_17partition_subalgoE8EbNS0_10empty_typeEbEEZZNS1_14partition_implILS5_8ELb0ES3_jN6hipcub16HIPCUB_304000_NS22TransformInputIteratorIbN2at6native8internal12_GLOBAL__N_110LoadBoolOpEPKhlEEPS6_PKS6_NS0_5tupleIJPbS6_EEENSN_IJSK_SK_EEENS0_18inequality_wrapperINSA_8EqualityEEEPlJS6_EEE10hipError_tPvRmT3_T4_T5_T6_T7_T9_mT8_P12ihipStream_tbDpT10_ENKUlT_T0_E_clISt17integral_constantIbLb0EES1D_IbLb1EEEEDaS19_S1A_EUlS19_E_NS1_11comp_targetILNS1_3genE8ELNS1_11target_archE1030ELNS1_3gpuE2ELNS1_3repE0EEENS1_30default_config_static_selectorELNS0_4arch9wavefront6targetE1EEEvT1_, .Lfunc_end47-_ZN7rocprim17ROCPRIM_400000_NS6detail17trampoline_kernelINS0_14default_configENS1_25partition_config_selectorILNS1_17partition_subalgoE8EbNS0_10empty_typeEbEEZZNS1_14partition_implILS5_8ELb0ES3_jN6hipcub16HIPCUB_304000_NS22TransformInputIteratorIbN2at6native8internal12_GLOBAL__N_110LoadBoolOpEPKhlEEPS6_PKS6_NS0_5tupleIJPbS6_EEENSN_IJSK_SK_EEENS0_18inequality_wrapperINSA_8EqualityEEEPlJS6_EEE10hipError_tPvRmT3_T4_T5_T6_T7_T9_mT8_P12ihipStream_tbDpT10_ENKUlT_T0_E_clISt17integral_constantIbLb0EES1D_IbLb1EEEEDaS19_S1A_EUlS19_E_NS1_11comp_targetILNS1_3genE8ELNS1_11target_archE1030ELNS1_3gpuE2ELNS1_3repE0EEENS1_30default_config_static_selectorELNS0_4arch9wavefront6targetE1EEEvT1_
                                        ; -- End function
	.section	.AMDGPU.csdata,"",@progbits
; Kernel info:
; codeLenInByte = 0
; NumSgprs: 6
; NumVgprs: 0
; NumAgprs: 0
; TotalNumVgprs: 0
; ScratchSize: 0
; MemoryBound: 0
; FloatMode: 240
; IeeeMode: 1
; LDSByteSize: 0 bytes/workgroup (compile time only)
; SGPRBlocks: 0
; VGPRBlocks: 0
; NumSGPRsForWavesPerEU: 6
; NumVGPRsForWavesPerEU: 1
; AccumOffset: 4
; Occupancy: 8
; WaveLimiterHint : 0
; COMPUTE_PGM_RSRC2:SCRATCH_EN: 0
; COMPUTE_PGM_RSRC2:USER_SGPR: 2
; COMPUTE_PGM_RSRC2:TRAP_HANDLER: 0
; COMPUTE_PGM_RSRC2:TGID_X_EN: 1
; COMPUTE_PGM_RSRC2:TGID_Y_EN: 0
; COMPUTE_PGM_RSRC2:TGID_Z_EN: 0
; COMPUTE_PGM_RSRC2:TIDIG_COMP_CNT: 0
; COMPUTE_PGM_RSRC3_GFX90A:ACCUM_OFFSET: 0
; COMPUTE_PGM_RSRC3_GFX90A:TG_SPLIT: 0
	.section	.text._ZN7rocprim17ROCPRIM_400000_NS6detail17trampoline_kernelINS0_14default_configENS1_25transform_config_selectorImLb0EEEZNS1_14transform_implILb0ES3_S5_NS0_17constant_iteratorImlEEPlNS0_8identityImEEEE10hipError_tT2_T3_mT4_P12ihipStream_tbEUlT_E_NS1_11comp_targetILNS1_3genE0ELNS1_11target_archE4294967295ELNS1_3gpuE0ELNS1_3repE0EEENS1_30default_config_static_selectorELNS0_4arch9wavefront6targetE1EEEvT1_,"axG",@progbits,_ZN7rocprim17ROCPRIM_400000_NS6detail17trampoline_kernelINS0_14default_configENS1_25transform_config_selectorImLb0EEEZNS1_14transform_implILb0ES3_S5_NS0_17constant_iteratorImlEEPlNS0_8identityImEEEE10hipError_tT2_T3_mT4_P12ihipStream_tbEUlT_E_NS1_11comp_targetILNS1_3genE0ELNS1_11target_archE4294967295ELNS1_3gpuE0ELNS1_3repE0EEENS1_30default_config_static_selectorELNS0_4arch9wavefront6targetE1EEEvT1_,comdat
	.protected	_ZN7rocprim17ROCPRIM_400000_NS6detail17trampoline_kernelINS0_14default_configENS1_25transform_config_selectorImLb0EEEZNS1_14transform_implILb0ES3_S5_NS0_17constant_iteratorImlEEPlNS0_8identityImEEEE10hipError_tT2_T3_mT4_P12ihipStream_tbEUlT_E_NS1_11comp_targetILNS1_3genE0ELNS1_11target_archE4294967295ELNS1_3gpuE0ELNS1_3repE0EEENS1_30default_config_static_selectorELNS0_4arch9wavefront6targetE1EEEvT1_ ; -- Begin function _ZN7rocprim17ROCPRIM_400000_NS6detail17trampoline_kernelINS0_14default_configENS1_25transform_config_selectorImLb0EEEZNS1_14transform_implILb0ES3_S5_NS0_17constant_iteratorImlEEPlNS0_8identityImEEEE10hipError_tT2_T3_mT4_P12ihipStream_tbEUlT_E_NS1_11comp_targetILNS1_3genE0ELNS1_11target_archE4294967295ELNS1_3gpuE0ELNS1_3repE0EEENS1_30default_config_static_selectorELNS0_4arch9wavefront6targetE1EEEvT1_
	.globl	_ZN7rocprim17ROCPRIM_400000_NS6detail17trampoline_kernelINS0_14default_configENS1_25transform_config_selectorImLb0EEEZNS1_14transform_implILb0ES3_S5_NS0_17constant_iteratorImlEEPlNS0_8identityImEEEE10hipError_tT2_T3_mT4_P12ihipStream_tbEUlT_E_NS1_11comp_targetILNS1_3genE0ELNS1_11target_archE4294967295ELNS1_3gpuE0ELNS1_3repE0EEENS1_30default_config_static_selectorELNS0_4arch9wavefront6targetE1EEEvT1_
	.p2align	8
	.type	_ZN7rocprim17ROCPRIM_400000_NS6detail17trampoline_kernelINS0_14default_configENS1_25transform_config_selectorImLb0EEEZNS1_14transform_implILb0ES3_S5_NS0_17constant_iteratorImlEEPlNS0_8identityImEEEE10hipError_tT2_T3_mT4_P12ihipStream_tbEUlT_E_NS1_11comp_targetILNS1_3genE0ELNS1_11target_archE4294967295ELNS1_3gpuE0ELNS1_3repE0EEENS1_30default_config_static_selectorELNS0_4arch9wavefront6targetE1EEEvT1_,@function
_ZN7rocprim17ROCPRIM_400000_NS6detail17trampoline_kernelINS0_14default_configENS1_25transform_config_selectorImLb0EEEZNS1_14transform_implILb0ES3_S5_NS0_17constant_iteratorImlEEPlNS0_8identityImEEEE10hipError_tT2_T3_mT4_P12ihipStream_tbEUlT_E_NS1_11comp_targetILNS1_3genE0ELNS1_11target_archE4294967295ELNS1_3gpuE0ELNS1_3repE0EEENS1_30default_config_static_selectorELNS0_4arch9wavefront6targetE1EEEvT1_: ; @_ZN7rocprim17ROCPRIM_400000_NS6detail17trampoline_kernelINS0_14default_configENS1_25transform_config_selectorImLb0EEEZNS1_14transform_implILb0ES3_S5_NS0_17constant_iteratorImlEEPlNS0_8identityImEEEE10hipError_tT2_T3_mT4_P12ihipStream_tbEUlT_E_NS1_11comp_targetILNS1_3genE0ELNS1_11target_archE4294967295ELNS1_3gpuE0ELNS1_3repE0EEENS1_30default_config_static_selectorELNS0_4arch9wavefront6targetE1EEEvT1_
; %bb.0:
	.section	.rodata,"a",@progbits
	.p2align	6, 0x0
	.amdhsa_kernel _ZN7rocprim17ROCPRIM_400000_NS6detail17trampoline_kernelINS0_14default_configENS1_25transform_config_selectorImLb0EEEZNS1_14transform_implILb0ES3_S5_NS0_17constant_iteratorImlEEPlNS0_8identityImEEEE10hipError_tT2_T3_mT4_P12ihipStream_tbEUlT_E_NS1_11comp_targetILNS1_3genE0ELNS1_11target_archE4294967295ELNS1_3gpuE0ELNS1_3repE0EEENS1_30default_config_static_selectorELNS0_4arch9wavefront6targetE1EEEvT1_
		.amdhsa_group_segment_fixed_size 0
		.amdhsa_private_segment_fixed_size 0
		.amdhsa_kernarg_size 48
		.amdhsa_user_sgpr_count 2
		.amdhsa_user_sgpr_dispatch_ptr 0
		.amdhsa_user_sgpr_queue_ptr 0
		.amdhsa_user_sgpr_kernarg_segment_ptr 1
		.amdhsa_user_sgpr_dispatch_id 0
		.amdhsa_user_sgpr_kernarg_preload_length 0
		.amdhsa_user_sgpr_kernarg_preload_offset 0
		.amdhsa_user_sgpr_private_segment_size 0
		.amdhsa_uses_dynamic_stack 0
		.amdhsa_enable_private_segment 0
		.amdhsa_system_sgpr_workgroup_id_x 1
		.amdhsa_system_sgpr_workgroup_id_y 0
		.amdhsa_system_sgpr_workgroup_id_z 0
		.amdhsa_system_sgpr_workgroup_info 0
		.amdhsa_system_vgpr_workitem_id 0
		.amdhsa_next_free_vgpr 1
		.amdhsa_next_free_sgpr 0
		.amdhsa_accum_offset 4
		.amdhsa_reserve_vcc 0
		.amdhsa_float_round_mode_32 0
		.amdhsa_float_round_mode_16_64 0
		.amdhsa_float_denorm_mode_32 3
		.amdhsa_float_denorm_mode_16_64 3
		.amdhsa_dx10_clamp 1
		.amdhsa_ieee_mode 1
		.amdhsa_fp16_overflow 0
		.amdhsa_tg_split 0
		.amdhsa_exception_fp_ieee_invalid_op 0
		.amdhsa_exception_fp_denorm_src 0
		.amdhsa_exception_fp_ieee_div_zero 0
		.amdhsa_exception_fp_ieee_overflow 0
		.amdhsa_exception_fp_ieee_underflow 0
		.amdhsa_exception_fp_ieee_inexact 0
		.amdhsa_exception_int_div_zero 0
	.end_amdhsa_kernel
	.section	.text._ZN7rocprim17ROCPRIM_400000_NS6detail17trampoline_kernelINS0_14default_configENS1_25transform_config_selectorImLb0EEEZNS1_14transform_implILb0ES3_S5_NS0_17constant_iteratorImlEEPlNS0_8identityImEEEE10hipError_tT2_T3_mT4_P12ihipStream_tbEUlT_E_NS1_11comp_targetILNS1_3genE0ELNS1_11target_archE4294967295ELNS1_3gpuE0ELNS1_3repE0EEENS1_30default_config_static_selectorELNS0_4arch9wavefront6targetE1EEEvT1_,"axG",@progbits,_ZN7rocprim17ROCPRIM_400000_NS6detail17trampoline_kernelINS0_14default_configENS1_25transform_config_selectorImLb0EEEZNS1_14transform_implILb0ES3_S5_NS0_17constant_iteratorImlEEPlNS0_8identityImEEEE10hipError_tT2_T3_mT4_P12ihipStream_tbEUlT_E_NS1_11comp_targetILNS1_3genE0ELNS1_11target_archE4294967295ELNS1_3gpuE0ELNS1_3repE0EEENS1_30default_config_static_selectorELNS0_4arch9wavefront6targetE1EEEvT1_,comdat
.Lfunc_end48:
	.size	_ZN7rocprim17ROCPRIM_400000_NS6detail17trampoline_kernelINS0_14default_configENS1_25transform_config_selectorImLb0EEEZNS1_14transform_implILb0ES3_S5_NS0_17constant_iteratorImlEEPlNS0_8identityImEEEE10hipError_tT2_T3_mT4_P12ihipStream_tbEUlT_E_NS1_11comp_targetILNS1_3genE0ELNS1_11target_archE4294967295ELNS1_3gpuE0ELNS1_3repE0EEENS1_30default_config_static_selectorELNS0_4arch9wavefront6targetE1EEEvT1_, .Lfunc_end48-_ZN7rocprim17ROCPRIM_400000_NS6detail17trampoline_kernelINS0_14default_configENS1_25transform_config_selectorImLb0EEEZNS1_14transform_implILb0ES3_S5_NS0_17constant_iteratorImlEEPlNS0_8identityImEEEE10hipError_tT2_T3_mT4_P12ihipStream_tbEUlT_E_NS1_11comp_targetILNS1_3genE0ELNS1_11target_archE4294967295ELNS1_3gpuE0ELNS1_3repE0EEENS1_30default_config_static_selectorELNS0_4arch9wavefront6targetE1EEEvT1_
                                        ; -- End function
	.section	.AMDGPU.csdata,"",@progbits
; Kernel info:
; codeLenInByte = 0
; NumSgprs: 6
; NumVgprs: 0
; NumAgprs: 0
; TotalNumVgprs: 0
; ScratchSize: 0
; MemoryBound: 0
; FloatMode: 240
; IeeeMode: 1
; LDSByteSize: 0 bytes/workgroup (compile time only)
; SGPRBlocks: 0
; VGPRBlocks: 0
; NumSGPRsForWavesPerEU: 6
; NumVGPRsForWavesPerEU: 1
; AccumOffset: 4
; Occupancy: 8
; WaveLimiterHint : 0
; COMPUTE_PGM_RSRC2:SCRATCH_EN: 0
; COMPUTE_PGM_RSRC2:USER_SGPR: 2
; COMPUTE_PGM_RSRC2:TRAP_HANDLER: 0
; COMPUTE_PGM_RSRC2:TGID_X_EN: 1
; COMPUTE_PGM_RSRC2:TGID_Y_EN: 0
; COMPUTE_PGM_RSRC2:TGID_Z_EN: 0
; COMPUTE_PGM_RSRC2:TIDIG_COMP_CNT: 0
; COMPUTE_PGM_RSRC3_GFX90A:ACCUM_OFFSET: 0
; COMPUTE_PGM_RSRC3_GFX90A:TG_SPLIT: 0
	.section	.text._ZN7rocprim17ROCPRIM_400000_NS6detail17trampoline_kernelINS0_14default_configENS1_25transform_config_selectorImLb0EEEZNS1_14transform_implILb0ES3_S5_NS0_17constant_iteratorImlEEPlNS0_8identityImEEEE10hipError_tT2_T3_mT4_P12ihipStream_tbEUlT_E_NS1_11comp_targetILNS1_3genE5ELNS1_11target_archE942ELNS1_3gpuE9ELNS1_3repE0EEENS1_30default_config_static_selectorELNS0_4arch9wavefront6targetE1EEEvT1_,"axG",@progbits,_ZN7rocprim17ROCPRIM_400000_NS6detail17trampoline_kernelINS0_14default_configENS1_25transform_config_selectorImLb0EEEZNS1_14transform_implILb0ES3_S5_NS0_17constant_iteratorImlEEPlNS0_8identityImEEEE10hipError_tT2_T3_mT4_P12ihipStream_tbEUlT_E_NS1_11comp_targetILNS1_3genE5ELNS1_11target_archE942ELNS1_3gpuE9ELNS1_3repE0EEENS1_30default_config_static_selectorELNS0_4arch9wavefront6targetE1EEEvT1_,comdat
	.protected	_ZN7rocprim17ROCPRIM_400000_NS6detail17trampoline_kernelINS0_14default_configENS1_25transform_config_selectorImLb0EEEZNS1_14transform_implILb0ES3_S5_NS0_17constant_iteratorImlEEPlNS0_8identityImEEEE10hipError_tT2_T3_mT4_P12ihipStream_tbEUlT_E_NS1_11comp_targetILNS1_3genE5ELNS1_11target_archE942ELNS1_3gpuE9ELNS1_3repE0EEENS1_30default_config_static_selectorELNS0_4arch9wavefront6targetE1EEEvT1_ ; -- Begin function _ZN7rocprim17ROCPRIM_400000_NS6detail17trampoline_kernelINS0_14default_configENS1_25transform_config_selectorImLb0EEEZNS1_14transform_implILb0ES3_S5_NS0_17constant_iteratorImlEEPlNS0_8identityImEEEE10hipError_tT2_T3_mT4_P12ihipStream_tbEUlT_E_NS1_11comp_targetILNS1_3genE5ELNS1_11target_archE942ELNS1_3gpuE9ELNS1_3repE0EEENS1_30default_config_static_selectorELNS0_4arch9wavefront6targetE1EEEvT1_
	.globl	_ZN7rocprim17ROCPRIM_400000_NS6detail17trampoline_kernelINS0_14default_configENS1_25transform_config_selectorImLb0EEEZNS1_14transform_implILb0ES3_S5_NS0_17constant_iteratorImlEEPlNS0_8identityImEEEE10hipError_tT2_T3_mT4_P12ihipStream_tbEUlT_E_NS1_11comp_targetILNS1_3genE5ELNS1_11target_archE942ELNS1_3gpuE9ELNS1_3repE0EEENS1_30default_config_static_selectorELNS0_4arch9wavefront6targetE1EEEvT1_
	.p2align	8
	.type	_ZN7rocprim17ROCPRIM_400000_NS6detail17trampoline_kernelINS0_14default_configENS1_25transform_config_selectorImLb0EEEZNS1_14transform_implILb0ES3_S5_NS0_17constant_iteratorImlEEPlNS0_8identityImEEEE10hipError_tT2_T3_mT4_P12ihipStream_tbEUlT_E_NS1_11comp_targetILNS1_3genE5ELNS1_11target_archE942ELNS1_3gpuE9ELNS1_3repE0EEENS1_30default_config_static_selectorELNS0_4arch9wavefront6targetE1EEEvT1_,@function
_ZN7rocprim17ROCPRIM_400000_NS6detail17trampoline_kernelINS0_14default_configENS1_25transform_config_selectorImLb0EEEZNS1_14transform_implILb0ES3_S5_NS0_17constant_iteratorImlEEPlNS0_8identityImEEEE10hipError_tT2_T3_mT4_P12ihipStream_tbEUlT_E_NS1_11comp_targetILNS1_3genE5ELNS1_11target_archE942ELNS1_3gpuE9ELNS1_3repE0EEENS1_30default_config_static_selectorELNS0_4arch9wavefront6targetE1EEEvT1_: ; @_ZN7rocprim17ROCPRIM_400000_NS6detail17trampoline_kernelINS0_14default_configENS1_25transform_config_selectorImLb0EEEZNS1_14transform_implILb0ES3_S5_NS0_17constant_iteratorImlEEPlNS0_8identityImEEEE10hipError_tT2_T3_mT4_P12ihipStream_tbEUlT_E_NS1_11comp_targetILNS1_3genE5ELNS1_11target_archE942ELNS1_3gpuE9ELNS1_3repE0EEENS1_30default_config_static_selectorELNS0_4arch9wavefront6targetE1EEEvT1_
; %bb.0:
	s_load_dwordx2 s[6:7], s[0:1], 0x10
	s_load_dwordx2 s[8:9], s[0:1], 0x20
	;; [unrolled: 1-line block ×3, first 2 shown]
	s_load_dword s3, s[0:1], 0x30
	v_lshlrev_b32_e32 v6, 3, v0
	s_waitcnt lgkmcnt(0)
	s_lshl_b64 s[6:7], s[6:7], 3
	s_add_u32 s10, s8, s6
	s_addc_u32 s11, s9, s7
	s_lshl_b32 s8, s2, 10
	s_add_i32 s3, s3, -1
	s_mov_b32 s9, 0
	s_cmp_eq_u32 s2, s3
	s_cbranch_scc1 .LBB49_3
; %bb.1:
	s_lshl_b64 s[2:3], s[8:9], 3
	s_add_u32 s2, s10, s2
	s_addc_u32 s3, s11, s3
	v_mov_b32_e32 v7, 0
	v_mov_b64_e32 v[2:3], s[4:5]
	v_lshl_add_u64 v[4:5], s[2:3], 0, v[6:7]
	global_store_dwordx2 v6, v[2:3], s[2:3]
	s_mov_b64 s[2:3], -1
	s_cbranch_execz .LBB49_4
; %bb.2:
	v_mov_b64_e32 v[8:9], s[4:5]
	s_and_saveexec_b64 s[0:1], s[2:3]
	s_cbranch_execnz .LBB49_9
	s_branch .LBB49_10
.LBB49_3:
	s_mov_b64 s[2:3], 0
                                        ; implicit-def: $vgpr4_vgpr5
.LBB49_4:
	s_load_dword s0, s[0:1], 0x18
	v_or_b32_e32 v1, 0x200, v0
	s_mov_b32 s6, s4
	s_mov_b32 s7, s5
	v_mov_b32_e32 v7, 0
	s_waitcnt lgkmcnt(0)
	s_sub_i32 s0, s0, s8
	v_cmp_gt_u32_e32 vcc, s0, v1
	v_cmp_gt_u32_e64 s[0:1], s0, v0
	v_mov_b64_e32 v[0:1], s[4:5]
	v_mov_b64_e32 v[2:3], s[6:7]
	s_lshl_b64 s[4:5], s[8:9], 3
	s_add_u32 s4, s10, s4
	s_addc_u32 s5, s11, s5
	v_lshl_add_u64 v[4:5], s[4:5], 0, v[6:7]
	s_and_saveexec_b64 s[4:5], s[0:1]
	s_cbranch_execz .LBB49_6
; %bb.5:
	global_store_dwordx2 v[4:5], v[0:1], off
.LBB49_6:
	s_or_b64 exec, exec, s[4:5]
                                        ; implicit-def: $vgpr8_vgpr9
	s_and_saveexec_b64 s[0:1], vcc
; %bb.7:
	v_mov_b32_e32 v0, s7
	v_cndmask_b32_e32 v9, v3, v0, vcc
	v_mov_b32_e32 v0, s6
	v_cndmask_b32_e32 v8, v2, v0, vcc
	s_or_b64 s[2:3], s[2:3], exec
; %bb.8:
	s_or_b64 exec, exec, s[0:1]
	s_and_saveexec_b64 s[0:1], s[2:3]
	s_cbranch_execz .LBB49_10
.LBB49_9:
	v_add_co_u32_e32 v0, vcc, 0x1000, v4
	s_nop 1
	v_addc_co_u32_e32 v1, vcc, 0, v5, vcc
	global_store_dwordx2 v[0:1], v[8:9], off
.LBB49_10:
	s_endpgm
	.section	.rodata,"a",@progbits
	.p2align	6, 0x0
	.amdhsa_kernel _ZN7rocprim17ROCPRIM_400000_NS6detail17trampoline_kernelINS0_14default_configENS1_25transform_config_selectorImLb0EEEZNS1_14transform_implILb0ES3_S5_NS0_17constant_iteratorImlEEPlNS0_8identityImEEEE10hipError_tT2_T3_mT4_P12ihipStream_tbEUlT_E_NS1_11comp_targetILNS1_3genE5ELNS1_11target_archE942ELNS1_3gpuE9ELNS1_3repE0EEENS1_30default_config_static_selectorELNS0_4arch9wavefront6targetE1EEEvT1_
		.amdhsa_group_segment_fixed_size 0
		.amdhsa_private_segment_fixed_size 0
		.amdhsa_kernarg_size 304
		.amdhsa_user_sgpr_count 2
		.amdhsa_user_sgpr_dispatch_ptr 0
		.amdhsa_user_sgpr_queue_ptr 0
		.amdhsa_user_sgpr_kernarg_segment_ptr 1
		.amdhsa_user_sgpr_dispatch_id 0
		.amdhsa_user_sgpr_kernarg_preload_length 0
		.amdhsa_user_sgpr_kernarg_preload_offset 0
		.amdhsa_user_sgpr_private_segment_size 0
		.amdhsa_uses_dynamic_stack 0
		.amdhsa_enable_private_segment 0
		.amdhsa_system_sgpr_workgroup_id_x 1
		.amdhsa_system_sgpr_workgroup_id_y 0
		.amdhsa_system_sgpr_workgroup_id_z 0
		.amdhsa_system_sgpr_workgroup_info 0
		.amdhsa_system_vgpr_workitem_id 0
		.amdhsa_next_free_vgpr 10
		.amdhsa_next_free_sgpr 12
		.amdhsa_accum_offset 12
		.amdhsa_reserve_vcc 1
		.amdhsa_float_round_mode_32 0
		.amdhsa_float_round_mode_16_64 0
		.amdhsa_float_denorm_mode_32 3
		.amdhsa_float_denorm_mode_16_64 3
		.amdhsa_dx10_clamp 1
		.amdhsa_ieee_mode 1
		.amdhsa_fp16_overflow 0
		.amdhsa_tg_split 0
		.amdhsa_exception_fp_ieee_invalid_op 0
		.amdhsa_exception_fp_denorm_src 0
		.amdhsa_exception_fp_ieee_div_zero 0
		.amdhsa_exception_fp_ieee_overflow 0
		.amdhsa_exception_fp_ieee_underflow 0
		.amdhsa_exception_fp_ieee_inexact 0
		.amdhsa_exception_int_div_zero 0
	.end_amdhsa_kernel
	.section	.text._ZN7rocprim17ROCPRIM_400000_NS6detail17trampoline_kernelINS0_14default_configENS1_25transform_config_selectorImLb0EEEZNS1_14transform_implILb0ES3_S5_NS0_17constant_iteratorImlEEPlNS0_8identityImEEEE10hipError_tT2_T3_mT4_P12ihipStream_tbEUlT_E_NS1_11comp_targetILNS1_3genE5ELNS1_11target_archE942ELNS1_3gpuE9ELNS1_3repE0EEENS1_30default_config_static_selectorELNS0_4arch9wavefront6targetE1EEEvT1_,"axG",@progbits,_ZN7rocprim17ROCPRIM_400000_NS6detail17trampoline_kernelINS0_14default_configENS1_25transform_config_selectorImLb0EEEZNS1_14transform_implILb0ES3_S5_NS0_17constant_iteratorImlEEPlNS0_8identityImEEEE10hipError_tT2_T3_mT4_P12ihipStream_tbEUlT_E_NS1_11comp_targetILNS1_3genE5ELNS1_11target_archE942ELNS1_3gpuE9ELNS1_3repE0EEENS1_30default_config_static_selectorELNS0_4arch9wavefront6targetE1EEEvT1_,comdat
.Lfunc_end49:
	.size	_ZN7rocprim17ROCPRIM_400000_NS6detail17trampoline_kernelINS0_14default_configENS1_25transform_config_selectorImLb0EEEZNS1_14transform_implILb0ES3_S5_NS0_17constant_iteratorImlEEPlNS0_8identityImEEEE10hipError_tT2_T3_mT4_P12ihipStream_tbEUlT_E_NS1_11comp_targetILNS1_3genE5ELNS1_11target_archE942ELNS1_3gpuE9ELNS1_3repE0EEENS1_30default_config_static_selectorELNS0_4arch9wavefront6targetE1EEEvT1_, .Lfunc_end49-_ZN7rocprim17ROCPRIM_400000_NS6detail17trampoline_kernelINS0_14default_configENS1_25transform_config_selectorImLb0EEEZNS1_14transform_implILb0ES3_S5_NS0_17constant_iteratorImlEEPlNS0_8identityImEEEE10hipError_tT2_T3_mT4_P12ihipStream_tbEUlT_E_NS1_11comp_targetILNS1_3genE5ELNS1_11target_archE942ELNS1_3gpuE9ELNS1_3repE0EEENS1_30default_config_static_selectorELNS0_4arch9wavefront6targetE1EEEvT1_
                                        ; -- End function
	.section	.AMDGPU.csdata,"",@progbits
; Kernel info:
; codeLenInByte = 296
; NumSgprs: 18
; NumVgprs: 10
; NumAgprs: 0
; TotalNumVgprs: 10
; ScratchSize: 0
; MemoryBound: 0
; FloatMode: 240
; IeeeMode: 1
; LDSByteSize: 0 bytes/workgroup (compile time only)
; SGPRBlocks: 2
; VGPRBlocks: 1
; NumSGPRsForWavesPerEU: 18
; NumVGPRsForWavesPerEU: 10
; AccumOffset: 12
; Occupancy: 8
; WaveLimiterHint : 0
; COMPUTE_PGM_RSRC2:SCRATCH_EN: 0
; COMPUTE_PGM_RSRC2:USER_SGPR: 2
; COMPUTE_PGM_RSRC2:TRAP_HANDLER: 0
; COMPUTE_PGM_RSRC2:TGID_X_EN: 1
; COMPUTE_PGM_RSRC2:TGID_Y_EN: 0
; COMPUTE_PGM_RSRC2:TGID_Z_EN: 0
; COMPUTE_PGM_RSRC2:TIDIG_COMP_CNT: 0
; COMPUTE_PGM_RSRC3_GFX90A:ACCUM_OFFSET: 2
; COMPUTE_PGM_RSRC3_GFX90A:TG_SPLIT: 0
	.section	.text._ZN7rocprim17ROCPRIM_400000_NS6detail17trampoline_kernelINS0_14default_configENS1_25transform_config_selectorImLb0EEEZNS1_14transform_implILb0ES3_S5_NS0_17constant_iteratorImlEEPlNS0_8identityImEEEE10hipError_tT2_T3_mT4_P12ihipStream_tbEUlT_E_NS1_11comp_targetILNS1_3genE4ELNS1_11target_archE910ELNS1_3gpuE8ELNS1_3repE0EEENS1_30default_config_static_selectorELNS0_4arch9wavefront6targetE1EEEvT1_,"axG",@progbits,_ZN7rocprim17ROCPRIM_400000_NS6detail17trampoline_kernelINS0_14default_configENS1_25transform_config_selectorImLb0EEEZNS1_14transform_implILb0ES3_S5_NS0_17constant_iteratorImlEEPlNS0_8identityImEEEE10hipError_tT2_T3_mT4_P12ihipStream_tbEUlT_E_NS1_11comp_targetILNS1_3genE4ELNS1_11target_archE910ELNS1_3gpuE8ELNS1_3repE0EEENS1_30default_config_static_selectorELNS0_4arch9wavefront6targetE1EEEvT1_,comdat
	.protected	_ZN7rocprim17ROCPRIM_400000_NS6detail17trampoline_kernelINS0_14default_configENS1_25transform_config_selectorImLb0EEEZNS1_14transform_implILb0ES3_S5_NS0_17constant_iteratorImlEEPlNS0_8identityImEEEE10hipError_tT2_T3_mT4_P12ihipStream_tbEUlT_E_NS1_11comp_targetILNS1_3genE4ELNS1_11target_archE910ELNS1_3gpuE8ELNS1_3repE0EEENS1_30default_config_static_selectorELNS0_4arch9wavefront6targetE1EEEvT1_ ; -- Begin function _ZN7rocprim17ROCPRIM_400000_NS6detail17trampoline_kernelINS0_14default_configENS1_25transform_config_selectorImLb0EEEZNS1_14transform_implILb0ES3_S5_NS0_17constant_iteratorImlEEPlNS0_8identityImEEEE10hipError_tT2_T3_mT4_P12ihipStream_tbEUlT_E_NS1_11comp_targetILNS1_3genE4ELNS1_11target_archE910ELNS1_3gpuE8ELNS1_3repE0EEENS1_30default_config_static_selectorELNS0_4arch9wavefront6targetE1EEEvT1_
	.globl	_ZN7rocprim17ROCPRIM_400000_NS6detail17trampoline_kernelINS0_14default_configENS1_25transform_config_selectorImLb0EEEZNS1_14transform_implILb0ES3_S5_NS0_17constant_iteratorImlEEPlNS0_8identityImEEEE10hipError_tT2_T3_mT4_P12ihipStream_tbEUlT_E_NS1_11comp_targetILNS1_3genE4ELNS1_11target_archE910ELNS1_3gpuE8ELNS1_3repE0EEENS1_30default_config_static_selectorELNS0_4arch9wavefront6targetE1EEEvT1_
	.p2align	8
	.type	_ZN7rocprim17ROCPRIM_400000_NS6detail17trampoline_kernelINS0_14default_configENS1_25transform_config_selectorImLb0EEEZNS1_14transform_implILb0ES3_S5_NS0_17constant_iteratorImlEEPlNS0_8identityImEEEE10hipError_tT2_T3_mT4_P12ihipStream_tbEUlT_E_NS1_11comp_targetILNS1_3genE4ELNS1_11target_archE910ELNS1_3gpuE8ELNS1_3repE0EEENS1_30default_config_static_selectorELNS0_4arch9wavefront6targetE1EEEvT1_,@function
_ZN7rocprim17ROCPRIM_400000_NS6detail17trampoline_kernelINS0_14default_configENS1_25transform_config_selectorImLb0EEEZNS1_14transform_implILb0ES3_S5_NS0_17constant_iteratorImlEEPlNS0_8identityImEEEE10hipError_tT2_T3_mT4_P12ihipStream_tbEUlT_E_NS1_11comp_targetILNS1_3genE4ELNS1_11target_archE910ELNS1_3gpuE8ELNS1_3repE0EEENS1_30default_config_static_selectorELNS0_4arch9wavefront6targetE1EEEvT1_: ; @_ZN7rocprim17ROCPRIM_400000_NS6detail17trampoline_kernelINS0_14default_configENS1_25transform_config_selectorImLb0EEEZNS1_14transform_implILb0ES3_S5_NS0_17constant_iteratorImlEEPlNS0_8identityImEEEE10hipError_tT2_T3_mT4_P12ihipStream_tbEUlT_E_NS1_11comp_targetILNS1_3genE4ELNS1_11target_archE910ELNS1_3gpuE8ELNS1_3repE0EEENS1_30default_config_static_selectorELNS0_4arch9wavefront6targetE1EEEvT1_
; %bb.0:
	.section	.rodata,"a",@progbits
	.p2align	6, 0x0
	.amdhsa_kernel _ZN7rocprim17ROCPRIM_400000_NS6detail17trampoline_kernelINS0_14default_configENS1_25transform_config_selectorImLb0EEEZNS1_14transform_implILb0ES3_S5_NS0_17constant_iteratorImlEEPlNS0_8identityImEEEE10hipError_tT2_T3_mT4_P12ihipStream_tbEUlT_E_NS1_11comp_targetILNS1_3genE4ELNS1_11target_archE910ELNS1_3gpuE8ELNS1_3repE0EEENS1_30default_config_static_selectorELNS0_4arch9wavefront6targetE1EEEvT1_
		.amdhsa_group_segment_fixed_size 0
		.amdhsa_private_segment_fixed_size 0
		.amdhsa_kernarg_size 48
		.amdhsa_user_sgpr_count 2
		.amdhsa_user_sgpr_dispatch_ptr 0
		.amdhsa_user_sgpr_queue_ptr 0
		.amdhsa_user_sgpr_kernarg_segment_ptr 1
		.amdhsa_user_sgpr_dispatch_id 0
		.amdhsa_user_sgpr_kernarg_preload_length 0
		.amdhsa_user_sgpr_kernarg_preload_offset 0
		.amdhsa_user_sgpr_private_segment_size 0
		.amdhsa_uses_dynamic_stack 0
		.amdhsa_enable_private_segment 0
		.amdhsa_system_sgpr_workgroup_id_x 1
		.amdhsa_system_sgpr_workgroup_id_y 0
		.amdhsa_system_sgpr_workgroup_id_z 0
		.amdhsa_system_sgpr_workgroup_info 0
		.amdhsa_system_vgpr_workitem_id 0
		.amdhsa_next_free_vgpr 1
		.amdhsa_next_free_sgpr 0
		.amdhsa_accum_offset 4
		.amdhsa_reserve_vcc 0
		.amdhsa_float_round_mode_32 0
		.amdhsa_float_round_mode_16_64 0
		.amdhsa_float_denorm_mode_32 3
		.amdhsa_float_denorm_mode_16_64 3
		.amdhsa_dx10_clamp 1
		.amdhsa_ieee_mode 1
		.amdhsa_fp16_overflow 0
		.amdhsa_tg_split 0
		.amdhsa_exception_fp_ieee_invalid_op 0
		.amdhsa_exception_fp_denorm_src 0
		.amdhsa_exception_fp_ieee_div_zero 0
		.amdhsa_exception_fp_ieee_overflow 0
		.amdhsa_exception_fp_ieee_underflow 0
		.amdhsa_exception_fp_ieee_inexact 0
		.amdhsa_exception_int_div_zero 0
	.end_amdhsa_kernel
	.section	.text._ZN7rocprim17ROCPRIM_400000_NS6detail17trampoline_kernelINS0_14default_configENS1_25transform_config_selectorImLb0EEEZNS1_14transform_implILb0ES3_S5_NS0_17constant_iteratorImlEEPlNS0_8identityImEEEE10hipError_tT2_T3_mT4_P12ihipStream_tbEUlT_E_NS1_11comp_targetILNS1_3genE4ELNS1_11target_archE910ELNS1_3gpuE8ELNS1_3repE0EEENS1_30default_config_static_selectorELNS0_4arch9wavefront6targetE1EEEvT1_,"axG",@progbits,_ZN7rocprim17ROCPRIM_400000_NS6detail17trampoline_kernelINS0_14default_configENS1_25transform_config_selectorImLb0EEEZNS1_14transform_implILb0ES3_S5_NS0_17constant_iteratorImlEEPlNS0_8identityImEEEE10hipError_tT2_T3_mT4_P12ihipStream_tbEUlT_E_NS1_11comp_targetILNS1_3genE4ELNS1_11target_archE910ELNS1_3gpuE8ELNS1_3repE0EEENS1_30default_config_static_selectorELNS0_4arch9wavefront6targetE1EEEvT1_,comdat
.Lfunc_end50:
	.size	_ZN7rocprim17ROCPRIM_400000_NS6detail17trampoline_kernelINS0_14default_configENS1_25transform_config_selectorImLb0EEEZNS1_14transform_implILb0ES3_S5_NS0_17constant_iteratorImlEEPlNS0_8identityImEEEE10hipError_tT2_T3_mT4_P12ihipStream_tbEUlT_E_NS1_11comp_targetILNS1_3genE4ELNS1_11target_archE910ELNS1_3gpuE8ELNS1_3repE0EEENS1_30default_config_static_selectorELNS0_4arch9wavefront6targetE1EEEvT1_, .Lfunc_end50-_ZN7rocprim17ROCPRIM_400000_NS6detail17trampoline_kernelINS0_14default_configENS1_25transform_config_selectorImLb0EEEZNS1_14transform_implILb0ES3_S5_NS0_17constant_iteratorImlEEPlNS0_8identityImEEEE10hipError_tT2_T3_mT4_P12ihipStream_tbEUlT_E_NS1_11comp_targetILNS1_3genE4ELNS1_11target_archE910ELNS1_3gpuE8ELNS1_3repE0EEENS1_30default_config_static_selectorELNS0_4arch9wavefront6targetE1EEEvT1_
                                        ; -- End function
	.section	.AMDGPU.csdata,"",@progbits
; Kernel info:
; codeLenInByte = 0
; NumSgprs: 6
; NumVgprs: 0
; NumAgprs: 0
; TotalNumVgprs: 0
; ScratchSize: 0
; MemoryBound: 0
; FloatMode: 240
; IeeeMode: 1
; LDSByteSize: 0 bytes/workgroup (compile time only)
; SGPRBlocks: 0
; VGPRBlocks: 0
; NumSGPRsForWavesPerEU: 6
; NumVGPRsForWavesPerEU: 1
; AccumOffset: 4
; Occupancy: 8
; WaveLimiterHint : 0
; COMPUTE_PGM_RSRC2:SCRATCH_EN: 0
; COMPUTE_PGM_RSRC2:USER_SGPR: 2
; COMPUTE_PGM_RSRC2:TRAP_HANDLER: 0
; COMPUTE_PGM_RSRC2:TGID_X_EN: 1
; COMPUTE_PGM_RSRC2:TGID_Y_EN: 0
; COMPUTE_PGM_RSRC2:TGID_Z_EN: 0
; COMPUTE_PGM_RSRC2:TIDIG_COMP_CNT: 0
; COMPUTE_PGM_RSRC3_GFX90A:ACCUM_OFFSET: 0
; COMPUTE_PGM_RSRC3_GFX90A:TG_SPLIT: 0
	.section	.text._ZN7rocprim17ROCPRIM_400000_NS6detail17trampoline_kernelINS0_14default_configENS1_25transform_config_selectorImLb0EEEZNS1_14transform_implILb0ES3_S5_NS0_17constant_iteratorImlEEPlNS0_8identityImEEEE10hipError_tT2_T3_mT4_P12ihipStream_tbEUlT_E_NS1_11comp_targetILNS1_3genE3ELNS1_11target_archE908ELNS1_3gpuE7ELNS1_3repE0EEENS1_30default_config_static_selectorELNS0_4arch9wavefront6targetE1EEEvT1_,"axG",@progbits,_ZN7rocprim17ROCPRIM_400000_NS6detail17trampoline_kernelINS0_14default_configENS1_25transform_config_selectorImLb0EEEZNS1_14transform_implILb0ES3_S5_NS0_17constant_iteratorImlEEPlNS0_8identityImEEEE10hipError_tT2_T3_mT4_P12ihipStream_tbEUlT_E_NS1_11comp_targetILNS1_3genE3ELNS1_11target_archE908ELNS1_3gpuE7ELNS1_3repE0EEENS1_30default_config_static_selectorELNS0_4arch9wavefront6targetE1EEEvT1_,comdat
	.protected	_ZN7rocprim17ROCPRIM_400000_NS6detail17trampoline_kernelINS0_14default_configENS1_25transform_config_selectorImLb0EEEZNS1_14transform_implILb0ES3_S5_NS0_17constant_iteratorImlEEPlNS0_8identityImEEEE10hipError_tT2_T3_mT4_P12ihipStream_tbEUlT_E_NS1_11comp_targetILNS1_3genE3ELNS1_11target_archE908ELNS1_3gpuE7ELNS1_3repE0EEENS1_30default_config_static_selectorELNS0_4arch9wavefront6targetE1EEEvT1_ ; -- Begin function _ZN7rocprim17ROCPRIM_400000_NS6detail17trampoline_kernelINS0_14default_configENS1_25transform_config_selectorImLb0EEEZNS1_14transform_implILb0ES3_S5_NS0_17constant_iteratorImlEEPlNS0_8identityImEEEE10hipError_tT2_T3_mT4_P12ihipStream_tbEUlT_E_NS1_11comp_targetILNS1_3genE3ELNS1_11target_archE908ELNS1_3gpuE7ELNS1_3repE0EEENS1_30default_config_static_selectorELNS0_4arch9wavefront6targetE1EEEvT1_
	.globl	_ZN7rocprim17ROCPRIM_400000_NS6detail17trampoline_kernelINS0_14default_configENS1_25transform_config_selectorImLb0EEEZNS1_14transform_implILb0ES3_S5_NS0_17constant_iteratorImlEEPlNS0_8identityImEEEE10hipError_tT2_T3_mT4_P12ihipStream_tbEUlT_E_NS1_11comp_targetILNS1_3genE3ELNS1_11target_archE908ELNS1_3gpuE7ELNS1_3repE0EEENS1_30default_config_static_selectorELNS0_4arch9wavefront6targetE1EEEvT1_
	.p2align	8
	.type	_ZN7rocprim17ROCPRIM_400000_NS6detail17trampoline_kernelINS0_14default_configENS1_25transform_config_selectorImLb0EEEZNS1_14transform_implILb0ES3_S5_NS0_17constant_iteratorImlEEPlNS0_8identityImEEEE10hipError_tT2_T3_mT4_P12ihipStream_tbEUlT_E_NS1_11comp_targetILNS1_3genE3ELNS1_11target_archE908ELNS1_3gpuE7ELNS1_3repE0EEENS1_30default_config_static_selectorELNS0_4arch9wavefront6targetE1EEEvT1_,@function
_ZN7rocprim17ROCPRIM_400000_NS6detail17trampoline_kernelINS0_14default_configENS1_25transform_config_selectorImLb0EEEZNS1_14transform_implILb0ES3_S5_NS0_17constant_iteratorImlEEPlNS0_8identityImEEEE10hipError_tT2_T3_mT4_P12ihipStream_tbEUlT_E_NS1_11comp_targetILNS1_3genE3ELNS1_11target_archE908ELNS1_3gpuE7ELNS1_3repE0EEENS1_30default_config_static_selectorELNS0_4arch9wavefront6targetE1EEEvT1_: ; @_ZN7rocprim17ROCPRIM_400000_NS6detail17trampoline_kernelINS0_14default_configENS1_25transform_config_selectorImLb0EEEZNS1_14transform_implILb0ES3_S5_NS0_17constant_iteratorImlEEPlNS0_8identityImEEEE10hipError_tT2_T3_mT4_P12ihipStream_tbEUlT_E_NS1_11comp_targetILNS1_3genE3ELNS1_11target_archE908ELNS1_3gpuE7ELNS1_3repE0EEENS1_30default_config_static_selectorELNS0_4arch9wavefront6targetE1EEEvT1_
; %bb.0:
	.section	.rodata,"a",@progbits
	.p2align	6, 0x0
	.amdhsa_kernel _ZN7rocprim17ROCPRIM_400000_NS6detail17trampoline_kernelINS0_14default_configENS1_25transform_config_selectorImLb0EEEZNS1_14transform_implILb0ES3_S5_NS0_17constant_iteratorImlEEPlNS0_8identityImEEEE10hipError_tT2_T3_mT4_P12ihipStream_tbEUlT_E_NS1_11comp_targetILNS1_3genE3ELNS1_11target_archE908ELNS1_3gpuE7ELNS1_3repE0EEENS1_30default_config_static_selectorELNS0_4arch9wavefront6targetE1EEEvT1_
		.amdhsa_group_segment_fixed_size 0
		.amdhsa_private_segment_fixed_size 0
		.amdhsa_kernarg_size 48
		.amdhsa_user_sgpr_count 2
		.amdhsa_user_sgpr_dispatch_ptr 0
		.amdhsa_user_sgpr_queue_ptr 0
		.amdhsa_user_sgpr_kernarg_segment_ptr 1
		.amdhsa_user_sgpr_dispatch_id 0
		.amdhsa_user_sgpr_kernarg_preload_length 0
		.amdhsa_user_sgpr_kernarg_preload_offset 0
		.amdhsa_user_sgpr_private_segment_size 0
		.amdhsa_uses_dynamic_stack 0
		.amdhsa_enable_private_segment 0
		.amdhsa_system_sgpr_workgroup_id_x 1
		.amdhsa_system_sgpr_workgroup_id_y 0
		.amdhsa_system_sgpr_workgroup_id_z 0
		.amdhsa_system_sgpr_workgroup_info 0
		.amdhsa_system_vgpr_workitem_id 0
		.amdhsa_next_free_vgpr 1
		.amdhsa_next_free_sgpr 0
		.amdhsa_accum_offset 4
		.amdhsa_reserve_vcc 0
		.amdhsa_float_round_mode_32 0
		.amdhsa_float_round_mode_16_64 0
		.amdhsa_float_denorm_mode_32 3
		.amdhsa_float_denorm_mode_16_64 3
		.amdhsa_dx10_clamp 1
		.amdhsa_ieee_mode 1
		.amdhsa_fp16_overflow 0
		.amdhsa_tg_split 0
		.amdhsa_exception_fp_ieee_invalid_op 0
		.amdhsa_exception_fp_denorm_src 0
		.amdhsa_exception_fp_ieee_div_zero 0
		.amdhsa_exception_fp_ieee_overflow 0
		.amdhsa_exception_fp_ieee_underflow 0
		.amdhsa_exception_fp_ieee_inexact 0
		.amdhsa_exception_int_div_zero 0
	.end_amdhsa_kernel
	.section	.text._ZN7rocprim17ROCPRIM_400000_NS6detail17trampoline_kernelINS0_14default_configENS1_25transform_config_selectorImLb0EEEZNS1_14transform_implILb0ES3_S5_NS0_17constant_iteratorImlEEPlNS0_8identityImEEEE10hipError_tT2_T3_mT4_P12ihipStream_tbEUlT_E_NS1_11comp_targetILNS1_3genE3ELNS1_11target_archE908ELNS1_3gpuE7ELNS1_3repE0EEENS1_30default_config_static_selectorELNS0_4arch9wavefront6targetE1EEEvT1_,"axG",@progbits,_ZN7rocprim17ROCPRIM_400000_NS6detail17trampoline_kernelINS0_14default_configENS1_25transform_config_selectorImLb0EEEZNS1_14transform_implILb0ES3_S5_NS0_17constant_iteratorImlEEPlNS0_8identityImEEEE10hipError_tT2_T3_mT4_P12ihipStream_tbEUlT_E_NS1_11comp_targetILNS1_3genE3ELNS1_11target_archE908ELNS1_3gpuE7ELNS1_3repE0EEENS1_30default_config_static_selectorELNS0_4arch9wavefront6targetE1EEEvT1_,comdat
.Lfunc_end51:
	.size	_ZN7rocprim17ROCPRIM_400000_NS6detail17trampoline_kernelINS0_14default_configENS1_25transform_config_selectorImLb0EEEZNS1_14transform_implILb0ES3_S5_NS0_17constant_iteratorImlEEPlNS0_8identityImEEEE10hipError_tT2_T3_mT4_P12ihipStream_tbEUlT_E_NS1_11comp_targetILNS1_3genE3ELNS1_11target_archE908ELNS1_3gpuE7ELNS1_3repE0EEENS1_30default_config_static_selectorELNS0_4arch9wavefront6targetE1EEEvT1_, .Lfunc_end51-_ZN7rocprim17ROCPRIM_400000_NS6detail17trampoline_kernelINS0_14default_configENS1_25transform_config_selectorImLb0EEEZNS1_14transform_implILb0ES3_S5_NS0_17constant_iteratorImlEEPlNS0_8identityImEEEE10hipError_tT2_T3_mT4_P12ihipStream_tbEUlT_E_NS1_11comp_targetILNS1_3genE3ELNS1_11target_archE908ELNS1_3gpuE7ELNS1_3repE0EEENS1_30default_config_static_selectorELNS0_4arch9wavefront6targetE1EEEvT1_
                                        ; -- End function
	.section	.AMDGPU.csdata,"",@progbits
; Kernel info:
; codeLenInByte = 0
; NumSgprs: 6
; NumVgprs: 0
; NumAgprs: 0
; TotalNumVgprs: 0
; ScratchSize: 0
; MemoryBound: 0
; FloatMode: 240
; IeeeMode: 1
; LDSByteSize: 0 bytes/workgroup (compile time only)
; SGPRBlocks: 0
; VGPRBlocks: 0
; NumSGPRsForWavesPerEU: 6
; NumVGPRsForWavesPerEU: 1
; AccumOffset: 4
; Occupancy: 8
; WaveLimiterHint : 0
; COMPUTE_PGM_RSRC2:SCRATCH_EN: 0
; COMPUTE_PGM_RSRC2:USER_SGPR: 2
; COMPUTE_PGM_RSRC2:TRAP_HANDLER: 0
; COMPUTE_PGM_RSRC2:TGID_X_EN: 1
; COMPUTE_PGM_RSRC2:TGID_Y_EN: 0
; COMPUTE_PGM_RSRC2:TGID_Z_EN: 0
; COMPUTE_PGM_RSRC2:TIDIG_COMP_CNT: 0
; COMPUTE_PGM_RSRC3_GFX90A:ACCUM_OFFSET: 0
; COMPUTE_PGM_RSRC3_GFX90A:TG_SPLIT: 0
	.section	.text._ZN7rocprim17ROCPRIM_400000_NS6detail17trampoline_kernelINS0_14default_configENS1_25transform_config_selectorImLb0EEEZNS1_14transform_implILb0ES3_S5_NS0_17constant_iteratorImlEEPlNS0_8identityImEEEE10hipError_tT2_T3_mT4_P12ihipStream_tbEUlT_E_NS1_11comp_targetILNS1_3genE2ELNS1_11target_archE906ELNS1_3gpuE6ELNS1_3repE0EEENS1_30default_config_static_selectorELNS0_4arch9wavefront6targetE1EEEvT1_,"axG",@progbits,_ZN7rocprim17ROCPRIM_400000_NS6detail17trampoline_kernelINS0_14default_configENS1_25transform_config_selectorImLb0EEEZNS1_14transform_implILb0ES3_S5_NS0_17constant_iteratorImlEEPlNS0_8identityImEEEE10hipError_tT2_T3_mT4_P12ihipStream_tbEUlT_E_NS1_11comp_targetILNS1_3genE2ELNS1_11target_archE906ELNS1_3gpuE6ELNS1_3repE0EEENS1_30default_config_static_selectorELNS0_4arch9wavefront6targetE1EEEvT1_,comdat
	.protected	_ZN7rocprim17ROCPRIM_400000_NS6detail17trampoline_kernelINS0_14default_configENS1_25transform_config_selectorImLb0EEEZNS1_14transform_implILb0ES3_S5_NS0_17constant_iteratorImlEEPlNS0_8identityImEEEE10hipError_tT2_T3_mT4_P12ihipStream_tbEUlT_E_NS1_11comp_targetILNS1_3genE2ELNS1_11target_archE906ELNS1_3gpuE6ELNS1_3repE0EEENS1_30default_config_static_selectorELNS0_4arch9wavefront6targetE1EEEvT1_ ; -- Begin function _ZN7rocprim17ROCPRIM_400000_NS6detail17trampoline_kernelINS0_14default_configENS1_25transform_config_selectorImLb0EEEZNS1_14transform_implILb0ES3_S5_NS0_17constant_iteratorImlEEPlNS0_8identityImEEEE10hipError_tT2_T3_mT4_P12ihipStream_tbEUlT_E_NS1_11comp_targetILNS1_3genE2ELNS1_11target_archE906ELNS1_3gpuE6ELNS1_3repE0EEENS1_30default_config_static_selectorELNS0_4arch9wavefront6targetE1EEEvT1_
	.globl	_ZN7rocprim17ROCPRIM_400000_NS6detail17trampoline_kernelINS0_14default_configENS1_25transform_config_selectorImLb0EEEZNS1_14transform_implILb0ES3_S5_NS0_17constant_iteratorImlEEPlNS0_8identityImEEEE10hipError_tT2_T3_mT4_P12ihipStream_tbEUlT_E_NS1_11comp_targetILNS1_3genE2ELNS1_11target_archE906ELNS1_3gpuE6ELNS1_3repE0EEENS1_30default_config_static_selectorELNS0_4arch9wavefront6targetE1EEEvT1_
	.p2align	8
	.type	_ZN7rocprim17ROCPRIM_400000_NS6detail17trampoline_kernelINS0_14default_configENS1_25transform_config_selectorImLb0EEEZNS1_14transform_implILb0ES3_S5_NS0_17constant_iteratorImlEEPlNS0_8identityImEEEE10hipError_tT2_T3_mT4_P12ihipStream_tbEUlT_E_NS1_11comp_targetILNS1_3genE2ELNS1_11target_archE906ELNS1_3gpuE6ELNS1_3repE0EEENS1_30default_config_static_selectorELNS0_4arch9wavefront6targetE1EEEvT1_,@function
_ZN7rocprim17ROCPRIM_400000_NS6detail17trampoline_kernelINS0_14default_configENS1_25transform_config_selectorImLb0EEEZNS1_14transform_implILb0ES3_S5_NS0_17constant_iteratorImlEEPlNS0_8identityImEEEE10hipError_tT2_T3_mT4_P12ihipStream_tbEUlT_E_NS1_11comp_targetILNS1_3genE2ELNS1_11target_archE906ELNS1_3gpuE6ELNS1_3repE0EEENS1_30default_config_static_selectorELNS0_4arch9wavefront6targetE1EEEvT1_: ; @_ZN7rocprim17ROCPRIM_400000_NS6detail17trampoline_kernelINS0_14default_configENS1_25transform_config_selectorImLb0EEEZNS1_14transform_implILb0ES3_S5_NS0_17constant_iteratorImlEEPlNS0_8identityImEEEE10hipError_tT2_T3_mT4_P12ihipStream_tbEUlT_E_NS1_11comp_targetILNS1_3genE2ELNS1_11target_archE906ELNS1_3gpuE6ELNS1_3repE0EEENS1_30default_config_static_selectorELNS0_4arch9wavefront6targetE1EEEvT1_
; %bb.0:
	.section	.rodata,"a",@progbits
	.p2align	6, 0x0
	.amdhsa_kernel _ZN7rocprim17ROCPRIM_400000_NS6detail17trampoline_kernelINS0_14default_configENS1_25transform_config_selectorImLb0EEEZNS1_14transform_implILb0ES3_S5_NS0_17constant_iteratorImlEEPlNS0_8identityImEEEE10hipError_tT2_T3_mT4_P12ihipStream_tbEUlT_E_NS1_11comp_targetILNS1_3genE2ELNS1_11target_archE906ELNS1_3gpuE6ELNS1_3repE0EEENS1_30default_config_static_selectorELNS0_4arch9wavefront6targetE1EEEvT1_
		.amdhsa_group_segment_fixed_size 0
		.amdhsa_private_segment_fixed_size 0
		.amdhsa_kernarg_size 48
		.amdhsa_user_sgpr_count 2
		.amdhsa_user_sgpr_dispatch_ptr 0
		.amdhsa_user_sgpr_queue_ptr 0
		.amdhsa_user_sgpr_kernarg_segment_ptr 1
		.amdhsa_user_sgpr_dispatch_id 0
		.amdhsa_user_sgpr_kernarg_preload_length 0
		.amdhsa_user_sgpr_kernarg_preload_offset 0
		.amdhsa_user_sgpr_private_segment_size 0
		.amdhsa_uses_dynamic_stack 0
		.amdhsa_enable_private_segment 0
		.amdhsa_system_sgpr_workgroup_id_x 1
		.amdhsa_system_sgpr_workgroup_id_y 0
		.amdhsa_system_sgpr_workgroup_id_z 0
		.amdhsa_system_sgpr_workgroup_info 0
		.amdhsa_system_vgpr_workitem_id 0
		.amdhsa_next_free_vgpr 1
		.amdhsa_next_free_sgpr 0
		.amdhsa_accum_offset 4
		.amdhsa_reserve_vcc 0
		.amdhsa_float_round_mode_32 0
		.amdhsa_float_round_mode_16_64 0
		.amdhsa_float_denorm_mode_32 3
		.amdhsa_float_denorm_mode_16_64 3
		.amdhsa_dx10_clamp 1
		.amdhsa_ieee_mode 1
		.amdhsa_fp16_overflow 0
		.amdhsa_tg_split 0
		.amdhsa_exception_fp_ieee_invalid_op 0
		.amdhsa_exception_fp_denorm_src 0
		.amdhsa_exception_fp_ieee_div_zero 0
		.amdhsa_exception_fp_ieee_overflow 0
		.amdhsa_exception_fp_ieee_underflow 0
		.amdhsa_exception_fp_ieee_inexact 0
		.amdhsa_exception_int_div_zero 0
	.end_amdhsa_kernel
	.section	.text._ZN7rocprim17ROCPRIM_400000_NS6detail17trampoline_kernelINS0_14default_configENS1_25transform_config_selectorImLb0EEEZNS1_14transform_implILb0ES3_S5_NS0_17constant_iteratorImlEEPlNS0_8identityImEEEE10hipError_tT2_T3_mT4_P12ihipStream_tbEUlT_E_NS1_11comp_targetILNS1_3genE2ELNS1_11target_archE906ELNS1_3gpuE6ELNS1_3repE0EEENS1_30default_config_static_selectorELNS0_4arch9wavefront6targetE1EEEvT1_,"axG",@progbits,_ZN7rocprim17ROCPRIM_400000_NS6detail17trampoline_kernelINS0_14default_configENS1_25transform_config_selectorImLb0EEEZNS1_14transform_implILb0ES3_S5_NS0_17constant_iteratorImlEEPlNS0_8identityImEEEE10hipError_tT2_T3_mT4_P12ihipStream_tbEUlT_E_NS1_11comp_targetILNS1_3genE2ELNS1_11target_archE906ELNS1_3gpuE6ELNS1_3repE0EEENS1_30default_config_static_selectorELNS0_4arch9wavefront6targetE1EEEvT1_,comdat
.Lfunc_end52:
	.size	_ZN7rocprim17ROCPRIM_400000_NS6detail17trampoline_kernelINS0_14default_configENS1_25transform_config_selectorImLb0EEEZNS1_14transform_implILb0ES3_S5_NS0_17constant_iteratorImlEEPlNS0_8identityImEEEE10hipError_tT2_T3_mT4_P12ihipStream_tbEUlT_E_NS1_11comp_targetILNS1_3genE2ELNS1_11target_archE906ELNS1_3gpuE6ELNS1_3repE0EEENS1_30default_config_static_selectorELNS0_4arch9wavefront6targetE1EEEvT1_, .Lfunc_end52-_ZN7rocprim17ROCPRIM_400000_NS6detail17trampoline_kernelINS0_14default_configENS1_25transform_config_selectorImLb0EEEZNS1_14transform_implILb0ES3_S5_NS0_17constant_iteratorImlEEPlNS0_8identityImEEEE10hipError_tT2_T3_mT4_P12ihipStream_tbEUlT_E_NS1_11comp_targetILNS1_3genE2ELNS1_11target_archE906ELNS1_3gpuE6ELNS1_3repE0EEENS1_30default_config_static_selectorELNS0_4arch9wavefront6targetE1EEEvT1_
                                        ; -- End function
	.section	.AMDGPU.csdata,"",@progbits
; Kernel info:
; codeLenInByte = 0
; NumSgprs: 6
; NumVgprs: 0
; NumAgprs: 0
; TotalNumVgprs: 0
; ScratchSize: 0
; MemoryBound: 0
; FloatMode: 240
; IeeeMode: 1
; LDSByteSize: 0 bytes/workgroup (compile time only)
; SGPRBlocks: 0
; VGPRBlocks: 0
; NumSGPRsForWavesPerEU: 6
; NumVGPRsForWavesPerEU: 1
; AccumOffset: 4
; Occupancy: 8
; WaveLimiterHint : 0
; COMPUTE_PGM_RSRC2:SCRATCH_EN: 0
; COMPUTE_PGM_RSRC2:USER_SGPR: 2
; COMPUTE_PGM_RSRC2:TRAP_HANDLER: 0
; COMPUTE_PGM_RSRC2:TGID_X_EN: 1
; COMPUTE_PGM_RSRC2:TGID_Y_EN: 0
; COMPUTE_PGM_RSRC2:TGID_Z_EN: 0
; COMPUTE_PGM_RSRC2:TIDIG_COMP_CNT: 0
; COMPUTE_PGM_RSRC3_GFX90A:ACCUM_OFFSET: 0
; COMPUTE_PGM_RSRC3_GFX90A:TG_SPLIT: 0
	.section	.text._ZN7rocprim17ROCPRIM_400000_NS6detail17trampoline_kernelINS0_14default_configENS1_25transform_config_selectorImLb0EEEZNS1_14transform_implILb0ES3_S5_NS0_17constant_iteratorImlEEPlNS0_8identityImEEEE10hipError_tT2_T3_mT4_P12ihipStream_tbEUlT_E_NS1_11comp_targetILNS1_3genE10ELNS1_11target_archE1201ELNS1_3gpuE5ELNS1_3repE0EEENS1_30default_config_static_selectorELNS0_4arch9wavefront6targetE1EEEvT1_,"axG",@progbits,_ZN7rocprim17ROCPRIM_400000_NS6detail17trampoline_kernelINS0_14default_configENS1_25transform_config_selectorImLb0EEEZNS1_14transform_implILb0ES3_S5_NS0_17constant_iteratorImlEEPlNS0_8identityImEEEE10hipError_tT2_T3_mT4_P12ihipStream_tbEUlT_E_NS1_11comp_targetILNS1_3genE10ELNS1_11target_archE1201ELNS1_3gpuE5ELNS1_3repE0EEENS1_30default_config_static_selectorELNS0_4arch9wavefront6targetE1EEEvT1_,comdat
	.protected	_ZN7rocprim17ROCPRIM_400000_NS6detail17trampoline_kernelINS0_14default_configENS1_25transform_config_selectorImLb0EEEZNS1_14transform_implILb0ES3_S5_NS0_17constant_iteratorImlEEPlNS0_8identityImEEEE10hipError_tT2_T3_mT4_P12ihipStream_tbEUlT_E_NS1_11comp_targetILNS1_3genE10ELNS1_11target_archE1201ELNS1_3gpuE5ELNS1_3repE0EEENS1_30default_config_static_selectorELNS0_4arch9wavefront6targetE1EEEvT1_ ; -- Begin function _ZN7rocprim17ROCPRIM_400000_NS6detail17trampoline_kernelINS0_14default_configENS1_25transform_config_selectorImLb0EEEZNS1_14transform_implILb0ES3_S5_NS0_17constant_iteratorImlEEPlNS0_8identityImEEEE10hipError_tT2_T3_mT4_P12ihipStream_tbEUlT_E_NS1_11comp_targetILNS1_3genE10ELNS1_11target_archE1201ELNS1_3gpuE5ELNS1_3repE0EEENS1_30default_config_static_selectorELNS0_4arch9wavefront6targetE1EEEvT1_
	.globl	_ZN7rocprim17ROCPRIM_400000_NS6detail17trampoline_kernelINS0_14default_configENS1_25transform_config_selectorImLb0EEEZNS1_14transform_implILb0ES3_S5_NS0_17constant_iteratorImlEEPlNS0_8identityImEEEE10hipError_tT2_T3_mT4_P12ihipStream_tbEUlT_E_NS1_11comp_targetILNS1_3genE10ELNS1_11target_archE1201ELNS1_3gpuE5ELNS1_3repE0EEENS1_30default_config_static_selectorELNS0_4arch9wavefront6targetE1EEEvT1_
	.p2align	8
	.type	_ZN7rocprim17ROCPRIM_400000_NS6detail17trampoline_kernelINS0_14default_configENS1_25transform_config_selectorImLb0EEEZNS1_14transform_implILb0ES3_S5_NS0_17constant_iteratorImlEEPlNS0_8identityImEEEE10hipError_tT2_T3_mT4_P12ihipStream_tbEUlT_E_NS1_11comp_targetILNS1_3genE10ELNS1_11target_archE1201ELNS1_3gpuE5ELNS1_3repE0EEENS1_30default_config_static_selectorELNS0_4arch9wavefront6targetE1EEEvT1_,@function
_ZN7rocprim17ROCPRIM_400000_NS6detail17trampoline_kernelINS0_14default_configENS1_25transform_config_selectorImLb0EEEZNS1_14transform_implILb0ES3_S5_NS0_17constant_iteratorImlEEPlNS0_8identityImEEEE10hipError_tT2_T3_mT4_P12ihipStream_tbEUlT_E_NS1_11comp_targetILNS1_3genE10ELNS1_11target_archE1201ELNS1_3gpuE5ELNS1_3repE0EEENS1_30default_config_static_selectorELNS0_4arch9wavefront6targetE1EEEvT1_: ; @_ZN7rocprim17ROCPRIM_400000_NS6detail17trampoline_kernelINS0_14default_configENS1_25transform_config_selectorImLb0EEEZNS1_14transform_implILb0ES3_S5_NS0_17constant_iteratorImlEEPlNS0_8identityImEEEE10hipError_tT2_T3_mT4_P12ihipStream_tbEUlT_E_NS1_11comp_targetILNS1_3genE10ELNS1_11target_archE1201ELNS1_3gpuE5ELNS1_3repE0EEENS1_30default_config_static_selectorELNS0_4arch9wavefront6targetE1EEEvT1_
; %bb.0:
	.section	.rodata,"a",@progbits
	.p2align	6, 0x0
	.amdhsa_kernel _ZN7rocprim17ROCPRIM_400000_NS6detail17trampoline_kernelINS0_14default_configENS1_25transform_config_selectorImLb0EEEZNS1_14transform_implILb0ES3_S5_NS0_17constant_iteratorImlEEPlNS0_8identityImEEEE10hipError_tT2_T3_mT4_P12ihipStream_tbEUlT_E_NS1_11comp_targetILNS1_3genE10ELNS1_11target_archE1201ELNS1_3gpuE5ELNS1_3repE0EEENS1_30default_config_static_selectorELNS0_4arch9wavefront6targetE1EEEvT1_
		.amdhsa_group_segment_fixed_size 0
		.amdhsa_private_segment_fixed_size 0
		.amdhsa_kernarg_size 48
		.amdhsa_user_sgpr_count 2
		.amdhsa_user_sgpr_dispatch_ptr 0
		.amdhsa_user_sgpr_queue_ptr 0
		.amdhsa_user_sgpr_kernarg_segment_ptr 1
		.amdhsa_user_sgpr_dispatch_id 0
		.amdhsa_user_sgpr_kernarg_preload_length 0
		.amdhsa_user_sgpr_kernarg_preload_offset 0
		.amdhsa_user_sgpr_private_segment_size 0
		.amdhsa_uses_dynamic_stack 0
		.amdhsa_enable_private_segment 0
		.amdhsa_system_sgpr_workgroup_id_x 1
		.amdhsa_system_sgpr_workgroup_id_y 0
		.amdhsa_system_sgpr_workgroup_id_z 0
		.amdhsa_system_sgpr_workgroup_info 0
		.amdhsa_system_vgpr_workitem_id 0
		.amdhsa_next_free_vgpr 1
		.amdhsa_next_free_sgpr 0
		.amdhsa_accum_offset 4
		.amdhsa_reserve_vcc 0
		.amdhsa_float_round_mode_32 0
		.amdhsa_float_round_mode_16_64 0
		.amdhsa_float_denorm_mode_32 3
		.amdhsa_float_denorm_mode_16_64 3
		.amdhsa_dx10_clamp 1
		.amdhsa_ieee_mode 1
		.amdhsa_fp16_overflow 0
		.amdhsa_tg_split 0
		.amdhsa_exception_fp_ieee_invalid_op 0
		.amdhsa_exception_fp_denorm_src 0
		.amdhsa_exception_fp_ieee_div_zero 0
		.amdhsa_exception_fp_ieee_overflow 0
		.amdhsa_exception_fp_ieee_underflow 0
		.amdhsa_exception_fp_ieee_inexact 0
		.amdhsa_exception_int_div_zero 0
	.end_amdhsa_kernel
	.section	.text._ZN7rocprim17ROCPRIM_400000_NS6detail17trampoline_kernelINS0_14default_configENS1_25transform_config_selectorImLb0EEEZNS1_14transform_implILb0ES3_S5_NS0_17constant_iteratorImlEEPlNS0_8identityImEEEE10hipError_tT2_T3_mT4_P12ihipStream_tbEUlT_E_NS1_11comp_targetILNS1_3genE10ELNS1_11target_archE1201ELNS1_3gpuE5ELNS1_3repE0EEENS1_30default_config_static_selectorELNS0_4arch9wavefront6targetE1EEEvT1_,"axG",@progbits,_ZN7rocprim17ROCPRIM_400000_NS6detail17trampoline_kernelINS0_14default_configENS1_25transform_config_selectorImLb0EEEZNS1_14transform_implILb0ES3_S5_NS0_17constant_iteratorImlEEPlNS0_8identityImEEEE10hipError_tT2_T3_mT4_P12ihipStream_tbEUlT_E_NS1_11comp_targetILNS1_3genE10ELNS1_11target_archE1201ELNS1_3gpuE5ELNS1_3repE0EEENS1_30default_config_static_selectorELNS0_4arch9wavefront6targetE1EEEvT1_,comdat
.Lfunc_end53:
	.size	_ZN7rocprim17ROCPRIM_400000_NS6detail17trampoline_kernelINS0_14default_configENS1_25transform_config_selectorImLb0EEEZNS1_14transform_implILb0ES3_S5_NS0_17constant_iteratorImlEEPlNS0_8identityImEEEE10hipError_tT2_T3_mT4_P12ihipStream_tbEUlT_E_NS1_11comp_targetILNS1_3genE10ELNS1_11target_archE1201ELNS1_3gpuE5ELNS1_3repE0EEENS1_30default_config_static_selectorELNS0_4arch9wavefront6targetE1EEEvT1_, .Lfunc_end53-_ZN7rocprim17ROCPRIM_400000_NS6detail17trampoline_kernelINS0_14default_configENS1_25transform_config_selectorImLb0EEEZNS1_14transform_implILb0ES3_S5_NS0_17constant_iteratorImlEEPlNS0_8identityImEEEE10hipError_tT2_T3_mT4_P12ihipStream_tbEUlT_E_NS1_11comp_targetILNS1_3genE10ELNS1_11target_archE1201ELNS1_3gpuE5ELNS1_3repE0EEENS1_30default_config_static_selectorELNS0_4arch9wavefront6targetE1EEEvT1_
                                        ; -- End function
	.section	.AMDGPU.csdata,"",@progbits
; Kernel info:
; codeLenInByte = 0
; NumSgprs: 6
; NumVgprs: 0
; NumAgprs: 0
; TotalNumVgprs: 0
; ScratchSize: 0
; MemoryBound: 0
; FloatMode: 240
; IeeeMode: 1
; LDSByteSize: 0 bytes/workgroup (compile time only)
; SGPRBlocks: 0
; VGPRBlocks: 0
; NumSGPRsForWavesPerEU: 6
; NumVGPRsForWavesPerEU: 1
; AccumOffset: 4
; Occupancy: 8
; WaveLimiterHint : 0
; COMPUTE_PGM_RSRC2:SCRATCH_EN: 0
; COMPUTE_PGM_RSRC2:USER_SGPR: 2
; COMPUTE_PGM_RSRC2:TRAP_HANDLER: 0
; COMPUTE_PGM_RSRC2:TGID_X_EN: 1
; COMPUTE_PGM_RSRC2:TGID_Y_EN: 0
; COMPUTE_PGM_RSRC2:TGID_Z_EN: 0
; COMPUTE_PGM_RSRC2:TIDIG_COMP_CNT: 0
; COMPUTE_PGM_RSRC3_GFX90A:ACCUM_OFFSET: 0
; COMPUTE_PGM_RSRC3_GFX90A:TG_SPLIT: 0
	.section	.text._ZN7rocprim17ROCPRIM_400000_NS6detail17trampoline_kernelINS0_14default_configENS1_25transform_config_selectorImLb0EEEZNS1_14transform_implILb0ES3_S5_NS0_17constant_iteratorImlEEPlNS0_8identityImEEEE10hipError_tT2_T3_mT4_P12ihipStream_tbEUlT_E_NS1_11comp_targetILNS1_3genE10ELNS1_11target_archE1200ELNS1_3gpuE4ELNS1_3repE0EEENS1_30default_config_static_selectorELNS0_4arch9wavefront6targetE1EEEvT1_,"axG",@progbits,_ZN7rocprim17ROCPRIM_400000_NS6detail17trampoline_kernelINS0_14default_configENS1_25transform_config_selectorImLb0EEEZNS1_14transform_implILb0ES3_S5_NS0_17constant_iteratorImlEEPlNS0_8identityImEEEE10hipError_tT2_T3_mT4_P12ihipStream_tbEUlT_E_NS1_11comp_targetILNS1_3genE10ELNS1_11target_archE1200ELNS1_3gpuE4ELNS1_3repE0EEENS1_30default_config_static_selectorELNS0_4arch9wavefront6targetE1EEEvT1_,comdat
	.protected	_ZN7rocprim17ROCPRIM_400000_NS6detail17trampoline_kernelINS0_14default_configENS1_25transform_config_selectorImLb0EEEZNS1_14transform_implILb0ES3_S5_NS0_17constant_iteratorImlEEPlNS0_8identityImEEEE10hipError_tT2_T3_mT4_P12ihipStream_tbEUlT_E_NS1_11comp_targetILNS1_3genE10ELNS1_11target_archE1200ELNS1_3gpuE4ELNS1_3repE0EEENS1_30default_config_static_selectorELNS0_4arch9wavefront6targetE1EEEvT1_ ; -- Begin function _ZN7rocprim17ROCPRIM_400000_NS6detail17trampoline_kernelINS0_14default_configENS1_25transform_config_selectorImLb0EEEZNS1_14transform_implILb0ES3_S5_NS0_17constant_iteratorImlEEPlNS0_8identityImEEEE10hipError_tT2_T3_mT4_P12ihipStream_tbEUlT_E_NS1_11comp_targetILNS1_3genE10ELNS1_11target_archE1200ELNS1_3gpuE4ELNS1_3repE0EEENS1_30default_config_static_selectorELNS0_4arch9wavefront6targetE1EEEvT1_
	.globl	_ZN7rocprim17ROCPRIM_400000_NS6detail17trampoline_kernelINS0_14default_configENS1_25transform_config_selectorImLb0EEEZNS1_14transform_implILb0ES3_S5_NS0_17constant_iteratorImlEEPlNS0_8identityImEEEE10hipError_tT2_T3_mT4_P12ihipStream_tbEUlT_E_NS1_11comp_targetILNS1_3genE10ELNS1_11target_archE1200ELNS1_3gpuE4ELNS1_3repE0EEENS1_30default_config_static_selectorELNS0_4arch9wavefront6targetE1EEEvT1_
	.p2align	8
	.type	_ZN7rocprim17ROCPRIM_400000_NS6detail17trampoline_kernelINS0_14default_configENS1_25transform_config_selectorImLb0EEEZNS1_14transform_implILb0ES3_S5_NS0_17constant_iteratorImlEEPlNS0_8identityImEEEE10hipError_tT2_T3_mT4_P12ihipStream_tbEUlT_E_NS1_11comp_targetILNS1_3genE10ELNS1_11target_archE1200ELNS1_3gpuE4ELNS1_3repE0EEENS1_30default_config_static_selectorELNS0_4arch9wavefront6targetE1EEEvT1_,@function
_ZN7rocprim17ROCPRIM_400000_NS6detail17trampoline_kernelINS0_14default_configENS1_25transform_config_selectorImLb0EEEZNS1_14transform_implILb0ES3_S5_NS0_17constant_iteratorImlEEPlNS0_8identityImEEEE10hipError_tT2_T3_mT4_P12ihipStream_tbEUlT_E_NS1_11comp_targetILNS1_3genE10ELNS1_11target_archE1200ELNS1_3gpuE4ELNS1_3repE0EEENS1_30default_config_static_selectorELNS0_4arch9wavefront6targetE1EEEvT1_: ; @_ZN7rocprim17ROCPRIM_400000_NS6detail17trampoline_kernelINS0_14default_configENS1_25transform_config_selectorImLb0EEEZNS1_14transform_implILb0ES3_S5_NS0_17constant_iteratorImlEEPlNS0_8identityImEEEE10hipError_tT2_T3_mT4_P12ihipStream_tbEUlT_E_NS1_11comp_targetILNS1_3genE10ELNS1_11target_archE1200ELNS1_3gpuE4ELNS1_3repE0EEENS1_30default_config_static_selectorELNS0_4arch9wavefront6targetE1EEEvT1_
; %bb.0:
	.section	.rodata,"a",@progbits
	.p2align	6, 0x0
	.amdhsa_kernel _ZN7rocprim17ROCPRIM_400000_NS6detail17trampoline_kernelINS0_14default_configENS1_25transform_config_selectorImLb0EEEZNS1_14transform_implILb0ES3_S5_NS0_17constant_iteratorImlEEPlNS0_8identityImEEEE10hipError_tT2_T3_mT4_P12ihipStream_tbEUlT_E_NS1_11comp_targetILNS1_3genE10ELNS1_11target_archE1200ELNS1_3gpuE4ELNS1_3repE0EEENS1_30default_config_static_selectorELNS0_4arch9wavefront6targetE1EEEvT1_
		.amdhsa_group_segment_fixed_size 0
		.amdhsa_private_segment_fixed_size 0
		.amdhsa_kernarg_size 48
		.amdhsa_user_sgpr_count 2
		.amdhsa_user_sgpr_dispatch_ptr 0
		.amdhsa_user_sgpr_queue_ptr 0
		.amdhsa_user_sgpr_kernarg_segment_ptr 1
		.amdhsa_user_sgpr_dispatch_id 0
		.amdhsa_user_sgpr_kernarg_preload_length 0
		.amdhsa_user_sgpr_kernarg_preload_offset 0
		.amdhsa_user_sgpr_private_segment_size 0
		.amdhsa_uses_dynamic_stack 0
		.amdhsa_enable_private_segment 0
		.amdhsa_system_sgpr_workgroup_id_x 1
		.amdhsa_system_sgpr_workgroup_id_y 0
		.amdhsa_system_sgpr_workgroup_id_z 0
		.amdhsa_system_sgpr_workgroup_info 0
		.amdhsa_system_vgpr_workitem_id 0
		.amdhsa_next_free_vgpr 1
		.amdhsa_next_free_sgpr 0
		.amdhsa_accum_offset 4
		.amdhsa_reserve_vcc 0
		.amdhsa_float_round_mode_32 0
		.amdhsa_float_round_mode_16_64 0
		.amdhsa_float_denorm_mode_32 3
		.amdhsa_float_denorm_mode_16_64 3
		.amdhsa_dx10_clamp 1
		.amdhsa_ieee_mode 1
		.amdhsa_fp16_overflow 0
		.amdhsa_tg_split 0
		.amdhsa_exception_fp_ieee_invalid_op 0
		.amdhsa_exception_fp_denorm_src 0
		.amdhsa_exception_fp_ieee_div_zero 0
		.amdhsa_exception_fp_ieee_overflow 0
		.amdhsa_exception_fp_ieee_underflow 0
		.amdhsa_exception_fp_ieee_inexact 0
		.amdhsa_exception_int_div_zero 0
	.end_amdhsa_kernel
	.section	.text._ZN7rocprim17ROCPRIM_400000_NS6detail17trampoline_kernelINS0_14default_configENS1_25transform_config_selectorImLb0EEEZNS1_14transform_implILb0ES3_S5_NS0_17constant_iteratorImlEEPlNS0_8identityImEEEE10hipError_tT2_T3_mT4_P12ihipStream_tbEUlT_E_NS1_11comp_targetILNS1_3genE10ELNS1_11target_archE1200ELNS1_3gpuE4ELNS1_3repE0EEENS1_30default_config_static_selectorELNS0_4arch9wavefront6targetE1EEEvT1_,"axG",@progbits,_ZN7rocprim17ROCPRIM_400000_NS6detail17trampoline_kernelINS0_14default_configENS1_25transform_config_selectorImLb0EEEZNS1_14transform_implILb0ES3_S5_NS0_17constant_iteratorImlEEPlNS0_8identityImEEEE10hipError_tT2_T3_mT4_P12ihipStream_tbEUlT_E_NS1_11comp_targetILNS1_3genE10ELNS1_11target_archE1200ELNS1_3gpuE4ELNS1_3repE0EEENS1_30default_config_static_selectorELNS0_4arch9wavefront6targetE1EEEvT1_,comdat
.Lfunc_end54:
	.size	_ZN7rocprim17ROCPRIM_400000_NS6detail17trampoline_kernelINS0_14default_configENS1_25transform_config_selectorImLb0EEEZNS1_14transform_implILb0ES3_S5_NS0_17constant_iteratorImlEEPlNS0_8identityImEEEE10hipError_tT2_T3_mT4_P12ihipStream_tbEUlT_E_NS1_11comp_targetILNS1_3genE10ELNS1_11target_archE1200ELNS1_3gpuE4ELNS1_3repE0EEENS1_30default_config_static_selectorELNS0_4arch9wavefront6targetE1EEEvT1_, .Lfunc_end54-_ZN7rocprim17ROCPRIM_400000_NS6detail17trampoline_kernelINS0_14default_configENS1_25transform_config_selectorImLb0EEEZNS1_14transform_implILb0ES3_S5_NS0_17constant_iteratorImlEEPlNS0_8identityImEEEE10hipError_tT2_T3_mT4_P12ihipStream_tbEUlT_E_NS1_11comp_targetILNS1_3genE10ELNS1_11target_archE1200ELNS1_3gpuE4ELNS1_3repE0EEENS1_30default_config_static_selectorELNS0_4arch9wavefront6targetE1EEEvT1_
                                        ; -- End function
	.section	.AMDGPU.csdata,"",@progbits
; Kernel info:
; codeLenInByte = 0
; NumSgprs: 6
; NumVgprs: 0
; NumAgprs: 0
; TotalNumVgprs: 0
; ScratchSize: 0
; MemoryBound: 0
; FloatMode: 240
; IeeeMode: 1
; LDSByteSize: 0 bytes/workgroup (compile time only)
; SGPRBlocks: 0
; VGPRBlocks: 0
; NumSGPRsForWavesPerEU: 6
; NumVGPRsForWavesPerEU: 1
; AccumOffset: 4
; Occupancy: 8
; WaveLimiterHint : 0
; COMPUTE_PGM_RSRC2:SCRATCH_EN: 0
; COMPUTE_PGM_RSRC2:USER_SGPR: 2
; COMPUTE_PGM_RSRC2:TRAP_HANDLER: 0
; COMPUTE_PGM_RSRC2:TGID_X_EN: 1
; COMPUTE_PGM_RSRC2:TGID_Y_EN: 0
; COMPUTE_PGM_RSRC2:TGID_Z_EN: 0
; COMPUTE_PGM_RSRC2:TIDIG_COMP_CNT: 0
; COMPUTE_PGM_RSRC3_GFX90A:ACCUM_OFFSET: 0
; COMPUTE_PGM_RSRC3_GFX90A:TG_SPLIT: 0
	.section	.text._ZN7rocprim17ROCPRIM_400000_NS6detail17trampoline_kernelINS0_14default_configENS1_25transform_config_selectorImLb0EEEZNS1_14transform_implILb0ES3_S5_NS0_17constant_iteratorImlEEPlNS0_8identityImEEEE10hipError_tT2_T3_mT4_P12ihipStream_tbEUlT_E_NS1_11comp_targetILNS1_3genE9ELNS1_11target_archE1100ELNS1_3gpuE3ELNS1_3repE0EEENS1_30default_config_static_selectorELNS0_4arch9wavefront6targetE1EEEvT1_,"axG",@progbits,_ZN7rocprim17ROCPRIM_400000_NS6detail17trampoline_kernelINS0_14default_configENS1_25transform_config_selectorImLb0EEEZNS1_14transform_implILb0ES3_S5_NS0_17constant_iteratorImlEEPlNS0_8identityImEEEE10hipError_tT2_T3_mT4_P12ihipStream_tbEUlT_E_NS1_11comp_targetILNS1_3genE9ELNS1_11target_archE1100ELNS1_3gpuE3ELNS1_3repE0EEENS1_30default_config_static_selectorELNS0_4arch9wavefront6targetE1EEEvT1_,comdat
	.protected	_ZN7rocprim17ROCPRIM_400000_NS6detail17trampoline_kernelINS0_14default_configENS1_25transform_config_selectorImLb0EEEZNS1_14transform_implILb0ES3_S5_NS0_17constant_iteratorImlEEPlNS0_8identityImEEEE10hipError_tT2_T3_mT4_P12ihipStream_tbEUlT_E_NS1_11comp_targetILNS1_3genE9ELNS1_11target_archE1100ELNS1_3gpuE3ELNS1_3repE0EEENS1_30default_config_static_selectorELNS0_4arch9wavefront6targetE1EEEvT1_ ; -- Begin function _ZN7rocprim17ROCPRIM_400000_NS6detail17trampoline_kernelINS0_14default_configENS1_25transform_config_selectorImLb0EEEZNS1_14transform_implILb0ES3_S5_NS0_17constant_iteratorImlEEPlNS0_8identityImEEEE10hipError_tT2_T3_mT4_P12ihipStream_tbEUlT_E_NS1_11comp_targetILNS1_3genE9ELNS1_11target_archE1100ELNS1_3gpuE3ELNS1_3repE0EEENS1_30default_config_static_selectorELNS0_4arch9wavefront6targetE1EEEvT1_
	.globl	_ZN7rocprim17ROCPRIM_400000_NS6detail17trampoline_kernelINS0_14default_configENS1_25transform_config_selectorImLb0EEEZNS1_14transform_implILb0ES3_S5_NS0_17constant_iteratorImlEEPlNS0_8identityImEEEE10hipError_tT2_T3_mT4_P12ihipStream_tbEUlT_E_NS1_11comp_targetILNS1_3genE9ELNS1_11target_archE1100ELNS1_3gpuE3ELNS1_3repE0EEENS1_30default_config_static_selectorELNS0_4arch9wavefront6targetE1EEEvT1_
	.p2align	8
	.type	_ZN7rocprim17ROCPRIM_400000_NS6detail17trampoline_kernelINS0_14default_configENS1_25transform_config_selectorImLb0EEEZNS1_14transform_implILb0ES3_S5_NS0_17constant_iteratorImlEEPlNS0_8identityImEEEE10hipError_tT2_T3_mT4_P12ihipStream_tbEUlT_E_NS1_11comp_targetILNS1_3genE9ELNS1_11target_archE1100ELNS1_3gpuE3ELNS1_3repE0EEENS1_30default_config_static_selectorELNS0_4arch9wavefront6targetE1EEEvT1_,@function
_ZN7rocprim17ROCPRIM_400000_NS6detail17trampoline_kernelINS0_14default_configENS1_25transform_config_selectorImLb0EEEZNS1_14transform_implILb0ES3_S5_NS0_17constant_iteratorImlEEPlNS0_8identityImEEEE10hipError_tT2_T3_mT4_P12ihipStream_tbEUlT_E_NS1_11comp_targetILNS1_3genE9ELNS1_11target_archE1100ELNS1_3gpuE3ELNS1_3repE0EEENS1_30default_config_static_selectorELNS0_4arch9wavefront6targetE1EEEvT1_: ; @_ZN7rocprim17ROCPRIM_400000_NS6detail17trampoline_kernelINS0_14default_configENS1_25transform_config_selectorImLb0EEEZNS1_14transform_implILb0ES3_S5_NS0_17constant_iteratorImlEEPlNS0_8identityImEEEE10hipError_tT2_T3_mT4_P12ihipStream_tbEUlT_E_NS1_11comp_targetILNS1_3genE9ELNS1_11target_archE1100ELNS1_3gpuE3ELNS1_3repE0EEENS1_30default_config_static_selectorELNS0_4arch9wavefront6targetE1EEEvT1_
; %bb.0:
	.section	.rodata,"a",@progbits
	.p2align	6, 0x0
	.amdhsa_kernel _ZN7rocprim17ROCPRIM_400000_NS6detail17trampoline_kernelINS0_14default_configENS1_25transform_config_selectorImLb0EEEZNS1_14transform_implILb0ES3_S5_NS0_17constant_iteratorImlEEPlNS0_8identityImEEEE10hipError_tT2_T3_mT4_P12ihipStream_tbEUlT_E_NS1_11comp_targetILNS1_3genE9ELNS1_11target_archE1100ELNS1_3gpuE3ELNS1_3repE0EEENS1_30default_config_static_selectorELNS0_4arch9wavefront6targetE1EEEvT1_
		.amdhsa_group_segment_fixed_size 0
		.amdhsa_private_segment_fixed_size 0
		.amdhsa_kernarg_size 48
		.amdhsa_user_sgpr_count 2
		.amdhsa_user_sgpr_dispatch_ptr 0
		.amdhsa_user_sgpr_queue_ptr 0
		.amdhsa_user_sgpr_kernarg_segment_ptr 1
		.amdhsa_user_sgpr_dispatch_id 0
		.amdhsa_user_sgpr_kernarg_preload_length 0
		.amdhsa_user_sgpr_kernarg_preload_offset 0
		.amdhsa_user_sgpr_private_segment_size 0
		.amdhsa_uses_dynamic_stack 0
		.amdhsa_enable_private_segment 0
		.amdhsa_system_sgpr_workgroup_id_x 1
		.amdhsa_system_sgpr_workgroup_id_y 0
		.amdhsa_system_sgpr_workgroup_id_z 0
		.amdhsa_system_sgpr_workgroup_info 0
		.amdhsa_system_vgpr_workitem_id 0
		.amdhsa_next_free_vgpr 1
		.amdhsa_next_free_sgpr 0
		.amdhsa_accum_offset 4
		.amdhsa_reserve_vcc 0
		.amdhsa_float_round_mode_32 0
		.amdhsa_float_round_mode_16_64 0
		.amdhsa_float_denorm_mode_32 3
		.amdhsa_float_denorm_mode_16_64 3
		.amdhsa_dx10_clamp 1
		.amdhsa_ieee_mode 1
		.amdhsa_fp16_overflow 0
		.amdhsa_tg_split 0
		.amdhsa_exception_fp_ieee_invalid_op 0
		.amdhsa_exception_fp_denorm_src 0
		.amdhsa_exception_fp_ieee_div_zero 0
		.amdhsa_exception_fp_ieee_overflow 0
		.amdhsa_exception_fp_ieee_underflow 0
		.amdhsa_exception_fp_ieee_inexact 0
		.amdhsa_exception_int_div_zero 0
	.end_amdhsa_kernel
	.section	.text._ZN7rocprim17ROCPRIM_400000_NS6detail17trampoline_kernelINS0_14default_configENS1_25transform_config_selectorImLb0EEEZNS1_14transform_implILb0ES3_S5_NS0_17constant_iteratorImlEEPlNS0_8identityImEEEE10hipError_tT2_T3_mT4_P12ihipStream_tbEUlT_E_NS1_11comp_targetILNS1_3genE9ELNS1_11target_archE1100ELNS1_3gpuE3ELNS1_3repE0EEENS1_30default_config_static_selectorELNS0_4arch9wavefront6targetE1EEEvT1_,"axG",@progbits,_ZN7rocprim17ROCPRIM_400000_NS6detail17trampoline_kernelINS0_14default_configENS1_25transform_config_selectorImLb0EEEZNS1_14transform_implILb0ES3_S5_NS0_17constant_iteratorImlEEPlNS0_8identityImEEEE10hipError_tT2_T3_mT4_P12ihipStream_tbEUlT_E_NS1_11comp_targetILNS1_3genE9ELNS1_11target_archE1100ELNS1_3gpuE3ELNS1_3repE0EEENS1_30default_config_static_selectorELNS0_4arch9wavefront6targetE1EEEvT1_,comdat
.Lfunc_end55:
	.size	_ZN7rocprim17ROCPRIM_400000_NS6detail17trampoline_kernelINS0_14default_configENS1_25transform_config_selectorImLb0EEEZNS1_14transform_implILb0ES3_S5_NS0_17constant_iteratorImlEEPlNS0_8identityImEEEE10hipError_tT2_T3_mT4_P12ihipStream_tbEUlT_E_NS1_11comp_targetILNS1_3genE9ELNS1_11target_archE1100ELNS1_3gpuE3ELNS1_3repE0EEENS1_30default_config_static_selectorELNS0_4arch9wavefront6targetE1EEEvT1_, .Lfunc_end55-_ZN7rocprim17ROCPRIM_400000_NS6detail17trampoline_kernelINS0_14default_configENS1_25transform_config_selectorImLb0EEEZNS1_14transform_implILb0ES3_S5_NS0_17constant_iteratorImlEEPlNS0_8identityImEEEE10hipError_tT2_T3_mT4_P12ihipStream_tbEUlT_E_NS1_11comp_targetILNS1_3genE9ELNS1_11target_archE1100ELNS1_3gpuE3ELNS1_3repE0EEENS1_30default_config_static_selectorELNS0_4arch9wavefront6targetE1EEEvT1_
                                        ; -- End function
	.section	.AMDGPU.csdata,"",@progbits
; Kernel info:
; codeLenInByte = 0
; NumSgprs: 6
; NumVgprs: 0
; NumAgprs: 0
; TotalNumVgprs: 0
; ScratchSize: 0
; MemoryBound: 0
; FloatMode: 240
; IeeeMode: 1
; LDSByteSize: 0 bytes/workgroup (compile time only)
; SGPRBlocks: 0
; VGPRBlocks: 0
; NumSGPRsForWavesPerEU: 6
; NumVGPRsForWavesPerEU: 1
; AccumOffset: 4
; Occupancy: 8
; WaveLimiterHint : 0
; COMPUTE_PGM_RSRC2:SCRATCH_EN: 0
; COMPUTE_PGM_RSRC2:USER_SGPR: 2
; COMPUTE_PGM_RSRC2:TRAP_HANDLER: 0
; COMPUTE_PGM_RSRC2:TGID_X_EN: 1
; COMPUTE_PGM_RSRC2:TGID_Y_EN: 0
; COMPUTE_PGM_RSRC2:TGID_Z_EN: 0
; COMPUTE_PGM_RSRC2:TIDIG_COMP_CNT: 0
; COMPUTE_PGM_RSRC3_GFX90A:ACCUM_OFFSET: 0
; COMPUTE_PGM_RSRC3_GFX90A:TG_SPLIT: 0
	.section	.text._ZN7rocprim17ROCPRIM_400000_NS6detail17trampoline_kernelINS0_14default_configENS1_25transform_config_selectorImLb0EEEZNS1_14transform_implILb0ES3_S5_NS0_17constant_iteratorImlEEPlNS0_8identityImEEEE10hipError_tT2_T3_mT4_P12ihipStream_tbEUlT_E_NS1_11comp_targetILNS1_3genE8ELNS1_11target_archE1030ELNS1_3gpuE2ELNS1_3repE0EEENS1_30default_config_static_selectorELNS0_4arch9wavefront6targetE1EEEvT1_,"axG",@progbits,_ZN7rocprim17ROCPRIM_400000_NS6detail17trampoline_kernelINS0_14default_configENS1_25transform_config_selectorImLb0EEEZNS1_14transform_implILb0ES3_S5_NS0_17constant_iteratorImlEEPlNS0_8identityImEEEE10hipError_tT2_T3_mT4_P12ihipStream_tbEUlT_E_NS1_11comp_targetILNS1_3genE8ELNS1_11target_archE1030ELNS1_3gpuE2ELNS1_3repE0EEENS1_30default_config_static_selectorELNS0_4arch9wavefront6targetE1EEEvT1_,comdat
	.protected	_ZN7rocprim17ROCPRIM_400000_NS6detail17trampoline_kernelINS0_14default_configENS1_25transform_config_selectorImLb0EEEZNS1_14transform_implILb0ES3_S5_NS0_17constant_iteratorImlEEPlNS0_8identityImEEEE10hipError_tT2_T3_mT4_P12ihipStream_tbEUlT_E_NS1_11comp_targetILNS1_3genE8ELNS1_11target_archE1030ELNS1_3gpuE2ELNS1_3repE0EEENS1_30default_config_static_selectorELNS0_4arch9wavefront6targetE1EEEvT1_ ; -- Begin function _ZN7rocprim17ROCPRIM_400000_NS6detail17trampoline_kernelINS0_14default_configENS1_25transform_config_selectorImLb0EEEZNS1_14transform_implILb0ES3_S5_NS0_17constant_iteratorImlEEPlNS0_8identityImEEEE10hipError_tT2_T3_mT4_P12ihipStream_tbEUlT_E_NS1_11comp_targetILNS1_3genE8ELNS1_11target_archE1030ELNS1_3gpuE2ELNS1_3repE0EEENS1_30default_config_static_selectorELNS0_4arch9wavefront6targetE1EEEvT1_
	.globl	_ZN7rocprim17ROCPRIM_400000_NS6detail17trampoline_kernelINS0_14default_configENS1_25transform_config_selectorImLb0EEEZNS1_14transform_implILb0ES3_S5_NS0_17constant_iteratorImlEEPlNS0_8identityImEEEE10hipError_tT2_T3_mT4_P12ihipStream_tbEUlT_E_NS1_11comp_targetILNS1_3genE8ELNS1_11target_archE1030ELNS1_3gpuE2ELNS1_3repE0EEENS1_30default_config_static_selectorELNS0_4arch9wavefront6targetE1EEEvT1_
	.p2align	8
	.type	_ZN7rocprim17ROCPRIM_400000_NS6detail17trampoline_kernelINS0_14default_configENS1_25transform_config_selectorImLb0EEEZNS1_14transform_implILb0ES3_S5_NS0_17constant_iteratorImlEEPlNS0_8identityImEEEE10hipError_tT2_T3_mT4_P12ihipStream_tbEUlT_E_NS1_11comp_targetILNS1_3genE8ELNS1_11target_archE1030ELNS1_3gpuE2ELNS1_3repE0EEENS1_30default_config_static_selectorELNS0_4arch9wavefront6targetE1EEEvT1_,@function
_ZN7rocprim17ROCPRIM_400000_NS6detail17trampoline_kernelINS0_14default_configENS1_25transform_config_selectorImLb0EEEZNS1_14transform_implILb0ES3_S5_NS0_17constant_iteratorImlEEPlNS0_8identityImEEEE10hipError_tT2_T3_mT4_P12ihipStream_tbEUlT_E_NS1_11comp_targetILNS1_3genE8ELNS1_11target_archE1030ELNS1_3gpuE2ELNS1_3repE0EEENS1_30default_config_static_selectorELNS0_4arch9wavefront6targetE1EEEvT1_: ; @_ZN7rocprim17ROCPRIM_400000_NS6detail17trampoline_kernelINS0_14default_configENS1_25transform_config_selectorImLb0EEEZNS1_14transform_implILb0ES3_S5_NS0_17constant_iteratorImlEEPlNS0_8identityImEEEE10hipError_tT2_T3_mT4_P12ihipStream_tbEUlT_E_NS1_11comp_targetILNS1_3genE8ELNS1_11target_archE1030ELNS1_3gpuE2ELNS1_3repE0EEENS1_30default_config_static_selectorELNS0_4arch9wavefront6targetE1EEEvT1_
; %bb.0:
	.section	.rodata,"a",@progbits
	.p2align	6, 0x0
	.amdhsa_kernel _ZN7rocprim17ROCPRIM_400000_NS6detail17trampoline_kernelINS0_14default_configENS1_25transform_config_selectorImLb0EEEZNS1_14transform_implILb0ES3_S5_NS0_17constant_iteratorImlEEPlNS0_8identityImEEEE10hipError_tT2_T3_mT4_P12ihipStream_tbEUlT_E_NS1_11comp_targetILNS1_3genE8ELNS1_11target_archE1030ELNS1_3gpuE2ELNS1_3repE0EEENS1_30default_config_static_selectorELNS0_4arch9wavefront6targetE1EEEvT1_
		.amdhsa_group_segment_fixed_size 0
		.amdhsa_private_segment_fixed_size 0
		.amdhsa_kernarg_size 48
		.amdhsa_user_sgpr_count 2
		.amdhsa_user_sgpr_dispatch_ptr 0
		.amdhsa_user_sgpr_queue_ptr 0
		.amdhsa_user_sgpr_kernarg_segment_ptr 1
		.amdhsa_user_sgpr_dispatch_id 0
		.amdhsa_user_sgpr_kernarg_preload_length 0
		.amdhsa_user_sgpr_kernarg_preload_offset 0
		.amdhsa_user_sgpr_private_segment_size 0
		.amdhsa_uses_dynamic_stack 0
		.amdhsa_enable_private_segment 0
		.amdhsa_system_sgpr_workgroup_id_x 1
		.amdhsa_system_sgpr_workgroup_id_y 0
		.amdhsa_system_sgpr_workgroup_id_z 0
		.amdhsa_system_sgpr_workgroup_info 0
		.amdhsa_system_vgpr_workitem_id 0
		.amdhsa_next_free_vgpr 1
		.amdhsa_next_free_sgpr 0
		.amdhsa_accum_offset 4
		.amdhsa_reserve_vcc 0
		.amdhsa_float_round_mode_32 0
		.amdhsa_float_round_mode_16_64 0
		.amdhsa_float_denorm_mode_32 3
		.amdhsa_float_denorm_mode_16_64 3
		.amdhsa_dx10_clamp 1
		.amdhsa_ieee_mode 1
		.amdhsa_fp16_overflow 0
		.amdhsa_tg_split 0
		.amdhsa_exception_fp_ieee_invalid_op 0
		.amdhsa_exception_fp_denorm_src 0
		.amdhsa_exception_fp_ieee_div_zero 0
		.amdhsa_exception_fp_ieee_overflow 0
		.amdhsa_exception_fp_ieee_underflow 0
		.amdhsa_exception_fp_ieee_inexact 0
		.amdhsa_exception_int_div_zero 0
	.end_amdhsa_kernel
	.section	.text._ZN7rocprim17ROCPRIM_400000_NS6detail17trampoline_kernelINS0_14default_configENS1_25transform_config_selectorImLb0EEEZNS1_14transform_implILb0ES3_S5_NS0_17constant_iteratorImlEEPlNS0_8identityImEEEE10hipError_tT2_T3_mT4_P12ihipStream_tbEUlT_E_NS1_11comp_targetILNS1_3genE8ELNS1_11target_archE1030ELNS1_3gpuE2ELNS1_3repE0EEENS1_30default_config_static_selectorELNS0_4arch9wavefront6targetE1EEEvT1_,"axG",@progbits,_ZN7rocprim17ROCPRIM_400000_NS6detail17trampoline_kernelINS0_14default_configENS1_25transform_config_selectorImLb0EEEZNS1_14transform_implILb0ES3_S5_NS0_17constant_iteratorImlEEPlNS0_8identityImEEEE10hipError_tT2_T3_mT4_P12ihipStream_tbEUlT_E_NS1_11comp_targetILNS1_3genE8ELNS1_11target_archE1030ELNS1_3gpuE2ELNS1_3repE0EEENS1_30default_config_static_selectorELNS0_4arch9wavefront6targetE1EEEvT1_,comdat
.Lfunc_end56:
	.size	_ZN7rocprim17ROCPRIM_400000_NS6detail17trampoline_kernelINS0_14default_configENS1_25transform_config_selectorImLb0EEEZNS1_14transform_implILb0ES3_S5_NS0_17constant_iteratorImlEEPlNS0_8identityImEEEE10hipError_tT2_T3_mT4_P12ihipStream_tbEUlT_E_NS1_11comp_targetILNS1_3genE8ELNS1_11target_archE1030ELNS1_3gpuE2ELNS1_3repE0EEENS1_30default_config_static_selectorELNS0_4arch9wavefront6targetE1EEEvT1_, .Lfunc_end56-_ZN7rocprim17ROCPRIM_400000_NS6detail17trampoline_kernelINS0_14default_configENS1_25transform_config_selectorImLb0EEEZNS1_14transform_implILb0ES3_S5_NS0_17constant_iteratorImlEEPlNS0_8identityImEEEE10hipError_tT2_T3_mT4_P12ihipStream_tbEUlT_E_NS1_11comp_targetILNS1_3genE8ELNS1_11target_archE1030ELNS1_3gpuE2ELNS1_3repE0EEENS1_30default_config_static_selectorELNS0_4arch9wavefront6targetE1EEEvT1_
                                        ; -- End function
	.section	.AMDGPU.csdata,"",@progbits
; Kernel info:
; codeLenInByte = 0
; NumSgprs: 6
; NumVgprs: 0
; NumAgprs: 0
; TotalNumVgprs: 0
; ScratchSize: 0
; MemoryBound: 0
; FloatMode: 240
; IeeeMode: 1
; LDSByteSize: 0 bytes/workgroup (compile time only)
; SGPRBlocks: 0
; VGPRBlocks: 0
; NumSGPRsForWavesPerEU: 6
; NumVGPRsForWavesPerEU: 1
; AccumOffset: 4
; Occupancy: 8
; WaveLimiterHint : 0
; COMPUTE_PGM_RSRC2:SCRATCH_EN: 0
; COMPUTE_PGM_RSRC2:USER_SGPR: 2
; COMPUTE_PGM_RSRC2:TRAP_HANDLER: 0
; COMPUTE_PGM_RSRC2:TGID_X_EN: 1
; COMPUTE_PGM_RSRC2:TGID_Y_EN: 0
; COMPUTE_PGM_RSRC2:TGID_Z_EN: 0
; COMPUTE_PGM_RSRC2:TIDIG_COMP_CNT: 0
; COMPUTE_PGM_RSRC3_GFX90A:ACCUM_OFFSET: 0
; COMPUTE_PGM_RSRC3_GFX90A:TG_SPLIT: 0
	.section	.text._ZN7rocprim17ROCPRIM_400000_NS6detail25reduce_by_key_init_kernelINS1_19lookback_scan_stateINS0_5tupleIJjjEEELb0ELb1EEEjNS1_16block_id_wrapperIjLb0EEEEEvT_jbjPmPT0_T1_,"axG",@progbits,_ZN7rocprim17ROCPRIM_400000_NS6detail25reduce_by_key_init_kernelINS1_19lookback_scan_stateINS0_5tupleIJjjEEELb0ELb1EEEjNS1_16block_id_wrapperIjLb0EEEEEvT_jbjPmPT0_T1_,comdat
	.protected	_ZN7rocprim17ROCPRIM_400000_NS6detail25reduce_by_key_init_kernelINS1_19lookback_scan_stateINS0_5tupleIJjjEEELb0ELb1EEEjNS1_16block_id_wrapperIjLb0EEEEEvT_jbjPmPT0_T1_ ; -- Begin function _ZN7rocprim17ROCPRIM_400000_NS6detail25reduce_by_key_init_kernelINS1_19lookback_scan_stateINS0_5tupleIJjjEEELb0ELb1EEEjNS1_16block_id_wrapperIjLb0EEEEEvT_jbjPmPT0_T1_
	.globl	_ZN7rocprim17ROCPRIM_400000_NS6detail25reduce_by_key_init_kernelINS1_19lookback_scan_stateINS0_5tupleIJjjEEELb0ELb1EEEjNS1_16block_id_wrapperIjLb0EEEEEvT_jbjPmPT0_T1_
	.p2align	8
	.type	_ZN7rocprim17ROCPRIM_400000_NS6detail25reduce_by_key_init_kernelINS1_19lookback_scan_stateINS0_5tupleIJjjEEELb0ELb1EEEjNS1_16block_id_wrapperIjLb0EEEEEvT_jbjPmPT0_T1_,@function
_ZN7rocprim17ROCPRIM_400000_NS6detail25reduce_by_key_init_kernelINS1_19lookback_scan_stateINS0_5tupleIJjjEEELb0ELb1EEEjNS1_16block_id_wrapperIjLb0EEEEEvT_jbjPmPT0_T1_: ; @_ZN7rocprim17ROCPRIM_400000_NS6detail25reduce_by_key_init_kernelINS1_19lookback_scan_stateINS0_5tupleIJjjEEELb0ELb1EEEjNS1_16block_id_wrapperIjLb0EEEEEvT_jbjPmPT0_T1_
; %bb.0:
	s_load_dwordx8 s[4:11], s[0:1], 0x8
	s_load_dword s3, s[0:1], 0x3c
	s_load_dwordx2 s[12:13], s[0:1], 0x0
	s_waitcnt lgkmcnt(0)
	s_and_b32 s0, s5, 1
	s_and_b32 s1, s3, 0xffff
	s_mul_i32 s2, s2, s1
	s_cmp_eq_u32 s0, 0
	v_add_u32_e32 v0, s2, v0
	s_mov_b64 s[0:1], -1
	s_cbranch_scc1 .LBB57_5
; %bb.1:
	s_andn2_b64 vcc, exec, s[0:1]
	s_cbranch_vccz .LBB57_12
.LBB57_2:
	v_cmp_gt_u32_e32 vcc, s4, v0
	s_and_saveexec_b64 s[0:1], vcc
	s_cbranch_execnz .LBB57_15
.LBB57_3:
	s_or_b64 exec, exec, s[0:1]
	v_cmp_gt_u32_e32 vcc, 64, v0
	s_and_saveexec_b64 s[0:1], vcc
	s_cbranch_execnz .LBB57_16
.LBB57_4:
	s_endpgm
.LBB57_5:
	s_cmp_lt_u32 s6, s4
	s_cselect_b32 s0, s6, 0
	v_cmp_eq_u32_e32 vcc, s0, v0
	s_and_saveexec_b64 s[0:1], vcc
	s_cbranch_execz .LBB57_11
; %bb.6:
	s_add_i32 s2, s6, 64
	s_mov_b32 s3, 0
	s_lshl_b64 s[2:3], s[2:3], 4
	s_add_u32 s14, s12, s2
	s_addc_u32 s15, s13, s3
	v_mov_b64_e32 v[2:3], s[14:15]
	;;#ASMSTART
	global_load_dwordx4 v[2:5], v[2:3] off sc1	
s_waitcnt vmcnt(0)
	;;#ASMEND
	v_mov_b32_e32 v7, 0
	v_and_b32_e32 v6, 0xff, v4
	s_mov_b64 s[6:7], 0
	v_cmp_eq_u64_e32 vcc, 0, v[6:7]
	s_and_saveexec_b64 s[2:3], vcc
	s_cbranch_execz .LBB57_10
; %bb.7:
	v_mov_b64_e32 v[8:9], s[14:15]
.LBB57_8:                               ; =>This Inner Loop Header: Depth=1
	;;#ASMSTART
	global_load_dwordx4 v[2:5], v[8:9] off sc1	
s_waitcnt vmcnt(0)
	;;#ASMEND
	s_nop 0
	v_and_b32_e32 v6, 0xff, v4
	v_cmp_ne_u64_e32 vcc, 0, v[6:7]
	s_or_b64 s[6:7], vcc, s[6:7]
	s_andn2_b64 exec, exec, s[6:7]
	s_cbranch_execnz .LBB57_8
; %bb.9:
	s_or_b64 exec, exec, s[6:7]
.LBB57_10:
	s_or_b64 exec, exec, s[2:3]
	v_mov_b32_e32 v5, 0
	global_load_dwordx2 v[6:7], v5, s[8:9]
	v_mov_b32_e32 v4, v2
	s_waitcnt vmcnt(0)
	v_lshl_add_u64 v[6:7], v[6:7], 0, v[4:5]
	global_store_dwordx2 v5, v[6:7], s[8:9]
	global_store_dword v5, v3, s[10:11]
.LBB57_11:
	s_or_b64 exec, exec, s[0:1]
	s_cbranch_execnz .LBB57_2
.LBB57_12:
	s_cmp_lg_u64 s[8:9], 0
	s_cselect_b64 s[0:1], -1, 0
	v_cmp_eq_u32_e32 vcc, 0, v0
	s_and_b64 s[2:3], s[0:1], vcc
	s_and_saveexec_b64 s[0:1], s[2:3]
	s_cbranch_execz .LBB57_14
; %bb.13:
	v_mov_b32_e32 v2, 0
	v_mov_b32_e32 v3, v2
	global_store_dwordx2 v2, v[2:3], s[8:9]
.LBB57_14:
	s_or_b64 exec, exec, s[0:1]
	v_cmp_gt_u32_e32 vcc, s4, v0
	s_and_saveexec_b64 s[0:1], vcc
	s_cbranch_execz .LBB57_3
.LBB57_15:
	v_add_u32_e32 v2, 64, v0
	v_mov_b32_e32 v3, 0
	v_lshl_add_u64 v[6:7], v[2:3], 4, s[12:13]
	v_mov_b32_e32 v2, v3
	v_mov_b32_e32 v4, v3
	;; [unrolled: 1-line block ×3, first 2 shown]
	global_store_dwordx4 v[6:7], v[2:5], off
	s_or_b64 exec, exec, s[0:1]
	v_cmp_gt_u32_e32 vcc, 64, v0
	s_and_saveexec_b64 s[0:1], vcc
	s_cbranch_execz .LBB57_4
.LBB57_16:
	v_mov_b32_e32 v1, 0
	v_lshl_add_u64 v[4:5], v[0:1], 4, s[12:13]
	v_mov_b32_e32 v2, 0xff
	v_mov_b32_e32 v0, v1
	v_mov_b32_e32 v3, v1
	global_store_dwordx4 v[4:5], v[0:3], off
	s_endpgm
	.section	.rodata,"a",@progbits
	.p2align	6, 0x0
	.amdhsa_kernel _ZN7rocprim17ROCPRIM_400000_NS6detail25reduce_by_key_init_kernelINS1_19lookback_scan_stateINS0_5tupleIJjjEEELb0ELb1EEEjNS1_16block_id_wrapperIjLb0EEEEEvT_jbjPmPT0_T1_
		.amdhsa_group_segment_fixed_size 0
		.amdhsa_private_segment_fixed_size 0
		.amdhsa_kernarg_size 304
		.amdhsa_user_sgpr_count 2
		.amdhsa_user_sgpr_dispatch_ptr 0
		.amdhsa_user_sgpr_queue_ptr 0
		.amdhsa_user_sgpr_kernarg_segment_ptr 1
		.amdhsa_user_sgpr_dispatch_id 0
		.amdhsa_user_sgpr_kernarg_preload_length 0
		.amdhsa_user_sgpr_kernarg_preload_offset 0
		.amdhsa_user_sgpr_private_segment_size 0
		.amdhsa_uses_dynamic_stack 0
		.amdhsa_enable_private_segment 0
		.amdhsa_system_sgpr_workgroup_id_x 1
		.amdhsa_system_sgpr_workgroup_id_y 0
		.amdhsa_system_sgpr_workgroup_id_z 0
		.amdhsa_system_sgpr_workgroup_info 0
		.amdhsa_system_vgpr_workitem_id 0
		.amdhsa_next_free_vgpr 10
		.amdhsa_next_free_sgpr 16
		.amdhsa_accum_offset 12
		.amdhsa_reserve_vcc 1
		.amdhsa_float_round_mode_32 0
		.amdhsa_float_round_mode_16_64 0
		.amdhsa_float_denorm_mode_32 3
		.amdhsa_float_denorm_mode_16_64 3
		.amdhsa_dx10_clamp 1
		.amdhsa_ieee_mode 1
		.amdhsa_fp16_overflow 0
		.amdhsa_tg_split 0
		.amdhsa_exception_fp_ieee_invalid_op 0
		.amdhsa_exception_fp_denorm_src 0
		.amdhsa_exception_fp_ieee_div_zero 0
		.amdhsa_exception_fp_ieee_overflow 0
		.amdhsa_exception_fp_ieee_underflow 0
		.amdhsa_exception_fp_ieee_inexact 0
		.amdhsa_exception_int_div_zero 0
	.end_amdhsa_kernel
	.section	.text._ZN7rocprim17ROCPRIM_400000_NS6detail25reduce_by_key_init_kernelINS1_19lookback_scan_stateINS0_5tupleIJjjEEELb0ELb1EEEjNS1_16block_id_wrapperIjLb0EEEEEvT_jbjPmPT0_T1_,"axG",@progbits,_ZN7rocprim17ROCPRIM_400000_NS6detail25reduce_by_key_init_kernelINS1_19lookback_scan_stateINS0_5tupleIJjjEEELb0ELb1EEEjNS1_16block_id_wrapperIjLb0EEEEEvT_jbjPmPT0_T1_,comdat
.Lfunc_end57:
	.size	_ZN7rocprim17ROCPRIM_400000_NS6detail25reduce_by_key_init_kernelINS1_19lookback_scan_stateINS0_5tupleIJjjEEELb0ELb1EEEjNS1_16block_id_wrapperIjLb0EEEEEvT_jbjPmPT0_T1_, .Lfunc_end57-_ZN7rocprim17ROCPRIM_400000_NS6detail25reduce_by_key_init_kernelINS1_19lookback_scan_stateINS0_5tupleIJjjEEELb0ELb1EEEjNS1_16block_id_wrapperIjLb0EEEEEvT_jbjPmPT0_T1_
                                        ; -- End function
	.section	.AMDGPU.csdata,"",@progbits
; Kernel info:
; codeLenInByte = 444
; NumSgprs: 22
; NumVgprs: 10
; NumAgprs: 0
; TotalNumVgprs: 10
; ScratchSize: 0
; MemoryBound: 0
; FloatMode: 240
; IeeeMode: 1
; LDSByteSize: 0 bytes/workgroup (compile time only)
; SGPRBlocks: 2
; VGPRBlocks: 1
; NumSGPRsForWavesPerEU: 22
; NumVGPRsForWavesPerEU: 10
; AccumOffset: 12
; Occupancy: 8
; WaveLimiterHint : 0
; COMPUTE_PGM_RSRC2:SCRATCH_EN: 0
; COMPUTE_PGM_RSRC2:USER_SGPR: 2
; COMPUTE_PGM_RSRC2:TRAP_HANDLER: 0
; COMPUTE_PGM_RSRC2:TGID_X_EN: 1
; COMPUTE_PGM_RSRC2:TGID_Y_EN: 0
; COMPUTE_PGM_RSRC2:TGID_Z_EN: 0
; COMPUTE_PGM_RSRC2:TIDIG_COMP_CNT: 0
; COMPUTE_PGM_RSRC3_GFX90A:ACCUM_OFFSET: 2
; COMPUTE_PGM_RSRC3_GFX90A:TG_SPLIT: 0
	.section	.text._ZN7rocprim17ROCPRIM_400000_NS6detail17trampoline_kernelINS0_14default_configENS1_33run_length_encode_config_selectorIbjNS0_4plusIjEEEEZZNS1_33reduce_by_key_impl_wrapped_configILNS1_25lookback_scan_determinismE0ES3_S7_N6hipcub16HIPCUB_304000_NS22TransformInputIteratorIbN2at6native8internal12_GLOBAL__N_110LoadBoolOpEPKhlEENS0_17constant_iteratorIjlEEPbPlSO_S6_NS0_8equal_toIbEEEE10hipError_tPvRmT2_T3_mT4_T5_T6_T7_T8_P12ihipStream_tbENKUlT_T0_E_clISt17integral_constantIbLb0EES18_EEDaS13_S14_EUlS13_E_NS1_11comp_targetILNS1_3genE0ELNS1_11target_archE4294967295ELNS1_3gpuE0ELNS1_3repE0EEENS1_30default_config_static_selectorELNS0_4arch9wavefront6targetE1EEEvT1_,"axG",@progbits,_ZN7rocprim17ROCPRIM_400000_NS6detail17trampoline_kernelINS0_14default_configENS1_33run_length_encode_config_selectorIbjNS0_4plusIjEEEEZZNS1_33reduce_by_key_impl_wrapped_configILNS1_25lookback_scan_determinismE0ES3_S7_N6hipcub16HIPCUB_304000_NS22TransformInputIteratorIbN2at6native8internal12_GLOBAL__N_110LoadBoolOpEPKhlEENS0_17constant_iteratorIjlEEPbPlSO_S6_NS0_8equal_toIbEEEE10hipError_tPvRmT2_T3_mT4_T5_T6_T7_T8_P12ihipStream_tbENKUlT_T0_E_clISt17integral_constantIbLb0EES18_EEDaS13_S14_EUlS13_E_NS1_11comp_targetILNS1_3genE0ELNS1_11target_archE4294967295ELNS1_3gpuE0ELNS1_3repE0EEENS1_30default_config_static_selectorELNS0_4arch9wavefront6targetE1EEEvT1_,comdat
	.globl	_ZN7rocprim17ROCPRIM_400000_NS6detail17trampoline_kernelINS0_14default_configENS1_33run_length_encode_config_selectorIbjNS0_4plusIjEEEEZZNS1_33reduce_by_key_impl_wrapped_configILNS1_25lookback_scan_determinismE0ES3_S7_N6hipcub16HIPCUB_304000_NS22TransformInputIteratorIbN2at6native8internal12_GLOBAL__N_110LoadBoolOpEPKhlEENS0_17constant_iteratorIjlEEPbPlSO_S6_NS0_8equal_toIbEEEE10hipError_tPvRmT2_T3_mT4_T5_T6_T7_T8_P12ihipStream_tbENKUlT_T0_E_clISt17integral_constantIbLb0EES18_EEDaS13_S14_EUlS13_E_NS1_11comp_targetILNS1_3genE0ELNS1_11target_archE4294967295ELNS1_3gpuE0ELNS1_3repE0EEENS1_30default_config_static_selectorELNS0_4arch9wavefront6targetE1EEEvT1_ ; -- Begin function _ZN7rocprim17ROCPRIM_400000_NS6detail17trampoline_kernelINS0_14default_configENS1_33run_length_encode_config_selectorIbjNS0_4plusIjEEEEZZNS1_33reduce_by_key_impl_wrapped_configILNS1_25lookback_scan_determinismE0ES3_S7_N6hipcub16HIPCUB_304000_NS22TransformInputIteratorIbN2at6native8internal12_GLOBAL__N_110LoadBoolOpEPKhlEENS0_17constant_iteratorIjlEEPbPlSO_S6_NS0_8equal_toIbEEEE10hipError_tPvRmT2_T3_mT4_T5_T6_T7_T8_P12ihipStream_tbENKUlT_T0_E_clISt17integral_constantIbLb0EES18_EEDaS13_S14_EUlS13_E_NS1_11comp_targetILNS1_3genE0ELNS1_11target_archE4294967295ELNS1_3gpuE0ELNS1_3repE0EEENS1_30default_config_static_selectorELNS0_4arch9wavefront6targetE1EEEvT1_
	.p2align	8
	.type	_ZN7rocprim17ROCPRIM_400000_NS6detail17trampoline_kernelINS0_14default_configENS1_33run_length_encode_config_selectorIbjNS0_4plusIjEEEEZZNS1_33reduce_by_key_impl_wrapped_configILNS1_25lookback_scan_determinismE0ES3_S7_N6hipcub16HIPCUB_304000_NS22TransformInputIteratorIbN2at6native8internal12_GLOBAL__N_110LoadBoolOpEPKhlEENS0_17constant_iteratorIjlEEPbPlSO_S6_NS0_8equal_toIbEEEE10hipError_tPvRmT2_T3_mT4_T5_T6_T7_T8_P12ihipStream_tbENKUlT_T0_E_clISt17integral_constantIbLb0EES18_EEDaS13_S14_EUlS13_E_NS1_11comp_targetILNS1_3genE0ELNS1_11target_archE4294967295ELNS1_3gpuE0ELNS1_3repE0EEENS1_30default_config_static_selectorELNS0_4arch9wavefront6targetE1EEEvT1_,@function
_ZN7rocprim17ROCPRIM_400000_NS6detail17trampoline_kernelINS0_14default_configENS1_33run_length_encode_config_selectorIbjNS0_4plusIjEEEEZZNS1_33reduce_by_key_impl_wrapped_configILNS1_25lookback_scan_determinismE0ES3_S7_N6hipcub16HIPCUB_304000_NS22TransformInputIteratorIbN2at6native8internal12_GLOBAL__N_110LoadBoolOpEPKhlEENS0_17constant_iteratorIjlEEPbPlSO_S6_NS0_8equal_toIbEEEE10hipError_tPvRmT2_T3_mT4_T5_T6_T7_T8_P12ihipStream_tbENKUlT_T0_E_clISt17integral_constantIbLb0EES18_EEDaS13_S14_EUlS13_E_NS1_11comp_targetILNS1_3genE0ELNS1_11target_archE4294967295ELNS1_3gpuE0ELNS1_3repE0EEENS1_30default_config_static_selectorELNS0_4arch9wavefront6targetE1EEEvT1_: ; @_ZN7rocprim17ROCPRIM_400000_NS6detail17trampoline_kernelINS0_14default_configENS1_33run_length_encode_config_selectorIbjNS0_4plusIjEEEEZZNS1_33reduce_by_key_impl_wrapped_configILNS1_25lookback_scan_determinismE0ES3_S7_N6hipcub16HIPCUB_304000_NS22TransformInputIteratorIbN2at6native8internal12_GLOBAL__N_110LoadBoolOpEPKhlEENS0_17constant_iteratorIjlEEPbPlSO_S6_NS0_8equal_toIbEEEE10hipError_tPvRmT2_T3_mT4_T5_T6_T7_T8_P12ihipStream_tbENKUlT_T0_E_clISt17integral_constantIbLb0EES18_EEDaS13_S14_EUlS13_E_NS1_11comp_targetILNS1_3genE0ELNS1_11target_archE4294967295ELNS1_3gpuE0ELNS1_3repE0EEENS1_30default_config_static_selectorELNS0_4arch9wavefront6targetE1EEEvT1_
; %bb.0:
	.section	.rodata,"a",@progbits
	.p2align	6, 0x0
	.amdhsa_kernel _ZN7rocprim17ROCPRIM_400000_NS6detail17trampoline_kernelINS0_14default_configENS1_33run_length_encode_config_selectorIbjNS0_4plusIjEEEEZZNS1_33reduce_by_key_impl_wrapped_configILNS1_25lookback_scan_determinismE0ES3_S7_N6hipcub16HIPCUB_304000_NS22TransformInputIteratorIbN2at6native8internal12_GLOBAL__N_110LoadBoolOpEPKhlEENS0_17constant_iteratorIjlEEPbPlSO_S6_NS0_8equal_toIbEEEE10hipError_tPvRmT2_T3_mT4_T5_T6_T7_T8_P12ihipStream_tbENKUlT_T0_E_clISt17integral_constantIbLb0EES18_EEDaS13_S14_EUlS13_E_NS1_11comp_targetILNS1_3genE0ELNS1_11target_archE4294967295ELNS1_3gpuE0ELNS1_3repE0EEENS1_30default_config_static_selectorELNS0_4arch9wavefront6targetE1EEEvT1_
		.amdhsa_group_segment_fixed_size 0
		.amdhsa_private_segment_fixed_size 0
		.amdhsa_kernarg_size 136
		.amdhsa_user_sgpr_count 2
		.amdhsa_user_sgpr_dispatch_ptr 0
		.amdhsa_user_sgpr_queue_ptr 0
		.amdhsa_user_sgpr_kernarg_segment_ptr 1
		.amdhsa_user_sgpr_dispatch_id 0
		.amdhsa_user_sgpr_kernarg_preload_length 0
		.amdhsa_user_sgpr_kernarg_preload_offset 0
		.amdhsa_user_sgpr_private_segment_size 0
		.amdhsa_uses_dynamic_stack 0
		.amdhsa_enable_private_segment 0
		.amdhsa_system_sgpr_workgroup_id_x 1
		.amdhsa_system_sgpr_workgroup_id_y 0
		.amdhsa_system_sgpr_workgroup_id_z 0
		.amdhsa_system_sgpr_workgroup_info 0
		.amdhsa_system_vgpr_workitem_id 0
		.amdhsa_next_free_vgpr 1
		.amdhsa_next_free_sgpr 0
		.amdhsa_accum_offset 4
		.amdhsa_reserve_vcc 0
		.amdhsa_float_round_mode_32 0
		.amdhsa_float_round_mode_16_64 0
		.amdhsa_float_denorm_mode_32 3
		.amdhsa_float_denorm_mode_16_64 3
		.amdhsa_dx10_clamp 1
		.amdhsa_ieee_mode 1
		.amdhsa_fp16_overflow 0
		.amdhsa_tg_split 0
		.amdhsa_exception_fp_ieee_invalid_op 0
		.amdhsa_exception_fp_denorm_src 0
		.amdhsa_exception_fp_ieee_div_zero 0
		.amdhsa_exception_fp_ieee_overflow 0
		.amdhsa_exception_fp_ieee_underflow 0
		.amdhsa_exception_fp_ieee_inexact 0
		.amdhsa_exception_int_div_zero 0
	.end_amdhsa_kernel
	.section	.text._ZN7rocprim17ROCPRIM_400000_NS6detail17trampoline_kernelINS0_14default_configENS1_33run_length_encode_config_selectorIbjNS0_4plusIjEEEEZZNS1_33reduce_by_key_impl_wrapped_configILNS1_25lookback_scan_determinismE0ES3_S7_N6hipcub16HIPCUB_304000_NS22TransformInputIteratorIbN2at6native8internal12_GLOBAL__N_110LoadBoolOpEPKhlEENS0_17constant_iteratorIjlEEPbPlSO_S6_NS0_8equal_toIbEEEE10hipError_tPvRmT2_T3_mT4_T5_T6_T7_T8_P12ihipStream_tbENKUlT_T0_E_clISt17integral_constantIbLb0EES18_EEDaS13_S14_EUlS13_E_NS1_11comp_targetILNS1_3genE0ELNS1_11target_archE4294967295ELNS1_3gpuE0ELNS1_3repE0EEENS1_30default_config_static_selectorELNS0_4arch9wavefront6targetE1EEEvT1_,"axG",@progbits,_ZN7rocprim17ROCPRIM_400000_NS6detail17trampoline_kernelINS0_14default_configENS1_33run_length_encode_config_selectorIbjNS0_4plusIjEEEEZZNS1_33reduce_by_key_impl_wrapped_configILNS1_25lookback_scan_determinismE0ES3_S7_N6hipcub16HIPCUB_304000_NS22TransformInputIteratorIbN2at6native8internal12_GLOBAL__N_110LoadBoolOpEPKhlEENS0_17constant_iteratorIjlEEPbPlSO_S6_NS0_8equal_toIbEEEE10hipError_tPvRmT2_T3_mT4_T5_T6_T7_T8_P12ihipStream_tbENKUlT_T0_E_clISt17integral_constantIbLb0EES18_EEDaS13_S14_EUlS13_E_NS1_11comp_targetILNS1_3genE0ELNS1_11target_archE4294967295ELNS1_3gpuE0ELNS1_3repE0EEENS1_30default_config_static_selectorELNS0_4arch9wavefront6targetE1EEEvT1_,comdat
.Lfunc_end58:
	.size	_ZN7rocprim17ROCPRIM_400000_NS6detail17trampoline_kernelINS0_14default_configENS1_33run_length_encode_config_selectorIbjNS0_4plusIjEEEEZZNS1_33reduce_by_key_impl_wrapped_configILNS1_25lookback_scan_determinismE0ES3_S7_N6hipcub16HIPCUB_304000_NS22TransformInputIteratorIbN2at6native8internal12_GLOBAL__N_110LoadBoolOpEPKhlEENS0_17constant_iteratorIjlEEPbPlSO_S6_NS0_8equal_toIbEEEE10hipError_tPvRmT2_T3_mT4_T5_T6_T7_T8_P12ihipStream_tbENKUlT_T0_E_clISt17integral_constantIbLb0EES18_EEDaS13_S14_EUlS13_E_NS1_11comp_targetILNS1_3genE0ELNS1_11target_archE4294967295ELNS1_3gpuE0ELNS1_3repE0EEENS1_30default_config_static_selectorELNS0_4arch9wavefront6targetE1EEEvT1_, .Lfunc_end58-_ZN7rocprim17ROCPRIM_400000_NS6detail17trampoline_kernelINS0_14default_configENS1_33run_length_encode_config_selectorIbjNS0_4plusIjEEEEZZNS1_33reduce_by_key_impl_wrapped_configILNS1_25lookback_scan_determinismE0ES3_S7_N6hipcub16HIPCUB_304000_NS22TransformInputIteratorIbN2at6native8internal12_GLOBAL__N_110LoadBoolOpEPKhlEENS0_17constant_iteratorIjlEEPbPlSO_S6_NS0_8equal_toIbEEEE10hipError_tPvRmT2_T3_mT4_T5_T6_T7_T8_P12ihipStream_tbENKUlT_T0_E_clISt17integral_constantIbLb0EES18_EEDaS13_S14_EUlS13_E_NS1_11comp_targetILNS1_3genE0ELNS1_11target_archE4294967295ELNS1_3gpuE0ELNS1_3repE0EEENS1_30default_config_static_selectorELNS0_4arch9wavefront6targetE1EEEvT1_
                                        ; -- End function
	.section	.AMDGPU.csdata,"",@progbits
; Kernel info:
; codeLenInByte = 0
; NumSgprs: 6
; NumVgprs: 0
; NumAgprs: 0
; TotalNumVgprs: 0
; ScratchSize: 0
; MemoryBound: 0
; FloatMode: 240
; IeeeMode: 1
; LDSByteSize: 0 bytes/workgroup (compile time only)
; SGPRBlocks: 0
; VGPRBlocks: 0
; NumSGPRsForWavesPerEU: 6
; NumVGPRsForWavesPerEU: 1
; AccumOffset: 4
; Occupancy: 8
; WaveLimiterHint : 0
; COMPUTE_PGM_RSRC2:SCRATCH_EN: 0
; COMPUTE_PGM_RSRC2:USER_SGPR: 2
; COMPUTE_PGM_RSRC2:TRAP_HANDLER: 0
; COMPUTE_PGM_RSRC2:TGID_X_EN: 1
; COMPUTE_PGM_RSRC2:TGID_Y_EN: 0
; COMPUTE_PGM_RSRC2:TGID_Z_EN: 0
; COMPUTE_PGM_RSRC2:TIDIG_COMP_CNT: 0
; COMPUTE_PGM_RSRC3_GFX90A:ACCUM_OFFSET: 0
; COMPUTE_PGM_RSRC3_GFX90A:TG_SPLIT: 0
	.section	.text._ZN7rocprim17ROCPRIM_400000_NS6detail17trampoline_kernelINS0_14default_configENS1_33run_length_encode_config_selectorIbjNS0_4plusIjEEEEZZNS1_33reduce_by_key_impl_wrapped_configILNS1_25lookback_scan_determinismE0ES3_S7_N6hipcub16HIPCUB_304000_NS22TransformInputIteratorIbN2at6native8internal12_GLOBAL__N_110LoadBoolOpEPKhlEENS0_17constant_iteratorIjlEEPbPlSO_S6_NS0_8equal_toIbEEEE10hipError_tPvRmT2_T3_mT4_T5_T6_T7_T8_P12ihipStream_tbENKUlT_T0_E_clISt17integral_constantIbLb0EES18_EEDaS13_S14_EUlS13_E_NS1_11comp_targetILNS1_3genE5ELNS1_11target_archE942ELNS1_3gpuE9ELNS1_3repE0EEENS1_30default_config_static_selectorELNS0_4arch9wavefront6targetE1EEEvT1_,"axG",@progbits,_ZN7rocprim17ROCPRIM_400000_NS6detail17trampoline_kernelINS0_14default_configENS1_33run_length_encode_config_selectorIbjNS0_4plusIjEEEEZZNS1_33reduce_by_key_impl_wrapped_configILNS1_25lookback_scan_determinismE0ES3_S7_N6hipcub16HIPCUB_304000_NS22TransformInputIteratorIbN2at6native8internal12_GLOBAL__N_110LoadBoolOpEPKhlEENS0_17constant_iteratorIjlEEPbPlSO_S6_NS0_8equal_toIbEEEE10hipError_tPvRmT2_T3_mT4_T5_T6_T7_T8_P12ihipStream_tbENKUlT_T0_E_clISt17integral_constantIbLb0EES18_EEDaS13_S14_EUlS13_E_NS1_11comp_targetILNS1_3genE5ELNS1_11target_archE942ELNS1_3gpuE9ELNS1_3repE0EEENS1_30default_config_static_selectorELNS0_4arch9wavefront6targetE1EEEvT1_,comdat
	.globl	_ZN7rocprim17ROCPRIM_400000_NS6detail17trampoline_kernelINS0_14default_configENS1_33run_length_encode_config_selectorIbjNS0_4plusIjEEEEZZNS1_33reduce_by_key_impl_wrapped_configILNS1_25lookback_scan_determinismE0ES3_S7_N6hipcub16HIPCUB_304000_NS22TransformInputIteratorIbN2at6native8internal12_GLOBAL__N_110LoadBoolOpEPKhlEENS0_17constant_iteratorIjlEEPbPlSO_S6_NS0_8equal_toIbEEEE10hipError_tPvRmT2_T3_mT4_T5_T6_T7_T8_P12ihipStream_tbENKUlT_T0_E_clISt17integral_constantIbLb0EES18_EEDaS13_S14_EUlS13_E_NS1_11comp_targetILNS1_3genE5ELNS1_11target_archE942ELNS1_3gpuE9ELNS1_3repE0EEENS1_30default_config_static_selectorELNS0_4arch9wavefront6targetE1EEEvT1_ ; -- Begin function _ZN7rocprim17ROCPRIM_400000_NS6detail17trampoline_kernelINS0_14default_configENS1_33run_length_encode_config_selectorIbjNS0_4plusIjEEEEZZNS1_33reduce_by_key_impl_wrapped_configILNS1_25lookback_scan_determinismE0ES3_S7_N6hipcub16HIPCUB_304000_NS22TransformInputIteratorIbN2at6native8internal12_GLOBAL__N_110LoadBoolOpEPKhlEENS0_17constant_iteratorIjlEEPbPlSO_S6_NS0_8equal_toIbEEEE10hipError_tPvRmT2_T3_mT4_T5_T6_T7_T8_P12ihipStream_tbENKUlT_T0_E_clISt17integral_constantIbLb0EES18_EEDaS13_S14_EUlS13_E_NS1_11comp_targetILNS1_3genE5ELNS1_11target_archE942ELNS1_3gpuE9ELNS1_3repE0EEENS1_30default_config_static_selectorELNS0_4arch9wavefront6targetE1EEEvT1_
	.p2align	8
	.type	_ZN7rocprim17ROCPRIM_400000_NS6detail17trampoline_kernelINS0_14default_configENS1_33run_length_encode_config_selectorIbjNS0_4plusIjEEEEZZNS1_33reduce_by_key_impl_wrapped_configILNS1_25lookback_scan_determinismE0ES3_S7_N6hipcub16HIPCUB_304000_NS22TransformInputIteratorIbN2at6native8internal12_GLOBAL__N_110LoadBoolOpEPKhlEENS0_17constant_iteratorIjlEEPbPlSO_S6_NS0_8equal_toIbEEEE10hipError_tPvRmT2_T3_mT4_T5_T6_T7_T8_P12ihipStream_tbENKUlT_T0_E_clISt17integral_constantIbLb0EES18_EEDaS13_S14_EUlS13_E_NS1_11comp_targetILNS1_3genE5ELNS1_11target_archE942ELNS1_3gpuE9ELNS1_3repE0EEENS1_30default_config_static_selectorELNS0_4arch9wavefront6targetE1EEEvT1_,@function
_ZN7rocprim17ROCPRIM_400000_NS6detail17trampoline_kernelINS0_14default_configENS1_33run_length_encode_config_selectorIbjNS0_4plusIjEEEEZZNS1_33reduce_by_key_impl_wrapped_configILNS1_25lookback_scan_determinismE0ES3_S7_N6hipcub16HIPCUB_304000_NS22TransformInputIteratorIbN2at6native8internal12_GLOBAL__N_110LoadBoolOpEPKhlEENS0_17constant_iteratorIjlEEPbPlSO_S6_NS0_8equal_toIbEEEE10hipError_tPvRmT2_T3_mT4_T5_T6_T7_T8_P12ihipStream_tbENKUlT_T0_E_clISt17integral_constantIbLb0EES18_EEDaS13_S14_EUlS13_E_NS1_11comp_targetILNS1_3genE5ELNS1_11target_archE942ELNS1_3gpuE9ELNS1_3repE0EEENS1_30default_config_static_selectorELNS0_4arch9wavefront6targetE1EEEvT1_: ; @_ZN7rocprim17ROCPRIM_400000_NS6detail17trampoline_kernelINS0_14default_configENS1_33run_length_encode_config_selectorIbjNS0_4plusIjEEEEZZNS1_33reduce_by_key_impl_wrapped_configILNS1_25lookback_scan_determinismE0ES3_S7_N6hipcub16HIPCUB_304000_NS22TransformInputIteratorIbN2at6native8internal12_GLOBAL__N_110LoadBoolOpEPKhlEENS0_17constant_iteratorIjlEEPbPlSO_S6_NS0_8equal_toIbEEEE10hipError_tPvRmT2_T3_mT4_T5_T6_T7_T8_P12ihipStream_tbENKUlT_T0_E_clISt17integral_constantIbLb0EES18_EEDaS13_S14_EUlS13_E_NS1_11comp_targetILNS1_3genE5ELNS1_11target_archE942ELNS1_3gpuE9ELNS1_3repE0EEENS1_30default_config_static_selectorELNS0_4arch9wavefront6targetE1EEEvT1_
; %bb.0:
	s_load_dwordx2 s[4:5], s[0:1], 0x0
	s_load_dwordx2 s[6:7], s[0:1], 0x10
	s_load_dwordx8 s[36:43], s[0:1], 0x48
	s_load_dword s3, s[0:1], 0x18
	s_load_dwordx4 s[44:47], s[0:1], 0x68
	s_mov_b64 s[12:13], -1
	s_waitcnt lgkmcnt(0)
	s_add_u32 s4, s4, s6
	s_addc_u32 s5, s5, s7
	s_mul_i32 s6, s40, s39
	s_mul_hi_u32 s7, s40, s38
	s_add_i32 s6, s7, s6
	s_mul_i32 s7, s41, s38
	s_add_i32 s8, s6, s7
	s_mul_i32 s6, s2, 0x1e00
	s_add_u32 s6, s4, s6
	s_mul_i32 s9, s40, s38
	s_addc_u32 s7, s5, 0
	s_add_u32 s4, s9, s2
	s_addc_u32 s5, s8, 0
	s_add_u32 s8, s42, -1
	s_addc_u32 s9, s43, -1
	s_cmp_eq_u64 s[4:5], s[8:9]
	s_cselect_b64 s[34:35], -1, 0
	s_cmp_lg_u64 s[4:5], s[8:9]
	s_cselect_b64 s[10:11], -1, 0
	s_mul_i32 s33, s8, 0xffffe200
	s_and_b64 vcc, exec, s[34:35]
	v_mad_u32_u24 v2, v0, 14, v0
	s_cbranch_vccnz .LBB59_2
; %bb.1:
	global_load_ubyte v3, v0, s[6:7]
	global_load_ubyte v6, v0, s[6:7] offset:512
	global_load_ubyte v7, v0, s[6:7] offset:1024
	;; [unrolled: 1-line block ×7, first 2 shown]
	v_mov_b32_e32 v1, 0
	s_movk_i32 s8, 0x1000
	v_lshl_add_u64 v[4:5], s[6:7], 0, v[0:1]
	v_add_co_u32_e32 v4, vcc, s8, v4
	s_nop 1
	v_addc_co_u32_e32 v5, vcc, 0, v5, vcc
	global_load_ubyte v1, v[4:5], off
	global_load_ubyte v13, v[4:5], off offset:512
	global_load_ubyte v14, v[4:5], off offset:1024
	;; [unrolled: 1-line block ×6, first 2 shown]
	s_mov_b64 s[8:9], -1
	s_waitcnt vmcnt(14)
	v_cmp_ne_u16_e32 vcc, 0, v3
	s_nop 1
	v_cndmask_b32_e64 v3, 0, 1, vcc
	s_waitcnt vmcnt(13)
	v_cmp_ne_u16_e32 vcc, 0, v6
	s_nop 1
	v_cndmask_b32_e64 v4, 0, 1, vcc
	;; [unrolled: 4-line block ×8, first 2 shown]
	s_waitcnt vmcnt(6)
	v_cmp_ne_u16_e32 vcc, 0, v1
	ds_write_b8 v0, v3
	ds_write_b8 v0, v4 offset:512
	ds_write_b8 v0, v5 offset:1024
	;; [unrolled: 1-line block ×7, first 2 shown]
	v_cndmask_b32_e64 v1, 0, 1, vcc
	s_waitcnt vmcnt(5)
	v_cmp_ne_u16_e32 vcc, 0, v13
	s_nop 1
	v_cndmask_b32_e64 v3, 0, 1, vcc
	s_waitcnt vmcnt(4)
	v_cmp_ne_u16_e32 vcc, 0, v14
	s_nop 1
	;; [unrolled: 4-line block ×6, first 2 shown]
	v_cndmask_b32_e64 v8, 0, 1, vcc
	ds_write_b8 v0, v1 offset:4096
	ds_write_b8 v0, v3 offset:4608
	ds_write_b8 v0, v4 offset:5120
	ds_write_b8 v0, v5 offset:5632
	ds_write_b8 v0, v6 offset:6144
	ds_write_b8 v0, v7 offset:6656
	ds_write_b8 v0, v8 offset:7168
	s_waitcnt lgkmcnt(0)
	s_barrier
	ds_read_b96 v[8:10], v2
	ds_read_u8 v56, v2 offset:12
	ds_read_u8 v11, v2 offset:13
	;; [unrolled: 1-line block ×3, first 2 shown]
	s_waitcnt lgkmcnt(3)
	v_lshrrev_b32_e32 v65, 8, v8
	v_lshrrev_b32_e32 v64, 16, v8
	;; [unrolled: 1-line block ×9, first 2 shown]
	s_add_i32 s33, s33, s44
	s_cbranch_execz .LBB59_3
	s_branch .LBB59_34
.LBB59_2:
	s_mov_b64 s[8:9], 0
                                        ; implicit-def: $vgpr8
                                        ; implicit-def: $vgpr65
                                        ; implicit-def: $vgpr64
                                        ; implicit-def: $vgpr63
                                        ; implicit-def: $vgpr62
                                        ; implicit-def: $vgpr61
                                        ; implicit-def: $vgpr60
                                        ; implicit-def: $vgpr59
                                        ; implicit-def: $vgpr58
                                        ; implicit-def: $vgpr57
                                        ; implicit-def: $vgpr56
                                        ; implicit-def: $vgpr11
                                        ; implicit-def: $vgpr1
	s_add_i32 s33, s33, s44
	s_andn2_b64 vcc, exec, s[12:13]
	s_cbranch_vccnz .LBB59_34
.LBB59_3:
	v_cmp_gt_u32_e32 vcc, s33, v0
                                        ; implicit-def: $vgpr1
	s_and_saveexec_b64 s[8:9], vcc
	s_cbranch_execz .LBB59_5
; %bb.4:
	s_waitcnt lgkmcnt(0)
	global_load_ubyte v1, v0, s[6:7]
	s_waitcnt vmcnt(0)
	v_cmp_ne_u16_e32 vcc, 0, v1
	s_nop 1
	v_cndmask_b32_e64 v1, 0, 1, vcc
.LBB59_5:
	s_or_b64 exec, exec, s[8:9]
	v_or_b32_e32 v3, 0x200, v0
	v_cmp_gt_u32_e32 vcc, s33, v3
                                        ; implicit-def: $vgpr3
	s_and_saveexec_b64 s[8:9], vcc
	s_cbranch_execz .LBB59_7
; %bb.6:
	global_load_ubyte v3, v0, s[6:7] offset:512
	s_waitcnt vmcnt(0)
	v_cmp_ne_u16_e32 vcc, 0, v3
	s_nop 1
	v_cndmask_b32_e64 v3, 0, 1, vcc
.LBB59_7:
	s_or_b64 exec, exec, s[8:9]
	v_or_b32_e32 v4, 0x400, v0
	v_cmp_gt_u32_e32 vcc, s33, v4
                                        ; implicit-def: $vgpr4
	s_and_saveexec_b64 s[8:9], vcc
	s_cbranch_execz .LBB59_9
; %bb.8:
	global_load_ubyte v4, v0, s[6:7] offset:1024
	s_waitcnt vmcnt(0)
	v_cmp_ne_u16_e32 vcc, 0, v4
	s_nop 1
	v_cndmask_b32_e64 v4, 0, 1, vcc
.LBB59_9:
	s_or_b64 exec, exec, s[8:9]
	v_or_b32_e32 v5, 0x600, v0
	v_cmp_gt_u32_e32 vcc, s33, v5
                                        ; implicit-def: $vgpr5
	s_and_saveexec_b64 s[8:9], vcc
	s_cbranch_execz .LBB59_11
; %bb.10:
	global_load_ubyte v5, v0, s[6:7] offset:1536
	s_waitcnt vmcnt(0)
	v_cmp_ne_u16_e32 vcc, 0, v5
	s_nop 1
	v_cndmask_b32_e64 v5, 0, 1, vcc
.LBB59_11:
	s_or_b64 exec, exec, s[8:9]
	v_or_b32_e32 v6, 0x800, v0
	v_cmp_gt_u32_e32 vcc, s33, v6
                                        ; implicit-def: $vgpr6
	s_and_saveexec_b64 s[8:9], vcc
	s_cbranch_execz .LBB59_13
; %bb.12:
	global_load_ubyte v6, v0, s[6:7] offset:2048
	s_waitcnt vmcnt(0)
	v_cmp_ne_u16_e32 vcc, 0, v6
	s_nop 1
	v_cndmask_b32_e64 v6, 0, 1, vcc
.LBB59_13:
	s_or_b64 exec, exec, s[8:9]
	v_or_b32_e32 v7, 0xa00, v0
	v_cmp_gt_u32_e32 vcc, s33, v7
                                        ; implicit-def: $vgpr7
	s_and_saveexec_b64 s[8:9], vcc
	s_cbranch_execz .LBB59_15
; %bb.14:
	global_load_ubyte v7, v0, s[6:7] offset:2560
	s_waitcnt vmcnt(0)
	v_cmp_ne_u16_e32 vcc, 0, v7
	s_nop 1
	v_cndmask_b32_e64 v7, 0, 1, vcc
.LBB59_15:
	s_or_b64 exec, exec, s[8:9]
	v_or_b32_e32 v8, 0xc00, v0
	v_cmp_gt_u32_e32 vcc, s33, v8
                                        ; implicit-def: $vgpr8
	s_and_saveexec_b64 s[8:9], vcc
	s_cbranch_execz .LBB59_17
; %bb.16:
	global_load_ubyte v8, v0, s[6:7] offset:3072
	s_waitcnt vmcnt(0)
	v_cmp_ne_u16_e32 vcc, 0, v8
	s_nop 1
	v_cndmask_b32_e64 v8, 0, 1, vcc
.LBB59_17:
	s_or_b64 exec, exec, s[8:9]
	v_or_b32_e32 v9, 0xe00, v0
	v_cmp_gt_u32_e32 vcc, s33, v9
                                        ; implicit-def: $vgpr9
	s_and_saveexec_b64 s[8:9], vcc
	s_cbranch_execz .LBB59_19
; %bb.18:
	global_load_ubyte v9, v0, s[6:7] offset:3584
	s_waitcnt vmcnt(0)
	v_cmp_ne_u16_e32 vcc, 0, v9
	s_nop 1
	v_cndmask_b32_e64 v9, 0, 1, vcc
.LBB59_19:
	s_or_b64 exec, exec, s[8:9]
	s_waitcnt lgkmcnt(1)
	v_or_b32_e32 v11, 0x1000, v0
	v_cmp_gt_u32_e32 vcc, s33, v11
                                        ; implicit-def: $vgpr10
	s_and_saveexec_b64 s[8:9], vcc
	s_cbranch_execz .LBB59_21
; %bb.20:
	global_load_ubyte v10, v11, s[6:7]
	s_waitcnt vmcnt(0)
	v_cmp_ne_u16_e32 vcc, 0, v10
	s_nop 1
	v_cndmask_b32_e64 v10, 0, 1, vcc
.LBB59_21:
	s_or_b64 exec, exec, s[8:9]
	v_or_b32_e32 v12, 0x1200, v0
	v_cmp_gt_u32_e32 vcc, s33, v12
                                        ; implicit-def: $vgpr11
	s_and_saveexec_b64 s[8:9], vcc
	s_cbranch_execz .LBB59_23
; %bb.22:
	global_load_ubyte v11, v12, s[6:7]
	s_waitcnt vmcnt(0)
	v_cmp_ne_u16_e32 vcc, 0, v11
	s_nop 1
	v_cndmask_b32_e64 v11, 0, 1, vcc
.LBB59_23:
	s_or_b64 exec, exec, s[8:9]
	v_or_b32_e32 v13, 0x1400, v0
	v_cmp_gt_u32_e32 vcc, s33, v13
                                        ; implicit-def: $vgpr12
	s_and_saveexec_b64 s[8:9], vcc
	s_cbranch_execz .LBB59_25
; %bb.24:
	global_load_ubyte v12, v13, s[6:7]
	s_waitcnt vmcnt(0)
	v_cmp_ne_u16_e32 vcc, 0, v12
	s_nop 1
	v_cndmask_b32_e64 v12, 0, 1, vcc
.LBB59_25:
	s_or_b64 exec, exec, s[8:9]
	v_or_b32_e32 v14, 0x1600, v0
	v_cmp_gt_u32_e32 vcc, s33, v14
                                        ; implicit-def: $vgpr13
	s_and_saveexec_b64 s[8:9], vcc
	s_cbranch_execz .LBB59_27
; %bb.26:
	global_load_ubyte v13, v14, s[6:7]
	s_waitcnt vmcnt(0)
	v_cmp_ne_u16_e32 vcc, 0, v13
	s_nop 1
	v_cndmask_b32_e64 v13, 0, 1, vcc
.LBB59_27:
	s_or_b64 exec, exec, s[8:9]
	v_or_b32_e32 v15, 0x1800, v0
	v_cmp_gt_u32_e32 vcc, s33, v15
                                        ; implicit-def: $vgpr14
	s_and_saveexec_b64 s[8:9], vcc
	s_cbranch_execz .LBB59_29
; %bb.28:
	global_load_ubyte v14, v15, s[6:7]
	s_waitcnt vmcnt(0)
	v_cmp_ne_u16_e32 vcc, 0, v14
	s_nop 1
	v_cndmask_b32_e64 v14, 0, 1, vcc
.LBB59_29:
	s_or_b64 exec, exec, s[8:9]
	v_or_b32_e32 v16, 0x1a00, v0
	v_cmp_gt_u32_e32 vcc, s33, v16
                                        ; implicit-def: $vgpr15
	s_and_saveexec_b64 s[8:9], vcc
	s_cbranch_execz .LBB59_31
; %bb.30:
	global_load_ubyte v15, v16, s[6:7]
	s_waitcnt vmcnt(0)
	v_cmp_ne_u16_e32 vcc, 0, v15
	s_nop 1
	v_cndmask_b32_e64 v15, 0, 1, vcc
.LBB59_31:
	s_or_b64 exec, exec, s[8:9]
	v_or_b32_e32 v17, 0x1c00, v0
	v_cmp_gt_u32_e32 vcc, s33, v17
                                        ; implicit-def: $vgpr16
	s_and_saveexec_b64 s[8:9], vcc
	s_cbranch_execz .LBB59_33
; %bb.32:
	global_load_ubyte v16, v17, s[6:7]
	s_waitcnt vmcnt(0)
	v_cmp_ne_u16_e32 vcc, 0, v16
	s_nop 1
	v_cndmask_b32_e64 v16, 0, 1, vcc
.LBB59_33:
	s_or_b64 exec, exec, s[8:9]
	s_waitcnt lgkmcnt(0)
	ds_write_b8 v0, v1
	ds_write_b8 v0, v3 offset:512
	ds_write_b8 v0, v4 offset:1024
	;; [unrolled: 1-line block ×14, first 2 shown]
	s_waitcnt lgkmcnt(0)
	s_barrier
	ds_read_b96 v[8:10], v2
	ds_read_u8 v56, v2 offset:12
	ds_read_u8 v11, v2 offset:13
	ds_read_u8 v1, v2 offset:14
	v_mad_u32_u24 v2, v0, 15, 14
	s_waitcnt lgkmcnt(3)
	v_lshrrev_b32_e32 v65, 8, v8
	v_lshrrev_b32_e32 v64, 16, v8
	v_lshrrev_b32_e32 v63, 24, v8
	v_lshrrev_b32_e32 v62, 8, v9
	v_lshrrev_b32_e32 v61, 16, v9
	v_lshrrev_b32_e32 v60, 24, v9
	v_lshrrev_b32_e32 v59, 8, v10
	v_lshrrev_b32_e32 v58, 16, v10
	v_lshrrev_b32_e32 v57, 24, v10
	v_cmp_gt_u32_e64 s[8:9], s33, v2
.LBB59_34:
	v_mov_b32_e32 v52, s3
                                        ; implicit-def: $vgpr53
	s_and_saveexec_b64 s[12:13], s[8:9]
; %bb.35:
	v_mov_b32_e32 v53, s3
; %bb.36:
	s_or_b64 exec, exec, s[12:13]
	s_load_dwordx2 s[50:51], s[0:1], 0x78
	s_cmp_eq_u64 s[4:5], 0
	s_cselect_b64 s[48:49], -1, 0
	s_cmp_lg_u64 s[4:5], 0
	s_mov_b64 s[8:9], 0
	s_cselect_b64 s[12:13], -1, 0
	s_and_b64 vcc, exec, s[10:11]
	s_waitcnt lgkmcnt(0)
	s_barrier
	s_cbranch_vccz .LBB59_42
; %bb.37:
	s_and_b64 vcc, exec, s[12:13]
	s_cbranch_vccz .LBB59_43
; %bb.38:
	v_mov_b32_e32 v2, 0
	global_load_ubyte v2, v2, s[6:7] offset:-1
	v_cmp_ne_u16_sdwa s[8:9], v11, v1 src0_sel:BYTE_0 src1_sel:BYTE_0
	v_cmp_ne_u16_sdwa s[10:11], v56, v11 src0_sel:BYTE_0 src1_sel:BYTE_0
	;; [unrolled: 1-line block ×14, first 2 shown]
	ds_write_b8 v0, v1
	s_waitcnt lgkmcnt(0)
	s_barrier
	s_waitcnt vmcnt(0)
	v_cmp_ne_u16_e32 vcc, 0, v2
	s_nop 1
	v_cndmask_b32_e64 v2, 0, 1, vcc
	v_cmp_ne_u32_e32 vcc, 0, v0
	s_and_saveexec_b64 s[54:55], vcc
	s_cbranch_execz .LBB59_40
; %bb.39:
	v_add_u32_e32 v2, -1, v0
	ds_read_u8 v2, v2
.LBB59_40:
	s_or_b64 exec, exec, s[54:55]
	s_waitcnt lgkmcnt(0)
	v_and_b32_e32 v2, 0xff, v2
	v_cndmask_b32_e64 v66, 0, 1, s[8:9]
	v_cndmask_b32_e64 v67, 0, 1, s[10:11]
	;; [unrolled: 1-line block ×14, first 2 shown]
	v_cmp_ne_u16_sdwa s[10:11], v2, v8 src0_sel:DWORD src1_sel:BYTE_0
	s_mov_b64 s[8:9], -1
.LBB59_41:
                                        ; implicit-def: $sgpr3
	s_branch .LBB59_55
.LBB59_42:
                                        ; implicit-def: $sgpr10_sgpr11
                                        ; implicit-def: $vgpr66
                                        ; implicit-def: $vgpr67
                                        ; implicit-def: $vgpr68
                                        ; implicit-def: $vgpr69
                                        ; implicit-def: $vgpr70
                                        ; implicit-def: $vgpr71
                                        ; implicit-def: $vgpr72
                                        ; implicit-def: $vgpr21
                                        ; implicit-def: $vgpr73
                                        ; implicit-def: $vgpr74
                                        ; implicit-def: $vgpr75
                                        ; implicit-def: $vgpr76
                                        ; implicit-def: $vgpr77
                                        ; implicit-def: $vgpr78
                                        ; implicit-def: $sgpr3
	s_cbranch_execnz .LBB59_47
	s_branch .LBB59_55
.LBB59_43:
                                        ; implicit-def: $sgpr10_sgpr11
                                        ; implicit-def: $vgpr66
                                        ; implicit-def: $vgpr67
                                        ; implicit-def: $vgpr68
                                        ; implicit-def: $vgpr69
                                        ; implicit-def: $vgpr70
                                        ; implicit-def: $vgpr71
                                        ; implicit-def: $vgpr72
                                        ; implicit-def: $vgpr21
                                        ; implicit-def: $vgpr73
                                        ; implicit-def: $vgpr74
                                        ; implicit-def: $vgpr75
                                        ; implicit-def: $vgpr76
                                        ; implicit-def: $vgpr77
                                        ; implicit-def: $vgpr78
	s_cbranch_execz .LBB59_41
; %bb.44:
	v_cmp_ne_u16_sdwa s[10:11], v11, v1 src0_sel:BYTE_0 src1_sel:BYTE_0
	v_cmp_ne_u32_e32 vcc, 0, v0
	ds_write_b8 v0, v1
	v_cndmask_b32_e64 v66, 0, 1, s[10:11]
	v_cmp_ne_u16_sdwa s[10:11], v56, v11 src0_sel:BYTE_0 src1_sel:BYTE_0
	s_waitcnt lgkmcnt(0)
	s_barrier
	v_cndmask_b32_e64 v67, 0, 1, s[10:11]
	v_cmp_ne_u16_sdwa s[10:11], v57, v56 src0_sel:BYTE_0 src1_sel:BYTE_0
	s_nop 1
	v_cndmask_b32_e64 v68, 0, 1, s[10:11]
	v_cmp_ne_u16_sdwa s[10:11], v58, v57 src0_sel:BYTE_0 src1_sel:BYTE_0
	s_nop 1
	;; [unrolled: 3-line block ×12, first 2 shown]
	v_cndmask_b32_e64 v78, 0, 1, s[10:11]
                                        ; implicit-def: $sgpr10_sgpr11
	s_and_saveexec_b64 s[14:15], vcc
	s_xor_b64 s[14:15], exec, s[14:15]
	s_cbranch_execz .LBB59_46
; %bb.45:
	v_add_u32_e32 v2, -1, v0
	ds_read_u8 v2, v2
	s_or_b64 s[8:9], s[8:9], exec
	s_waitcnt lgkmcnt(0)
	v_cmp_ne_u16_sdwa s[10:11], v2, v8 src0_sel:DWORD src1_sel:BYTE_0
	s_and_b64 s[10:11], s[10:11], exec
.LBB59_46:
	s_or_b64 exec, exec, s[14:15]
	s_mov_b32 s3, 1
	s_branch .LBB59_55
.LBB59_47:
	s_mul_i32 s3, s5, 0xffffe200
	s_mul_hi_u32 s5, s4, 0xffffe200
	s_sub_i32 s5, s5, s4
	s_add_i32 s5, s5, s3
	s_mul_i32 s3, s4, 0xffffe200
	s_add_u32 s30, s3, s44
	s_addc_u32 s31, s5, s45
	s_and_b64 vcc, exec, s[12:13]
	v_mad_u32_u24 v2, v0, 15, 14
	v_cmp_ne_u16_sdwa s[10:11], v11, v1 src0_sel:BYTE_0 src1_sel:BYTE_0
	v_mad_u32_u24 v32, v0, 15, 13
	v_cmp_ne_u16_sdwa s[40:41], v56, v11 src0_sel:BYTE_0 src1_sel:BYTE_0
	;; [unrolled: 2-line block ×14, first 2 shown]
	v_cmp_ne_u32_e64 s[4:5], 0, v0
	s_cbranch_vccz .LBB59_52
; %bb.48:
	v_mov_b32_e32 v3, 0
	global_load_ubyte v35, v3, s[6:7] offset:-1
	v_cmp_gt_u64_e32 vcc, s[30:31], v[2:3]
	v_mov_b32_e32 v33, v3
	v_mov_b32_e32 v31, v3
	;; [unrolled: 1-line block ×13, first 2 shown]
	s_and_b64 s[72:73], vcc, s[10:11]
	v_cmp_gt_u64_e32 vcc, s[30:31], v[32:33]
	v_cmp_gt_u64_e64 s[6:7], s[30:31], v[30:31]
	v_cmp_gt_u64_e64 s[8:9], s[30:31], v[28:29]
	v_cmp_gt_u64_e64 s[10:11], s[30:31], v[26:27]
	v_cmp_gt_u64_e64 s[12:13], s[30:31], v[24:25]
	v_cmp_gt_u64_e64 s[14:15], s[30:31], v[22:23]
	v_cmp_gt_u64_e64 s[16:17], s[30:31], v[20:21]
	v_cmp_gt_u64_e64 s[18:19], s[30:31], v[18:19]
	v_cmp_gt_u64_e64 s[20:21], s[30:31], v[16:17]
	v_cmp_gt_u64_e64 s[22:23], s[30:31], v[14:15]
	v_cmp_gt_u64_e64 s[24:25], s[30:31], v[12:13]
	v_cmp_gt_u64_e64 s[26:27], s[30:31], v[6:7]
	v_cmp_gt_u64_e64 s[28:29], s[30:31], v[4:5]
	s_and_b64 s[40:41], vcc, s[40:41]
	v_mul_u32_u24_e32 v34, 15, v0
	s_and_b64 s[6:7], s[6:7], s[42:43]
	s_and_b64 s[8:9], s[8:9], s[44:45]
	;; [unrolled: 1-line block ×12, first 2 shown]
	ds_write_b8 v0, v1
	s_waitcnt lgkmcnt(0)
	s_barrier
	s_waitcnt vmcnt(0)
	v_cmp_ne_u16_e32 vcc, 0, v35
	s_nop 1
	v_cndmask_b32_e64 v5, 0, 1, vcc
	s_and_saveexec_b64 s[42:43], s[4:5]
	s_cbranch_execz .LBB59_50
; %bb.49:
	v_add_u32_e32 v5, -1, v0
	ds_read_u8 v5, v5
.LBB59_50:
	s_or_b64 exec, exec, s[42:43]
	v_mov_b32_e32 v35, v3
	s_waitcnt lgkmcnt(0)
	v_and_b32_e32 v3, 0xff, v5
	v_cmp_gt_u64_e32 vcc, s[30:31], v[34:35]
	v_cmp_ne_u16_sdwa s[4:5], v3, v8 src0_sel:DWORD src1_sel:BYTE_0
	v_cndmask_b32_e64 v66, 0, 1, s[72:73]
	v_cndmask_b32_e64 v67, 0, 1, s[40:41]
	;; [unrolled: 1-line block ×14, first 2 shown]
	s_and_b64 s[10:11], vcc, s[4:5]
	s_mov_b64 s[8:9], -1
.LBB59_51:
                                        ; implicit-def: $sgpr3
	v_mov_b32_e32 v79, s3
	s_and_saveexec_b64 s[4:5], s[8:9]
	s_cbranch_execnz .LBB59_56
	s_branch .LBB59_57
.LBB59_52:
                                        ; implicit-def: $sgpr10_sgpr11
                                        ; implicit-def: $vgpr66
                                        ; implicit-def: $vgpr67
                                        ; implicit-def: $vgpr68
                                        ; implicit-def: $vgpr69
                                        ; implicit-def: $vgpr70
                                        ; implicit-def: $vgpr71
                                        ; implicit-def: $vgpr72
                                        ; implicit-def: $vgpr21
                                        ; implicit-def: $vgpr73
                                        ; implicit-def: $vgpr74
                                        ; implicit-def: $vgpr75
                                        ; implicit-def: $vgpr76
                                        ; implicit-def: $vgpr77
                                        ; implicit-def: $vgpr78
	s_cbranch_execz .LBB59_51
; %bb.53:
	v_mov_b32_e32 v3, 0
	v_cmp_gt_u64_e32 vcc, s[30:31], v[2:3]
	v_cmp_ne_u16_sdwa s[4:5], v11, v1 src0_sel:BYTE_0 src1_sel:BYTE_0
	s_and_b64 s[4:5], vcc, s[4:5]
	v_mov_b32_e32 v33, v3
	v_cndmask_b32_e64 v66, 0, 1, s[4:5]
	v_cmp_gt_u64_e32 vcc, s[30:31], v[32:33]
	v_cmp_ne_u16_sdwa s[4:5], v56, v11 src0_sel:BYTE_0 src1_sel:BYTE_0
	s_and_b64 s[4:5], vcc, s[4:5]
	v_mov_b32_e32 v31, v3
	v_cndmask_b32_e64 v67, 0, 1, s[4:5]
	;; [unrolled: 5-line block ×13, first 2 shown]
	v_cmp_gt_u64_e32 vcc, s[30:31], v[4:5]
	v_cmp_ne_u16_sdwa s[4:5], v8, v65 src0_sel:BYTE_0 src1_sel:BYTE_0
	s_and_b64 s[4:5], vcc, s[4:5]
	s_mov_b32 s3, 1
	v_cndmask_b32_e64 v78, 0, 1, s[4:5]
	v_cmp_ne_u32_e32 vcc, 0, v0
	ds_write_b8 v0, v1
	s_waitcnt lgkmcnt(0)
	s_barrier
	s_waitcnt lgkmcnt(0)
                                        ; implicit-def: $sgpr10_sgpr11
	s_and_saveexec_b64 s[4:5], vcc
	s_cbranch_execz .LBB59_145
; %bb.54:
	v_add_u32_e32 v2, -1, v0
	ds_read_u8 v4, v2
	v_mul_u32_u24_e32 v2, 15, v0
	v_cmp_gt_u64_e32 vcc, s[30:31], v[2:3]
	s_or_b64 s[8:9], s[8:9], exec
	s_waitcnt lgkmcnt(0)
	v_and_b32_e32 v2, 0xff, v4
	v_cmp_ne_u16_sdwa s[6:7], v2, v8 src0_sel:DWORD src1_sel:BYTE_0
	s_and_b64 s[6:7], vcc, s[6:7]
	s_and_b64 s[10:11], s[6:7], exec
	s_or_b64 exec, exec, s[4:5]
.LBB59_55:
	v_mov_b32_e32 v79, s3
	s_and_saveexec_b64 s[4:5], s[8:9]
.LBB59_56:
	v_cndmask_b32_e64 v79, 0, 1, s[10:11]
.LBB59_57:
	s_or_b64 exec, exec, s[4:5]
	s_load_dwordx4 s[40:43], s[0:1], 0x28
	s_load_dwordx2 s[44:45], s[0:1], 0x38
	s_cmp_eq_u64 s[38:39], 0
	v_add3_u32 v2, v78, v79, v77
	s_cselect_b64 s[38:39], -1, 0
	s_cmp_lg_u32 s2, 0
	v_cmp_eq_u32_e64 s[24:25], 0, v78
	v_cmp_eq_u32_e64 s[22:23], 0, v77
	;; [unrolled: 1-line block ×3, first 2 shown]
	v_add3_u32 v81, v2, v76, v75
	v_cmp_eq_u32_e64 s[18:19], 0, v75
	v_cmp_eq_u32_e64 s[16:17], 0, v74
	;; [unrolled: 1-line block ×10, first 2 shown]
	v_cmp_eq_u32_e32 vcc, 0, v66
	v_mbcnt_lo_u32_b32 v80, -1, 0
	v_lshrrev_b32_e32 v54, 6, v0
	v_or_b32_e32 v55, 63, v0
	s_cbranch_scc0 .LBB59_84
; %bb.58:
	v_cndmask_b32_e64 v2, 0, v52, s[24:25]
	v_add_u32_e32 v2, v2, v52
	v_cndmask_b32_e64 v2, 0, v2, s[22:23]
	v_add_u32_e32 v2, v2, v52
	;; [unrolled: 2-line block ×11, first 2 shown]
	v_cndmask_b32_e64 v2, 0, v2, s[28:29]
	v_add3_u32 v3, v81, v74, v73
	v_add_u32_e32 v2, v2, v52
	v_add3_u32 v3, v3, v21, v72
	v_cndmask_b32_e64 v2, 0, v2, s[0:1]
	v_add3_u32 v3, v3, v71, v70
	v_add_u32_e32 v2, v2, v52
	v_add3_u32 v3, v3, v69, v68
	v_cndmask_b32_e32 v2, 0, v2, vcc
	v_add3_u32 v3, v3, v67, v66
	v_add_u32_e32 v2, v2, v53
	v_mbcnt_hi_u32_b32 v15, -1, v80
	v_and_b32_e32 v4, 15, v15
	v_mov_b32_dpp v6, v2 row_shr:1 row_mask:0xf bank_mask:0xf
	v_cmp_eq_u32_e32 vcc, 0, v3
	v_mov_b32_dpp v5, v3 row_shr:1 row_mask:0xf bank_mask:0xf
	v_cmp_lt_u32_e64 s[26:27], 1, v4
	v_cndmask_b32_e32 v6, 0, v6, vcc
	v_cmp_eq_u32_e32 vcc, 0, v4
	s_nop 1
	v_cndmask_b32_e64 v5, v5, 0, vcc
	v_add_u32_e32 v3, v5, v3
	v_cndmask_b32_e64 v5, v6, 0, vcc
	v_add_u32_e32 v2, v5, v2
	v_cmp_eq_u32_e32 vcc, 0, v3
	v_mov_b32_dpp v5, v3 row_shr:2 row_mask:0xf bank_mask:0xf
	v_mov_b32_dpp v6, v2 row_shr:2 row_mask:0xf bank_mask:0xf
	v_cndmask_b32_e64 v5, 0, v5, s[26:27]
	s_and_b64 vcc, s[26:27], vcc
	v_cndmask_b32_e32 v6, 0, v6, vcc
	v_add_u32_e32 v3, v3, v5
	v_add_u32_e32 v2, v6, v2
	v_cmp_eq_u32_e32 vcc, 0, v3
	v_mov_b32_dpp v5, v3 row_shr:4 row_mask:0xf bank_mask:0xf
	v_cmp_lt_u32_e64 s[26:27], 3, v4
	v_mov_b32_dpp v6, v2 row_shr:4 row_mask:0xf bank_mask:0xf
	s_and_b64 vcc, s[26:27], vcc
	v_cndmask_b32_e64 v5, 0, v5, s[26:27]
	v_cndmask_b32_e32 v6, 0, v6, vcc
	v_add_u32_e32 v3, v5, v3
	v_add_u32_e32 v2, v2, v6
	v_cmp_eq_u32_e32 vcc, 0, v3
	v_cmp_lt_u32_e64 s[26:27], 7, v4
	v_mov_b32_dpp v5, v3 row_shr:8 row_mask:0xf bank_mask:0xf
	v_mov_b32_dpp v6, v2 row_shr:8 row_mask:0xf bank_mask:0xf
	s_and_b64 vcc, s[26:27], vcc
	v_cndmask_b32_e64 v4, 0, v5, s[26:27]
	v_cndmask_b32_e32 v5, 0, v6, vcc
	v_add_u32_e32 v2, v5, v2
	v_add_u32_e32 v3, v4, v3
	v_bfe_i32 v6, v15, 4, 1
	v_mov_b32_dpp v5, v2 row_bcast:15 row_mask:0xf bank_mask:0xf
	v_mov_b32_dpp v4, v3 row_bcast:15 row_mask:0xf bank_mask:0xf
	v_cmp_eq_u32_e32 vcc, 0, v3
	v_and_b32_e32 v4, v6, v4
	v_add_u32_e32 v3, v4, v3
	v_cndmask_b32_e32 v5, 0, v5, vcc
	v_and_b32_e32 v4, v6, v5
	v_add_u32_e32 v4, v4, v2
	v_mov_b32_dpp v2, v3 row_bcast:31 row_mask:0xf bank_mask:0xf
	v_cmp_eq_u32_e32 vcc, 0, v3
	v_cmp_lt_u32_e64 s[26:27], 31, v15
	v_mov_b32_dpp v5, v4 row_bcast:31 row_mask:0xf bank_mask:0xf
	s_and_b64 vcc, s[26:27], vcc
	v_cndmask_b32_e64 v2, 0, v2, s[26:27]
	v_add_u32_e32 v2, v2, v3
	v_cndmask_b32_e32 v3, 0, v5, vcc
	v_add_u32_e32 v3, v3, v4
	v_cmp_eq_u32_e32 vcc, v55, v0
	v_lshlrev_b32_e32 v4, 3, v54
	s_and_saveexec_b64 s[26:27], vcc
	s_cbranch_execz .LBB59_60
; %bb.59:
	ds_write_b64 v4, v[2:3] offset:1040
.LBB59_60:
	s_or_b64 exec, exec, s[26:27]
	v_cmp_gt_u32_e32 vcc, 8, v0
	s_waitcnt lgkmcnt(0)
	s_barrier
	s_and_saveexec_b64 s[30:31], vcc
	s_cbranch_execz .LBB59_62
; %bb.61:
	v_lshlrev_b32_e32 v5, 3, v0
	ds_read_b64 v[6:7], v5 offset:1040
	v_and_b32_e32 v12, 7, v15
	v_cmp_lt_u32_e64 s[26:27], 1, v12
	s_waitcnt lgkmcnt(0)
	v_mov_b32_dpp v14, v7 row_shr:1 row_mask:0xf bank_mask:0xf
	v_cmp_eq_u32_e32 vcc, 0, v6
	v_mov_b32_dpp v13, v6 row_shr:1 row_mask:0xf bank_mask:0xf
	s_nop 0
	v_cndmask_b32_e32 v14, 0, v14, vcc
	v_cmp_eq_u32_e32 vcc, 0, v12
	s_nop 1
	v_cndmask_b32_e64 v13, v13, 0, vcc
	v_add_u32_e32 v6, v13, v6
	v_cndmask_b32_e64 v13, v14, 0, vcc
	v_add_u32_e32 v7, v13, v7
	v_cmp_eq_u32_e32 vcc, 0, v6
	v_mov_b32_dpp v13, v6 row_shr:2 row_mask:0xf bank_mask:0xf
	v_mov_b32_dpp v14, v7 row_shr:2 row_mask:0xf bank_mask:0xf
	v_cndmask_b32_e64 v13, 0, v13, s[26:27]
	s_and_b64 vcc, s[26:27], vcc
	v_cndmask_b32_e32 v14, 0, v14, vcc
	v_add_u32_e32 v6, v13, v6
	v_add_u32_e32 v7, v14, v7
	v_cmp_eq_u32_e32 vcc, 0, v6
	v_mov_b32_dpp v13, v6 row_shr:4 row_mask:0xf bank_mask:0xf
	v_cmp_lt_u32_e64 s[26:27], 3, v12
	v_mov_b32_dpp v14, v7 row_shr:4 row_mask:0xf bank_mask:0xf
	s_and_b64 vcc, s[26:27], vcc
	v_cndmask_b32_e64 v12, 0, v13, s[26:27]
	v_add_u32_e32 v6, v12, v6
	v_cndmask_b32_e32 v12, 0, v14, vcc
	v_add_u32_e32 v7, v12, v7
	ds_write_b64 v5, v[6:7] offset:1040
.LBB59_62:
	s_or_b64 exec, exec, s[30:31]
	v_cmp_gt_u32_e32 vcc, 64, v0
	v_cmp_lt_u32_e64 s[26:27], 63, v0
	v_mov_b32_e32 v12, 0
	v_mov_b32_e32 v13, 0
	s_waitcnt lgkmcnt(0)
	s_barrier
	s_and_saveexec_b64 s[30:31], s[26:27]
	s_cbranch_execz .LBB59_64
; %bb.63:
	ds_read_b64 v[12:13], v4 offset:1032
	v_cmp_eq_u32_e64 s[26:27], 0, v2
	s_waitcnt lgkmcnt(0)
	v_add_u32_e32 v4, v12, v2
	v_cndmask_b32_e64 v2, 0, v13, s[26:27]
	v_add_u32_e32 v3, v2, v3
	v_mov_b32_e32 v2, v4
.LBB59_64:
	s_or_b64 exec, exec, s[30:31]
	v_add_u32_e32 v4, -1, v15
	v_and_b32_e32 v5, 64, v15
	v_cmp_lt_i32_e64 s[26:27], v4, v5
	s_nop 1
	v_cndmask_b32_e64 v4, v4, v15, s[26:27]
	v_lshlrev_b32_e32 v4, 2, v4
	ds_bpermute_b32 v20, v4, v2
	ds_bpermute_b32 v22, v4, v3
	v_cmp_eq_u32_e64 s[26:27], 0, v15
	s_and_saveexec_b64 s[52:53], vcc
	s_cbranch_execz .LBB59_83
; %bb.65:
	v_mov_b32_e32 v7, 0
	ds_read_b64 v[2:3], v7 offset:1096
	s_waitcnt lgkmcnt(0)
	v_readfirstlane_b32 s3, v2
	v_readfirstlane_b32 s56, v3
	s_and_saveexec_b64 s[30:31], s[26:27]
	s_cbranch_execz .LBB59_67
; %bb.66:
	s_add_i32 s54, s2, 64
	s_mov_b32 s55, 0
	s_lshl_b64 s[58:59], s[54:55], 4
	s_add_u32 s58, s36, s58
	s_addc_u32 s59, s37, s59
	s_and_b32 s61, s56, 0xff000000
	s_mov_b32 s60, s55
	s_and_b32 s63, s56, 0xff0000
	s_mov_b32 s62, s55
	s_or_b64 s[60:61], s[62:63], s[60:61]
	s_and_b32 s63, s56, 0xff00
	s_or_b64 s[60:61], s[60:61], s[62:63]
	s_and_b32 s63, s56, 0xff
	s_or_b64 s[54:55], s[60:61], s[62:63]
	v_mov_b32_e32 v4, s3
	v_mov_b32_e32 v5, s55
	;; [unrolled: 1-line block ×3, first 2 shown]
	v_mov_b64_e32 v[2:3], s[58:59]
	;;#ASMSTART
	global_store_dwordx4 v[2:3], v[4:7] off sc1	
s_waitcnt vmcnt(0)
	;;#ASMEND
.LBB59_67:
	s_or_b64 exec, exec, s[30:31]
	v_xad_u32 v14, v15, -1, s2
	v_add_u32_e32 v6, 64, v14
	v_lshl_add_u64 v[16:17], v[6:7], 4, s[36:37]
	;;#ASMSTART
	global_load_dwordx4 v[2:5], v[16:17] off sc1	
s_waitcnt vmcnt(0)
	;;#ASMEND
	s_nop 0
	v_and_b32_e32 v5, 0xff, v3
	v_and_b32_e32 v6, 0xff00, v3
	v_or3_b32 v2, v2, 0, 0
	v_and_b32_e32 v18, 0xff000000, v3
	v_or3_b32 v5, 0, v5, v6
	;; [unrolled: 2-line block ×3, first 2 shown]
	v_or3_b32 v2, v2, 0, 0
	v_cmp_eq_u16_sdwa s[54:55], v4, v7 src0_sel:BYTE_0 src1_sel:DWORD
	s_and_saveexec_b64 s[30:31], s[54:55]
	s_cbranch_execz .LBB59_71
; %bb.68:
	s_mov_b64 s[54:55], 0
	v_mov_b32_e32 v6, 0
.LBB59_69:                              ; =>This Inner Loop Header: Depth=1
	;;#ASMSTART
	global_load_dwordx4 v[2:5], v[16:17] off sc1	
s_waitcnt vmcnt(0)
	;;#ASMEND
	s_nop 0
	v_cmp_ne_u16_sdwa s[58:59], v4, v6 src0_sel:BYTE_0 src1_sel:DWORD
	s_or_b64 s[54:55], s[58:59], s[54:55]
	s_andn2_b64 exec, exec, s[54:55]
	s_cbranch_execnz .LBB59_69
; %bb.70:
	s_or_b64 exec, exec, s[54:55]
.LBB59_71:
	s_or_b64 exec, exec, s[30:31]
	v_mov_b32_e32 v23, 2
	v_cmp_eq_u16_sdwa s[30:31], v4, v23 src0_sel:BYTE_0 src1_sel:DWORD
	v_lshlrev_b64 v[16:17], v15, -1
	v_and_b32_e32 v24, 63, v15
	v_and_b32_e32 v5, s31, v17
	v_or_b32_e32 v5, 0x80000000, v5
	v_cmp_ne_u32_e32 vcc, 63, v24
	v_and_b32_e32 v6, s30, v16
	v_ffbl_b32_e32 v5, v5
	v_addc_co_u32_e32 v7, vcc, 0, v15, vcc
	v_add_u32_e32 v5, 32, v5
	v_ffbl_b32_e32 v6, v6
	v_lshlrev_b32_e32 v25, 2, v7
	v_min_u32_e32 v5, v6, v5
	ds_bpermute_b32 v6, v25, v3
	v_cmp_eq_u32_e32 vcc, 0, v2
	v_cmp_lt_u32_e64 s[30:31], v24, v5
	ds_bpermute_b32 v7, v25, v2
	s_and_b64 vcc, s[30:31], vcc
	s_waitcnt lgkmcnt(1)
	v_cndmask_b32_e32 v6, 0, v6, vcc
	v_cmp_gt_u32_e32 vcc, 62, v24
	v_add_u32_e32 v3, v6, v3
	s_waitcnt lgkmcnt(0)
	v_cndmask_b32_e64 v7, 0, v7, s[30:31]
	v_cndmask_b32_e64 v6, 0, 1, vcc
	v_lshlrev_b32_e32 v6, 1, v6
	v_add_lshl_u32 v26, v6, v15, 2
	ds_bpermute_b32 v6, v26, v3
	v_add_u32_e32 v2, v7, v2
	ds_bpermute_b32 v7, v26, v2
	v_add_u32_e32 v27, 2, v24
	v_cmp_eq_u32_e32 vcc, 0, v2
	v_add_u32_e32 v29, 4, v24
	v_add_u32_e32 v31, 8, v24
	s_waitcnt lgkmcnt(1)
	v_cndmask_b32_e32 v6, 0, v6, vcc
	v_cmp_gt_u32_e32 vcc, v27, v5
	v_add_u32_e32 v33, 16, v24
	v_add_u32_e32 v35, 32, v24
	v_cndmask_b32_e64 v6, v6, 0, vcc
	v_add_u32_e32 v3, v6, v3
	s_waitcnt lgkmcnt(0)
	v_cndmask_b32_e64 v6, v7, 0, vcc
	v_cmp_gt_u32_e32 vcc, 60, v24
	v_add_u32_e32 v2, v2, v6
	s_nop 0
	v_cndmask_b32_e64 v7, 0, 1, vcc
	v_lshlrev_b32_e32 v7, 2, v7
	v_add_lshl_u32 v28, v7, v15, 2
	ds_bpermute_b32 v7, v28, v3
	ds_bpermute_b32 v6, v28, v2
	v_cmp_eq_u32_e32 vcc, 0, v2
	s_waitcnt lgkmcnt(1)
	s_nop 0
	v_cndmask_b32_e32 v7, 0, v7, vcc
	v_cmp_gt_u32_e32 vcc, v29, v5
	s_nop 1
	v_cndmask_b32_e64 v7, v7, 0, vcc
	s_waitcnt lgkmcnt(0)
	v_cndmask_b32_e64 v6, v6, 0, vcc
	v_cmp_gt_u32_e32 vcc, 56, v24
	v_add_u32_e32 v3, v3, v7
	v_add_u32_e32 v2, v2, v6
	v_cndmask_b32_e64 v7, 0, 1, vcc
	v_lshlrev_b32_e32 v7, 3, v7
	v_add_lshl_u32 v30, v7, v15, 2
	ds_bpermute_b32 v7, v30, v3
	ds_bpermute_b32 v6, v30, v2
	v_cmp_eq_u32_e32 vcc, 0, v2
	s_waitcnt lgkmcnt(1)
	s_nop 0
	v_cndmask_b32_e32 v7, 0, v7, vcc
	v_cmp_gt_u32_e32 vcc, v31, v5
	s_nop 1
	v_cndmask_b32_e64 v7, v7, 0, vcc
	s_waitcnt lgkmcnt(0)
	v_cndmask_b32_e64 v6, v6, 0, vcc
	v_cmp_gt_u32_e32 vcc, 48, v24
	v_add_u32_e32 v3, v3, v7
	v_add_u32_e32 v2, v2, v6
	;; [unrolled: 17-line block ×3, first 2 shown]
	v_cndmask_b32_e64 v7, 0, 1, vcc
	v_lshlrev_b32_e32 v7, 5, v7
	v_add_lshl_u32 v34, v7, v15, 2
	ds_bpermute_b32 v7, v34, v3
	ds_bpermute_b32 v6, v34, v2
	v_cmp_eq_u32_e32 vcc, 0, v2
	v_mov_b32_e32 v15, 0
	s_waitcnt lgkmcnt(1)
	v_cndmask_b32_e32 v7, 0, v7, vcc
	v_cmp_gt_u32_e32 vcc, v35, v5
	s_nop 1
	v_cndmask_b32_e64 v5, v7, 0, vcc
	v_add_u32_e32 v3, v5, v3
	s_waitcnt lgkmcnt(0)
	v_cndmask_b32_e64 v5, v6, 0, vcc
	v_add_u32_e32 v2, v5, v2
	s_branch .LBB59_73
.LBB59_72:                              ;   in Loop: Header=BB59_73 Depth=1
	s_or_b64 exec, exec, s[30:31]
	v_cmp_eq_u16_sdwa s[30:31], v4, v23 src0_sel:BYTE_0 src1_sel:DWORD
	v_cmp_eq_u32_e32 vcc, 0, v2
	ds_bpermute_b32 v19, v25, v2
	v_and_b32_e32 v5, s31, v17
	v_or_b32_e32 v5, 0x80000000, v5
	v_and_b32_e32 v18, s30, v16
	v_ffbl_b32_e32 v5, v5
	v_add_u32_e32 v5, 32, v5
	v_ffbl_b32_e32 v18, v18
	v_min_u32_e32 v5, v18, v5
	ds_bpermute_b32 v18, v25, v3
	v_cmp_lt_u32_e64 s[30:31], v24, v5
	s_and_b64 vcc, s[30:31], vcc
	v_subrev_u32_e32 v14, 64, v14
	s_waitcnt lgkmcnt(1)
	v_cndmask_b32_e64 v19, 0, v19, s[30:31]
	s_waitcnt lgkmcnt(0)
	v_cndmask_b32_e32 v18, 0, v18, vcc
	v_add_u32_e32 v3, v18, v3
	ds_bpermute_b32 v18, v26, v3
	v_add_u32_e32 v2, v19, v2
	v_cmp_eq_u32_e32 vcc, 0, v2
	ds_bpermute_b32 v19, v26, v2
	s_waitcnt lgkmcnt(1)
	v_cndmask_b32_e32 v18, 0, v18, vcc
	v_cmp_gt_u32_e32 vcc, v27, v5
	s_nop 1
	v_cndmask_b32_e64 v18, v18, 0, vcc
	v_add_u32_e32 v3, v18, v3
	ds_bpermute_b32 v18, v28, v3
	s_waitcnt lgkmcnt(1)
	v_cndmask_b32_e64 v19, v19, 0, vcc
	v_add_u32_e32 v2, v2, v19
	v_cmp_eq_u32_e32 vcc, 0, v2
	ds_bpermute_b32 v19, v28, v2
	s_waitcnt lgkmcnt(1)
	v_cndmask_b32_e32 v18, 0, v18, vcc
	v_cmp_gt_u32_e32 vcc, v29, v5
	s_nop 1
	v_cndmask_b32_e64 v18, v18, 0, vcc
	v_add_u32_e32 v3, v3, v18
	ds_bpermute_b32 v18, v30, v3
	s_waitcnt lgkmcnt(1)
	v_cndmask_b32_e64 v19, v19, 0, vcc
	v_add_u32_e32 v2, v2, v19
	ds_bpermute_b32 v19, v30, v2
	v_cmp_eq_u32_e32 vcc, 0, v2
	s_waitcnt lgkmcnt(1)
	s_nop 0
	v_cndmask_b32_e32 v18, 0, v18, vcc
	v_cmp_gt_u32_e32 vcc, v31, v5
	s_nop 1
	v_cndmask_b32_e64 v18, v18, 0, vcc
	v_add_u32_e32 v3, v3, v18
	ds_bpermute_b32 v18, v32, v3
	s_waitcnt lgkmcnt(1)
	v_cndmask_b32_e64 v19, v19, 0, vcc
	v_add_u32_e32 v2, v2, v19
	ds_bpermute_b32 v19, v32, v2
	v_cmp_eq_u32_e32 vcc, 0, v2
	s_waitcnt lgkmcnt(1)
	s_nop 0
	;; [unrolled: 13-line block ×3, first 2 shown]
	v_cndmask_b32_e32 v18, 0, v18, vcc
	v_cmp_gt_u32_e32 vcc, v35, v5
	s_nop 1
	v_cndmask_b32_e64 v5, v18, 0, vcc
	v_add_u32_e32 v3, v5, v3
	s_waitcnt lgkmcnt(0)
	v_cndmask_b32_e64 v5, v19, 0, vcc
	v_cmp_eq_u32_e32 vcc, 0, v6
	v_add3_u32 v2, v2, v6, v5
	s_nop 0
	v_cndmask_b32_e32 v3, 0, v3, vcc
	v_add_u32_e32 v3, v3, v7
.LBB59_73:                              ; =>This Loop Header: Depth=1
                                        ;     Child Loop BB59_76 Depth 2
	v_cmp_ne_u16_sdwa s[30:31], v4, v23 src0_sel:BYTE_0 src1_sel:DWORD
	v_mov_b32_e32 v7, v3
	v_mov_b32_e32 v6, v2
	v_cndmask_b32_e64 v3, 0, 1, s[30:31]
	;;#ASMSTART
	;;#ASMEND
	s_nop 0
	v_cmp_ne_u32_e32 vcc, 0, v3
	s_cmp_lg_u64 vcc, exec
	s_cbranch_scc1 .LBB59_78
; %bb.74:                               ;   in Loop: Header=BB59_73 Depth=1
	v_lshl_add_u64 v[18:19], v[14:15], 4, s[36:37]
	;;#ASMSTART
	global_load_dwordx4 v[2:5], v[18:19] off sc1	
s_waitcnt vmcnt(0)
	;;#ASMEND
	s_nop 0
	v_and_b32_e32 v5, 0xff, v3
	v_and_b32_e32 v36, 0xff00, v3
	v_or3_b32 v2, v2, 0, 0
	v_and_b32_e32 v37, 0xff000000, v3
	v_or3_b32 v5, 0, v5, v36
	;; [unrolled: 2-line block ×3, first 2 shown]
	v_or3_b32 v2, v2, 0, 0
	v_cmp_eq_u16_sdwa s[54:55], v4, v15 src0_sel:BYTE_0 src1_sel:DWORD
	s_and_saveexec_b64 s[30:31], s[54:55]
	s_cbranch_execz .LBB59_72
; %bb.75:                               ;   in Loop: Header=BB59_73 Depth=1
	s_mov_b64 s[54:55], 0
.LBB59_76:                              ;   Parent Loop BB59_73 Depth=1
                                        ; =>  This Inner Loop Header: Depth=2
	;;#ASMSTART
	global_load_dwordx4 v[2:5], v[18:19] off sc1	
s_waitcnt vmcnt(0)
	;;#ASMEND
	s_nop 0
	v_cmp_ne_u16_sdwa s[58:59], v4, v15 src0_sel:BYTE_0 src1_sel:DWORD
	s_or_b64 s[54:55], s[58:59], s[54:55]
	s_andn2_b64 exec, exec, s[54:55]
	s_cbranch_execnz .LBB59_76
; %bb.77:                               ;   in Loop: Header=BB59_73 Depth=1
	s_or_b64 exec, exec, s[54:55]
	s_branch .LBB59_72
.LBB59_78:                              ;   in Loop: Header=BB59_73 Depth=1
                                        ; implicit-def: $vgpr3
                                        ; implicit-def: $vgpr2
                                        ; implicit-def: $vgpr4
	s_cbranch_execz .LBB59_73
; %bb.79:
	s_and_saveexec_b64 s[30:31], s[26:27]
	s_cbranch_execz .LBB59_81
; %bb.80:
	s_cmp_eq_u32 s3, 0
	s_cselect_b64 vcc, -1, 0
	s_mov_b32 s55, 0
	v_cndmask_b32_e32 v2, 0, v7, vcc
	s_add_i32 s54, s2, 64
	v_add_u32_e32 v2, s56, v2
	s_lshl_b64 s[54:55], s[54:55], 4
	s_add_u32 s54, s36, s54
	v_and_b32_e32 v3, 0xff000000, v2
	v_and_b32_e32 v4, 0xff0000, v2
	s_addc_u32 s55, s37, s55
	v_or_b32_e32 v3, v4, v3
	v_and_b32_e32 v4, 0xff00, v2
	v_and_b32_e32 v2, 0xff, v2
	v_add_u32_e32 v14, s3, v6
	v_mov_b32_e32 v17, 0
	v_or3_b32 v15, v3, v4, v2
	v_mov_b32_e32 v16, 2
	v_mov_b64_e32 v[2:3], s[54:55]
	;;#ASMSTART
	global_store_dwordx4 v[2:3], v[14:17] off sc1	
s_waitcnt vmcnt(0)
	;;#ASMEND
	v_mov_b32_e32 v4, s3
	v_mov_b32_e32 v5, s56
	ds_write_b128 v17, v[4:7] offset:1024
.LBB59_81:
	s_or_b64 exec, exec, s[30:31]
	v_cmp_eq_u32_e32 vcc, 0, v0
	s_and_b64 exec, exec, vcc
	s_cbranch_execz .LBB59_83
; %bb.82:
	v_mov_b32_e32 v2, 0
	ds_write_b64 v2, v[6:7] offset:1096
.LBB59_83:
	s_or_b64 exec, exec, s[52:53]
	v_mov_b32_e32 v4, 0
	s_waitcnt lgkmcnt(0)
	s_barrier
	ds_read_b64 v[2:3], v4 offset:1096
	v_cndmask_b32_e64 v6, v20, v12, s[26:27]
	v_cmp_eq_u32_e32 vcc, 0, v6
	v_cndmask_b32_e64 v5, v22, v13, s[26:27]
	s_waitcnt lgkmcnt(0)
	v_cndmask_b32_e32 v7, 0, v3, vcc
	v_add_u32_e32 v5, v7, v5
	v_cmp_eq_u32_e32 vcc, 0, v0
	s_barrier
	s_nop 0
	v_cndmask_b32_e32 v51, v5, v3, vcc
	v_cndmask_b32_e64 v3, v6, 0, vcc
	v_cmp_eq_u32_e32 vcc, 0, v79
	v_add_u32_e32 v50, v2, v3
	v_add_u32_e32 v48, v50, v79
	v_cndmask_b32_e32 v2, 0, v51, vcc
	v_add_u32_e32 v49, v2, v52
	v_cndmask_b32_e64 v2, 0, v49, s[24:25]
	v_add_u32_e32 v47, v2, v52
	v_cndmask_b32_e64 v2, 0, v47, s[22:23]
	;; [unrolled: 2-line block ×7, first 2 shown]
	v_add_u32_e32 v35, v2, v52
	v_add_u32_e32 v46, v48, v78
	v_cndmask_b32_e64 v2, 0, v35, s[10:11]
	v_add_u32_e32 v44, v46, v77
	v_add_u32_e32 v33, v2, v52
	v_add_u32_e32 v42, v44, v76
	v_cndmask_b32_e64 v2, 0, v33, s[8:9]
	v_add_u32_e32 v40, v42, v75
	;; [unrolled: 4-line block ×3, first 2 shown]
	v_add_u32_e32 v29, v2, v52
	ds_read_b128 v[16:19], v4 offset:1024
	v_add_u32_e32 v34, v36, v21
	v_cndmask_b32_e64 v2, 0, v29, s[4:5]
	v_add_u32_e32 v32, v34, v72
	v_add_u32_e32 v27, v2, v52
	;; [unrolled: 1-line block ×3, first 2 shown]
	v_cndmask_b32_e64 v2, 0, v27, s[28:29]
	v_add_u32_e32 v28, v30, v70
	v_add_u32_e32 v23, v2, v52
	;; [unrolled: 1-line block ×3, first 2 shown]
	v_cndmask_b32_e64 v2, 0, v23, s[0:1]
	s_waitcnt lgkmcnt(0)
	v_cmp_eq_u32_e32 vcc, 0, v16
	v_add_u32_e32 v22, v26, v68
	v_add_u32_e32 v25, v2, v52
	v_cndmask_b32_e32 v2, 0, v19, vcc
	v_add_u32_e32 v24, v22, v67
	v_add_u32_e32 v20, v2, v17
	s_branch .LBB59_96
.LBB59_84:
                                        ; implicit-def: $vgpr16
                                        ; implicit-def: $vgpr20
                                        ; implicit-def: $vgpr24_vgpr25
                                        ; implicit-def: $vgpr22_vgpr23
                                        ; implicit-def: $vgpr26_vgpr27
                                        ; implicit-def: $vgpr28_vgpr29
                                        ; implicit-def: $vgpr50_vgpr51
                                        ; implicit-def: $vgpr48_vgpr49
                                        ; implicit-def: $vgpr46_vgpr47
                                        ; implicit-def: $vgpr44_vgpr45
                                        ; implicit-def: $vgpr42_vgpr43
                                        ; implicit-def: $vgpr40_vgpr41
                                        ; implicit-def: $vgpr38_vgpr39
                                        ; implicit-def: $vgpr36_vgpr37
                                        ; implicit-def: $vgpr34_vgpr35
                                        ; implicit-def: $vgpr32_vgpr33
                                        ; implicit-def: $vgpr30_vgpr31
	s_cbranch_execz .LBB59_96
; %bb.85:
	s_and_b64 s[0:1], s[38:39], exec
	s_cselect_b32 s1, 0, s51
	s_cselect_b32 s0, 0, s50
	s_cmp_eq_u64 s[0:1], 0
	v_mov_b32_e32 v6, v52
	s_cbranch_scc1 .LBB59_87
; %bb.86:
	v_mov_b32_e32 v2, 0
	global_load_dword v6, v2, s[0:1]
.LBB59_87:
	v_cmp_eq_u32_e64 s[0:1], 0, v78
	v_cmp_eq_u32_e64 s[2:3], 0, v77
	v_cmp_eq_u32_e64 s[4:5], 0, v76
	v_cndmask_b32_e64 v2, 0, v52, s[0:1]
	v_add_u32_e32 v2, v2, v52
	v_cndmask_b32_e64 v2, 0, v2, s[2:3]
	v_add_u32_e32 v2, v2, v52
	v_cndmask_b32_e64 v2, 0, v2, s[4:5]
	v_add_u32_e32 v2, v2, v52
	v_cmp_eq_u32_e64 s[6:7], 0, v75
	v_cmp_eq_u32_e64 s[8:9], 0, v74
	v_cmp_eq_u32_e64 s[10:11], 0, v73
	v_cndmask_b32_e64 v2, 0, v2, s[6:7]
	v_add_u32_e32 v2, v2, v52
	v_cndmask_b32_e64 v2, 0, v2, s[8:9]
	v_add_u32_e32 v2, v2, v52
	v_cndmask_b32_e64 v2, 0, v2, s[10:11]
	v_add_u32_e32 v2, v2, v52
	;; [unrolled: 9-line block ×3, first 2 shown]
	v_cmp_eq_u32_e64 s[18:19], 0, v70
	v_cmp_eq_u32_e64 s[20:21], 0, v69
	;; [unrolled: 1-line block ×3, first 2 shown]
	v_cndmask_b32_e64 v2, 0, v2, s[18:19]
	v_add_u32_e32 v2, v2, v52
	v_cndmask_b32_e64 v2, 0, v2, s[20:21]
	v_add_u32_e32 v2, v2, v52
	v_cndmask_b32_e64 v2, 0, v2, s[22:23]
	v_add3_u32 v3, v81, v74, v73
	v_add_u32_e32 v2, v2, v52
	v_cmp_eq_u32_e32 vcc, 0, v67
	v_add3_u32 v3, v3, v21, v72
	v_add3_u32 v3, v3, v71, v70
	v_cndmask_b32_e32 v2, 0, v2, vcc
	v_add_u32_e32 v2, v2, v52
	v_cmp_eq_u32_e64 s[24:25], 0, v66
	v_add3_u32 v3, v3, v69, v68
	v_add3_u32 v3, v3, v67, v66
	v_cndmask_b32_e64 v2, 0, v2, s[24:25]
	v_add_u32_e32 v2, v2, v53
	v_mbcnt_hi_u32_b32 v7, -1, v80
	v_and_b32_e32 v4, 15, v7
	v_mov_b32_dpp v12, v2 row_shr:1 row_mask:0xf bank_mask:0xf
	v_cmp_eq_u32_e64 s[24:25], 0, v3
	v_mov_b32_dpp v5, v3 row_shr:1 row_mask:0xf bank_mask:0xf
	v_cmp_lt_u32_e64 s[26:27], 1, v4
	v_cndmask_b32_e64 v12, 0, v12, s[24:25]
	v_cmp_eq_u32_e64 s[24:25], 0, v4
	s_nop 1
	v_cndmask_b32_e64 v5, v5, 0, s[24:25]
	v_add_u32_e32 v3, v5, v3
	v_cndmask_b32_e64 v5, v12, 0, s[24:25]
	v_add_u32_e32 v2, v5, v2
	v_cmp_eq_u32_e64 s[24:25], 0, v3
	v_mov_b32_dpp v5, v3 row_shr:2 row_mask:0xf bank_mask:0xf
	v_mov_b32_dpp v12, v2 row_shr:2 row_mask:0xf bank_mask:0xf
	v_cndmask_b32_e64 v5, 0, v5, s[26:27]
	s_and_b64 s[24:25], s[26:27], s[24:25]
	v_cndmask_b32_e64 v12, 0, v12, s[24:25]
	v_add_u32_e32 v3, v3, v5
	v_add_u32_e32 v2, v12, v2
	v_cmp_eq_u32_e64 s[24:25], 0, v3
	v_mov_b32_dpp v5, v3 row_shr:4 row_mask:0xf bank_mask:0xf
	v_cmp_lt_u32_e64 s[26:27], 3, v4
	v_mov_b32_dpp v12, v2 row_shr:4 row_mask:0xf bank_mask:0xf
	s_and_b64 s[24:25], s[26:27], s[24:25]
	v_cndmask_b32_e64 v5, 0, v5, s[26:27]
	v_cndmask_b32_e64 v12, 0, v12, s[24:25]
	v_add_u32_e32 v3, v5, v3
	v_add_u32_e32 v2, v2, v12
	v_cmp_eq_u32_e64 s[24:25], 0, v3
	v_cmp_lt_u32_e64 s[26:27], 7, v4
	v_mov_b32_dpp v5, v3 row_shr:8 row_mask:0xf bank_mask:0xf
	v_mov_b32_dpp v12, v2 row_shr:8 row_mask:0xf bank_mask:0xf
	s_and_b64 s[24:25], s[26:27], s[24:25]
	v_cndmask_b32_e64 v4, 0, v5, s[26:27]
	v_cndmask_b32_e64 v5, 0, v12, s[24:25]
	v_add_u32_e32 v2, v5, v2
	v_add_u32_e32 v3, v4, v3
	v_bfe_i32 v12, v7, 4, 1
	v_mov_b32_dpp v5, v2 row_bcast:15 row_mask:0xf bank_mask:0xf
	v_mov_b32_dpp v4, v3 row_bcast:15 row_mask:0xf bank_mask:0xf
	v_cmp_eq_u32_e64 s[24:25], 0, v3
	v_and_b32_e32 v4, v12, v4
	v_add_u32_e32 v3, v4, v3
	v_cndmask_b32_e64 v5, 0, v5, s[24:25]
	v_and_b32_e32 v4, v12, v5
	v_add_u32_e32 v4, v4, v2
	v_mov_b32_dpp v2, v3 row_bcast:31 row_mask:0xf bank_mask:0xf
	v_cmp_eq_u32_e64 s[24:25], 0, v3
	v_cmp_lt_u32_e64 s[26:27], 31, v7
	v_mov_b32_dpp v5, v4 row_bcast:31 row_mask:0xf bank_mask:0xf
	s_and_b64 s[24:25], s[26:27], s[24:25]
	v_cndmask_b32_e64 v2, 0, v2, s[26:27]
	v_add_u32_e32 v2, v2, v3
	v_cndmask_b32_e64 v3, 0, v5, s[24:25]
	v_add_u32_e32 v3, v3, v4
	v_cmp_eq_u32_e64 s[24:25], v55, v0
	v_lshlrev_b32_e32 v5, 3, v54
	s_and_saveexec_b64 s[26:27], s[24:25]
	s_cbranch_execz .LBB59_89
; %bb.88:
	ds_write_b64 v5, v[2:3] offset:1040
.LBB59_89:
	s_or_b64 exec, exec, s[26:27]
	v_cmp_gt_u32_e64 s[24:25], 8, v0
	s_waitcnt lgkmcnt(0)
	s_barrier
	s_and_saveexec_b64 s[28:29], s[24:25]
	s_cbranch_execz .LBB59_91
; %bb.90:
	v_lshlrev_b32_e32 v4, 3, v0
	ds_read_b64 v[12:13], v4 offset:1040
	v_and_b32_e32 v14, 7, v7
	v_cmp_lt_u32_e64 s[26:27], 1, v14
	s_waitcnt lgkmcnt(0)
	v_mov_b32_dpp v16, v13 row_shr:1 row_mask:0xf bank_mask:0xf
	v_cmp_eq_u32_e64 s[24:25], 0, v12
	v_mov_b32_dpp v15, v12 row_shr:1 row_mask:0xf bank_mask:0xf
	s_nop 0
	v_cndmask_b32_e64 v16, 0, v16, s[24:25]
	v_cmp_eq_u32_e64 s[24:25], 0, v14
	s_nop 1
	v_cndmask_b32_e64 v15, v15, 0, s[24:25]
	v_add_u32_e32 v12, v15, v12
	v_cndmask_b32_e64 v15, v16, 0, s[24:25]
	v_add_u32_e32 v13, v15, v13
	v_cmp_eq_u32_e64 s[24:25], 0, v12
	v_mov_b32_dpp v15, v12 row_shr:2 row_mask:0xf bank_mask:0xf
	v_mov_b32_dpp v16, v13 row_shr:2 row_mask:0xf bank_mask:0xf
	v_cndmask_b32_e64 v15, 0, v15, s[26:27]
	s_and_b64 s[24:25], s[26:27], s[24:25]
	v_cndmask_b32_e64 v16, 0, v16, s[24:25]
	v_add_u32_e32 v12, v15, v12
	v_add_u32_e32 v13, v16, v13
	v_cmp_eq_u32_e64 s[24:25], 0, v12
	v_mov_b32_dpp v15, v12 row_shr:4 row_mask:0xf bank_mask:0xf
	v_cmp_lt_u32_e64 s[26:27], 3, v14
	v_mov_b32_dpp v16, v13 row_shr:4 row_mask:0xf bank_mask:0xf
	s_and_b64 s[24:25], s[26:27], s[24:25]
	v_cndmask_b32_e64 v14, 0, v15, s[26:27]
	v_add_u32_e32 v12, v14, v12
	v_cndmask_b32_e64 v14, 0, v16, s[24:25]
	v_add_u32_e32 v13, v14, v13
	ds_write_b64 v4, v[12:13] offset:1040
.LBB59_91:
	s_or_b64 exec, exec, s[28:29]
	v_cmp_lt_u32_e64 s[24:25], 63, v0
	v_mov_b32_e32 v12, 0
	v_mov_b32_e32 v4, 0
	s_waitcnt vmcnt(0)
	v_mov_b32_e32 v13, v6
	s_waitcnt lgkmcnt(0)
	s_barrier
	s_and_saveexec_b64 s[26:27], s[24:25]
	s_cbranch_execz .LBB59_93
; %bb.92:
	ds_read_b64 v[4:5], v5 offset:1032
	s_waitcnt lgkmcnt(0)
	v_cmp_eq_u32_e64 s[24:25], 0, v4
	s_nop 1
	v_cndmask_b32_e64 v13, 0, v6, s[24:25]
	v_add_u32_e32 v13, v13, v5
.LBB59_93:
	s_or_b64 exec, exec, s[26:27]
	v_cmp_eq_u32_e64 s[24:25], 0, v2
	v_add_u32_e32 v5, v4, v2
	v_and_b32_e32 v14, 64, v7
	v_cndmask_b32_e64 v2, 0, v13, s[24:25]
	v_add_u32_e32 v2, v2, v3
	v_add_u32_e32 v3, -1, v7
	v_cmp_lt_i32_e64 s[24:25], v3, v14
	v_cmp_eq_u32_e64 s[26:27], 0, v79
	ds_read_b64 v[16:17], v12 offset:1096
	v_cndmask_b32_e64 v3, v3, v7, s[24:25]
	v_lshlrev_b32_e32 v3, 2, v3
	ds_bpermute_b32 v5, v3, v5
	ds_bpermute_b32 v2, v3, v2
	v_cmp_eq_u32_e64 s[24:25], 0, v7
	s_waitcnt lgkmcnt(1)
	s_nop 0
	v_cndmask_b32_e64 v3, v5, v4, s[24:25]
	s_waitcnt lgkmcnt(0)
	v_cndmask_b32_e64 v2, v2, v13, s[24:25]
	v_cmp_eq_u32_e64 s[24:25], 0, v0
	s_nop 1
	v_cndmask_b32_e64 v51, v2, v6, s[24:25]
	v_cndmask_b32_e64 v2, 0, v51, s[26:27]
	v_add_u32_e32 v49, v2, v52
	v_cndmask_b32_e64 v2, 0, v49, s[0:1]
	v_add_u32_e32 v47, v2, v52
	;; [unrolled: 2-line block ×7, first 2 shown]
	v_cndmask_b32_e64 v50, v3, 0, s[24:25]
	v_cndmask_b32_e64 v2, 0, v37, s[12:13]
	v_add_u32_e32 v48, v50, v79
	v_add_u32_e32 v35, v2, v52
	v_add_u32_e32 v46, v48, v78
	v_cndmask_b32_e64 v2, 0, v35, s[14:15]
	v_add_u32_e32 v44, v46, v77
	v_add_u32_e32 v33, v2, v52
	v_add_u32_e32 v42, v44, v76
	v_cndmask_b32_e64 v2, 0, v33, s[16:17]
	v_add_u32_e32 v40, v42, v75
	v_add_u32_e32 v31, v2, v52
	v_add_u32_e32 v38, v40, v74
	v_cndmask_b32_e64 v2, 0, v31, s[18:19]
	v_add_u32_e32 v36, v38, v73
	v_add_u32_e32 v29, v2, v52
	v_add_u32_e32 v34, v36, v21
	v_cndmask_b32_e64 v2, 0, v29, s[20:21]
	v_add_u32_e32 v32, v34, v72
	v_add_u32_e32 v27, v2, v52
	v_add_u32_e32 v30, v32, v71
	v_cndmask_b32_e64 v2, 0, v27, s[22:23]
	v_add_u32_e32 v28, v30, v70
	v_add_u32_e32 v23, v2, v52
	v_add_u32_e32 v26, v28, v69
	v_cndmask_b32_e32 v2, 0, v23, vcc
	v_cmp_eq_u32_e32 vcc, 0, v16
	v_add_u32_e32 v22, v26, v68
	v_add_u32_e32 v25, v2, v52
	v_cndmask_b32_e32 v2, 0, v6, vcc
	v_add_u32_e32 v24, v22, v67
	v_add_u32_e32 v20, v2, v17
	s_and_saveexec_b64 s[0:1], s[24:25]
	s_cbranch_execz .LBB59_95
; %bb.94:
	s_add_u32 s2, s36, 0x400
	v_and_b32_e32 v2, 0xff000000, v20
	v_and_b32_e32 v3, 0xff0000, v20
	s_addc_u32 s3, s37, 0
	v_or_b32_e32 v2, v3, v2
	v_and_b32_e32 v3, 0xff00, v20
	v_and_b32_e32 v4, 0xff, v20
	v_mov_b32_e32 v19, 0
	v_or3_b32 v17, v2, v3, v4
	v_mov_b32_e32 v18, 2
	v_mov_b64_e32 v[2:3], s[2:3]
	;;#ASMSTART
	global_store_dwordx4 v[2:3], v[16:19] off sc1	
s_waitcnt vmcnt(0)
	;;#ASMEND
.LBB59_95:
	s_or_b64 exec, exec, s[0:1]
	v_mov_b32_e32 v18, 0
.LBB59_96:
	s_and_b64 s[0:1], s[38:39], exec
	s_cselect_b32 s1, 0, s47
	s_cselect_b32 s0, 0, s46
	s_cmp_eq_u64 s[0:1], 0
	v_mov_b64_e32 v[52:53], 0
	s_waitcnt lgkmcnt(0)
	s_barrier
	s_cbranch_scc1 .LBB59_98
; %bb.97:
	v_mov_b32_e32 v2, 0
	global_load_dwordx2 v[52:53], v2, s[0:1]
.LBB59_98:
	s_waitcnt vmcnt(0)
	v_lshl_add_u64 v[2:3], s[40:41], 0, v[52:53]
	v_mov_b32_e32 v19, 0
	v_cmp_eq_u32_e32 vcc, 0, v79
	v_lshl_add_u64 v[54:55], v[2:3], 0, v[18:19]
	s_movk_i32 s30, 0x200
	v_cndmask_b32_e64 v2, 1, 2, vcc
	v_cmp_eq_u32_e32 vcc, 0, v78
	v_cmp_ne_u32_e64 s[28:29], 0, v79
	v_cmp_ne_u32_e64 s[26:27], 0, v78
	v_cndmask_b32_e64 v3, 1, 2, vcc
	v_cmp_eq_u32_e32 vcc, 0, v77
	v_and_b32_e32 v2, v3, v2
	v_cmp_ne_u32_e64 s[24:25], 0, v77
	v_cndmask_b32_e64 v3, 1, 2, vcc
	v_cmp_eq_u32_e32 vcc, 0, v76
	v_and_b32_e32 v2, v2, v3
	;; [unrolled: 4-line block ×13, first 2 shown]
	v_cmp_ne_u32_e64 s[0:1], 0, v66
	v_cndmask_b32_e64 v3, 1, 2, vcc
	v_and_b32_e32 v2, v2, v3
	v_cmp_gt_u32_e32 vcc, s30, v16
	s_mov_b64 s[36:37], -1
	v_cmp_gt_i16_e64 s[30:31], 2, v2
	s_cbranch_vccz .LBB59_105
; %bb.99:
	s_and_saveexec_b64 s[36:37], s[30:31]
	s_cbranch_execz .LBB59_104
; %bb.100:
	v_cmp_ne_u16_e32 vcc, 1, v2
	s_mov_b64 s[38:39], 0
	s_and_saveexec_b64 s[30:31], vcc
	s_xor_b64 s[30:31], exec, s[30:31]
	s_cbranch_execnz .LBB59_146
; %bb.101:
	s_andn2_saveexec_b64 s[30:31], s[30:31]
	s_cbranch_execnz .LBB59_162
.LBB59_102:
	s_or_b64 exec, exec, s[30:31]
	s_and_b64 exec, exec, s[38:39]
	s_cbranch_execz .LBB59_104
.LBB59_103:
	v_sub_u32_e32 v3, v24, v18
	v_readfirstlane_b32 s30, v54
	v_readfirstlane_b32 s31, v55
	s_nop 4
	global_store_byte v3, v1, s[30:31]
.LBB59_104:
	s_or_b64 exec, exec, s[36:37]
	s_mov_b64 s[36:37], 0
.LBB59_105:
	s_and_b64 vcc, exec, s[36:37]
	s_cbranch_vccz .LBB59_124
; %bb.106:
	v_cmp_gt_i16_e32 vcc, 2, v2
	s_and_saveexec_b64 s[30:31], vcc
	s_cbranch_execz .LBB59_111
; %bb.107:
	v_cmp_ne_u16_e32 vcc, 1, v2
	s_mov_b64 s[38:39], 0
	s_and_saveexec_b64 s[36:37], vcc
	s_xor_b64 s[36:37], exec, s[36:37]
	s_cbranch_execnz .LBB59_163
; %bb.108:
	s_andn2_saveexec_b64 s[0:1], s[36:37]
	s_cbranch_execnz .LBB59_179
.LBB59_109:
	s_or_b64 exec, exec, s[0:1]
	s_and_b64 exec, exec, s[38:39]
	s_cbranch_execz .LBB59_111
.LBB59_110:
	v_sub_u32_e32 v2, v24, v18
	ds_write_b8 v2, v1
.LBB59_111:
	s_or_b64 exec, exec, s[30:31]
	v_cmp_lt_u32_e32 vcc, v0, v16
	s_waitcnt lgkmcnt(0)
	s_barrier
	s_and_saveexec_b64 s[0:1], vcc
	s_cbranch_execz .LBB59_123
; %bb.112:
	v_xad_u32 v2, v0, -1, v16
	s_movk_i32 s2, 0xdff
	v_cmp_lt_u32_e32 vcc, s2, v2
	s_mov_b64 s[4:5], -1
	v_mov_b32_e32 v1, v0
	s_and_saveexec_b64 s[2:3], vcc
	s_cbranch_execz .LBB59_120
; %bb.113:
	v_lshrrev_b32_e32 v17, 9, v2
	v_or_b32_e32 v7, 0xe00, v0
	v_or_b32_e32 v6, 0xc00, v0
	;; [unrolled: 1-line block ×7, first 2 shown]
	v_add_u32_e32 v58, -7, v17
	v_mov_b64_e32 v[14:15], v[6:7]
	v_cmp_lt_u32_e32 vcc, 7, v58
	v_mov_b32_e32 v61, 0
	v_mov_b64_e32 v[12:13], v[4:5]
	v_mov_b64_e32 v[10:11], v[2:3]
	v_mov_b64_e32 v[8:9], v[0:1]
	s_and_saveexec_b64 s[4:5], vcc
	s_cbranch_execz .LBB59_117
; %bb.114:
	v_lshrrev_b32_e32 v8, 3, v58
	v_add_u32_e32 v8, 1, v8
	v_and_b32_e32 v59, 0x3ffffffe, v8
	v_mov_b64_e32 v[14:15], v[6:7]
	s_mov_b32 s8, 0
	s_mov_b64 s[6:7], 0
	v_mov_b32_e32 v57, 0
	v_mov_b32_e32 v60, v0
	v_mov_b64_e32 v[12:13], v[4:5]
	v_mov_b64_e32 v[10:11], v[2:3]
	;; [unrolled: 1-line block ×3, first 2 shown]
.LBB59_115:                             ; =>This Inner Loop Header: Depth=1
	v_mov_b32_e32 v56, v8
	v_lshl_add_u64 v[84:85], v[54:55], 0, v[56:57]
	v_mov_b32_e32 v56, v9
	v_lshl_add_u64 v[86:87], v[54:55], 0, v[56:57]
	;; [unrolled: 2-line block ×3, first 2 shown]
	v_mov_b32_e32 v56, v11
	ds_read_u8 v1, v60
	ds_read_u8 v94, v60 offset:512
	ds_read_u8 v95, v60 offset:1024
	;; [unrolled: 1-line block ×7, first 2 shown]
	v_lshl_add_u64 v[90:91], v[54:55], 0, v[56:57]
	v_mov_b32_e32 v56, v12
	ds_read_u8 v101, v60 offset:4096
	ds_read_u8 v102, v60 offset:4608
	;; [unrolled: 1-line block ×8, first 2 shown]
	v_lshl_add_u64 v[92:93], v[54:55], 0, v[56:57]
	v_mov_b32_e32 v56, v13
	s_waitcnt lgkmcnt(14)
	global_store_byte v[84:85], v1, off
	global_store_byte v[86:87], v94, off
	s_waitcnt lgkmcnt(13)
	global_store_byte v[88:89], v95, off
	s_waitcnt lgkmcnt(12)
	global_store_byte v[90:91], v96, off
	v_lshl_add_u64 v[84:85], v[54:55], 0, v[56:57]
	v_mov_b32_e32 v56, v14
	v_add_u32_e32 v59, -2, v59
	v_lshl_add_u64 v[86:87], v[54:55], 0, v[56:57]
	v_mov_b32_e32 v56, v15
	s_add_i32 s8, s8, 16
	v_cmp_eq_u32_e32 vcc, 0, v59
	s_waitcnt lgkmcnt(11)
	global_store_byte v[92:93], v97, off
	s_waitcnt lgkmcnt(10)
	global_store_byte v[84:85], v98, off
	v_lshl_add_u64 v[84:85], v[54:55], 0, v[56:57]
	v_add_u32_e32 v56, 0x1000, v8
	v_add_u32_e32 v2, 0x1000, v15
	;; [unrolled: 1-line block ×8, first 2 shown]
	v_mov_b32_e32 v83, v57
	v_mov_b32_e32 v81, v57
	;; [unrolled: 1-line block ×7, first 2 shown]
	v_add_u32_e32 v60, 0x2000, v60
	v_add_u32_e32 v9, 0x2000, v9
	v_mov_b32_e32 v61, s8
	v_add_u32_e32 v10, 0x2000, v10
	s_or_b64 s[6:7], vcc, s[6:7]
	v_add_u32_e32 v11, 0x2000, v11
	v_add_u32_e32 v12, 0x2000, v12
	;; [unrolled: 1-line block ×5, first 2 shown]
	s_waitcnt lgkmcnt(9)
	global_store_byte v[86:87], v99, off
	v_add_u32_e32 v8, 0x2000, v8
	s_waitcnt lgkmcnt(8)
	global_store_byte v[84:85], v100, off
	v_lshl_add_u64 v[84:85], v[54:55], 0, v[56:57]
	v_lshl_add_u64 v[82:83], v[54:55], 0, v[82:83]
	;; [unrolled: 1-line block ×8, first 2 shown]
	s_waitcnt lgkmcnt(7)
	global_store_byte v[84:85], v101, off
	s_waitcnt lgkmcnt(6)
	global_store_byte v[82:83], v102, off
	;; [unrolled: 2-line block ×8, first 2 shown]
	s_andn2_b64 exec, exec, s[6:7]
	s_cbranch_execnz .LBB59_115
; %bb.116:
	s_or_b64 exec, exec, s[6:7]
.LBB59_117:
	s_or_b64 exec, exec, s[4:5]
	v_and_b32_e32 v1, 8, v58
	v_cmp_eq_u32_e32 vcc, 0, v1
	s_and_saveexec_b64 s[4:5], vcc
	s_cbranch_execz .LBB59_119
; %bb.118:
	v_mov_b32_e32 v3, 0
	v_mov_b32_e32 v2, v8
	v_lshl_add_u64 v[4:5], v[54:55], 0, v[2:3]
	v_mov_b32_e32 v2, v9
	v_lshl_or_b32 v1, v61, 9, v0
	v_lshl_add_u64 v[6:7], v[54:55], 0, v[2:3]
	v_mov_b32_e32 v2, v10
	ds_read_u8 v60, v1
	ds_read_u8 v61, v1 offset:512
	ds_read_u8 v62, v1 offset:1024
	;; [unrolled: 1-line block ×7, first 2 shown]
	v_lshl_add_u64 v[8:9], v[54:55], 0, v[2:3]
	v_mov_b32_e32 v2, v11
	v_lshl_add_u64 v[10:11], v[54:55], 0, v[2:3]
	v_mov_b32_e32 v2, v12
	;; [unrolled: 2-line block ×5, first 2 shown]
	v_lshl_add_u64 v[2:3], v[54:55], 0, v[2:3]
	s_waitcnt lgkmcnt(7)
	global_store_byte v[4:5], v60, off
	s_waitcnt lgkmcnt(6)
	global_store_byte v[6:7], v61, off
	;; [unrolled: 2-line block ×8, first 2 shown]
.LBB59_119:
	s_or_b64 exec, exec, s[4:5]
	v_add_u32_e32 v2, 1, v17
	v_and_b32_e32 v3, 0xfffff8, v2
	v_cmp_ne_u32_e32 vcc, v2, v3
	v_lshl_or_b32 v1, v3, 9, v0
	s_orn2_b64 s[4:5], vcc, exec
.LBB59_120:
	s_or_b64 exec, exec, s[2:3]
	s_and_b64 exec, exec, s[4:5]
	s_cbranch_execz .LBB59_123
; %bb.121:
	s_mov_b64 s[2:3], 0
.LBB59_122:                             ; =>This Inner Loop Header: Depth=1
	ds_read_u8 v2, v1
	v_readfirstlane_b32 s4, v54
	v_readfirstlane_b32 s5, v55
	s_waitcnt lgkmcnt(0)
	s_nop 3
	global_store_byte v1, v2, s[4:5]
	v_add_u32_e32 v1, 0x200, v1
	v_cmp_ge_u32_e32 vcc, v1, v16
	s_or_b64 s[2:3], vcc, s[2:3]
	s_andn2_b64 exec, exec, s[2:3]
	s_cbranch_execnz .LBB59_122
.LBB59_123:
	s_or_b64 exec, exec, s[0:1]
.LBB59_124:
	s_cmpk_lg_i32 s33, 0x1e00
	s_cselect_b64 s[0:1], -1, 0
	v_cndmask_b32_e64 v10, 0, 1, s[48:49]
	s_and_b64 s[0:1], s[34:35], s[0:1]
	v_cmp_eq_u32_e32 vcc, 0, v0
	v_sub_u32_e32 v1, v16, v10
	v_cndmask_b32_e64 v2, 0, 1, s[0:1]
	s_and_b64 s[0:1], vcc, s[48:49]
	v_add_u32_e32 v1, v1, v2
	v_cndmask_b32_e64 v2, v79, 0, s[0:1]
	s_mul_hi_u32 s0, s33, 0x88888889
	s_lshr_b32 s0, s0, 3
	v_mad_i32_i24 v3, v0, -15, s33
	v_cmp_eq_u32_e32 vcc, s0, v0
	v_cmp_ne_u32_e64 s[0:1], 0, v3
	s_and_b64 vcc, s[34:35], vcc
	s_mov_b32 s2, 0
	v_cndmask_b32_e64 v4, 1, v2, s[0:1]
	v_cmp_ne_u32_e64 s[0:1], 1, v3
	v_cndmask_b32_e32 v63, v2, v4, vcc
	s_movk_i32 s30, 0x200
	v_cndmask_b32_e64 v5, 1, v78, s[0:1]
	v_cmp_ne_u32_e64 s[0:1], 2, v3
	v_cndmask_b32_e32 v62, v78, v5, vcc
	v_lshlrev_b64 v[4:5], 3, v[52:53]
	v_cndmask_b32_e64 v6, 1, v77, s[0:1]
	v_cmp_ne_u32_e64 s[0:1], 3, v3
	v_cndmask_b32_e32 v61, v77, v6, vcc
	s_mov_b64 s[36:37], -1
	v_cndmask_b32_e64 v7, 1, v76, s[0:1]
	v_cmp_ne_u32_e64 s[0:1], 4, v3
	v_cndmask_b32_e32 v60, v76, v7, vcc
	v_lshlrev_b64 v[6:7], 3, v[18:19]
	v_cndmask_b32_e64 v8, 1, v75, s[0:1]
	v_cmp_ne_u32_e64 s[0:1], 5, v3
	v_cndmask_b32_e32 v59, v75, v8, vcc
	v_cmp_ne_u32_e64 s[28:29], 0, v63
	v_cndmask_b32_e64 v9, 1, v74, s[0:1]
	v_cmp_ne_u32_e64 s[0:1], 6, v3
	v_cndmask_b32_e32 v58, v74, v9, vcc
	v_cmp_ne_u32_e64 s[26:27], 0, v62
	v_cndmask_b32_e64 v11, 1, v73, s[0:1]
	v_cmp_ne_u32_e64 s[0:1], 7, v3
	v_cndmask_b32_e32 v57, v73, v11, vcc
	v_mov_b32_e32 v11, s2
	v_cndmask_b32_e64 v12, 1, v21, s[0:1]
	v_cmp_ne_u32_e64 s[0:1], 8, v3
	v_cndmask_b32_e32 v21, v21, v12, vcc
	v_lshl_add_u64 v[8:9], v[10:11], 0, -1
	v_cndmask_b32_e64 v13, 1, v72, s[0:1]
	v_cmp_ne_u32_e64 s[0:1], 9, v3
	v_cndmask_b32_e32 v13, v72, v13, vcc
	v_add_u32_e32 v12, v18, v10
	v_cndmask_b32_e64 v14, 1, v71, s[0:1]
	v_cmp_ne_u32_e64 s[0:1], 10, v3
	v_cndmask_b32_e32 v14, v71, v14, vcc
	v_cmp_ne_u32_e64 s[12:13], 0, v13
	v_cndmask_b32_e64 v15, 1, v70, s[0:1]
	v_cmp_ne_u32_e64 s[0:1], 11, v3
	v_cndmask_b32_e32 v15, v70, v15, vcc
	v_cmp_ne_u32_e64 s[24:25], 0, v61
	v_cndmask_b32_e64 v17, 1, v69, s[0:1]
	v_cmp_ne_u32_e64 s[0:1], 12, v3
	v_cndmask_b32_e32 v17, v69, v17, vcc
	v_cmp_ne_u32_e64 s[22:23], 0, v60
	v_cndmask_b32_e64 v54, 1, v68, s[0:1]
	v_cmp_ne_u32_e64 s[0:1], 13, v3
	v_cndmask_b32_e32 v54, v68, v54, vcc
	v_cmp_ne_u32_e64 s[20:21], 0, v59
	v_cndmask_b32_e64 v55, 1, v67, s[0:1]
	v_cmp_ne_u32_e64 s[0:1], 14, v3
	v_cndmask_b32_e32 v55, v67, v55, vcc
	v_cmp_ne_u32_e64 s[18:19], 0, v58
	v_cndmask_b32_e64 v3, 1, v66, s[0:1]
	v_cndmask_b32_e32 v56, v66, v3, vcc
	v_cmp_eq_u32_e32 vcc, 0, v63
	v_lshl_add_u64 v[2:3], s[42:43], 0, v[4:5]
	v_lshl_add_u64 v[2:3], v[2:3], 0, v[6:7]
	v_cndmask_b32_e64 v10, 1, 2, vcc
	v_cmp_eq_u32_e32 vcc, 0, v62
	v_cmp_ne_u32_e64 s[16:17], 0, v57
	v_cmp_ne_u32_e64 s[14:15], 0, v21
	v_cndmask_b32_e64 v11, 1, 2, vcc
	v_cmp_eq_u32_e32 vcc, 0, v61
	v_and_b32_e32 v10, v11, v10
	v_cmp_ne_u32_e64 s[10:11], 0, v14
	v_cndmask_b32_e64 v11, 1, 2, vcc
	v_cmp_eq_u32_e32 vcc, 0, v60
	v_and_b32_e32 v10, v10, v11
	;; [unrolled: 4-line block ×7, first 2 shown]
	s_nop 0
	v_cndmask_b32_e64 v11, 1, 2, vcc
	v_cmp_eq_u32_e32 vcc, 0, v14
	v_and_b32_e32 v10, v10, v11
	s_barrier
	v_cndmask_b32_e64 v11, 1, 2, vcc
	v_cmp_eq_u32_e32 vcc, 0, v15
	v_and_b32_e32 v10, v10, v11
	s_nop 0
	v_cndmask_b32_e64 v11, 1, 2, vcc
	v_cmp_eq_u32_e32 vcc, 0, v17
	v_and_b32_e32 v10, v10, v11
	s_nop 0
	;; [unrolled: 4-line block ×5, first 2 shown]
	v_cndmask_b32_e64 v11, 1, 2, vcc
	v_and_b32_e32 v13, v10, v11
	v_cmp_gt_u32_e32 vcc, s30, v1
	v_cmp_gt_i16_e64 s[30:31], 2, v13
	s_cbranch_vccz .LBB59_131
; %bb.125:
	s_and_saveexec_b64 s[36:37], s[30:31]
	s_cbranch_execz .LBB59_130
; %bb.126:
	v_lshlrev_b64 v[10:11], 3, v[8:9]
	v_lshl_add_u64 v[10:11], v[2:3], 0, v[10:11]
	v_cmp_ne_u16_e32 vcc, 1, v13
	s_mov_b64 s[38:39], 0
	s_and_saveexec_b64 s[30:31], vcc
	s_xor_b64 s[30:31], exec, s[30:31]
	s_cbranch_execnz .LBB59_180
; %bb.127:
	s_andn2_saveexec_b64 s[30:31], s[30:31]
	s_cbranch_execnz .LBB59_196
.LBB59_128:
	s_or_b64 exec, exec, s[30:31]
	s_and_b64 exec, exec, s[38:39]
	s_cbranch_execz .LBB59_130
.LBB59_129:
	v_mov_b32_e32 v15, 0
	v_sub_u32_e32 v54, v24, v12
	v_mov_b32_e32 v55, v15
	v_mov_b32_e32 v14, v25
	v_lshl_add_u64 v[10:11], v[54:55], 3, v[10:11]
	global_store_dwordx2 v[10:11], v[14:15], off
.LBB59_130:
	s_or_b64 exec, exec, s[36:37]
	s_mov_b64 s[36:37], 0
.LBB59_131:
	s_and_b64 vcc, exec, s[36:37]
	s_cbranch_vccz .LBB59_141
; %bb.132:
	v_cmp_gt_i16_e32 vcc, 2, v13
	s_and_saveexec_b64 s[30:31], vcc
	s_cbranch_execz .LBB59_137
; %bb.133:
	v_cmp_ne_u16_e32 vcc, 1, v13
	s_mov_b64 s[38:39], 0
	s_and_saveexec_b64 s[36:37], vcc
	s_xor_b64 s[36:37], exec, s[36:37]
	s_cbranch_execnz .LBB59_197
; %bb.134:
	s_andn2_saveexec_b64 s[0:1], s[36:37]
	s_cbranch_execnz .LBB59_213
.LBB59_135:
	s_or_b64 exec, exec, s[0:1]
	s_and_b64 exec, exec, s[38:39]
	s_cbranch_execz .LBB59_137
.LBB59_136:
	v_sub_u32_e32 v10, v24, v12
	v_lshlrev_b32_e32 v10, 2, v10
	ds_write_b32 v10, v25
.LBB59_137:
	s_or_b64 exec, exec, s[30:31]
	v_cmp_lt_u32_e32 vcc, v0, v1
	s_waitcnt lgkmcnt(0)
	s_barrier
	s_and_saveexec_b64 s[0:1], vcc
	s_cbranch_execz .LBB59_140
; %bb.138:
	v_lshlrev_b64 v[8:9], 3, v[8:9]
	v_lshl_add_u64 v[4:5], v[4:5], 0, v[8:9]
	v_lshl_add_u64 v[6:7], v[4:5], 0, v[6:7]
	v_lshlrev_b32_e32 v4, 3, v0
	v_mov_b32_e32 v5, 0
	v_lshl_add_u64 v[6:7], s[42:43], 0, v[6:7]
	v_lshlrev_b32_e32 v10, 2, v0
	v_lshl_add_u64 v[6:7], v[6:7], 0, v[4:5]
	s_mov_b64 s[2:3], 0
	s_mov_b64 s[4:5], 0x1000
	v_mov_b32_e32 v8, v0
.LBB59_139:                             ; =>This Inner Loop Header: Depth=1
	ds_read_b32 v4, v10
	v_add_u32_e32 v8, 0x200, v8
	v_cmp_ge_u32_e32 vcc, v8, v1
	v_add_u32_e32 v10, 0x800, v10
	s_or_b64 s[2:3], vcc, s[2:3]
	s_waitcnt lgkmcnt(0)
	global_store_dwordx2 v[6:7], v[4:5], off
	v_lshl_add_u64 v[6:7], v[6:7], 0, s[4:5]
	s_andn2_b64 exec, exec, s[2:3]
	s_cbranch_execnz .LBB59_139
.LBB59_140:
	s_or_b64 exec, exec, s[0:1]
.LBB59_141:
	s_movk_i32 s0, 0x1ff
	v_cmp_eq_u32_e32 vcc, s0, v0
	s_and_b64 s[0:1], vcc, s[34:35]
	s_and_saveexec_b64 s[2:3], s[0:1]
	s_cbranch_execz .LBB59_144
; %bb.142:
	v_mov_b32_e32 v17, 0
	v_lshl_add_u64 v[0:1], v[16:17], 0, v[18:19]
	v_lshl_add_u64 v[0:1], v[0:1], 0, v[52:53]
	s_cmpk_lg_i32 s33, 0x1e00
	global_store_dwordx2 v17, v[0:1], s[44:45]
	s_cbranch_scc1 .LBB59_144
; %bb.143:
	v_lshlrev_b64 v[0:1], 3, v[16:17]
	v_mov_b32_e32 v21, v17
	v_lshl_add_u64 v[0:1], v[2:3], 0, v[0:1]
	global_store_dwordx2 v[0:1], v[20:21], off offset:-8
.LBB59_144:
	s_endpgm
.LBB59_145:
	s_or_b64 exec, exec, s[4:5]
	v_mov_b32_e32 v79, s3
	s_and_saveexec_b64 s[4:5], s[8:9]
	s_cbranch_execnz .LBB59_56
	s_branch .LBB59_57
.LBB59_146:
	s_and_saveexec_b64 s[38:39], s[28:29]
	s_cbranch_execnz .LBB59_214
; %bb.147:
	s_or_b64 exec, exec, s[38:39]
	s_and_saveexec_b64 s[38:39], s[26:27]
	s_cbranch_execnz .LBB59_215
.LBB59_148:
	s_or_b64 exec, exec, s[38:39]
	s_and_saveexec_b64 s[38:39], s[24:25]
	s_cbranch_execnz .LBB59_216
.LBB59_149:
	s_or_b64 exec, exec, s[38:39]
	s_and_saveexec_b64 s[38:39], s[22:23]
	s_cbranch_execnz .LBB59_217
.LBB59_150:
	s_or_b64 exec, exec, s[38:39]
	s_and_saveexec_b64 s[38:39], s[20:21]
	s_cbranch_execnz .LBB59_218
.LBB59_151:
	s_or_b64 exec, exec, s[38:39]
	s_and_saveexec_b64 s[38:39], s[18:19]
	s_cbranch_execnz .LBB59_219
.LBB59_152:
	s_or_b64 exec, exec, s[38:39]
	s_and_saveexec_b64 s[38:39], s[16:17]
	s_cbranch_execnz .LBB59_220
.LBB59_153:
	s_or_b64 exec, exec, s[38:39]
	s_and_saveexec_b64 s[38:39], s[14:15]
	s_cbranch_execnz .LBB59_221
.LBB59_154:
	s_or_b64 exec, exec, s[38:39]
	s_and_saveexec_b64 s[38:39], s[12:13]
	s_cbranch_execnz .LBB59_222
.LBB59_155:
	s_or_b64 exec, exec, s[38:39]
	s_and_saveexec_b64 s[38:39], s[10:11]
	s_cbranch_execnz .LBB59_223
.LBB59_156:
	s_or_b64 exec, exec, s[38:39]
	s_and_saveexec_b64 s[38:39], s[8:9]
	s_cbranch_execnz .LBB59_224
.LBB59_157:
	s_or_b64 exec, exec, s[38:39]
	s_and_saveexec_b64 s[38:39], s[6:7]
	s_cbranch_execnz .LBB59_225
.LBB59_158:
	s_or_b64 exec, exec, s[38:39]
	s_and_saveexec_b64 s[38:39], s[4:5]
	s_cbranch_execnz .LBB59_226
.LBB59_159:
	s_or_b64 exec, exec, s[38:39]
	s_and_saveexec_b64 s[38:39], s[2:3]
	s_cbranch_execz .LBB59_161
.LBB59_160:
	v_sub_u32_e32 v3, v22, v18
	v_readfirstlane_b32 s40, v54
	v_readfirstlane_b32 s41, v55
	s_nop 4
	global_store_byte v3, v11, s[40:41]
.LBB59_161:
	s_or_b64 exec, exec, s[38:39]
	s_and_b64 s[38:39], s[0:1], exec
	s_andn2_saveexec_b64 s[30:31], s[30:31]
	s_cbranch_execz .LBB59_102
.LBB59_162:
	v_sub_u32_e32 v3, v50, v18
	v_readfirstlane_b32 s40, v54
	v_readfirstlane_b32 s41, v55
	s_or_b64 s[38:39], s[38:39], exec
	s_nop 3
	global_store_byte v3, v8, s[40:41]
	v_sub_u32_e32 v3, v48, v18
	global_store_byte v3, v65, s[40:41]
	v_sub_u32_e32 v3, v46, v18
	;; [unrolled: 2-line block ×13, first 2 shown]
	global_store_byte v3, v11, s[40:41]
	s_or_b64 exec, exec, s[30:31]
	s_and_b64 exec, exec, s[38:39]
	s_cbranch_execnz .LBB59_103
	s_branch .LBB59_104
.LBB59_163:
	s_and_saveexec_b64 s[38:39], s[28:29]
	s_cbranch_execnz .LBB59_227
; %bb.164:
	s_or_b64 exec, exec, s[38:39]
	s_and_saveexec_b64 s[28:29], s[26:27]
	s_cbranch_execnz .LBB59_228
.LBB59_165:
	s_or_b64 exec, exec, s[28:29]
	s_and_saveexec_b64 s[26:27], s[24:25]
	s_cbranch_execnz .LBB59_229
.LBB59_166:
	s_or_b64 exec, exec, s[26:27]
	s_and_saveexec_b64 s[24:25], s[22:23]
	s_cbranch_execnz .LBB59_230
.LBB59_167:
	s_or_b64 exec, exec, s[24:25]
	s_and_saveexec_b64 s[22:23], s[20:21]
	s_cbranch_execnz .LBB59_231
.LBB59_168:
	s_or_b64 exec, exec, s[22:23]
	s_and_saveexec_b64 s[20:21], s[18:19]
	s_cbranch_execnz .LBB59_232
.LBB59_169:
	s_or_b64 exec, exec, s[20:21]
	s_and_saveexec_b64 s[18:19], s[16:17]
	s_cbranch_execnz .LBB59_233
.LBB59_170:
	s_or_b64 exec, exec, s[18:19]
	s_and_saveexec_b64 s[16:17], s[14:15]
	s_cbranch_execnz .LBB59_234
.LBB59_171:
	s_or_b64 exec, exec, s[16:17]
	s_and_saveexec_b64 s[14:15], s[12:13]
	s_cbranch_execnz .LBB59_235
.LBB59_172:
	s_or_b64 exec, exec, s[14:15]
	s_and_saveexec_b64 s[12:13], s[10:11]
	s_cbranch_execnz .LBB59_236
.LBB59_173:
	s_or_b64 exec, exec, s[12:13]
	s_and_saveexec_b64 s[10:11], s[8:9]
	s_cbranch_execnz .LBB59_237
.LBB59_174:
	s_or_b64 exec, exec, s[10:11]
	s_and_saveexec_b64 s[8:9], s[6:7]
	s_cbranch_execnz .LBB59_238
.LBB59_175:
	s_or_b64 exec, exec, s[8:9]
	s_and_saveexec_b64 s[6:7], s[4:5]
	s_cbranch_execnz .LBB59_239
.LBB59_176:
	s_or_b64 exec, exec, s[6:7]
	s_and_saveexec_b64 s[4:5], s[2:3]
	s_cbranch_execz .LBB59_178
.LBB59_177:
	v_sub_u32_e32 v2, v22, v18
	ds_write_b8 v2, v11
.LBB59_178:
	s_or_b64 exec, exec, s[4:5]
	s_and_b64 s[38:39], s[0:1], exec
                                        ; implicit-def: $vgpr11
                                        ; implicit-def: $vgpr56
                                        ; implicit-def: $vgpr57
                                        ; implicit-def: $vgpr58
                                        ; implicit-def: $vgpr59
                                        ; implicit-def: $vgpr10
                                        ; implicit-def: $vgpr60
                                        ; implicit-def: $vgpr61
                                        ; implicit-def: $vgpr62
                                        ; implicit-def: $vgpr63
                                        ; implicit-def: $vgpr64
                                        ; implicit-def: $vgpr65
	s_andn2_saveexec_b64 s[0:1], s[36:37]
	s_cbranch_execz .LBB59_109
.LBB59_179:
	v_sub_u32_e32 v2, v50, v18
	ds_write_b8 v2, v8
	v_sub_u32_e32 v2, v48, v18
	ds_write_b8 v2, v65
	;; [unrolled: 2-line block ×13, first 2 shown]
	v_sub_u32_e32 v2, v22, v18
	s_or_b64 s[38:39], s[38:39], exec
	ds_write_b8 v2, v11
	s_or_b64 exec, exec, s[0:1]
	s_and_b64 exec, exec, s[38:39]
	s_cbranch_execnz .LBB59_110
	s_branch .LBB59_111
.LBB59_180:
	s_and_saveexec_b64 s[38:39], s[28:29]
	s_cbranch_execnz .LBB59_240
; %bb.181:
	s_or_b64 exec, exec, s[38:39]
	s_and_saveexec_b64 s[38:39], s[26:27]
	s_cbranch_execnz .LBB59_241
.LBB59_182:
	s_or_b64 exec, exec, s[38:39]
	s_and_saveexec_b64 s[38:39], s[24:25]
	s_cbranch_execnz .LBB59_242
.LBB59_183:
	s_or_b64 exec, exec, s[38:39]
	s_and_saveexec_b64 s[38:39], s[22:23]
	s_cbranch_execnz .LBB59_243
.LBB59_184:
	s_or_b64 exec, exec, s[38:39]
	s_and_saveexec_b64 s[38:39], s[20:21]
	s_cbranch_execnz .LBB59_244
.LBB59_185:
	s_or_b64 exec, exec, s[38:39]
	s_and_saveexec_b64 s[38:39], s[18:19]
	s_cbranch_execnz .LBB59_245
.LBB59_186:
	s_or_b64 exec, exec, s[38:39]
	s_and_saveexec_b64 s[38:39], s[16:17]
	s_cbranch_execnz .LBB59_246
.LBB59_187:
	s_or_b64 exec, exec, s[38:39]
	s_and_saveexec_b64 s[38:39], s[14:15]
	s_cbranch_execnz .LBB59_247
.LBB59_188:
	s_or_b64 exec, exec, s[38:39]
	s_and_saveexec_b64 s[38:39], s[12:13]
	s_cbranch_execnz .LBB59_248
.LBB59_189:
	s_or_b64 exec, exec, s[38:39]
	s_and_saveexec_b64 s[38:39], s[10:11]
	s_cbranch_execnz .LBB59_249
.LBB59_190:
	s_or_b64 exec, exec, s[38:39]
	s_and_saveexec_b64 s[38:39], s[8:9]
	s_cbranch_execnz .LBB59_250
.LBB59_191:
	s_or_b64 exec, exec, s[38:39]
	s_and_saveexec_b64 s[38:39], s[6:7]
	s_cbranch_execnz .LBB59_251
.LBB59_192:
	s_or_b64 exec, exec, s[38:39]
	s_and_saveexec_b64 s[38:39], s[4:5]
	s_cbranch_execnz .LBB59_252
.LBB59_193:
	s_or_b64 exec, exec, s[38:39]
	s_and_saveexec_b64 s[38:39], s[2:3]
	s_cbranch_execz .LBB59_195
.LBB59_194:
	v_sub_u32_e32 v14, v22, v12
	v_mov_b32_e32 v15, 0
	v_lshl_add_u64 v[54:55], v[14:15], 3, v[10:11]
	v_mov_b32_e32 v14, v23
	global_store_dwordx2 v[54:55], v[14:15], off
.LBB59_195:
	s_or_b64 exec, exec, s[38:39]
	s_and_b64 s[38:39], s[0:1], exec
	s_andn2_saveexec_b64 s[30:31], s[30:31]
	s_cbranch_execz .LBB59_128
.LBB59_196:
	v_mov_b32_e32 v15, 0
	v_sub_u32_e32 v54, v50, v12
	v_mov_b32_e32 v55, v15
	v_mov_b32_e32 v14, v51
	v_lshl_add_u64 v[54:55], v[54:55], 3, v[10:11]
	global_store_dwordx2 v[54:55], v[14:15], off
	v_sub_u32_e32 v54, v48, v12
	v_mov_b32_e32 v55, v15
	v_mov_b32_e32 v14, v49
	v_lshl_add_u64 v[54:55], v[54:55], 3, v[10:11]
	global_store_dwordx2 v[54:55], v[14:15], off
	;; [unrolled: 5-line block ×13, first 2 shown]
	v_sub_u32_e32 v54, v22, v12
	v_mov_b32_e32 v55, v15
	v_mov_b32_e32 v14, v23
	v_lshl_add_u64 v[54:55], v[54:55], 3, v[10:11]
	s_or_b64 s[38:39], s[38:39], exec
	global_store_dwordx2 v[54:55], v[14:15], off
	s_or_b64 exec, exec, s[30:31]
	s_and_b64 exec, exec, s[38:39]
	s_cbranch_execnz .LBB59_129
	s_branch .LBB59_130
.LBB59_197:
	s_and_saveexec_b64 s[38:39], s[28:29]
	s_cbranch_execnz .LBB59_253
; %bb.198:
	s_or_b64 exec, exec, s[38:39]
	s_and_saveexec_b64 s[28:29], s[26:27]
	s_cbranch_execnz .LBB59_254
.LBB59_199:
	s_or_b64 exec, exec, s[28:29]
	s_and_saveexec_b64 s[26:27], s[24:25]
	s_cbranch_execnz .LBB59_255
.LBB59_200:
	s_or_b64 exec, exec, s[26:27]
	s_and_saveexec_b64 s[24:25], s[22:23]
	s_cbranch_execnz .LBB59_256
.LBB59_201:
	s_or_b64 exec, exec, s[24:25]
	s_and_saveexec_b64 s[22:23], s[20:21]
	s_cbranch_execnz .LBB59_257
.LBB59_202:
	s_or_b64 exec, exec, s[22:23]
	s_and_saveexec_b64 s[20:21], s[18:19]
	s_cbranch_execnz .LBB59_258
.LBB59_203:
	s_or_b64 exec, exec, s[20:21]
	s_and_saveexec_b64 s[18:19], s[16:17]
	s_cbranch_execnz .LBB59_259
.LBB59_204:
	s_or_b64 exec, exec, s[18:19]
	s_and_saveexec_b64 s[16:17], s[14:15]
	s_cbranch_execnz .LBB59_260
.LBB59_205:
	s_or_b64 exec, exec, s[16:17]
	s_and_saveexec_b64 s[14:15], s[12:13]
	s_cbranch_execnz .LBB59_261
.LBB59_206:
	s_or_b64 exec, exec, s[14:15]
	s_and_saveexec_b64 s[12:13], s[10:11]
	s_cbranch_execnz .LBB59_262
.LBB59_207:
	s_or_b64 exec, exec, s[12:13]
	s_and_saveexec_b64 s[10:11], s[8:9]
	s_cbranch_execnz .LBB59_263
.LBB59_208:
	s_or_b64 exec, exec, s[10:11]
	s_and_saveexec_b64 s[8:9], s[6:7]
	s_cbranch_execnz .LBB59_264
.LBB59_209:
	s_or_b64 exec, exec, s[8:9]
	s_and_saveexec_b64 s[6:7], s[4:5]
	s_cbranch_execnz .LBB59_265
.LBB59_210:
	s_or_b64 exec, exec, s[6:7]
	s_and_saveexec_b64 s[4:5], s[2:3]
	s_cbranch_execz .LBB59_212
.LBB59_211:
	v_sub_u32_e32 v10, v22, v12
	v_lshlrev_b32_e32 v10, 2, v10
	ds_write_b32 v10, v23
.LBB59_212:
	s_or_b64 exec, exec, s[4:5]
	s_and_b64 s[38:39], s[0:1], exec
                                        ; implicit-def: $vgpr22_vgpr23
                                        ; implicit-def: $vgpr26_vgpr27
                                        ; implicit-def: $vgpr28_vgpr29
                                        ; implicit-def: $vgpr50_vgpr51
                                        ; implicit-def: $vgpr48_vgpr49
                                        ; implicit-def: $vgpr46_vgpr47
                                        ; implicit-def: $vgpr44_vgpr45
                                        ; implicit-def: $vgpr42_vgpr43
                                        ; implicit-def: $vgpr40_vgpr41
                                        ; implicit-def: $vgpr38_vgpr39
                                        ; implicit-def: $vgpr36_vgpr37
                                        ; implicit-def: $vgpr34_vgpr35
                                        ; implicit-def: $vgpr32_vgpr33
                                        ; implicit-def: $vgpr30_vgpr31
	s_andn2_saveexec_b64 s[0:1], s[36:37]
	s_cbranch_execz .LBB59_135
.LBB59_213:
	v_sub_u32_e32 v10, v50, v12
	v_lshlrev_b32_e32 v10, 2, v10
	ds_write_b32 v10, v51
	v_sub_u32_e32 v10, v48, v12
	v_lshlrev_b32_e32 v10, 2, v10
	ds_write_b32 v10, v49
	;; [unrolled: 3-line block ×13, first 2 shown]
	v_sub_u32_e32 v10, v22, v12
	v_lshlrev_b32_e32 v10, 2, v10
	s_or_b64 s[38:39], s[38:39], exec
	ds_write_b32 v10, v23
	s_or_b64 exec, exec, s[0:1]
	s_and_b64 exec, exec, s[38:39]
	s_cbranch_execnz .LBB59_136
	s_branch .LBB59_137
.LBB59_214:
	v_sub_u32_e32 v3, v50, v18
	v_readfirstlane_b32 s40, v54
	v_readfirstlane_b32 s41, v55
	s_nop 4
	global_store_byte v3, v8, s[40:41]
	s_or_b64 exec, exec, s[38:39]
	s_and_saveexec_b64 s[38:39], s[26:27]
	s_cbranch_execz .LBB59_148
.LBB59_215:
	v_sub_u32_e32 v3, v48, v18
	v_readfirstlane_b32 s40, v54
	v_readfirstlane_b32 s41, v55
	s_nop 4
	global_store_byte v3, v65, s[40:41]
	s_or_b64 exec, exec, s[38:39]
	s_and_saveexec_b64 s[38:39], s[24:25]
	s_cbranch_execz .LBB59_149
.LBB59_216:
	v_sub_u32_e32 v3, v46, v18
	v_readfirstlane_b32 s40, v54
	v_readfirstlane_b32 s41, v55
	s_nop 4
	global_store_byte v3, v64, s[40:41]
	s_or_b64 exec, exec, s[38:39]
	s_and_saveexec_b64 s[38:39], s[22:23]
	s_cbranch_execz .LBB59_150
.LBB59_217:
	v_sub_u32_e32 v3, v44, v18
	v_readfirstlane_b32 s40, v54
	v_readfirstlane_b32 s41, v55
	s_nop 4
	global_store_byte v3, v63, s[40:41]
	s_or_b64 exec, exec, s[38:39]
	s_and_saveexec_b64 s[38:39], s[20:21]
	s_cbranch_execz .LBB59_151
.LBB59_218:
	v_sub_u32_e32 v3, v42, v18
	v_readfirstlane_b32 s40, v54
	v_readfirstlane_b32 s41, v55
	s_nop 4
	global_store_byte v3, v9, s[40:41]
	s_or_b64 exec, exec, s[38:39]
	s_and_saveexec_b64 s[38:39], s[18:19]
	s_cbranch_execz .LBB59_152
.LBB59_219:
	v_sub_u32_e32 v3, v40, v18
	v_readfirstlane_b32 s40, v54
	v_readfirstlane_b32 s41, v55
	s_nop 4
	global_store_byte v3, v62, s[40:41]
	s_or_b64 exec, exec, s[38:39]
	s_and_saveexec_b64 s[38:39], s[16:17]
	s_cbranch_execz .LBB59_153
.LBB59_220:
	v_sub_u32_e32 v3, v38, v18
	v_readfirstlane_b32 s40, v54
	v_readfirstlane_b32 s41, v55
	s_nop 4
	global_store_byte v3, v61, s[40:41]
	s_or_b64 exec, exec, s[38:39]
	s_and_saveexec_b64 s[38:39], s[14:15]
	s_cbranch_execz .LBB59_154
.LBB59_221:
	v_sub_u32_e32 v3, v36, v18
	v_readfirstlane_b32 s40, v54
	v_readfirstlane_b32 s41, v55
	s_nop 4
	global_store_byte v3, v60, s[40:41]
	s_or_b64 exec, exec, s[38:39]
	s_and_saveexec_b64 s[38:39], s[12:13]
	s_cbranch_execz .LBB59_155
.LBB59_222:
	v_sub_u32_e32 v3, v34, v18
	v_readfirstlane_b32 s40, v54
	v_readfirstlane_b32 s41, v55
	s_nop 4
	global_store_byte v3, v10, s[40:41]
	s_or_b64 exec, exec, s[38:39]
	s_and_saveexec_b64 s[38:39], s[10:11]
	s_cbranch_execz .LBB59_156
.LBB59_223:
	v_sub_u32_e32 v3, v32, v18
	v_readfirstlane_b32 s40, v54
	v_readfirstlane_b32 s41, v55
	s_nop 4
	global_store_byte v3, v59, s[40:41]
	s_or_b64 exec, exec, s[38:39]
	s_and_saveexec_b64 s[38:39], s[8:9]
	s_cbranch_execz .LBB59_157
.LBB59_224:
	v_sub_u32_e32 v3, v30, v18
	v_readfirstlane_b32 s40, v54
	v_readfirstlane_b32 s41, v55
	s_nop 4
	global_store_byte v3, v58, s[40:41]
	s_or_b64 exec, exec, s[38:39]
	s_and_saveexec_b64 s[38:39], s[6:7]
	s_cbranch_execz .LBB59_158
.LBB59_225:
	v_sub_u32_e32 v3, v28, v18
	v_readfirstlane_b32 s40, v54
	v_readfirstlane_b32 s41, v55
	s_nop 4
	global_store_byte v3, v57, s[40:41]
	s_or_b64 exec, exec, s[38:39]
	s_and_saveexec_b64 s[38:39], s[4:5]
	s_cbranch_execz .LBB59_159
.LBB59_226:
	v_sub_u32_e32 v3, v26, v18
	v_readfirstlane_b32 s40, v54
	v_readfirstlane_b32 s41, v55
	s_nop 4
	global_store_byte v3, v56, s[40:41]
	s_or_b64 exec, exec, s[38:39]
	s_and_saveexec_b64 s[38:39], s[2:3]
	s_cbranch_execnz .LBB59_160
	s_branch .LBB59_161
.LBB59_227:
	v_sub_u32_e32 v2, v50, v18
	ds_write_b8 v2, v8
	s_or_b64 exec, exec, s[38:39]
	s_and_saveexec_b64 s[28:29], s[26:27]
	s_cbranch_execz .LBB59_165
.LBB59_228:
	v_sub_u32_e32 v2, v48, v18
	ds_write_b8 v2, v65
	s_or_b64 exec, exec, s[28:29]
	s_and_saveexec_b64 s[26:27], s[24:25]
	s_cbranch_execz .LBB59_166
.LBB59_229:
	v_sub_u32_e32 v2, v46, v18
	ds_write_b8 v2, v64
	s_or_b64 exec, exec, s[26:27]
	s_and_saveexec_b64 s[24:25], s[22:23]
	s_cbranch_execz .LBB59_167
.LBB59_230:
	v_sub_u32_e32 v2, v44, v18
	ds_write_b8 v2, v63
	s_or_b64 exec, exec, s[24:25]
	s_and_saveexec_b64 s[22:23], s[20:21]
	s_cbranch_execz .LBB59_168
.LBB59_231:
	v_sub_u32_e32 v2, v42, v18
	ds_write_b8 v2, v9
	s_or_b64 exec, exec, s[22:23]
	s_and_saveexec_b64 s[20:21], s[18:19]
	s_cbranch_execz .LBB59_169
.LBB59_232:
	v_sub_u32_e32 v2, v40, v18
	ds_write_b8 v2, v62
	s_or_b64 exec, exec, s[20:21]
	s_and_saveexec_b64 s[18:19], s[16:17]
	s_cbranch_execz .LBB59_170
.LBB59_233:
	v_sub_u32_e32 v2, v38, v18
	ds_write_b8 v2, v61
	s_or_b64 exec, exec, s[18:19]
	s_and_saveexec_b64 s[16:17], s[14:15]
	s_cbranch_execz .LBB59_171
.LBB59_234:
	v_sub_u32_e32 v2, v36, v18
	ds_write_b8 v2, v60
	s_or_b64 exec, exec, s[16:17]
	s_and_saveexec_b64 s[14:15], s[12:13]
	s_cbranch_execz .LBB59_172
.LBB59_235:
	v_sub_u32_e32 v2, v34, v18
	ds_write_b8 v2, v10
	s_or_b64 exec, exec, s[14:15]
	s_and_saveexec_b64 s[12:13], s[10:11]
	s_cbranch_execz .LBB59_173
.LBB59_236:
	v_sub_u32_e32 v2, v32, v18
	ds_write_b8 v2, v59
	s_or_b64 exec, exec, s[12:13]
	s_and_saveexec_b64 s[10:11], s[8:9]
	s_cbranch_execz .LBB59_174
.LBB59_237:
	v_sub_u32_e32 v2, v30, v18
	ds_write_b8 v2, v58
	s_or_b64 exec, exec, s[10:11]
	s_and_saveexec_b64 s[8:9], s[6:7]
	s_cbranch_execz .LBB59_175
.LBB59_238:
	v_sub_u32_e32 v2, v28, v18
	ds_write_b8 v2, v57
	s_or_b64 exec, exec, s[8:9]
	s_and_saveexec_b64 s[6:7], s[4:5]
	s_cbranch_execz .LBB59_176
.LBB59_239:
	v_sub_u32_e32 v2, v26, v18
	ds_write_b8 v2, v56
	s_or_b64 exec, exec, s[6:7]
	s_and_saveexec_b64 s[4:5], s[2:3]
	s_cbranch_execnz .LBB59_177
	s_branch .LBB59_178
.LBB59_240:
	v_sub_u32_e32 v14, v50, v12
	v_mov_b32_e32 v15, 0
	v_lshl_add_u64 v[54:55], v[14:15], 3, v[10:11]
	v_mov_b32_e32 v14, v51
	global_store_dwordx2 v[54:55], v[14:15], off
	s_or_b64 exec, exec, s[38:39]
	s_and_saveexec_b64 s[38:39], s[26:27]
	s_cbranch_execz .LBB59_182
.LBB59_241:
	v_sub_u32_e32 v14, v48, v12
	v_mov_b32_e32 v15, 0
	v_lshl_add_u64 v[54:55], v[14:15], 3, v[10:11]
	v_mov_b32_e32 v14, v49
	global_store_dwordx2 v[54:55], v[14:15], off
	s_or_b64 exec, exec, s[38:39]
	s_and_saveexec_b64 s[38:39], s[24:25]
	s_cbranch_execz .LBB59_183
.LBB59_242:
	v_sub_u32_e32 v14, v46, v12
	v_mov_b32_e32 v15, 0
	v_lshl_add_u64 v[54:55], v[14:15], 3, v[10:11]
	v_mov_b32_e32 v14, v47
	global_store_dwordx2 v[54:55], v[14:15], off
	s_or_b64 exec, exec, s[38:39]
	s_and_saveexec_b64 s[38:39], s[22:23]
	s_cbranch_execz .LBB59_184
.LBB59_243:
	v_sub_u32_e32 v14, v44, v12
	v_mov_b32_e32 v15, 0
	v_lshl_add_u64 v[54:55], v[14:15], 3, v[10:11]
	v_mov_b32_e32 v14, v45
	global_store_dwordx2 v[54:55], v[14:15], off
	s_or_b64 exec, exec, s[38:39]
	s_and_saveexec_b64 s[38:39], s[20:21]
	s_cbranch_execz .LBB59_185
.LBB59_244:
	v_sub_u32_e32 v14, v42, v12
	v_mov_b32_e32 v15, 0
	v_lshl_add_u64 v[54:55], v[14:15], 3, v[10:11]
	v_mov_b32_e32 v14, v43
	global_store_dwordx2 v[54:55], v[14:15], off
	s_or_b64 exec, exec, s[38:39]
	s_and_saveexec_b64 s[38:39], s[18:19]
	s_cbranch_execz .LBB59_186
.LBB59_245:
	v_sub_u32_e32 v14, v40, v12
	v_mov_b32_e32 v15, 0
	v_lshl_add_u64 v[54:55], v[14:15], 3, v[10:11]
	v_mov_b32_e32 v14, v41
	global_store_dwordx2 v[54:55], v[14:15], off
	s_or_b64 exec, exec, s[38:39]
	s_and_saveexec_b64 s[38:39], s[16:17]
	s_cbranch_execz .LBB59_187
.LBB59_246:
	v_sub_u32_e32 v14, v38, v12
	v_mov_b32_e32 v15, 0
	v_lshl_add_u64 v[54:55], v[14:15], 3, v[10:11]
	v_mov_b32_e32 v14, v39
	global_store_dwordx2 v[54:55], v[14:15], off
	s_or_b64 exec, exec, s[38:39]
	s_and_saveexec_b64 s[38:39], s[14:15]
	s_cbranch_execz .LBB59_188
.LBB59_247:
	v_sub_u32_e32 v14, v36, v12
	v_mov_b32_e32 v15, 0
	v_lshl_add_u64 v[54:55], v[14:15], 3, v[10:11]
	v_mov_b32_e32 v14, v37
	global_store_dwordx2 v[54:55], v[14:15], off
	s_or_b64 exec, exec, s[38:39]
	s_and_saveexec_b64 s[38:39], s[12:13]
	s_cbranch_execz .LBB59_189
.LBB59_248:
	v_sub_u32_e32 v14, v34, v12
	v_mov_b32_e32 v15, 0
	v_lshl_add_u64 v[54:55], v[14:15], 3, v[10:11]
	v_mov_b32_e32 v14, v35
	global_store_dwordx2 v[54:55], v[14:15], off
	s_or_b64 exec, exec, s[38:39]
	s_and_saveexec_b64 s[38:39], s[10:11]
	s_cbranch_execz .LBB59_190
.LBB59_249:
	v_sub_u32_e32 v14, v32, v12
	v_mov_b32_e32 v15, 0
	v_lshl_add_u64 v[54:55], v[14:15], 3, v[10:11]
	v_mov_b32_e32 v14, v33
	global_store_dwordx2 v[54:55], v[14:15], off
	s_or_b64 exec, exec, s[38:39]
	s_and_saveexec_b64 s[38:39], s[8:9]
	s_cbranch_execz .LBB59_191
.LBB59_250:
	v_sub_u32_e32 v14, v30, v12
	v_mov_b32_e32 v15, 0
	v_lshl_add_u64 v[54:55], v[14:15], 3, v[10:11]
	v_mov_b32_e32 v14, v31
	global_store_dwordx2 v[54:55], v[14:15], off
	s_or_b64 exec, exec, s[38:39]
	s_and_saveexec_b64 s[38:39], s[6:7]
	s_cbranch_execz .LBB59_192
.LBB59_251:
	v_sub_u32_e32 v14, v28, v12
	v_mov_b32_e32 v15, 0
	v_lshl_add_u64 v[54:55], v[14:15], 3, v[10:11]
	v_mov_b32_e32 v14, v29
	global_store_dwordx2 v[54:55], v[14:15], off
	s_or_b64 exec, exec, s[38:39]
	s_and_saveexec_b64 s[38:39], s[4:5]
	s_cbranch_execz .LBB59_193
.LBB59_252:
	v_sub_u32_e32 v14, v26, v12
	v_mov_b32_e32 v15, 0
	v_lshl_add_u64 v[54:55], v[14:15], 3, v[10:11]
	v_mov_b32_e32 v14, v27
	global_store_dwordx2 v[54:55], v[14:15], off
	s_or_b64 exec, exec, s[38:39]
	s_and_saveexec_b64 s[38:39], s[2:3]
	s_cbranch_execnz .LBB59_194
	s_branch .LBB59_195
.LBB59_253:
	v_sub_u32_e32 v10, v50, v12
	v_lshlrev_b32_e32 v10, 2, v10
	ds_write_b32 v10, v51
	s_or_b64 exec, exec, s[38:39]
	s_and_saveexec_b64 s[28:29], s[26:27]
	s_cbranch_execz .LBB59_199
.LBB59_254:
	v_sub_u32_e32 v10, v48, v12
	v_lshlrev_b32_e32 v10, 2, v10
	ds_write_b32 v10, v49
	s_or_b64 exec, exec, s[28:29]
	s_and_saveexec_b64 s[26:27], s[24:25]
	s_cbranch_execz .LBB59_200
.LBB59_255:
	v_sub_u32_e32 v10, v46, v12
	v_lshlrev_b32_e32 v10, 2, v10
	ds_write_b32 v10, v47
	s_or_b64 exec, exec, s[26:27]
	s_and_saveexec_b64 s[24:25], s[22:23]
	s_cbranch_execz .LBB59_201
.LBB59_256:
	v_sub_u32_e32 v10, v44, v12
	v_lshlrev_b32_e32 v10, 2, v10
	ds_write_b32 v10, v45
	s_or_b64 exec, exec, s[24:25]
	s_and_saveexec_b64 s[22:23], s[20:21]
	s_cbranch_execz .LBB59_202
.LBB59_257:
	v_sub_u32_e32 v10, v42, v12
	v_lshlrev_b32_e32 v10, 2, v10
	ds_write_b32 v10, v43
	s_or_b64 exec, exec, s[22:23]
	s_and_saveexec_b64 s[20:21], s[18:19]
	s_cbranch_execz .LBB59_203
.LBB59_258:
	v_sub_u32_e32 v10, v40, v12
	v_lshlrev_b32_e32 v10, 2, v10
	ds_write_b32 v10, v41
	s_or_b64 exec, exec, s[20:21]
	s_and_saveexec_b64 s[18:19], s[16:17]
	s_cbranch_execz .LBB59_204
.LBB59_259:
	v_sub_u32_e32 v10, v38, v12
	v_lshlrev_b32_e32 v10, 2, v10
	ds_write_b32 v10, v39
	s_or_b64 exec, exec, s[18:19]
	s_and_saveexec_b64 s[16:17], s[14:15]
	s_cbranch_execz .LBB59_205
.LBB59_260:
	v_sub_u32_e32 v10, v36, v12
	v_lshlrev_b32_e32 v10, 2, v10
	ds_write_b32 v10, v37
	s_or_b64 exec, exec, s[16:17]
	s_and_saveexec_b64 s[14:15], s[12:13]
	s_cbranch_execz .LBB59_206
.LBB59_261:
	v_sub_u32_e32 v10, v34, v12
	v_lshlrev_b32_e32 v10, 2, v10
	ds_write_b32 v10, v35
	s_or_b64 exec, exec, s[14:15]
	s_and_saveexec_b64 s[12:13], s[10:11]
	s_cbranch_execz .LBB59_207
.LBB59_262:
	v_sub_u32_e32 v10, v32, v12
	v_lshlrev_b32_e32 v10, 2, v10
	ds_write_b32 v10, v33
	s_or_b64 exec, exec, s[12:13]
	s_and_saveexec_b64 s[10:11], s[8:9]
	s_cbranch_execz .LBB59_208
.LBB59_263:
	v_sub_u32_e32 v10, v30, v12
	v_lshlrev_b32_e32 v10, 2, v10
	ds_write_b32 v10, v31
	s_or_b64 exec, exec, s[10:11]
	s_and_saveexec_b64 s[8:9], s[6:7]
	s_cbranch_execz .LBB59_209
.LBB59_264:
	v_sub_u32_e32 v10, v28, v12
	v_lshlrev_b32_e32 v10, 2, v10
	ds_write_b32 v10, v29
	s_or_b64 exec, exec, s[8:9]
	s_and_saveexec_b64 s[6:7], s[4:5]
	s_cbranch_execz .LBB59_210
.LBB59_265:
	v_sub_u32_e32 v10, v26, v12
	v_lshlrev_b32_e32 v10, 2, v10
	ds_write_b32 v10, v27
	s_or_b64 exec, exec, s[6:7]
	s_and_saveexec_b64 s[4:5], s[2:3]
	s_cbranch_execnz .LBB59_211
	s_branch .LBB59_212
	.section	.rodata,"a",@progbits
	.p2align	6, 0x0
	.amdhsa_kernel _ZN7rocprim17ROCPRIM_400000_NS6detail17trampoline_kernelINS0_14default_configENS1_33run_length_encode_config_selectorIbjNS0_4plusIjEEEEZZNS1_33reduce_by_key_impl_wrapped_configILNS1_25lookback_scan_determinismE0ES3_S7_N6hipcub16HIPCUB_304000_NS22TransformInputIteratorIbN2at6native8internal12_GLOBAL__N_110LoadBoolOpEPKhlEENS0_17constant_iteratorIjlEEPbPlSO_S6_NS0_8equal_toIbEEEE10hipError_tPvRmT2_T3_mT4_T5_T6_T7_T8_P12ihipStream_tbENKUlT_T0_E_clISt17integral_constantIbLb0EES18_EEDaS13_S14_EUlS13_E_NS1_11comp_targetILNS1_3genE5ELNS1_11target_archE942ELNS1_3gpuE9ELNS1_3repE0EEENS1_30default_config_static_selectorELNS0_4arch9wavefront6targetE1EEEvT1_
		.amdhsa_group_segment_fixed_size 30720
		.amdhsa_private_segment_fixed_size 0
		.amdhsa_kernarg_size 136
		.amdhsa_user_sgpr_count 2
		.amdhsa_user_sgpr_dispatch_ptr 0
		.amdhsa_user_sgpr_queue_ptr 0
		.amdhsa_user_sgpr_kernarg_segment_ptr 1
		.amdhsa_user_sgpr_dispatch_id 0
		.amdhsa_user_sgpr_kernarg_preload_length 0
		.amdhsa_user_sgpr_kernarg_preload_offset 0
		.amdhsa_user_sgpr_private_segment_size 0
		.amdhsa_uses_dynamic_stack 0
		.amdhsa_enable_private_segment 0
		.amdhsa_system_sgpr_workgroup_id_x 1
		.amdhsa_system_sgpr_workgroup_id_y 0
		.amdhsa_system_sgpr_workgroup_id_z 0
		.amdhsa_system_sgpr_workgroup_info 0
		.amdhsa_system_vgpr_workitem_id 0
		.amdhsa_next_free_vgpr 109
		.amdhsa_next_free_sgpr 74
		.amdhsa_accum_offset 112
		.amdhsa_reserve_vcc 1
		.amdhsa_float_round_mode_32 0
		.amdhsa_float_round_mode_16_64 0
		.amdhsa_float_denorm_mode_32 3
		.amdhsa_float_denorm_mode_16_64 3
		.amdhsa_dx10_clamp 1
		.amdhsa_ieee_mode 1
		.amdhsa_fp16_overflow 0
		.amdhsa_tg_split 0
		.amdhsa_exception_fp_ieee_invalid_op 0
		.amdhsa_exception_fp_denorm_src 0
		.amdhsa_exception_fp_ieee_div_zero 0
		.amdhsa_exception_fp_ieee_overflow 0
		.amdhsa_exception_fp_ieee_underflow 0
		.amdhsa_exception_fp_ieee_inexact 0
		.amdhsa_exception_int_div_zero 0
	.end_amdhsa_kernel
	.section	.text._ZN7rocprim17ROCPRIM_400000_NS6detail17trampoline_kernelINS0_14default_configENS1_33run_length_encode_config_selectorIbjNS0_4plusIjEEEEZZNS1_33reduce_by_key_impl_wrapped_configILNS1_25lookback_scan_determinismE0ES3_S7_N6hipcub16HIPCUB_304000_NS22TransformInputIteratorIbN2at6native8internal12_GLOBAL__N_110LoadBoolOpEPKhlEENS0_17constant_iteratorIjlEEPbPlSO_S6_NS0_8equal_toIbEEEE10hipError_tPvRmT2_T3_mT4_T5_T6_T7_T8_P12ihipStream_tbENKUlT_T0_E_clISt17integral_constantIbLb0EES18_EEDaS13_S14_EUlS13_E_NS1_11comp_targetILNS1_3genE5ELNS1_11target_archE942ELNS1_3gpuE9ELNS1_3repE0EEENS1_30default_config_static_selectorELNS0_4arch9wavefront6targetE1EEEvT1_,"axG",@progbits,_ZN7rocprim17ROCPRIM_400000_NS6detail17trampoline_kernelINS0_14default_configENS1_33run_length_encode_config_selectorIbjNS0_4plusIjEEEEZZNS1_33reduce_by_key_impl_wrapped_configILNS1_25lookback_scan_determinismE0ES3_S7_N6hipcub16HIPCUB_304000_NS22TransformInputIteratorIbN2at6native8internal12_GLOBAL__N_110LoadBoolOpEPKhlEENS0_17constant_iteratorIjlEEPbPlSO_S6_NS0_8equal_toIbEEEE10hipError_tPvRmT2_T3_mT4_T5_T6_T7_T8_P12ihipStream_tbENKUlT_T0_E_clISt17integral_constantIbLb0EES18_EEDaS13_S14_EUlS13_E_NS1_11comp_targetILNS1_3genE5ELNS1_11target_archE942ELNS1_3gpuE9ELNS1_3repE0EEENS1_30default_config_static_selectorELNS0_4arch9wavefront6targetE1EEEvT1_,comdat
.Lfunc_end59:
	.size	_ZN7rocprim17ROCPRIM_400000_NS6detail17trampoline_kernelINS0_14default_configENS1_33run_length_encode_config_selectorIbjNS0_4plusIjEEEEZZNS1_33reduce_by_key_impl_wrapped_configILNS1_25lookback_scan_determinismE0ES3_S7_N6hipcub16HIPCUB_304000_NS22TransformInputIteratorIbN2at6native8internal12_GLOBAL__N_110LoadBoolOpEPKhlEENS0_17constant_iteratorIjlEEPbPlSO_S6_NS0_8equal_toIbEEEE10hipError_tPvRmT2_T3_mT4_T5_T6_T7_T8_P12ihipStream_tbENKUlT_T0_E_clISt17integral_constantIbLb0EES18_EEDaS13_S14_EUlS13_E_NS1_11comp_targetILNS1_3genE5ELNS1_11target_archE942ELNS1_3gpuE9ELNS1_3repE0EEENS1_30default_config_static_selectorELNS0_4arch9wavefront6targetE1EEEvT1_, .Lfunc_end59-_ZN7rocprim17ROCPRIM_400000_NS6detail17trampoline_kernelINS0_14default_configENS1_33run_length_encode_config_selectorIbjNS0_4plusIjEEEEZZNS1_33reduce_by_key_impl_wrapped_configILNS1_25lookback_scan_determinismE0ES3_S7_N6hipcub16HIPCUB_304000_NS22TransformInputIteratorIbN2at6native8internal12_GLOBAL__N_110LoadBoolOpEPKhlEENS0_17constant_iteratorIjlEEPbPlSO_S6_NS0_8equal_toIbEEEE10hipError_tPvRmT2_T3_mT4_T5_T6_T7_T8_P12ihipStream_tbENKUlT_T0_E_clISt17integral_constantIbLb0EES18_EEDaS13_S14_EUlS13_E_NS1_11comp_targetILNS1_3genE5ELNS1_11target_archE942ELNS1_3gpuE9ELNS1_3repE0EEENS1_30default_config_static_selectorELNS0_4arch9wavefront6targetE1EEEvT1_
                                        ; -- End function
	.section	.AMDGPU.csdata,"",@progbits
; Kernel info:
; codeLenInByte = 15248
; NumSgprs: 80
; NumVgprs: 109
; NumAgprs: 0
; TotalNumVgprs: 109
; ScratchSize: 0
; MemoryBound: 0
; FloatMode: 240
; IeeeMode: 1
; LDSByteSize: 30720 bytes/workgroup (compile time only)
; SGPRBlocks: 9
; VGPRBlocks: 13
; NumSGPRsForWavesPerEU: 80
; NumVGPRsForWavesPerEU: 109
; AccumOffset: 112
; Occupancy: 4
; WaveLimiterHint : 1
; COMPUTE_PGM_RSRC2:SCRATCH_EN: 0
; COMPUTE_PGM_RSRC2:USER_SGPR: 2
; COMPUTE_PGM_RSRC2:TRAP_HANDLER: 0
; COMPUTE_PGM_RSRC2:TGID_X_EN: 1
; COMPUTE_PGM_RSRC2:TGID_Y_EN: 0
; COMPUTE_PGM_RSRC2:TGID_Z_EN: 0
; COMPUTE_PGM_RSRC2:TIDIG_COMP_CNT: 0
; COMPUTE_PGM_RSRC3_GFX90A:ACCUM_OFFSET: 27
; COMPUTE_PGM_RSRC3_GFX90A:TG_SPLIT: 0
	.section	.text._ZN7rocprim17ROCPRIM_400000_NS6detail17trampoline_kernelINS0_14default_configENS1_33run_length_encode_config_selectorIbjNS0_4plusIjEEEEZZNS1_33reduce_by_key_impl_wrapped_configILNS1_25lookback_scan_determinismE0ES3_S7_N6hipcub16HIPCUB_304000_NS22TransformInputIteratorIbN2at6native8internal12_GLOBAL__N_110LoadBoolOpEPKhlEENS0_17constant_iteratorIjlEEPbPlSO_S6_NS0_8equal_toIbEEEE10hipError_tPvRmT2_T3_mT4_T5_T6_T7_T8_P12ihipStream_tbENKUlT_T0_E_clISt17integral_constantIbLb0EES18_EEDaS13_S14_EUlS13_E_NS1_11comp_targetILNS1_3genE4ELNS1_11target_archE910ELNS1_3gpuE8ELNS1_3repE0EEENS1_30default_config_static_selectorELNS0_4arch9wavefront6targetE1EEEvT1_,"axG",@progbits,_ZN7rocprim17ROCPRIM_400000_NS6detail17trampoline_kernelINS0_14default_configENS1_33run_length_encode_config_selectorIbjNS0_4plusIjEEEEZZNS1_33reduce_by_key_impl_wrapped_configILNS1_25lookback_scan_determinismE0ES3_S7_N6hipcub16HIPCUB_304000_NS22TransformInputIteratorIbN2at6native8internal12_GLOBAL__N_110LoadBoolOpEPKhlEENS0_17constant_iteratorIjlEEPbPlSO_S6_NS0_8equal_toIbEEEE10hipError_tPvRmT2_T3_mT4_T5_T6_T7_T8_P12ihipStream_tbENKUlT_T0_E_clISt17integral_constantIbLb0EES18_EEDaS13_S14_EUlS13_E_NS1_11comp_targetILNS1_3genE4ELNS1_11target_archE910ELNS1_3gpuE8ELNS1_3repE0EEENS1_30default_config_static_selectorELNS0_4arch9wavefront6targetE1EEEvT1_,comdat
	.globl	_ZN7rocprim17ROCPRIM_400000_NS6detail17trampoline_kernelINS0_14default_configENS1_33run_length_encode_config_selectorIbjNS0_4plusIjEEEEZZNS1_33reduce_by_key_impl_wrapped_configILNS1_25lookback_scan_determinismE0ES3_S7_N6hipcub16HIPCUB_304000_NS22TransformInputIteratorIbN2at6native8internal12_GLOBAL__N_110LoadBoolOpEPKhlEENS0_17constant_iteratorIjlEEPbPlSO_S6_NS0_8equal_toIbEEEE10hipError_tPvRmT2_T3_mT4_T5_T6_T7_T8_P12ihipStream_tbENKUlT_T0_E_clISt17integral_constantIbLb0EES18_EEDaS13_S14_EUlS13_E_NS1_11comp_targetILNS1_3genE4ELNS1_11target_archE910ELNS1_3gpuE8ELNS1_3repE0EEENS1_30default_config_static_selectorELNS0_4arch9wavefront6targetE1EEEvT1_ ; -- Begin function _ZN7rocprim17ROCPRIM_400000_NS6detail17trampoline_kernelINS0_14default_configENS1_33run_length_encode_config_selectorIbjNS0_4plusIjEEEEZZNS1_33reduce_by_key_impl_wrapped_configILNS1_25lookback_scan_determinismE0ES3_S7_N6hipcub16HIPCUB_304000_NS22TransformInputIteratorIbN2at6native8internal12_GLOBAL__N_110LoadBoolOpEPKhlEENS0_17constant_iteratorIjlEEPbPlSO_S6_NS0_8equal_toIbEEEE10hipError_tPvRmT2_T3_mT4_T5_T6_T7_T8_P12ihipStream_tbENKUlT_T0_E_clISt17integral_constantIbLb0EES18_EEDaS13_S14_EUlS13_E_NS1_11comp_targetILNS1_3genE4ELNS1_11target_archE910ELNS1_3gpuE8ELNS1_3repE0EEENS1_30default_config_static_selectorELNS0_4arch9wavefront6targetE1EEEvT1_
	.p2align	8
	.type	_ZN7rocprim17ROCPRIM_400000_NS6detail17trampoline_kernelINS0_14default_configENS1_33run_length_encode_config_selectorIbjNS0_4plusIjEEEEZZNS1_33reduce_by_key_impl_wrapped_configILNS1_25lookback_scan_determinismE0ES3_S7_N6hipcub16HIPCUB_304000_NS22TransformInputIteratorIbN2at6native8internal12_GLOBAL__N_110LoadBoolOpEPKhlEENS0_17constant_iteratorIjlEEPbPlSO_S6_NS0_8equal_toIbEEEE10hipError_tPvRmT2_T3_mT4_T5_T6_T7_T8_P12ihipStream_tbENKUlT_T0_E_clISt17integral_constantIbLb0EES18_EEDaS13_S14_EUlS13_E_NS1_11comp_targetILNS1_3genE4ELNS1_11target_archE910ELNS1_3gpuE8ELNS1_3repE0EEENS1_30default_config_static_selectorELNS0_4arch9wavefront6targetE1EEEvT1_,@function
_ZN7rocprim17ROCPRIM_400000_NS6detail17trampoline_kernelINS0_14default_configENS1_33run_length_encode_config_selectorIbjNS0_4plusIjEEEEZZNS1_33reduce_by_key_impl_wrapped_configILNS1_25lookback_scan_determinismE0ES3_S7_N6hipcub16HIPCUB_304000_NS22TransformInputIteratorIbN2at6native8internal12_GLOBAL__N_110LoadBoolOpEPKhlEENS0_17constant_iteratorIjlEEPbPlSO_S6_NS0_8equal_toIbEEEE10hipError_tPvRmT2_T3_mT4_T5_T6_T7_T8_P12ihipStream_tbENKUlT_T0_E_clISt17integral_constantIbLb0EES18_EEDaS13_S14_EUlS13_E_NS1_11comp_targetILNS1_3genE4ELNS1_11target_archE910ELNS1_3gpuE8ELNS1_3repE0EEENS1_30default_config_static_selectorELNS0_4arch9wavefront6targetE1EEEvT1_: ; @_ZN7rocprim17ROCPRIM_400000_NS6detail17trampoline_kernelINS0_14default_configENS1_33run_length_encode_config_selectorIbjNS0_4plusIjEEEEZZNS1_33reduce_by_key_impl_wrapped_configILNS1_25lookback_scan_determinismE0ES3_S7_N6hipcub16HIPCUB_304000_NS22TransformInputIteratorIbN2at6native8internal12_GLOBAL__N_110LoadBoolOpEPKhlEENS0_17constant_iteratorIjlEEPbPlSO_S6_NS0_8equal_toIbEEEE10hipError_tPvRmT2_T3_mT4_T5_T6_T7_T8_P12ihipStream_tbENKUlT_T0_E_clISt17integral_constantIbLb0EES18_EEDaS13_S14_EUlS13_E_NS1_11comp_targetILNS1_3genE4ELNS1_11target_archE910ELNS1_3gpuE8ELNS1_3repE0EEENS1_30default_config_static_selectorELNS0_4arch9wavefront6targetE1EEEvT1_
; %bb.0:
	.section	.rodata,"a",@progbits
	.p2align	6, 0x0
	.amdhsa_kernel _ZN7rocprim17ROCPRIM_400000_NS6detail17trampoline_kernelINS0_14default_configENS1_33run_length_encode_config_selectorIbjNS0_4plusIjEEEEZZNS1_33reduce_by_key_impl_wrapped_configILNS1_25lookback_scan_determinismE0ES3_S7_N6hipcub16HIPCUB_304000_NS22TransformInputIteratorIbN2at6native8internal12_GLOBAL__N_110LoadBoolOpEPKhlEENS0_17constant_iteratorIjlEEPbPlSO_S6_NS0_8equal_toIbEEEE10hipError_tPvRmT2_T3_mT4_T5_T6_T7_T8_P12ihipStream_tbENKUlT_T0_E_clISt17integral_constantIbLb0EES18_EEDaS13_S14_EUlS13_E_NS1_11comp_targetILNS1_3genE4ELNS1_11target_archE910ELNS1_3gpuE8ELNS1_3repE0EEENS1_30default_config_static_selectorELNS0_4arch9wavefront6targetE1EEEvT1_
		.amdhsa_group_segment_fixed_size 0
		.amdhsa_private_segment_fixed_size 0
		.amdhsa_kernarg_size 136
		.amdhsa_user_sgpr_count 2
		.amdhsa_user_sgpr_dispatch_ptr 0
		.amdhsa_user_sgpr_queue_ptr 0
		.amdhsa_user_sgpr_kernarg_segment_ptr 1
		.amdhsa_user_sgpr_dispatch_id 0
		.amdhsa_user_sgpr_kernarg_preload_length 0
		.amdhsa_user_sgpr_kernarg_preload_offset 0
		.amdhsa_user_sgpr_private_segment_size 0
		.amdhsa_uses_dynamic_stack 0
		.amdhsa_enable_private_segment 0
		.amdhsa_system_sgpr_workgroup_id_x 1
		.amdhsa_system_sgpr_workgroup_id_y 0
		.amdhsa_system_sgpr_workgroup_id_z 0
		.amdhsa_system_sgpr_workgroup_info 0
		.amdhsa_system_vgpr_workitem_id 0
		.amdhsa_next_free_vgpr 1
		.amdhsa_next_free_sgpr 0
		.amdhsa_accum_offset 4
		.amdhsa_reserve_vcc 0
		.amdhsa_float_round_mode_32 0
		.amdhsa_float_round_mode_16_64 0
		.amdhsa_float_denorm_mode_32 3
		.amdhsa_float_denorm_mode_16_64 3
		.amdhsa_dx10_clamp 1
		.amdhsa_ieee_mode 1
		.amdhsa_fp16_overflow 0
		.amdhsa_tg_split 0
		.amdhsa_exception_fp_ieee_invalid_op 0
		.amdhsa_exception_fp_denorm_src 0
		.amdhsa_exception_fp_ieee_div_zero 0
		.amdhsa_exception_fp_ieee_overflow 0
		.amdhsa_exception_fp_ieee_underflow 0
		.amdhsa_exception_fp_ieee_inexact 0
		.amdhsa_exception_int_div_zero 0
	.end_amdhsa_kernel
	.section	.text._ZN7rocprim17ROCPRIM_400000_NS6detail17trampoline_kernelINS0_14default_configENS1_33run_length_encode_config_selectorIbjNS0_4plusIjEEEEZZNS1_33reduce_by_key_impl_wrapped_configILNS1_25lookback_scan_determinismE0ES3_S7_N6hipcub16HIPCUB_304000_NS22TransformInputIteratorIbN2at6native8internal12_GLOBAL__N_110LoadBoolOpEPKhlEENS0_17constant_iteratorIjlEEPbPlSO_S6_NS0_8equal_toIbEEEE10hipError_tPvRmT2_T3_mT4_T5_T6_T7_T8_P12ihipStream_tbENKUlT_T0_E_clISt17integral_constantIbLb0EES18_EEDaS13_S14_EUlS13_E_NS1_11comp_targetILNS1_3genE4ELNS1_11target_archE910ELNS1_3gpuE8ELNS1_3repE0EEENS1_30default_config_static_selectorELNS0_4arch9wavefront6targetE1EEEvT1_,"axG",@progbits,_ZN7rocprim17ROCPRIM_400000_NS6detail17trampoline_kernelINS0_14default_configENS1_33run_length_encode_config_selectorIbjNS0_4plusIjEEEEZZNS1_33reduce_by_key_impl_wrapped_configILNS1_25lookback_scan_determinismE0ES3_S7_N6hipcub16HIPCUB_304000_NS22TransformInputIteratorIbN2at6native8internal12_GLOBAL__N_110LoadBoolOpEPKhlEENS0_17constant_iteratorIjlEEPbPlSO_S6_NS0_8equal_toIbEEEE10hipError_tPvRmT2_T3_mT4_T5_T6_T7_T8_P12ihipStream_tbENKUlT_T0_E_clISt17integral_constantIbLb0EES18_EEDaS13_S14_EUlS13_E_NS1_11comp_targetILNS1_3genE4ELNS1_11target_archE910ELNS1_3gpuE8ELNS1_3repE0EEENS1_30default_config_static_selectorELNS0_4arch9wavefront6targetE1EEEvT1_,comdat
.Lfunc_end60:
	.size	_ZN7rocprim17ROCPRIM_400000_NS6detail17trampoline_kernelINS0_14default_configENS1_33run_length_encode_config_selectorIbjNS0_4plusIjEEEEZZNS1_33reduce_by_key_impl_wrapped_configILNS1_25lookback_scan_determinismE0ES3_S7_N6hipcub16HIPCUB_304000_NS22TransformInputIteratorIbN2at6native8internal12_GLOBAL__N_110LoadBoolOpEPKhlEENS0_17constant_iteratorIjlEEPbPlSO_S6_NS0_8equal_toIbEEEE10hipError_tPvRmT2_T3_mT4_T5_T6_T7_T8_P12ihipStream_tbENKUlT_T0_E_clISt17integral_constantIbLb0EES18_EEDaS13_S14_EUlS13_E_NS1_11comp_targetILNS1_3genE4ELNS1_11target_archE910ELNS1_3gpuE8ELNS1_3repE0EEENS1_30default_config_static_selectorELNS0_4arch9wavefront6targetE1EEEvT1_, .Lfunc_end60-_ZN7rocprim17ROCPRIM_400000_NS6detail17trampoline_kernelINS0_14default_configENS1_33run_length_encode_config_selectorIbjNS0_4plusIjEEEEZZNS1_33reduce_by_key_impl_wrapped_configILNS1_25lookback_scan_determinismE0ES3_S7_N6hipcub16HIPCUB_304000_NS22TransformInputIteratorIbN2at6native8internal12_GLOBAL__N_110LoadBoolOpEPKhlEENS0_17constant_iteratorIjlEEPbPlSO_S6_NS0_8equal_toIbEEEE10hipError_tPvRmT2_T3_mT4_T5_T6_T7_T8_P12ihipStream_tbENKUlT_T0_E_clISt17integral_constantIbLb0EES18_EEDaS13_S14_EUlS13_E_NS1_11comp_targetILNS1_3genE4ELNS1_11target_archE910ELNS1_3gpuE8ELNS1_3repE0EEENS1_30default_config_static_selectorELNS0_4arch9wavefront6targetE1EEEvT1_
                                        ; -- End function
	.section	.AMDGPU.csdata,"",@progbits
; Kernel info:
; codeLenInByte = 0
; NumSgprs: 6
; NumVgprs: 0
; NumAgprs: 0
; TotalNumVgprs: 0
; ScratchSize: 0
; MemoryBound: 0
; FloatMode: 240
; IeeeMode: 1
; LDSByteSize: 0 bytes/workgroup (compile time only)
; SGPRBlocks: 0
; VGPRBlocks: 0
; NumSGPRsForWavesPerEU: 6
; NumVGPRsForWavesPerEU: 1
; AccumOffset: 4
; Occupancy: 8
; WaveLimiterHint : 0
; COMPUTE_PGM_RSRC2:SCRATCH_EN: 0
; COMPUTE_PGM_RSRC2:USER_SGPR: 2
; COMPUTE_PGM_RSRC2:TRAP_HANDLER: 0
; COMPUTE_PGM_RSRC2:TGID_X_EN: 1
; COMPUTE_PGM_RSRC2:TGID_Y_EN: 0
; COMPUTE_PGM_RSRC2:TGID_Z_EN: 0
; COMPUTE_PGM_RSRC2:TIDIG_COMP_CNT: 0
; COMPUTE_PGM_RSRC3_GFX90A:ACCUM_OFFSET: 0
; COMPUTE_PGM_RSRC3_GFX90A:TG_SPLIT: 0
	.section	.text._ZN7rocprim17ROCPRIM_400000_NS6detail17trampoline_kernelINS0_14default_configENS1_33run_length_encode_config_selectorIbjNS0_4plusIjEEEEZZNS1_33reduce_by_key_impl_wrapped_configILNS1_25lookback_scan_determinismE0ES3_S7_N6hipcub16HIPCUB_304000_NS22TransformInputIteratorIbN2at6native8internal12_GLOBAL__N_110LoadBoolOpEPKhlEENS0_17constant_iteratorIjlEEPbPlSO_S6_NS0_8equal_toIbEEEE10hipError_tPvRmT2_T3_mT4_T5_T6_T7_T8_P12ihipStream_tbENKUlT_T0_E_clISt17integral_constantIbLb0EES18_EEDaS13_S14_EUlS13_E_NS1_11comp_targetILNS1_3genE3ELNS1_11target_archE908ELNS1_3gpuE7ELNS1_3repE0EEENS1_30default_config_static_selectorELNS0_4arch9wavefront6targetE1EEEvT1_,"axG",@progbits,_ZN7rocprim17ROCPRIM_400000_NS6detail17trampoline_kernelINS0_14default_configENS1_33run_length_encode_config_selectorIbjNS0_4plusIjEEEEZZNS1_33reduce_by_key_impl_wrapped_configILNS1_25lookback_scan_determinismE0ES3_S7_N6hipcub16HIPCUB_304000_NS22TransformInputIteratorIbN2at6native8internal12_GLOBAL__N_110LoadBoolOpEPKhlEENS0_17constant_iteratorIjlEEPbPlSO_S6_NS0_8equal_toIbEEEE10hipError_tPvRmT2_T3_mT4_T5_T6_T7_T8_P12ihipStream_tbENKUlT_T0_E_clISt17integral_constantIbLb0EES18_EEDaS13_S14_EUlS13_E_NS1_11comp_targetILNS1_3genE3ELNS1_11target_archE908ELNS1_3gpuE7ELNS1_3repE0EEENS1_30default_config_static_selectorELNS0_4arch9wavefront6targetE1EEEvT1_,comdat
	.globl	_ZN7rocprim17ROCPRIM_400000_NS6detail17trampoline_kernelINS0_14default_configENS1_33run_length_encode_config_selectorIbjNS0_4plusIjEEEEZZNS1_33reduce_by_key_impl_wrapped_configILNS1_25lookback_scan_determinismE0ES3_S7_N6hipcub16HIPCUB_304000_NS22TransformInputIteratorIbN2at6native8internal12_GLOBAL__N_110LoadBoolOpEPKhlEENS0_17constant_iteratorIjlEEPbPlSO_S6_NS0_8equal_toIbEEEE10hipError_tPvRmT2_T3_mT4_T5_T6_T7_T8_P12ihipStream_tbENKUlT_T0_E_clISt17integral_constantIbLb0EES18_EEDaS13_S14_EUlS13_E_NS1_11comp_targetILNS1_3genE3ELNS1_11target_archE908ELNS1_3gpuE7ELNS1_3repE0EEENS1_30default_config_static_selectorELNS0_4arch9wavefront6targetE1EEEvT1_ ; -- Begin function _ZN7rocprim17ROCPRIM_400000_NS6detail17trampoline_kernelINS0_14default_configENS1_33run_length_encode_config_selectorIbjNS0_4plusIjEEEEZZNS1_33reduce_by_key_impl_wrapped_configILNS1_25lookback_scan_determinismE0ES3_S7_N6hipcub16HIPCUB_304000_NS22TransformInputIteratorIbN2at6native8internal12_GLOBAL__N_110LoadBoolOpEPKhlEENS0_17constant_iteratorIjlEEPbPlSO_S6_NS0_8equal_toIbEEEE10hipError_tPvRmT2_T3_mT4_T5_T6_T7_T8_P12ihipStream_tbENKUlT_T0_E_clISt17integral_constantIbLb0EES18_EEDaS13_S14_EUlS13_E_NS1_11comp_targetILNS1_3genE3ELNS1_11target_archE908ELNS1_3gpuE7ELNS1_3repE0EEENS1_30default_config_static_selectorELNS0_4arch9wavefront6targetE1EEEvT1_
	.p2align	8
	.type	_ZN7rocprim17ROCPRIM_400000_NS6detail17trampoline_kernelINS0_14default_configENS1_33run_length_encode_config_selectorIbjNS0_4plusIjEEEEZZNS1_33reduce_by_key_impl_wrapped_configILNS1_25lookback_scan_determinismE0ES3_S7_N6hipcub16HIPCUB_304000_NS22TransformInputIteratorIbN2at6native8internal12_GLOBAL__N_110LoadBoolOpEPKhlEENS0_17constant_iteratorIjlEEPbPlSO_S6_NS0_8equal_toIbEEEE10hipError_tPvRmT2_T3_mT4_T5_T6_T7_T8_P12ihipStream_tbENKUlT_T0_E_clISt17integral_constantIbLb0EES18_EEDaS13_S14_EUlS13_E_NS1_11comp_targetILNS1_3genE3ELNS1_11target_archE908ELNS1_3gpuE7ELNS1_3repE0EEENS1_30default_config_static_selectorELNS0_4arch9wavefront6targetE1EEEvT1_,@function
_ZN7rocprim17ROCPRIM_400000_NS6detail17trampoline_kernelINS0_14default_configENS1_33run_length_encode_config_selectorIbjNS0_4plusIjEEEEZZNS1_33reduce_by_key_impl_wrapped_configILNS1_25lookback_scan_determinismE0ES3_S7_N6hipcub16HIPCUB_304000_NS22TransformInputIteratorIbN2at6native8internal12_GLOBAL__N_110LoadBoolOpEPKhlEENS0_17constant_iteratorIjlEEPbPlSO_S6_NS0_8equal_toIbEEEE10hipError_tPvRmT2_T3_mT4_T5_T6_T7_T8_P12ihipStream_tbENKUlT_T0_E_clISt17integral_constantIbLb0EES18_EEDaS13_S14_EUlS13_E_NS1_11comp_targetILNS1_3genE3ELNS1_11target_archE908ELNS1_3gpuE7ELNS1_3repE0EEENS1_30default_config_static_selectorELNS0_4arch9wavefront6targetE1EEEvT1_: ; @_ZN7rocprim17ROCPRIM_400000_NS6detail17trampoline_kernelINS0_14default_configENS1_33run_length_encode_config_selectorIbjNS0_4plusIjEEEEZZNS1_33reduce_by_key_impl_wrapped_configILNS1_25lookback_scan_determinismE0ES3_S7_N6hipcub16HIPCUB_304000_NS22TransformInputIteratorIbN2at6native8internal12_GLOBAL__N_110LoadBoolOpEPKhlEENS0_17constant_iteratorIjlEEPbPlSO_S6_NS0_8equal_toIbEEEE10hipError_tPvRmT2_T3_mT4_T5_T6_T7_T8_P12ihipStream_tbENKUlT_T0_E_clISt17integral_constantIbLb0EES18_EEDaS13_S14_EUlS13_E_NS1_11comp_targetILNS1_3genE3ELNS1_11target_archE908ELNS1_3gpuE7ELNS1_3repE0EEENS1_30default_config_static_selectorELNS0_4arch9wavefront6targetE1EEEvT1_
; %bb.0:
	.section	.rodata,"a",@progbits
	.p2align	6, 0x0
	.amdhsa_kernel _ZN7rocprim17ROCPRIM_400000_NS6detail17trampoline_kernelINS0_14default_configENS1_33run_length_encode_config_selectorIbjNS0_4plusIjEEEEZZNS1_33reduce_by_key_impl_wrapped_configILNS1_25lookback_scan_determinismE0ES3_S7_N6hipcub16HIPCUB_304000_NS22TransformInputIteratorIbN2at6native8internal12_GLOBAL__N_110LoadBoolOpEPKhlEENS0_17constant_iteratorIjlEEPbPlSO_S6_NS0_8equal_toIbEEEE10hipError_tPvRmT2_T3_mT4_T5_T6_T7_T8_P12ihipStream_tbENKUlT_T0_E_clISt17integral_constantIbLb0EES18_EEDaS13_S14_EUlS13_E_NS1_11comp_targetILNS1_3genE3ELNS1_11target_archE908ELNS1_3gpuE7ELNS1_3repE0EEENS1_30default_config_static_selectorELNS0_4arch9wavefront6targetE1EEEvT1_
		.amdhsa_group_segment_fixed_size 0
		.amdhsa_private_segment_fixed_size 0
		.amdhsa_kernarg_size 136
		.amdhsa_user_sgpr_count 2
		.amdhsa_user_sgpr_dispatch_ptr 0
		.amdhsa_user_sgpr_queue_ptr 0
		.amdhsa_user_sgpr_kernarg_segment_ptr 1
		.amdhsa_user_sgpr_dispatch_id 0
		.amdhsa_user_sgpr_kernarg_preload_length 0
		.amdhsa_user_sgpr_kernarg_preload_offset 0
		.amdhsa_user_sgpr_private_segment_size 0
		.amdhsa_uses_dynamic_stack 0
		.amdhsa_enable_private_segment 0
		.amdhsa_system_sgpr_workgroup_id_x 1
		.amdhsa_system_sgpr_workgroup_id_y 0
		.amdhsa_system_sgpr_workgroup_id_z 0
		.amdhsa_system_sgpr_workgroup_info 0
		.amdhsa_system_vgpr_workitem_id 0
		.amdhsa_next_free_vgpr 1
		.amdhsa_next_free_sgpr 0
		.amdhsa_accum_offset 4
		.amdhsa_reserve_vcc 0
		.amdhsa_float_round_mode_32 0
		.amdhsa_float_round_mode_16_64 0
		.amdhsa_float_denorm_mode_32 3
		.amdhsa_float_denorm_mode_16_64 3
		.amdhsa_dx10_clamp 1
		.amdhsa_ieee_mode 1
		.amdhsa_fp16_overflow 0
		.amdhsa_tg_split 0
		.amdhsa_exception_fp_ieee_invalid_op 0
		.amdhsa_exception_fp_denorm_src 0
		.amdhsa_exception_fp_ieee_div_zero 0
		.amdhsa_exception_fp_ieee_overflow 0
		.amdhsa_exception_fp_ieee_underflow 0
		.amdhsa_exception_fp_ieee_inexact 0
		.amdhsa_exception_int_div_zero 0
	.end_amdhsa_kernel
	.section	.text._ZN7rocprim17ROCPRIM_400000_NS6detail17trampoline_kernelINS0_14default_configENS1_33run_length_encode_config_selectorIbjNS0_4plusIjEEEEZZNS1_33reduce_by_key_impl_wrapped_configILNS1_25lookback_scan_determinismE0ES3_S7_N6hipcub16HIPCUB_304000_NS22TransformInputIteratorIbN2at6native8internal12_GLOBAL__N_110LoadBoolOpEPKhlEENS0_17constant_iteratorIjlEEPbPlSO_S6_NS0_8equal_toIbEEEE10hipError_tPvRmT2_T3_mT4_T5_T6_T7_T8_P12ihipStream_tbENKUlT_T0_E_clISt17integral_constantIbLb0EES18_EEDaS13_S14_EUlS13_E_NS1_11comp_targetILNS1_3genE3ELNS1_11target_archE908ELNS1_3gpuE7ELNS1_3repE0EEENS1_30default_config_static_selectorELNS0_4arch9wavefront6targetE1EEEvT1_,"axG",@progbits,_ZN7rocprim17ROCPRIM_400000_NS6detail17trampoline_kernelINS0_14default_configENS1_33run_length_encode_config_selectorIbjNS0_4plusIjEEEEZZNS1_33reduce_by_key_impl_wrapped_configILNS1_25lookback_scan_determinismE0ES3_S7_N6hipcub16HIPCUB_304000_NS22TransformInputIteratorIbN2at6native8internal12_GLOBAL__N_110LoadBoolOpEPKhlEENS0_17constant_iteratorIjlEEPbPlSO_S6_NS0_8equal_toIbEEEE10hipError_tPvRmT2_T3_mT4_T5_T6_T7_T8_P12ihipStream_tbENKUlT_T0_E_clISt17integral_constantIbLb0EES18_EEDaS13_S14_EUlS13_E_NS1_11comp_targetILNS1_3genE3ELNS1_11target_archE908ELNS1_3gpuE7ELNS1_3repE0EEENS1_30default_config_static_selectorELNS0_4arch9wavefront6targetE1EEEvT1_,comdat
.Lfunc_end61:
	.size	_ZN7rocprim17ROCPRIM_400000_NS6detail17trampoline_kernelINS0_14default_configENS1_33run_length_encode_config_selectorIbjNS0_4plusIjEEEEZZNS1_33reduce_by_key_impl_wrapped_configILNS1_25lookback_scan_determinismE0ES3_S7_N6hipcub16HIPCUB_304000_NS22TransformInputIteratorIbN2at6native8internal12_GLOBAL__N_110LoadBoolOpEPKhlEENS0_17constant_iteratorIjlEEPbPlSO_S6_NS0_8equal_toIbEEEE10hipError_tPvRmT2_T3_mT4_T5_T6_T7_T8_P12ihipStream_tbENKUlT_T0_E_clISt17integral_constantIbLb0EES18_EEDaS13_S14_EUlS13_E_NS1_11comp_targetILNS1_3genE3ELNS1_11target_archE908ELNS1_3gpuE7ELNS1_3repE0EEENS1_30default_config_static_selectorELNS0_4arch9wavefront6targetE1EEEvT1_, .Lfunc_end61-_ZN7rocprim17ROCPRIM_400000_NS6detail17trampoline_kernelINS0_14default_configENS1_33run_length_encode_config_selectorIbjNS0_4plusIjEEEEZZNS1_33reduce_by_key_impl_wrapped_configILNS1_25lookback_scan_determinismE0ES3_S7_N6hipcub16HIPCUB_304000_NS22TransformInputIteratorIbN2at6native8internal12_GLOBAL__N_110LoadBoolOpEPKhlEENS0_17constant_iteratorIjlEEPbPlSO_S6_NS0_8equal_toIbEEEE10hipError_tPvRmT2_T3_mT4_T5_T6_T7_T8_P12ihipStream_tbENKUlT_T0_E_clISt17integral_constantIbLb0EES18_EEDaS13_S14_EUlS13_E_NS1_11comp_targetILNS1_3genE3ELNS1_11target_archE908ELNS1_3gpuE7ELNS1_3repE0EEENS1_30default_config_static_selectorELNS0_4arch9wavefront6targetE1EEEvT1_
                                        ; -- End function
	.section	.AMDGPU.csdata,"",@progbits
; Kernel info:
; codeLenInByte = 0
; NumSgprs: 6
; NumVgprs: 0
; NumAgprs: 0
; TotalNumVgprs: 0
; ScratchSize: 0
; MemoryBound: 0
; FloatMode: 240
; IeeeMode: 1
; LDSByteSize: 0 bytes/workgroup (compile time only)
; SGPRBlocks: 0
; VGPRBlocks: 0
; NumSGPRsForWavesPerEU: 6
; NumVGPRsForWavesPerEU: 1
; AccumOffset: 4
; Occupancy: 8
; WaveLimiterHint : 0
; COMPUTE_PGM_RSRC2:SCRATCH_EN: 0
; COMPUTE_PGM_RSRC2:USER_SGPR: 2
; COMPUTE_PGM_RSRC2:TRAP_HANDLER: 0
; COMPUTE_PGM_RSRC2:TGID_X_EN: 1
; COMPUTE_PGM_RSRC2:TGID_Y_EN: 0
; COMPUTE_PGM_RSRC2:TGID_Z_EN: 0
; COMPUTE_PGM_RSRC2:TIDIG_COMP_CNT: 0
; COMPUTE_PGM_RSRC3_GFX90A:ACCUM_OFFSET: 0
; COMPUTE_PGM_RSRC3_GFX90A:TG_SPLIT: 0
	.section	.text._ZN7rocprim17ROCPRIM_400000_NS6detail17trampoline_kernelINS0_14default_configENS1_33run_length_encode_config_selectorIbjNS0_4plusIjEEEEZZNS1_33reduce_by_key_impl_wrapped_configILNS1_25lookback_scan_determinismE0ES3_S7_N6hipcub16HIPCUB_304000_NS22TransformInputIteratorIbN2at6native8internal12_GLOBAL__N_110LoadBoolOpEPKhlEENS0_17constant_iteratorIjlEEPbPlSO_S6_NS0_8equal_toIbEEEE10hipError_tPvRmT2_T3_mT4_T5_T6_T7_T8_P12ihipStream_tbENKUlT_T0_E_clISt17integral_constantIbLb0EES18_EEDaS13_S14_EUlS13_E_NS1_11comp_targetILNS1_3genE2ELNS1_11target_archE906ELNS1_3gpuE6ELNS1_3repE0EEENS1_30default_config_static_selectorELNS0_4arch9wavefront6targetE1EEEvT1_,"axG",@progbits,_ZN7rocprim17ROCPRIM_400000_NS6detail17trampoline_kernelINS0_14default_configENS1_33run_length_encode_config_selectorIbjNS0_4plusIjEEEEZZNS1_33reduce_by_key_impl_wrapped_configILNS1_25lookback_scan_determinismE0ES3_S7_N6hipcub16HIPCUB_304000_NS22TransformInputIteratorIbN2at6native8internal12_GLOBAL__N_110LoadBoolOpEPKhlEENS0_17constant_iteratorIjlEEPbPlSO_S6_NS0_8equal_toIbEEEE10hipError_tPvRmT2_T3_mT4_T5_T6_T7_T8_P12ihipStream_tbENKUlT_T0_E_clISt17integral_constantIbLb0EES18_EEDaS13_S14_EUlS13_E_NS1_11comp_targetILNS1_3genE2ELNS1_11target_archE906ELNS1_3gpuE6ELNS1_3repE0EEENS1_30default_config_static_selectorELNS0_4arch9wavefront6targetE1EEEvT1_,comdat
	.globl	_ZN7rocprim17ROCPRIM_400000_NS6detail17trampoline_kernelINS0_14default_configENS1_33run_length_encode_config_selectorIbjNS0_4plusIjEEEEZZNS1_33reduce_by_key_impl_wrapped_configILNS1_25lookback_scan_determinismE0ES3_S7_N6hipcub16HIPCUB_304000_NS22TransformInputIteratorIbN2at6native8internal12_GLOBAL__N_110LoadBoolOpEPKhlEENS0_17constant_iteratorIjlEEPbPlSO_S6_NS0_8equal_toIbEEEE10hipError_tPvRmT2_T3_mT4_T5_T6_T7_T8_P12ihipStream_tbENKUlT_T0_E_clISt17integral_constantIbLb0EES18_EEDaS13_S14_EUlS13_E_NS1_11comp_targetILNS1_3genE2ELNS1_11target_archE906ELNS1_3gpuE6ELNS1_3repE0EEENS1_30default_config_static_selectorELNS0_4arch9wavefront6targetE1EEEvT1_ ; -- Begin function _ZN7rocprim17ROCPRIM_400000_NS6detail17trampoline_kernelINS0_14default_configENS1_33run_length_encode_config_selectorIbjNS0_4plusIjEEEEZZNS1_33reduce_by_key_impl_wrapped_configILNS1_25lookback_scan_determinismE0ES3_S7_N6hipcub16HIPCUB_304000_NS22TransformInputIteratorIbN2at6native8internal12_GLOBAL__N_110LoadBoolOpEPKhlEENS0_17constant_iteratorIjlEEPbPlSO_S6_NS0_8equal_toIbEEEE10hipError_tPvRmT2_T3_mT4_T5_T6_T7_T8_P12ihipStream_tbENKUlT_T0_E_clISt17integral_constantIbLb0EES18_EEDaS13_S14_EUlS13_E_NS1_11comp_targetILNS1_3genE2ELNS1_11target_archE906ELNS1_3gpuE6ELNS1_3repE0EEENS1_30default_config_static_selectorELNS0_4arch9wavefront6targetE1EEEvT1_
	.p2align	8
	.type	_ZN7rocprim17ROCPRIM_400000_NS6detail17trampoline_kernelINS0_14default_configENS1_33run_length_encode_config_selectorIbjNS0_4plusIjEEEEZZNS1_33reduce_by_key_impl_wrapped_configILNS1_25lookback_scan_determinismE0ES3_S7_N6hipcub16HIPCUB_304000_NS22TransformInputIteratorIbN2at6native8internal12_GLOBAL__N_110LoadBoolOpEPKhlEENS0_17constant_iteratorIjlEEPbPlSO_S6_NS0_8equal_toIbEEEE10hipError_tPvRmT2_T3_mT4_T5_T6_T7_T8_P12ihipStream_tbENKUlT_T0_E_clISt17integral_constantIbLb0EES18_EEDaS13_S14_EUlS13_E_NS1_11comp_targetILNS1_3genE2ELNS1_11target_archE906ELNS1_3gpuE6ELNS1_3repE0EEENS1_30default_config_static_selectorELNS0_4arch9wavefront6targetE1EEEvT1_,@function
_ZN7rocprim17ROCPRIM_400000_NS6detail17trampoline_kernelINS0_14default_configENS1_33run_length_encode_config_selectorIbjNS0_4plusIjEEEEZZNS1_33reduce_by_key_impl_wrapped_configILNS1_25lookback_scan_determinismE0ES3_S7_N6hipcub16HIPCUB_304000_NS22TransformInputIteratorIbN2at6native8internal12_GLOBAL__N_110LoadBoolOpEPKhlEENS0_17constant_iteratorIjlEEPbPlSO_S6_NS0_8equal_toIbEEEE10hipError_tPvRmT2_T3_mT4_T5_T6_T7_T8_P12ihipStream_tbENKUlT_T0_E_clISt17integral_constantIbLb0EES18_EEDaS13_S14_EUlS13_E_NS1_11comp_targetILNS1_3genE2ELNS1_11target_archE906ELNS1_3gpuE6ELNS1_3repE0EEENS1_30default_config_static_selectorELNS0_4arch9wavefront6targetE1EEEvT1_: ; @_ZN7rocprim17ROCPRIM_400000_NS6detail17trampoline_kernelINS0_14default_configENS1_33run_length_encode_config_selectorIbjNS0_4plusIjEEEEZZNS1_33reduce_by_key_impl_wrapped_configILNS1_25lookback_scan_determinismE0ES3_S7_N6hipcub16HIPCUB_304000_NS22TransformInputIteratorIbN2at6native8internal12_GLOBAL__N_110LoadBoolOpEPKhlEENS0_17constant_iteratorIjlEEPbPlSO_S6_NS0_8equal_toIbEEEE10hipError_tPvRmT2_T3_mT4_T5_T6_T7_T8_P12ihipStream_tbENKUlT_T0_E_clISt17integral_constantIbLb0EES18_EEDaS13_S14_EUlS13_E_NS1_11comp_targetILNS1_3genE2ELNS1_11target_archE906ELNS1_3gpuE6ELNS1_3repE0EEENS1_30default_config_static_selectorELNS0_4arch9wavefront6targetE1EEEvT1_
; %bb.0:
	.section	.rodata,"a",@progbits
	.p2align	6, 0x0
	.amdhsa_kernel _ZN7rocprim17ROCPRIM_400000_NS6detail17trampoline_kernelINS0_14default_configENS1_33run_length_encode_config_selectorIbjNS0_4plusIjEEEEZZNS1_33reduce_by_key_impl_wrapped_configILNS1_25lookback_scan_determinismE0ES3_S7_N6hipcub16HIPCUB_304000_NS22TransformInputIteratorIbN2at6native8internal12_GLOBAL__N_110LoadBoolOpEPKhlEENS0_17constant_iteratorIjlEEPbPlSO_S6_NS0_8equal_toIbEEEE10hipError_tPvRmT2_T3_mT4_T5_T6_T7_T8_P12ihipStream_tbENKUlT_T0_E_clISt17integral_constantIbLb0EES18_EEDaS13_S14_EUlS13_E_NS1_11comp_targetILNS1_3genE2ELNS1_11target_archE906ELNS1_3gpuE6ELNS1_3repE0EEENS1_30default_config_static_selectorELNS0_4arch9wavefront6targetE1EEEvT1_
		.amdhsa_group_segment_fixed_size 0
		.amdhsa_private_segment_fixed_size 0
		.amdhsa_kernarg_size 136
		.amdhsa_user_sgpr_count 2
		.amdhsa_user_sgpr_dispatch_ptr 0
		.amdhsa_user_sgpr_queue_ptr 0
		.amdhsa_user_sgpr_kernarg_segment_ptr 1
		.amdhsa_user_sgpr_dispatch_id 0
		.amdhsa_user_sgpr_kernarg_preload_length 0
		.amdhsa_user_sgpr_kernarg_preload_offset 0
		.amdhsa_user_sgpr_private_segment_size 0
		.amdhsa_uses_dynamic_stack 0
		.amdhsa_enable_private_segment 0
		.amdhsa_system_sgpr_workgroup_id_x 1
		.amdhsa_system_sgpr_workgroup_id_y 0
		.amdhsa_system_sgpr_workgroup_id_z 0
		.amdhsa_system_sgpr_workgroup_info 0
		.amdhsa_system_vgpr_workitem_id 0
		.amdhsa_next_free_vgpr 1
		.amdhsa_next_free_sgpr 0
		.amdhsa_accum_offset 4
		.amdhsa_reserve_vcc 0
		.amdhsa_float_round_mode_32 0
		.amdhsa_float_round_mode_16_64 0
		.amdhsa_float_denorm_mode_32 3
		.amdhsa_float_denorm_mode_16_64 3
		.amdhsa_dx10_clamp 1
		.amdhsa_ieee_mode 1
		.amdhsa_fp16_overflow 0
		.amdhsa_tg_split 0
		.amdhsa_exception_fp_ieee_invalid_op 0
		.amdhsa_exception_fp_denorm_src 0
		.amdhsa_exception_fp_ieee_div_zero 0
		.amdhsa_exception_fp_ieee_overflow 0
		.amdhsa_exception_fp_ieee_underflow 0
		.amdhsa_exception_fp_ieee_inexact 0
		.amdhsa_exception_int_div_zero 0
	.end_amdhsa_kernel
	.section	.text._ZN7rocprim17ROCPRIM_400000_NS6detail17trampoline_kernelINS0_14default_configENS1_33run_length_encode_config_selectorIbjNS0_4plusIjEEEEZZNS1_33reduce_by_key_impl_wrapped_configILNS1_25lookback_scan_determinismE0ES3_S7_N6hipcub16HIPCUB_304000_NS22TransformInputIteratorIbN2at6native8internal12_GLOBAL__N_110LoadBoolOpEPKhlEENS0_17constant_iteratorIjlEEPbPlSO_S6_NS0_8equal_toIbEEEE10hipError_tPvRmT2_T3_mT4_T5_T6_T7_T8_P12ihipStream_tbENKUlT_T0_E_clISt17integral_constantIbLb0EES18_EEDaS13_S14_EUlS13_E_NS1_11comp_targetILNS1_3genE2ELNS1_11target_archE906ELNS1_3gpuE6ELNS1_3repE0EEENS1_30default_config_static_selectorELNS0_4arch9wavefront6targetE1EEEvT1_,"axG",@progbits,_ZN7rocprim17ROCPRIM_400000_NS6detail17trampoline_kernelINS0_14default_configENS1_33run_length_encode_config_selectorIbjNS0_4plusIjEEEEZZNS1_33reduce_by_key_impl_wrapped_configILNS1_25lookback_scan_determinismE0ES3_S7_N6hipcub16HIPCUB_304000_NS22TransformInputIteratorIbN2at6native8internal12_GLOBAL__N_110LoadBoolOpEPKhlEENS0_17constant_iteratorIjlEEPbPlSO_S6_NS0_8equal_toIbEEEE10hipError_tPvRmT2_T3_mT4_T5_T6_T7_T8_P12ihipStream_tbENKUlT_T0_E_clISt17integral_constantIbLb0EES18_EEDaS13_S14_EUlS13_E_NS1_11comp_targetILNS1_3genE2ELNS1_11target_archE906ELNS1_3gpuE6ELNS1_3repE0EEENS1_30default_config_static_selectorELNS0_4arch9wavefront6targetE1EEEvT1_,comdat
.Lfunc_end62:
	.size	_ZN7rocprim17ROCPRIM_400000_NS6detail17trampoline_kernelINS0_14default_configENS1_33run_length_encode_config_selectorIbjNS0_4plusIjEEEEZZNS1_33reduce_by_key_impl_wrapped_configILNS1_25lookback_scan_determinismE0ES3_S7_N6hipcub16HIPCUB_304000_NS22TransformInputIteratorIbN2at6native8internal12_GLOBAL__N_110LoadBoolOpEPKhlEENS0_17constant_iteratorIjlEEPbPlSO_S6_NS0_8equal_toIbEEEE10hipError_tPvRmT2_T3_mT4_T5_T6_T7_T8_P12ihipStream_tbENKUlT_T0_E_clISt17integral_constantIbLb0EES18_EEDaS13_S14_EUlS13_E_NS1_11comp_targetILNS1_3genE2ELNS1_11target_archE906ELNS1_3gpuE6ELNS1_3repE0EEENS1_30default_config_static_selectorELNS0_4arch9wavefront6targetE1EEEvT1_, .Lfunc_end62-_ZN7rocprim17ROCPRIM_400000_NS6detail17trampoline_kernelINS0_14default_configENS1_33run_length_encode_config_selectorIbjNS0_4plusIjEEEEZZNS1_33reduce_by_key_impl_wrapped_configILNS1_25lookback_scan_determinismE0ES3_S7_N6hipcub16HIPCUB_304000_NS22TransformInputIteratorIbN2at6native8internal12_GLOBAL__N_110LoadBoolOpEPKhlEENS0_17constant_iteratorIjlEEPbPlSO_S6_NS0_8equal_toIbEEEE10hipError_tPvRmT2_T3_mT4_T5_T6_T7_T8_P12ihipStream_tbENKUlT_T0_E_clISt17integral_constantIbLb0EES18_EEDaS13_S14_EUlS13_E_NS1_11comp_targetILNS1_3genE2ELNS1_11target_archE906ELNS1_3gpuE6ELNS1_3repE0EEENS1_30default_config_static_selectorELNS0_4arch9wavefront6targetE1EEEvT1_
                                        ; -- End function
	.section	.AMDGPU.csdata,"",@progbits
; Kernel info:
; codeLenInByte = 0
; NumSgprs: 6
; NumVgprs: 0
; NumAgprs: 0
; TotalNumVgprs: 0
; ScratchSize: 0
; MemoryBound: 0
; FloatMode: 240
; IeeeMode: 1
; LDSByteSize: 0 bytes/workgroup (compile time only)
; SGPRBlocks: 0
; VGPRBlocks: 0
; NumSGPRsForWavesPerEU: 6
; NumVGPRsForWavesPerEU: 1
; AccumOffset: 4
; Occupancy: 8
; WaveLimiterHint : 0
; COMPUTE_PGM_RSRC2:SCRATCH_EN: 0
; COMPUTE_PGM_RSRC2:USER_SGPR: 2
; COMPUTE_PGM_RSRC2:TRAP_HANDLER: 0
; COMPUTE_PGM_RSRC2:TGID_X_EN: 1
; COMPUTE_PGM_RSRC2:TGID_Y_EN: 0
; COMPUTE_PGM_RSRC2:TGID_Z_EN: 0
; COMPUTE_PGM_RSRC2:TIDIG_COMP_CNT: 0
; COMPUTE_PGM_RSRC3_GFX90A:ACCUM_OFFSET: 0
; COMPUTE_PGM_RSRC3_GFX90A:TG_SPLIT: 0
	.section	.text._ZN7rocprim17ROCPRIM_400000_NS6detail17trampoline_kernelINS0_14default_configENS1_33run_length_encode_config_selectorIbjNS0_4plusIjEEEEZZNS1_33reduce_by_key_impl_wrapped_configILNS1_25lookback_scan_determinismE0ES3_S7_N6hipcub16HIPCUB_304000_NS22TransformInputIteratorIbN2at6native8internal12_GLOBAL__N_110LoadBoolOpEPKhlEENS0_17constant_iteratorIjlEEPbPlSO_S6_NS0_8equal_toIbEEEE10hipError_tPvRmT2_T3_mT4_T5_T6_T7_T8_P12ihipStream_tbENKUlT_T0_E_clISt17integral_constantIbLb0EES18_EEDaS13_S14_EUlS13_E_NS1_11comp_targetILNS1_3genE10ELNS1_11target_archE1201ELNS1_3gpuE5ELNS1_3repE0EEENS1_30default_config_static_selectorELNS0_4arch9wavefront6targetE1EEEvT1_,"axG",@progbits,_ZN7rocprim17ROCPRIM_400000_NS6detail17trampoline_kernelINS0_14default_configENS1_33run_length_encode_config_selectorIbjNS0_4plusIjEEEEZZNS1_33reduce_by_key_impl_wrapped_configILNS1_25lookback_scan_determinismE0ES3_S7_N6hipcub16HIPCUB_304000_NS22TransformInputIteratorIbN2at6native8internal12_GLOBAL__N_110LoadBoolOpEPKhlEENS0_17constant_iteratorIjlEEPbPlSO_S6_NS0_8equal_toIbEEEE10hipError_tPvRmT2_T3_mT4_T5_T6_T7_T8_P12ihipStream_tbENKUlT_T0_E_clISt17integral_constantIbLb0EES18_EEDaS13_S14_EUlS13_E_NS1_11comp_targetILNS1_3genE10ELNS1_11target_archE1201ELNS1_3gpuE5ELNS1_3repE0EEENS1_30default_config_static_selectorELNS0_4arch9wavefront6targetE1EEEvT1_,comdat
	.globl	_ZN7rocprim17ROCPRIM_400000_NS6detail17trampoline_kernelINS0_14default_configENS1_33run_length_encode_config_selectorIbjNS0_4plusIjEEEEZZNS1_33reduce_by_key_impl_wrapped_configILNS1_25lookback_scan_determinismE0ES3_S7_N6hipcub16HIPCUB_304000_NS22TransformInputIteratorIbN2at6native8internal12_GLOBAL__N_110LoadBoolOpEPKhlEENS0_17constant_iteratorIjlEEPbPlSO_S6_NS0_8equal_toIbEEEE10hipError_tPvRmT2_T3_mT4_T5_T6_T7_T8_P12ihipStream_tbENKUlT_T0_E_clISt17integral_constantIbLb0EES18_EEDaS13_S14_EUlS13_E_NS1_11comp_targetILNS1_3genE10ELNS1_11target_archE1201ELNS1_3gpuE5ELNS1_3repE0EEENS1_30default_config_static_selectorELNS0_4arch9wavefront6targetE1EEEvT1_ ; -- Begin function _ZN7rocprim17ROCPRIM_400000_NS6detail17trampoline_kernelINS0_14default_configENS1_33run_length_encode_config_selectorIbjNS0_4plusIjEEEEZZNS1_33reduce_by_key_impl_wrapped_configILNS1_25lookback_scan_determinismE0ES3_S7_N6hipcub16HIPCUB_304000_NS22TransformInputIteratorIbN2at6native8internal12_GLOBAL__N_110LoadBoolOpEPKhlEENS0_17constant_iteratorIjlEEPbPlSO_S6_NS0_8equal_toIbEEEE10hipError_tPvRmT2_T3_mT4_T5_T6_T7_T8_P12ihipStream_tbENKUlT_T0_E_clISt17integral_constantIbLb0EES18_EEDaS13_S14_EUlS13_E_NS1_11comp_targetILNS1_3genE10ELNS1_11target_archE1201ELNS1_3gpuE5ELNS1_3repE0EEENS1_30default_config_static_selectorELNS0_4arch9wavefront6targetE1EEEvT1_
	.p2align	8
	.type	_ZN7rocprim17ROCPRIM_400000_NS6detail17trampoline_kernelINS0_14default_configENS1_33run_length_encode_config_selectorIbjNS0_4plusIjEEEEZZNS1_33reduce_by_key_impl_wrapped_configILNS1_25lookback_scan_determinismE0ES3_S7_N6hipcub16HIPCUB_304000_NS22TransformInputIteratorIbN2at6native8internal12_GLOBAL__N_110LoadBoolOpEPKhlEENS0_17constant_iteratorIjlEEPbPlSO_S6_NS0_8equal_toIbEEEE10hipError_tPvRmT2_T3_mT4_T5_T6_T7_T8_P12ihipStream_tbENKUlT_T0_E_clISt17integral_constantIbLb0EES18_EEDaS13_S14_EUlS13_E_NS1_11comp_targetILNS1_3genE10ELNS1_11target_archE1201ELNS1_3gpuE5ELNS1_3repE0EEENS1_30default_config_static_selectorELNS0_4arch9wavefront6targetE1EEEvT1_,@function
_ZN7rocprim17ROCPRIM_400000_NS6detail17trampoline_kernelINS0_14default_configENS1_33run_length_encode_config_selectorIbjNS0_4plusIjEEEEZZNS1_33reduce_by_key_impl_wrapped_configILNS1_25lookback_scan_determinismE0ES3_S7_N6hipcub16HIPCUB_304000_NS22TransformInputIteratorIbN2at6native8internal12_GLOBAL__N_110LoadBoolOpEPKhlEENS0_17constant_iteratorIjlEEPbPlSO_S6_NS0_8equal_toIbEEEE10hipError_tPvRmT2_T3_mT4_T5_T6_T7_T8_P12ihipStream_tbENKUlT_T0_E_clISt17integral_constantIbLb0EES18_EEDaS13_S14_EUlS13_E_NS1_11comp_targetILNS1_3genE10ELNS1_11target_archE1201ELNS1_3gpuE5ELNS1_3repE0EEENS1_30default_config_static_selectorELNS0_4arch9wavefront6targetE1EEEvT1_: ; @_ZN7rocprim17ROCPRIM_400000_NS6detail17trampoline_kernelINS0_14default_configENS1_33run_length_encode_config_selectorIbjNS0_4plusIjEEEEZZNS1_33reduce_by_key_impl_wrapped_configILNS1_25lookback_scan_determinismE0ES3_S7_N6hipcub16HIPCUB_304000_NS22TransformInputIteratorIbN2at6native8internal12_GLOBAL__N_110LoadBoolOpEPKhlEENS0_17constant_iteratorIjlEEPbPlSO_S6_NS0_8equal_toIbEEEE10hipError_tPvRmT2_T3_mT4_T5_T6_T7_T8_P12ihipStream_tbENKUlT_T0_E_clISt17integral_constantIbLb0EES18_EEDaS13_S14_EUlS13_E_NS1_11comp_targetILNS1_3genE10ELNS1_11target_archE1201ELNS1_3gpuE5ELNS1_3repE0EEENS1_30default_config_static_selectorELNS0_4arch9wavefront6targetE1EEEvT1_
; %bb.0:
	.section	.rodata,"a",@progbits
	.p2align	6, 0x0
	.amdhsa_kernel _ZN7rocprim17ROCPRIM_400000_NS6detail17trampoline_kernelINS0_14default_configENS1_33run_length_encode_config_selectorIbjNS0_4plusIjEEEEZZNS1_33reduce_by_key_impl_wrapped_configILNS1_25lookback_scan_determinismE0ES3_S7_N6hipcub16HIPCUB_304000_NS22TransformInputIteratorIbN2at6native8internal12_GLOBAL__N_110LoadBoolOpEPKhlEENS0_17constant_iteratorIjlEEPbPlSO_S6_NS0_8equal_toIbEEEE10hipError_tPvRmT2_T3_mT4_T5_T6_T7_T8_P12ihipStream_tbENKUlT_T0_E_clISt17integral_constantIbLb0EES18_EEDaS13_S14_EUlS13_E_NS1_11comp_targetILNS1_3genE10ELNS1_11target_archE1201ELNS1_3gpuE5ELNS1_3repE0EEENS1_30default_config_static_selectorELNS0_4arch9wavefront6targetE1EEEvT1_
		.amdhsa_group_segment_fixed_size 0
		.amdhsa_private_segment_fixed_size 0
		.amdhsa_kernarg_size 136
		.amdhsa_user_sgpr_count 2
		.amdhsa_user_sgpr_dispatch_ptr 0
		.amdhsa_user_sgpr_queue_ptr 0
		.amdhsa_user_sgpr_kernarg_segment_ptr 1
		.amdhsa_user_sgpr_dispatch_id 0
		.amdhsa_user_sgpr_kernarg_preload_length 0
		.amdhsa_user_sgpr_kernarg_preload_offset 0
		.amdhsa_user_sgpr_private_segment_size 0
		.amdhsa_uses_dynamic_stack 0
		.amdhsa_enable_private_segment 0
		.amdhsa_system_sgpr_workgroup_id_x 1
		.amdhsa_system_sgpr_workgroup_id_y 0
		.amdhsa_system_sgpr_workgroup_id_z 0
		.amdhsa_system_sgpr_workgroup_info 0
		.amdhsa_system_vgpr_workitem_id 0
		.amdhsa_next_free_vgpr 1
		.amdhsa_next_free_sgpr 0
		.amdhsa_accum_offset 4
		.amdhsa_reserve_vcc 0
		.amdhsa_float_round_mode_32 0
		.amdhsa_float_round_mode_16_64 0
		.amdhsa_float_denorm_mode_32 3
		.amdhsa_float_denorm_mode_16_64 3
		.amdhsa_dx10_clamp 1
		.amdhsa_ieee_mode 1
		.amdhsa_fp16_overflow 0
		.amdhsa_tg_split 0
		.amdhsa_exception_fp_ieee_invalid_op 0
		.amdhsa_exception_fp_denorm_src 0
		.amdhsa_exception_fp_ieee_div_zero 0
		.amdhsa_exception_fp_ieee_overflow 0
		.amdhsa_exception_fp_ieee_underflow 0
		.amdhsa_exception_fp_ieee_inexact 0
		.amdhsa_exception_int_div_zero 0
	.end_amdhsa_kernel
	.section	.text._ZN7rocprim17ROCPRIM_400000_NS6detail17trampoline_kernelINS0_14default_configENS1_33run_length_encode_config_selectorIbjNS0_4plusIjEEEEZZNS1_33reduce_by_key_impl_wrapped_configILNS1_25lookback_scan_determinismE0ES3_S7_N6hipcub16HIPCUB_304000_NS22TransformInputIteratorIbN2at6native8internal12_GLOBAL__N_110LoadBoolOpEPKhlEENS0_17constant_iteratorIjlEEPbPlSO_S6_NS0_8equal_toIbEEEE10hipError_tPvRmT2_T3_mT4_T5_T6_T7_T8_P12ihipStream_tbENKUlT_T0_E_clISt17integral_constantIbLb0EES18_EEDaS13_S14_EUlS13_E_NS1_11comp_targetILNS1_3genE10ELNS1_11target_archE1201ELNS1_3gpuE5ELNS1_3repE0EEENS1_30default_config_static_selectorELNS0_4arch9wavefront6targetE1EEEvT1_,"axG",@progbits,_ZN7rocprim17ROCPRIM_400000_NS6detail17trampoline_kernelINS0_14default_configENS1_33run_length_encode_config_selectorIbjNS0_4plusIjEEEEZZNS1_33reduce_by_key_impl_wrapped_configILNS1_25lookback_scan_determinismE0ES3_S7_N6hipcub16HIPCUB_304000_NS22TransformInputIteratorIbN2at6native8internal12_GLOBAL__N_110LoadBoolOpEPKhlEENS0_17constant_iteratorIjlEEPbPlSO_S6_NS0_8equal_toIbEEEE10hipError_tPvRmT2_T3_mT4_T5_T6_T7_T8_P12ihipStream_tbENKUlT_T0_E_clISt17integral_constantIbLb0EES18_EEDaS13_S14_EUlS13_E_NS1_11comp_targetILNS1_3genE10ELNS1_11target_archE1201ELNS1_3gpuE5ELNS1_3repE0EEENS1_30default_config_static_selectorELNS0_4arch9wavefront6targetE1EEEvT1_,comdat
.Lfunc_end63:
	.size	_ZN7rocprim17ROCPRIM_400000_NS6detail17trampoline_kernelINS0_14default_configENS1_33run_length_encode_config_selectorIbjNS0_4plusIjEEEEZZNS1_33reduce_by_key_impl_wrapped_configILNS1_25lookback_scan_determinismE0ES3_S7_N6hipcub16HIPCUB_304000_NS22TransformInputIteratorIbN2at6native8internal12_GLOBAL__N_110LoadBoolOpEPKhlEENS0_17constant_iteratorIjlEEPbPlSO_S6_NS0_8equal_toIbEEEE10hipError_tPvRmT2_T3_mT4_T5_T6_T7_T8_P12ihipStream_tbENKUlT_T0_E_clISt17integral_constantIbLb0EES18_EEDaS13_S14_EUlS13_E_NS1_11comp_targetILNS1_3genE10ELNS1_11target_archE1201ELNS1_3gpuE5ELNS1_3repE0EEENS1_30default_config_static_selectorELNS0_4arch9wavefront6targetE1EEEvT1_, .Lfunc_end63-_ZN7rocprim17ROCPRIM_400000_NS6detail17trampoline_kernelINS0_14default_configENS1_33run_length_encode_config_selectorIbjNS0_4plusIjEEEEZZNS1_33reduce_by_key_impl_wrapped_configILNS1_25lookback_scan_determinismE0ES3_S7_N6hipcub16HIPCUB_304000_NS22TransformInputIteratorIbN2at6native8internal12_GLOBAL__N_110LoadBoolOpEPKhlEENS0_17constant_iteratorIjlEEPbPlSO_S6_NS0_8equal_toIbEEEE10hipError_tPvRmT2_T3_mT4_T5_T6_T7_T8_P12ihipStream_tbENKUlT_T0_E_clISt17integral_constantIbLb0EES18_EEDaS13_S14_EUlS13_E_NS1_11comp_targetILNS1_3genE10ELNS1_11target_archE1201ELNS1_3gpuE5ELNS1_3repE0EEENS1_30default_config_static_selectorELNS0_4arch9wavefront6targetE1EEEvT1_
                                        ; -- End function
	.section	.AMDGPU.csdata,"",@progbits
; Kernel info:
; codeLenInByte = 0
; NumSgprs: 6
; NumVgprs: 0
; NumAgprs: 0
; TotalNumVgprs: 0
; ScratchSize: 0
; MemoryBound: 0
; FloatMode: 240
; IeeeMode: 1
; LDSByteSize: 0 bytes/workgroup (compile time only)
; SGPRBlocks: 0
; VGPRBlocks: 0
; NumSGPRsForWavesPerEU: 6
; NumVGPRsForWavesPerEU: 1
; AccumOffset: 4
; Occupancy: 8
; WaveLimiterHint : 0
; COMPUTE_PGM_RSRC2:SCRATCH_EN: 0
; COMPUTE_PGM_RSRC2:USER_SGPR: 2
; COMPUTE_PGM_RSRC2:TRAP_HANDLER: 0
; COMPUTE_PGM_RSRC2:TGID_X_EN: 1
; COMPUTE_PGM_RSRC2:TGID_Y_EN: 0
; COMPUTE_PGM_RSRC2:TGID_Z_EN: 0
; COMPUTE_PGM_RSRC2:TIDIG_COMP_CNT: 0
; COMPUTE_PGM_RSRC3_GFX90A:ACCUM_OFFSET: 0
; COMPUTE_PGM_RSRC3_GFX90A:TG_SPLIT: 0
	.section	.text._ZN7rocprim17ROCPRIM_400000_NS6detail17trampoline_kernelINS0_14default_configENS1_33run_length_encode_config_selectorIbjNS0_4plusIjEEEEZZNS1_33reduce_by_key_impl_wrapped_configILNS1_25lookback_scan_determinismE0ES3_S7_N6hipcub16HIPCUB_304000_NS22TransformInputIteratorIbN2at6native8internal12_GLOBAL__N_110LoadBoolOpEPKhlEENS0_17constant_iteratorIjlEEPbPlSO_S6_NS0_8equal_toIbEEEE10hipError_tPvRmT2_T3_mT4_T5_T6_T7_T8_P12ihipStream_tbENKUlT_T0_E_clISt17integral_constantIbLb0EES18_EEDaS13_S14_EUlS13_E_NS1_11comp_targetILNS1_3genE10ELNS1_11target_archE1200ELNS1_3gpuE4ELNS1_3repE0EEENS1_30default_config_static_selectorELNS0_4arch9wavefront6targetE1EEEvT1_,"axG",@progbits,_ZN7rocprim17ROCPRIM_400000_NS6detail17trampoline_kernelINS0_14default_configENS1_33run_length_encode_config_selectorIbjNS0_4plusIjEEEEZZNS1_33reduce_by_key_impl_wrapped_configILNS1_25lookback_scan_determinismE0ES3_S7_N6hipcub16HIPCUB_304000_NS22TransformInputIteratorIbN2at6native8internal12_GLOBAL__N_110LoadBoolOpEPKhlEENS0_17constant_iteratorIjlEEPbPlSO_S6_NS0_8equal_toIbEEEE10hipError_tPvRmT2_T3_mT4_T5_T6_T7_T8_P12ihipStream_tbENKUlT_T0_E_clISt17integral_constantIbLb0EES18_EEDaS13_S14_EUlS13_E_NS1_11comp_targetILNS1_3genE10ELNS1_11target_archE1200ELNS1_3gpuE4ELNS1_3repE0EEENS1_30default_config_static_selectorELNS0_4arch9wavefront6targetE1EEEvT1_,comdat
	.globl	_ZN7rocprim17ROCPRIM_400000_NS6detail17trampoline_kernelINS0_14default_configENS1_33run_length_encode_config_selectorIbjNS0_4plusIjEEEEZZNS1_33reduce_by_key_impl_wrapped_configILNS1_25lookback_scan_determinismE0ES3_S7_N6hipcub16HIPCUB_304000_NS22TransformInputIteratorIbN2at6native8internal12_GLOBAL__N_110LoadBoolOpEPKhlEENS0_17constant_iteratorIjlEEPbPlSO_S6_NS0_8equal_toIbEEEE10hipError_tPvRmT2_T3_mT4_T5_T6_T7_T8_P12ihipStream_tbENKUlT_T0_E_clISt17integral_constantIbLb0EES18_EEDaS13_S14_EUlS13_E_NS1_11comp_targetILNS1_3genE10ELNS1_11target_archE1200ELNS1_3gpuE4ELNS1_3repE0EEENS1_30default_config_static_selectorELNS0_4arch9wavefront6targetE1EEEvT1_ ; -- Begin function _ZN7rocprim17ROCPRIM_400000_NS6detail17trampoline_kernelINS0_14default_configENS1_33run_length_encode_config_selectorIbjNS0_4plusIjEEEEZZNS1_33reduce_by_key_impl_wrapped_configILNS1_25lookback_scan_determinismE0ES3_S7_N6hipcub16HIPCUB_304000_NS22TransformInputIteratorIbN2at6native8internal12_GLOBAL__N_110LoadBoolOpEPKhlEENS0_17constant_iteratorIjlEEPbPlSO_S6_NS0_8equal_toIbEEEE10hipError_tPvRmT2_T3_mT4_T5_T6_T7_T8_P12ihipStream_tbENKUlT_T0_E_clISt17integral_constantIbLb0EES18_EEDaS13_S14_EUlS13_E_NS1_11comp_targetILNS1_3genE10ELNS1_11target_archE1200ELNS1_3gpuE4ELNS1_3repE0EEENS1_30default_config_static_selectorELNS0_4arch9wavefront6targetE1EEEvT1_
	.p2align	8
	.type	_ZN7rocprim17ROCPRIM_400000_NS6detail17trampoline_kernelINS0_14default_configENS1_33run_length_encode_config_selectorIbjNS0_4plusIjEEEEZZNS1_33reduce_by_key_impl_wrapped_configILNS1_25lookback_scan_determinismE0ES3_S7_N6hipcub16HIPCUB_304000_NS22TransformInputIteratorIbN2at6native8internal12_GLOBAL__N_110LoadBoolOpEPKhlEENS0_17constant_iteratorIjlEEPbPlSO_S6_NS0_8equal_toIbEEEE10hipError_tPvRmT2_T3_mT4_T5_T6_T7_T8_P12ihipStream_tbENKUlT_T0_E_clISt17integral_constantIbLb0EES18_EEDaS13_S14_EUlS13_E_NS1_11comp_targetILNS1_3genE10ELNS1_11target_archE1200ELNS1_3gpuE4ELNS1_3repE0EEENS1_30default_config_static_selectorELNS0_4arch9wavefront6targetE1EEEvT1_,@function
_ZN7rocprim17ROCPRIM_400000_NS6detail17trampoline_kernelINS0_14default_configENS1_33run_length_encode_config_selectorIbjNS0_4plusIjEEEEZZNS1_33reduce_by_key_impl_wrapped_configILNS1_25lookback_scan_determinismE0ES3_S7_N6hipcub16HIPCUB_304000_NS22TransformInputIteratorIbN2at6native8internal12_GLOBAL__N_110LoadBoolOpEPKhlEENS0_17constant_iteratorIjlEEPbPlSO_S6_NS0_8equal_toIbEEEE10hipError_tPvRmT2_T3_mT4_T5_T6_T7_T8_P12ihipStream_tbENKUlT_T0_E_clISt17integral_constantIbLb0EES18_EEDaS13_S14_EUlS13_E_NS1_11comp_targetILNS1_3genE10ELNS1_11target_archE1200ELNS1_3gpuE4ELNS1_3repE0EEENS1_30default_config_static_selectorELNS0_4arch9wavefront6targetE1EEEvT1_: ; @_ZN7rocprim17ROCPRIM_400000_NS6detail17trampoline_kernelINS0_14default_configENS1_33run_length_encode_config_selectorIbjNS0_4plusIjEEEEZZNS1_33reduce_by_key_impl_wrapped_configILNS1_25lookback_scan_determinismE0ES3_S7_N6hipcub16HIPCUB_304000_NS22TransformInputIteratorIbN2at6native8internal12_GLOBAL__N_110LoadBoolOpEPKhlEENS0_17constant_iteratorIjlEEPbPlSO_S6_NS0_8equal_toIbEEEE10hipError_tPvRmT2_T3_mT4_T5_T6_T7_T8_P12ihipStream_tbENKUlT_T0_E_clISt17integral_constantIbLb0EES18_EEDaS13_S14_EUlS13_E_NS1_11comp_targetILNS1_3genE10ELNS1_11target_archE1200ELNS1_3gpuE4ELNS1_3repE0EEENS1_30default_config_static_selectorELNS0_4arch9wavefront6targetE1EEEvT1_
; %bb.0:
	.section	.rodata,"a",@progbits
	.p2align	6, 0x0
	.amdhsa_kernel _ZN7rocprim17ROCPRIM_400000_NS6detail17trampoline_kernelINS0_14default_configENS1_33run_length_encode_config_selectorIbjNS0_4plusIjEEEEZZNS1_33reduce_by_key_impl_wrapped_configILNS1_25lookback_scan_determinismE0ES3_S7_N6hipcub16HIPCUB_304000_NS22TransformInputIteratorIbN2at6native8internal12_GLOBAL__N_110LoadBoolOpEPKhlEENS0_17constant_iteratorIjlEEPbPlSO_S6_NS0_8equal_toIbEEEE10hipError_tPvRmT2_T3_mT4_T5_T6_T7_T8_P12ihipStream_tbENKUlT_T0_E_clISt17integral_constantIbLb0EES18_EEDaS13_S14_EUlS13_E_NS1_11comp_targetILNS1_3genE10ELNS1_11target_archE1200ELNS1_3gpuE4ELNS1_3repE0EEENS1_30default_config_static_selectorELNS0_4arch9wavefront6targetE1EEEvT1_
		.amdhsa_group_segment_fixed_size 0
		.amdhsa_private_segment_fixed_size 0
		.amdhsa_kernarg_size 136
		.amdhsa_user_sgpr_count 2
		.amdhsa_user_sgpr_dispatch_ptr 0
		.amdhsa_user_sgpr_queue_ptr 0
		.amdhsa_user_sgpr_kernarg_segment_ptr 1
		.amdhsa_user_sgpr_dispatch_id 0
		.amdhsa_user_sgpr_kernarg_preload_length 0
		.amdhsa_user_sgpr_kernarg_preload_offset 0
		.amdhsa_user_sgpr_private_segment_size 0
		.amdhsa_uses_dynamic_stack 0
		.amdhsa_enable_private_segment 0
		.amdhsa_system_sgpr_workgroup_id_x 1
		.amdhsa_system_sgpr_workgroup_id_y 0
		.amdhsa_system_sgpr_workgroup_id_z 0
		.amdhsa_system_sgpr_workgroup_info 0
		.amdhsa_system_vgpr_workitem_id 0
		.amdhsa_next_free_vgpr 1
		.amdhsa_next_free_sgpr 0
		.amdhsa_accum_offset 4
		.amdhsa_reserve_vcc 0
		.amdhsa_float_round_mode_32 0
		.amdhsa_float_round_mode_16_64 0
		.amdhsa_float_denorm_mode_32 3
		.amdhsa_float_denorm_mode_16_64 3
		.amdhsa_dx10_clamp 1
		.amdhsa_ieee_mode 1
		.amdhsa_fp16_overflow 0
		.amdhsa_tg_split 0
		.amdhsa_exception_fp_ieee_invalid_op 0
		.amdhsa_exception_fp_denorm_src 0
		.amdhsa_exception_fp_ieee_div_zero 0
		.amdhsa_exception_fp_ieee_overflow 0
		.amdhsa_exception_fp_ieee_underflow 0
		.amdhsa_exception_fp_ieee_inexact 0
		.amdhsa_exception_int_div_zero 0
	.end_amdhsa_kernel
	.section	.text._ZN7rocprim17ROCPRIM_400000_NS6detail17trampoline_kernelINS0_14default_configENS1_33run_length_encode_config_selectorIbjNS0_4plusIjEEEEZZNS1_33reduce_by_key_impl_wrapped_configILNS1_25lookback_scan_determinismE0ES3_S7_N6hipcub16HIPCUB_304000_NS22TransformInputIteratorIbN2at6native8internal12_GLOBAL__N_110LoadBoolOpEPKhlEENS0_17constant_iteratorIjlEEPbPlSO_S6_NS0_8equal_toIbEEEE10hipError_tPvRmT2_T3_mT4_T5_T6_T7_T8_P12ihipStream_tbENKUlT_T0_E_clISt17integral_constantIbLb0EES18_EEDaS13_S14_EUlS13_E_NS1_11comp_targetILNS1_3genE10ELNS1_11target_archE1200ELNS1_3gpuE4ELNS1_3repE0EEENS1_30default_config_static_selectorELNS0_4arch9wavefront6targetE1EEEvT1_,"axG",@progbits,_ZN7rocprim17ROCPRIM_400000_NS6detail17trampoline_kernelINS0_14default_configENS1_33run_length_encode_config_selectorIbjNS0_4plusIjEEEEZZNS1_33reduce_by_key_impl_wrapped_configILNS1_25lookback_scan_determinismE0ES3_S7_N6hipcub16HIPCUB_304000_NS22TransformInputIteratorIbN2at6native8internal12_GLOBAL__N_110LoadBoolOpEPKhlEENS0_17constant_iteratorIjlEEPbPlSO_S6_NS0_8equal_toIbEEEE10hipError_tPvRmT2_T3_mT4_T5_T6_T7_T8_P12ihipStream_tbENKUlT_T0_E_clISt17integral_constantIbLb0EES18_EEDaS13_S14_EUlS13_E_NS1_11comp_targetILNS1_3genE10ELNS1_11target_archE1200ELNS1_3gpuE4ELNS1_3repE0EEENS1_30default_config_static_selectorELNS0_4arch9wavefront6targetE1EEEvT1_,comdat
.Lfunc_end64:
	.size	_ZN7rocprim17ROCPRIM_400000_NS6detail17trampoline_kernelINS0_14default_configENS1_33run_length_encode_config_selectorIbjNS0_4plusIjEEEEZZNS1_33reduce_by_key_impl_wrapped_configILNS1_25lookback_scan_determinismE0ES3_S7_N6hipcub16HIPCUB_304000_NS22TransformInputIteratorIbN2at6native8internal12_GLOBAL__N_110LoadBoolOpEPKhlEENS0_17constant_iteratorIjlEEPbPlSO_S6_NS0_8equal_toIbEEEE10hipError_tPvRmT2_T3_mT4_T5_T6_T7_T8_P12ihipStream_tbENKUlT_T0_E_clISt17integral_constantIbLb0EES18_EEDaS13_S14_EUlS13_E_NS1_11comp_targetILNS1_3genE10ELNS1_11target_archE1200ELNS1_3gpuE4ELNS1_3repE0EEENS1_30default_config_static_selectorELNS0_4arch9wavefront6targetE1EEEvT1_, .Lfunc_end64-_ZN7rocprim17ROCPRIM_400000_NS6detail17trampoline_kernelINS0_14default_configENS1_33run_length_encode_config_selectorIbjNS0_4plusIjEEEEZZNS1_33reduce_by_key_impl_wrapped_configILNS1_25lookback_scan_determinismE0ES3_S7_N6hipcub16HIPCUB_304000_NS22TransformInputIteratorIbN2at6native8internal12_GLOBAL__N_110LoadBoolOpEPKhlEENS0_17constant_iteratorIjlEEPbPlSO_S6_NS0_8equal_toIbEEEE10hipError_tPvRmT2_T3_mT4_T5_T6_T7_T8_P12ihipStream_tbENKUlT_T0_E_clISt17integral_constantIbLb0EES18_EEDaS13_S14_EUlS13_E_NS1_11comp_targetILNS1_3genE10ELNS1_11target_archE1200ELNS1_3gpuE4ELNS1_3repE0EEENS1_30default_config_static_selectorELNS0_4arch9wavefront6targetE1EEEvT1_
                                        ; -- End function
	.section	.AMDGPU.csdata,"",@progbits
; Kernel info:
; codeLenInByte = 0
; NumSgprs: 6
; NumVgprs: 0
; NumAgprs: 0
; TotalNumVgprs: 0
; ScratchSize: 0
; MemoryBound: 0
; FloatMode: 240
; IeeeMode: 1
; LDSByteSize: 0 bytes/workgroup (compile time only)
; SGPRBlocks: 0
; VGPRBlocks: 0
; NumSGPRsForWavesPerEU: 6
; NumVGPRsForWavesPerEU: 1
; AccumOffset: 4
; Occupancy: 8
; WaveLimiterHint : 0
; COMPUTE_PGM_RSRC2:SCRATCH_EN: 0
; COMPUTE_PGM_RSRC2:USER_SGPR: 2
; COMPUTE_PGM_RSRC2:TRAP_HANDLER: 0
; COMPUTE_PGM_RSRC2:TGID_X_EN: 1
; COMPUTE_PGM_RSRC2:TGID_Y_EN: 0
; COMPUTE_PGM_RSRC2:TGID_Z_EN: 0
; COMPUTE_PGM_RSRC2:TIDIG_COMP_CNT: 0
; COMPUTE_PGM_RSRC3_GFX90A:ACCUM_OFFSET: 0
; COMPUTE_PGM_RSRC3_GFX90A:TG_SPLIT: 0
	.section	.text._ZN7rocprim17ROCPRIM_400000_NS6detail17trampoline_kernelINS0_14default_configENS1_33run_length_encode_config_selectorIbjNS0_4plusIjEEEEZZNS1_33reduce_by_key_impl_wrapped_configILNS1_25lookback_scan_determinismE0ES3_S7_N6hipcub16HIPCUB_304000_NS22TransformInputIteratorIbN2at6native8internal12_GLOBAL__N_110LoadBoolOpEPKhlEENS0_17constant_iteratorIjlEEPbPlSO_S6_NS0_8equal_toIbEEEE10hipError_tPvRmT2_T3_mT4_T5_T6_T7_T8_P12ihipStream_tbENKUlT_T0_E_clISt17integral_constantIbLb0EES18_EEDaS13_S14_EUlS13_E_NS1_11comp_targetILNS1_3genE9ELNS1_11target_archE1100ELNS1_3gpuE3ELNS1_3repE0EEENS1_30default_config_static_selectorELNS0_4arch9wavefront6targetE1EEEvT1_,"axG",@progbits,_ZN7rocprim17ROCPRIM_400000_NS6detail17trampoline_kernelINS0_14default_configENS1_33run_length_encode_config_selectorIbjNS0_4plusIjEEEEZZNS1_33reduce_by_key_impl_wrapped_configILNS1_25lookback_scan_determinismE0ES3_S7_N6hipcub16HIPCUB_304000_NS22TransformInputIteratorIbN2at6native8internal12_GLOBAL__N_110LoadBoolOpEPKhlEENS0_17constant_iteratorIjlEEPbPlSO_S6_NS0_8equal_toIbEEEE10hipError_tPvRmT2_T3_mT4_T5_T6_T7_T8_P12ihipStream_tbENKUlT_T0_E_clISt17integral_constantIbLb0EES18_EEDaS13_S14_EUlS13_E_NS1_11comp_targetILNS1_3genE9ELNS1_11target_archE1100ELNS1_3gpuE3ELNS1_3repE0EEENS1_30default_config_static_selectorELNS0_4arch9wavefront6targetE1EEEvT1_,comdat
	.globl	_ZN7rocprim17ROCPRIM_400000_NS6detail17trampoline_kernelINS0_14default_configENS1_33run_length_encode_config_selectorIbjNS0_4plusIjEEEEZZNS1_33reduce_by_key_impl_wrapped_configILNS1_25lookback_scan_determinismE0ES3_S7_N6hipcub16HIPCUB_304000_NS22TransformInputIteratorIbN2at6native8internal12_GLOBAL__N_110LoadBoolOpEPKhlEENS0_17constant_iteratorIjlEEPbPlSO_S6_NS0_8equal_toIbEEEE10hipError_tPvRmT2_T3_mT4_T5_T6_T7_T8_P12ihipStream_tbENKUlT_T0_E_clISt17integral_constantIbLb0EES18_EEDaS13_S14_EUlS13_E_NS1_11comp_targetILNS1_3genE9ELNS1_11target_archE1100ELNS1_3gpuE3ELNS1_3repE0EEENS1_30default_config_static_selectorELNS0_4arch9wavefront6targetE1EEEvT1_ ; -- Begin function _ZN7rocprim17ROCPRIM_400000_NS6detail17trampoline_kernelINS0_14default_configENS1_33run_length_encode_config_selectorIbjNS0_4plusIjEEEEZZNS1_33reduce_by_key_impl_wrapped_configILNS1_25lookback_scan_determinismE0ES3_S7_N6hipcub16HIPCUB_304000_NS22TransformInputIteratorIbN2at6native8internal12_GLOBAL__N_110LoadBoolOpEPKhlEENS0_17constant_iteratorIjlEEPbPlSO_S6_NS0_8equal_toIbEEEE10hipError_tPvRmT2_T3_mT4_T5_T6_T7_T8_P12ihipStream_tbENKUlT_T0_E_clISt17integral_constantIbLb0EES18_EEDaS13_S14_EUlS13_E_NS1_11comp_targetILNS1_3genE9ELNS1_11target_archE1100ELNS1_3gpuE3ELNS1_3repE0EEENS1_30default_config_static_selectorELNS0_4arch9wavefront6targetE1EEEvT1_
	.p2align	8
	.type	_ZN7rocprim17ROCPRIM_400000_NS6detail17trampoline_kernelINS0_14default_configENS1_33run_length_encode_config_selectorIbjNS0_4plusIjEEEEZZNS1_33reduce_by_key_impl_wrapped_configILNS1_25lookback_scan_determinismE0ES3_S7_N6hipcub16HIPCUB_304000_NS22TransformInputIteratorIbN2at6native8internal12_GLOBAL__N_110LoadBoolOpEPKhlEENS0_17constant_iteratorIjlEEPbPlSO_S6_NS0_8equal_toIbEEEE10hipError_tPvRmT2_T3_mT4_T5_T6_T7_T8_P12ihipStream_tbENKUlT_T0_E_clISt17integral_constantIbLb0EES18_EEDaS13_S14_EUlS13_E_NS1_11comp_targetILNS1_3genE9ELNS1_11target_archE1100ELNS1_3gpuE3ELNS1_3repE0EEENS1_30default_config_static_selectorELNS0_4arch9wavefront6targetE1EEEvT1_,@function
_ZN7rocprim17ROCPRIM_400000_NS6detail17trampoline_kernelINS0_14default_configENS1_33run_length_encode_config_selectorIbjNS0_4plusIjEEEEZZNS1_33reduce_by_key_impl_wrapped_configILNS1_25lookback_scan_determinismE0ES3_S7_N6hipcub16HIPCUB_304000_NS22TransformInputIteratorIbN2at6native8internal12_GLOBAL__N_110LoadBoolOpEPKhlEENS0_17constant_iteratorIjlEEPbPlSO_S6_NS0_8equal_toIbEEEE10hipError_tPvRmT2_T3_mT4_T5_T6_T7_T8_P12ihipStream_tbENKUlT_T0_E_clISt17integral_constantIbLb0EES18_EEDaS13_S14_EUlS13_E_NS1_11comp_targetILNS1_3genE9ELNS1_11target_archE1100ELNS1_3gpuE3ELNS1_3repE0EEENS1_30default_config_static_selectorELNS0_4arch9wavefront6targetE1EEEvT1_: ; @_ZN7rocprim17ROCPRIM_400000_NS6detail17trampoline_kernelINS0_14default_configENS1_33run_length_encode_config_selectorIbjNS0_4plusIjEEEEZZNS1_33reduce_by_key_impl_wrapped_configILNS1_25lookback_scan_determinismE0ES3_S7_N6hipcub16HIPCUB_304000_NS22TransformInputIteratorIbN2at6native8internal12_GLOBAL__N_110LoadBoolOpEPKhlEENS0_17constant_iteratorIjlEEPbPlSO_S6_NS0_8equal_toIbEEEE10hipError_tPvRmT2_T3_mT4_T5_T6_T7_T8_P12ihipStream_tbENKUlT_T0_E_clISt17integral_constantIbLb0EES18_EEDaS13_S14_EUlS13_E_NS1_11comp_targetILNS1_3genE9ELNS1_11target_archE1100ELNS1_3gpuE3ELNS1_3repE0EEENS1_30default_config_static_selectorELNS0_4arch9wavefront6targetE1EEEvT1_
; %bb.0:
	.section	.rodata,"a",@progbits
	.p2align	6, 0x0
	.amdhsa_kernel _ZN7rocprim17ROCPRIM_400000_NS6detail17trampoline_kernelINS0_14default_configENS1_33run_length_encode_config_selectorIbjNS0_4plusIjEEEEZZNS1_33reduce_by_key_impl_wrapped_configILNS1_25lookback_scan_determinismE0ES3_S7_N6hipcub16HIPCUB_304000_NS22TransformInputIteratorIbN2at6native8internal12_GLOBAL__N_110LoadBoolOpEPKhlEENS0_17constant_iteratorIjlEEPbPlSO_S6_NS0_8equal_toIbEEEE10hipError_tPvRmT2_T3_mT4_T5_T6_T7_T8_P12ihipStream_tbENKUlT_T0_E_clISt17integral_constantIbLb0EES18_EEDaS13_S14_EUlS13_E_NS1_11comp_targetILNS1_3genE9ELNS1_11target_archE1100ELNS1_3gpuE3ELNS1_3repE0EEENS1_30default_config_static_selectorELNS0_4arch9wavefront6targetE1EEEvT1_
		.amdhsa_group_segment_fixed_size 0
		.amdhsa_private_segment_fixed_size 0
		.amdhsa_kernarg_size 136
		.amdhsa_user_sgpr_count 2
		.amdhsa_user_sgpr_dispatch_ptr 0
		.amdhsa_user_sgpr_queue_ptr 0
		.amdhsa_user_sgpr_kernarg_segment_ptr 1
		.amdhsa_user_sgpr_dispatch_id 0
		.amdhsa_user_sgpr_kernarg_preload_length 0
		.amdhsa_user_sgpr_kernarg_preload_offset 0
		.amdhsa_user_sgpr_private_segment_size 0
		.amdhsa_uses_dynamic_stack 0
		.amdhsa_enable_private_segment 0
		.amdhsa_system_sgpr_workgroup_id_x 1
		.amdhsa_system_sgpr_workgroup_id_y 0
		.amdhsa_system_sgpr_workgroup_id_z 0
		.amdhsa_system_sgpr_workgroup_info 0
		.amdhsa_system_vgpr_workitem_id 0
		.amdhsa_next_free_vgpr 1
		.amdhsa_next_free_sgpr 0
		.amdhsa_accum_offset 4
		.amdhsa_reserve_vcc 0
		.amdhsa_float_round_mode_32 0
		.amdhsa_float_round_mode_16_64 0
		.amdhsa_float_denorm_mode_32 3
		.amdhsa_float_denorm_mode_16_64 3
		.amdhsa_dx10_clamp 1
		.amdhsa_ieee_mode 1
		.amdhsa_fp16_overflow 0
		.amdhsa_tg_split 0
		.amdhsa_exception_fp_ieee_invalid_op 0
		.amdhsa_exception_fp_denorm_src 0
		.amdhsa_exception_fp_ieee_div_zero 0
		.amdhsa_exception_fp_ieee_overflow 0
		.amdhsa_exception_fp_ieee_underflow 0
		.amdhsa_exception_fp_ieee_inexact 0
		.amdhsa_exception_int_div_zero 0
	.end_amdhsa_kernel
	.section	.text._ZN7rocprim17ROCPRIM_400000_NS6detail17trampoline_kernelINS0_14default_configENS1_33run_length_encode_config_selectorIbjNS0_4plusIjEEEEZZNS1_33reduce_by_key_impl_wrapped_configILNS1_25lookback_scan_determinismE0ES3_S7_N6hipcub16HIPCUB_304000_NS22TransformInputIteratorIbN2at6native8internal12_GLOBAL__N_110LoadBoolOpEPKhlEENS0_17constant_iteratorIjlEEPbPlSO_S6_NS0_8equal_toIbEEEE10hipError_tPvRmT2_T3_mT4_T5_T6_T7_T8_P12ihipStream_tbENKUlT_T0_E_clISt17integral_constantIbLb0EES18_EEDaS13_S14_EUlS13_E_NS1_11comp_targetILNS1_3genE9ELNS1_11target_archE1100ELNS1_3gpuE3ELNS1_3repE0EEENS1_30default_config_static_selectorELNS0_4arch9wavefront6targetE1EEEvT1_,"axG",@progbits,_ZN7rocprim17ROCPRIM_400000_NS6detail17trampoline_kernelINS0_14default_configENS1_33run_length_encode_config_selectorIbjNS0_4plusIjEEEEZZNS1_33reduce_by_key_impl_wrapped_configILNS1_25lookback_scan_determinismE0ES3_S7_N6hipcub16HIPCUB_304000_NS22TransformInputIteratorIbN2at6native8internal12_GLOBAL__N_110LoadBoolOpEPKhlEENS0_17constant_iteratorIjlEEPbPlSO_S6_NS0_8equal_toIbEEEE10hipError_tPvRmT2_T3_mT4_T5_T6_T7_T8_P12ihipStream_tbENKUlT_T0_E_clISt17integral_constantIbLb0EES18_EEDaS13_S14_EUlS13_E_NS1_11comp_targetILNS1_3genE9ELNS1_11target_archE1100ELNS1_3gpuE3ELNS1_3repE0EEENS1_30default_config_static_selectorELNS0_4arch9wavefront6targetE1EEEvT1_,comdat
.Lfunc_end65:
	.size	_ZN7rocprim17ROCPRIM_400000_NS6detail17trampoline_kernelINS0_14default_configENS1_33run_length_encode_config_selectorIbjNS0_4plusIjEEEEZZNS1_33reduce_by_key_impl_wrapped_configILNS1_25lookback_scan_determinismE0ES3_S7_N6hipcub16HIPCUB_304000_NS22TransformInputIteratorIbN2at6native8internal12_GLOBAL__N_110LoadBoolOpEPKhlEENS0_17constant_iteratorIjlEEPbPlSO_S6_NS0_8equal_toIbEEEE10hipError_tPvRmT2_T3_mT4_T5_T6_T7_T8_P12ihipStream_tbENKUlT_T0_E_clISt17integral_constantIbLb0EES18_EEDaS13_S14_EUlS13_E_NS1_11comp_targetILNS1_3genE9ELNS1_11target_archE1100ELNS1_3gpuE3ELNS1_3repE0EEENS1_30default_config_static_selectorELNS0_4arch9wavefront6targetE1EEEvT1_, .Lfunc_end65-_ZN7rocprim17ROCPRIM_400000_NS6detail17trampoline_kernelINS0_14default_configENS1_33run_length_encode_config_selectorIbjNS0_4plusIjEEEEZZNS1_33reduce_by_key_impl_wrapped_configILNS1_25lookback_scan_determinismE0ES3_S7_N6hipcub16HIPCUB_304000_NS22TransformInputIteratorIbN2at6native8internal12_GLOBAL__N_110LoadBoolOpEPKhlEENS0_17constant_iteratorIjlEEPbPlSO_S6_NS0_8equal_toIbEEEE10hipError_tPvRmT2_T3_mT4_T5_T6_T7_T8_P12ihipStream_tbENKUlT_T0_E_clISt17integral_constantIbLb0EES18_EEDaS13_S14_EUlS13_E_NS1_11comp_targetILNS1_3genE9ELNS1_11target_archE1100ELNS1_3gpuE3ELNS1_3repE0EEENS1_30default_config_static_selectorELNS0_4arch9wavefront6targetE1EEEvT1_
                                        ; -- End function
	.section	.AMDGPU.csdata,"",@progbits
; Kernel info:
; codeLenInByte = 0
; NumSgprs: 6
; NumVgprs: 0
; NumAgprs: 0
; TotalNumVgprs: 0
; ScratchSize: 0
; MemoryBound: 0
; FloatMode: 240
; IeeeMode: 1
; LDSByteSize: 0 bytes/workgroup (compile time only)
; SGPRBlocks: 0
; VGPRBlocks: 0
; NumSGPRsForWavesPerEU: 6
; NumVGPRsForWavesPerEU: 1
; AccumOffset: 4
; Occupancy: 8
; WaveLimiterHint : 0
; COMPUTE_PGM_RSRC2:SCRATCH_EN: 0
; COMPUTE_PGM_RSRC2:USER_SGPR: 2
; COMPUTE_PGM_RSRC2:TRAP_HANDLER: 0
; COMPUTE_PGM_RSRC2:TGID_X_EN: 1
; COMPUTE_PGM_RSRC2:TGID_Y_EN: 0
; COMPUTE_PGM_RSRC2:TGID_Z_EN: 0
; COMPUTE_PGM_RSRC2:TIDIG_COMP_CNT: 0
; COMPUTE_PGM_RSRC3_GFX90A:ACCUM_OFFSET: 0
; COMPUTE_PGM_RSRC3_GFX90A:TG_SPLIT: 0
	.section	.text._ZN7rocprim17ROCPRIM_400000_NS6detail17trampoline_kernelINS0_14default_configENS1_33run_length_encode_config_selectorIbjNS0_4plusIjEEEEZZNS1_33reduce_by_key_impl_wrapped_configILNS1_25lookback_scan_determinismE0ES3_S7_N6hipcub16HIPCUB_304000_NS22TransformInputIteratorIbN2at6native8internal12_GLOBAL__N_110LoadBoolOpEPKhlEENS0_17constant_iteratorIjlEEPbPlSO_S6_NS0_8equal_toIbEEEE10hipError_tPvRmT2_T3_mT4_T5_T6_T7_T8_P12ihipStream_tbENKUlT_T0_E_clISt17integral_constantIbLb0EES18_EEDaS13_S14_EUlS13_E_NS1_11comp_targetILNS1_3genE8ELNS1_11target_archE1030ELNS1_3gpuE2ELNS1_3repE0EEENS1_30default_config_static_selectorELNS0_4arch9wavefront6targetE1EEEvT1_,"axG",@progbits,_ZN7rocprim17ROCPRIM_400000_NS6detail17trampoline_kernelINS0_14default_configENS1_33run_length_encode_config_selectorIbjNS0_4plusIjEEEEZZNS1_33reduce_by_key_impl_wrapped_configILNS1_25lookback_scan_determinismE0ES3_S7_N6hipcub16HIPCUB_304000_NS22TransformInputIteratorIbN2at6native8internal12_GLOBAL__N_110LoadBoolOpEPKhlEENS0_17constant_iteratorIjlEEPbPlSO_S6_NS0_8equal_toIbEEEE10hipError_tPvRmT2_T3_mT4_T5_T6_T7_T8_P12ihipStream_tbENKUlT_T0_E_clISt17integral_constantIbLb0EES18_EEDaS13_S14_EUlS13_E_NS1_11comp_targetILNS1_3genE8ELNS1_11target_archE1030ELNS1_3gpuE2ELNS1_3repE0EEENS1_30default_config_static_selectorELNS0_4arch9wavefront6targetE1EEEvT1_,comdat
	.globl	_ZN7rocprim17ROCPRIM_400000_NS6detail17trampoline_kernelINS0_14default_configENS1_33run_length_encode_config_selectorIbjNS0_4plusIjEEEEZZNS1_33reduce_by_key_impl_wrapped_configILNS1_25lookback_scan_determinismE0ES3_S7_N6hipcub16HIPCUB_304000_NS22TransformInputIteratorIbN2at6native8internal12_GLOBAL__N_110LoadBoolOpEPKhlEENS0_17constant_iteratorIjlEEPbPlSO_S6_NS0_8equal_toIbEEEE10hipError_tPvRmT2_T3_mT4_T5_T6_T7_T8_P12ihipStream_tbENKUlT_T0_E_clISt17integral_constantIbLb0EES18_EEDaS13_S14_EUlS13_E_NS1_11comp_targetILNS1_3genE8ELNS1_11target_archE1030ELNS1_3gpuE2ELNS1_3repE0EEENS1_30default_config_static_selectorELNS0_4arch9wavefront6targetE1EEEvT1_ ; -- Begin function _ZN7rocprim17ROCPRIM_400000_NS6detail17trampoline_kernelINS0_14default_configENS1_33run_length_encode_config_selectorIbjNS0_4plusIjEEEEZZNS1_33reduce_by_key_impl_wrapped_configILNS1_25lookback_scan_determinismE0ES3_S7_N6hipcub16HIPCUB_304000_NS22TransformInputIteratorIbN2at6native8internal12_GLOBAL__N_110LoadBoolOpEPKhlEENS0_17constant_iteratorIjlEEPbPlSO_S6_NS0_8equal_toIbEEEE10hipError_tPvRmT2_T3_mT4_T5_T6_T7_T8_P12ihipStream_tbENKUlT_T0_E_clISt17integral_constantIbLb0EES18_EEDaS13_S14_EUlS13_E_NS1_11comp_targetILNS1_3genE8ELNS1_11target_archE1030ELNS1_3gpuE2ELNS1_3repE0EEENS1_30default_config_static_selectorELNS0_4arch9wavefront6targetE1EEEvT1_
	.p2align	8
	.type	_ZN7rocprim17ROCPRIM_400000_NS6detail17trampoline_kernelINS0_14default_configENS1_33run_length_encode_config_selectorIbjNS0_4plusIjEEEEZZNS1_33reduce_by_key_impl_wrapped_configILNS1_25lookback_scan_determinismE0ES3_S7_N6hipcub16HIPCUB_304000_NS22TransformInputIteratorIbN2at6native8internal12_GLOBAL__N_110LoadBoolOpEPKhlEENS0_17constant_iteratorIjlEEPbPlSO_S6_NS0_8equal_toIbEEEE10hipError_tPvRmT2_T3_mT4_T5_T6_T7_T8_P12ihipStream_tbENKUlT_T0_E_clISt17integral_constantIbLb0EES18_EEDaS13_S14_EUlS13_E_NS1_11comp_targetILNS1_3genE8ELNS1_11target_archE1030ELNS1_3gpuE2ELNS1_3repE0EEENS1_30default_config_static_selectorELNS0_4arch9wavefront6targetE1EEEvT1_,@function
_ZN7rocprim17ROCPRIM_400000_NS6detail17trampoline_kernelINS0_14default_configENS1_33run_length_encode_config_selectorIbjNS0_4plusIjEEEEZZNS1_33reduce_by_key_impl_wrapped_configILNS1_25lookback_scan_determinismE0ES3_S7_N6hipcub16HIPCUB_304000_NS22TransformInputIteratorIbN2at6native8internal12_GLOBAL__N_110LoadBoolOpEPKhlEENS0_17constant_iteratorIjlEEPbPlSO_S6_NS0_8equal_toIbEEEE10hipError_tPvRmT2_T3_mT4_T5_T6_T7_T8_P12ihipStream_tbENKUlT_T0_E_clISt17integral_constantIbLb0EES18_EEDaS13_S14_EUlS13_E_NS1_11comp_targetILNS1_3genE8ELNS1_11target_archE1030ELNS1_3gpuE2ELNS1_3repE0EEENS1_30default_config_static_selectorELNS0_4arch9wavefront6targetE1EEEvT1_: ; @_ZN7rocprim17ROCPRIM_400000_NS6detail17trampoline_kernelINS0_14default_configENS1_33run_length_encode_config_selectorIbjNS0_4plusIjEEEEZZNS1_33reduce_by_key_impl_wrapped_configILNS1_25lookback_scan_determinismE0ES3_S7_N6hipcub16HIPCUB_304000_NS22TransformInputIteratorIbN2at6native8internal12_GLOBAL__N_110LoadBoolOpEPKhlEENS0_17constant_iteratorIjlEEPbPlSO_S6_NS0_8equal_toIbEEEE10hipError_tPvRmT2_T3_mT4_T5_T6_T7_T8_P12ihipStream_tbENKUlT_T0_E_clISt17integral_constantIbLb0EES18_EEDaS13_S14_EUlS13_E_NS1_11comp_targetILNS1_3genE8ELNS1_11target_archE1030ELNS1_3gpuE2ELNS1_3repE0EEENS1_30default_config_static_selectorELNS0_4arch9wavefront6targetE1EEEvT1_
; %bb.0:
	.section	.rodata,"a",@progbits
	.p2align	6, 0x0
	.amdhsa_kernel _ZN7rocprim17ROCPRIM_400000_NS6detail17trampoline_kernelINS0_14default_configENS1_33run_length_encode_config_selectorIbjNS0_4plusIjEEEEZZNS1_33reduce_by_key_impl_wrapped_configILNS1_25lookback_scan_determinismE0ES3_S7_N6hipcub16HIPCUB_304000_NS22TransformInputIteratorIbN2at6native8internal12_GLOBAL__N_110LoadBoolOpEPKhlEENS0_17constant_iteratorIjlEEPbPlSO_S6_NS0_8equal_toIbEEEE10hipError_tPvRmT2_T3_mT4_T5_T6_T7_T8_P12ihipStream_tbENKUlT_T0_E_clISt17integral_constantIbLb0EES18_EEDaS13_S14_EUlS13_E_NS1_11comp_targetILNS1_3genE8ELNS1_11target_archE1030ELNS1_3gpuE2ELNS1_3repE0EEENS1_30default_config_static_selectorELNS0_4arch9wavefront6targetE1EEEvT1_
		.amdhsa_group_segment_fixed_size 0
		.amdhsa_private_segment_fixed_size 0
		.amdhsa_kernarg_size 136
		.amdhsa_user_sgpr_count 2
		.amdhsa_user_sgpr_dispatch_ptr 0
		.amdhsa_user_sgpr_queue_ptr 0
		.amdhsa_user_sgpr_kernarg_segment_ptr 1
		.amdhsa_user_sgpr_dispatch_id 0
		.amdhsa_user_sgpr_kernarg_preload_length 0
		.amdhsa_user_sgpr_kernarg_preload_offset 0
		.amdhsa_user_sgpr_private_segment_size 0
		.amdhsa_uses_dynamic_stack 0
		.amdhsa_enable_private_segment 0
		.amdhsa_system_sgpr_workgroup_id_x 1
		.amdhsa_system_sgpr_workgroup_id_y 0
		.amdhsa_system_sgpr_workgroup_id_z 0
		.amdhsa_system_sgpr_workgroup_info 0
		.amdhsa_system_vgpr_workitem_id 0
		.amdhsa_next_free_vgpr 1
		.amdhsa_next_free_sgpr 0
		.amdhsa_accum_offset 4
		.amdhsa_reserve_vcc 0
		.amdhsa_float_round_mode_32 0
		.amdhsa_float_round_mode_16_64 0
		.amdhsa_float_denorm_mode_32 3
		.amdhsa_float_denorm_mode_16_64 3
		.amdhsa_dx10_clamp 1
		.amdhsa_ieee_mode 1
		.amdhsa_fp16_overflow 0
		.amdhsa_tg_split 0
		.amdhsa_exception_fp_ieee_invalid_op 0
		.amdhsa_exception_fp_denorm_src 0
		.amdhsa_exception_fp_ieee_div_zero 0
		.amdhsa_exception_fp_ieee_overflow 0
		.amdhsa_exception_fp_ieee_underflow 0
		.amdhsa_exception_fp_ieee_inexact 0
		.amdhsa_exception_int_div_zero 0
	.end_amdhsa_kernel
	.section	.text._ZN7rocprim17ROCPRIM_400000_NS6detail17trampoline_kernelINS0_14default_configENS1_33run_length_encode_config_selectorIbjNS0_4plusIjEEEEZZNS1_33reduce_by_key_impl_wrapped_configILNS1_25lookback_scan_determinismE0ES3_S7_N6hipcub16HIPCUB_304000_NS22TransformInputIteratorIbN2at6native8internal12_GLOBAL__N_110LoadBoolOpEPKhlEENS0_17constant_iteratorIjlEEPbPlSO_S6_NS0_8equal_toIbEEEE10hipError_tPvRmT2_T3_mT4_T5_T6_T7_T8_P12ihipStream_tbENKUlT_T0_E_clISt17integral_constantIbLb0EES18_EEDaS13_S14_EUlS13_E_NS1_11comp_targetILNS1_3genE8ELNS1_11target_archE1030ELNS1_3gpuE2ELNS1_3repE0EEENS1_30default_config_static_selectorELNS0_4arch9wavefront6targetE1EEEvT1_,"axG",@progbits,_ZN7rocprim17ROCPRIM_400000_NS6detail17trampoline_kernelINS0_14default_configENS1_33run_length_encode_config_selectorIbjNS0_4plusIjEEEEZZNS1_33reduce_by_key_impl_wrapped_configILNS1_25lookback_scan_determinismE0ES3_S7_N6hipcub16HIPCUB_304000_NS22TransformInputIteratorIbN2at6native8internal12_GLOBAL__N_110LoadBoolOpEPKhlEENS0_17constant_iteratorIjlEEPbPlSO_S6_NS0_8equal_toIbEEEE10hipError_tPvRmT2_T3_mT4_T5_T6_T7_T8_P12ihipStream_tbENKUlT_T0_E_clISt17integral_constantIbLb0EES18_EEDaS13_S14_EUlS13_E_NS1_11comp_targetILNS1_3genE8ELNS1_11target_archE1030ELNS1_3gpuE2ELNS1_3repE0EEENS1_30default_config_static_selectorELNS0_4arch9wavefront6targetE1EEEvT1_,comdat
.Lfunc_end66:
	.size	_ZN7rocprim17ROCPRIM_400000_NS6detail17trampoline_kernelINS0_14default_configENS1_33run_length_encode_config_selectorIbjNS0_4plusIjEEEEZZNS1_33reduce_by_key_impl_wrapped_configILNS1_25lookback_scan_determinismE0ES3_S7_N6hipcub16HIPCUB_304000_NS22TransformInputIteratorIbN2at6native8internal12_GLOBAL__N_110LoadBoolOpEPKhlEENS0_17constant_iteratorIjlEEPbPlSO_S6_NS0_8equal_toIbEEEE10hipError_tPvRmT2_T3_mT4_T5_T6_T7_T8_P12ihipStream_tbENKUlT_T0_E_clISt17integral_constantIbLb0EES18_EEDaS13_S14_EUlS13_E_NS1_11comp_targetILNS1_3genE8ELNS1_11target_archE1030ELNS1_3gpuE2ELNS1_3repE0EEENS1_30default_config_static_selectorELNS0_4arch9wavefront6targetE1EEEvT1_, .Lfunc_end66-_ZN7rocprim17ROCPRIM_400000_NS6detail17trampoline_kernelINS0_14default_configENS1_33run_length_encode_config_selectorIbjNS0_4plusIjEEEEZZNS1_33reduce_by_key_impl_wrapped_configILNS1_25lookback_scan_determinismE0ES3_S7_N6hipcub16HIPCUB_304000_NS22TransformInputIteratorIbN2at6native8internal12_GLOBAL__N_110LoadBoolOpEPKhlEENS0_17constant_iteratorIjlEEPbPlSO_S6_NS0_8equal_toIbEEEE10hipError_tPvRmT2_T3_mT4_T5_T6_T7_T8_P12ihipStream_tbENKUlT_T0_E_clISt17integral_constantIbLb0EES18_EEDaS13_S14_EUlS13_E_NS1_11comp_targetILNS1_3genE8ELNS1_11target_archE1030ELNS1_3gpuE2ELNS1_3repE0EEENS1_30default_config_static_selectorELNS0_4arch9wavefront6targetE1EEEvT1_
                                        ; -- End function
	.section	.AMDGPU.csdata,"",@progbits
; Kernel info:
; codeLenInByte = 0
; NumSgprs: 6
; NumVgprs: 0
; NumAgprs: 0
; TotalNumVgprs: 0
; ScratchSize: 0
; MemoryBound: 0
; FloatMode: 240
; IeeeMode: 1
; LDSByteSize: 0 bytes/workgroup (compile time only)
; SGPRBlocks: 0
; VGPRBlocks: 0
; NumSGPRsForWavesPerEU: 6
; NumVGPRsForWavesPerEU: 1
; AccumOffset: 4
; Occupancy: 8
; WaveLimiterHint : 0
; COMPUTE_PGM_RSRC2:SCRATCH_EN: 0
; COMPUTE_PGM_RSRC2:USER_SGPR: 2
; COMPUTE_PGM_RSRC2:TRAP_HANDLER: 0
; COMPUTE_PGM_RSRC2:TGID_X_EN: 1
; COMPUTE_PGM_RSRC2:TGID_Y_EN: 0
; COMPUTE_PGM_RSRC2:TGID_Z_EN: 0
; COMPUTE_PGM_RSRC2:TIDIG_COMP_CNT: 0
; COMPUTE_PGM_RSRC3_GFX90A:ACCUM_OFFSET: 0
; COMPUTE_PGM_RSRC3_GFX90A:TG_SPLIT: 0
	.section	.text._ZN7rocprim17ROCPRIM_400000_NS6detail25reduce_by_key_init_kernelINS1_19lookback_scan_stateINS0_5tupleIJjjEEELb1ELb1EEEjNS1_16block_id_wrapperIjLb1EEEEEvT_jbjPmPT0_T1_,"axG",@progbits,_ZN7rocprim17ROCPRIM_400000_NS6detail25reduce_by_key_init_kernelINS1_19lookback_scan_stateINS0_5tupleIJjjEEELb1ELb1EEEjNS1_16block_id_wrapperIjLb1EEEEEvT_jbjPmPT0_T1_,comdat
	.protected	_ZN7rocprim17ROCPRIM_400000_NS6detail25reduce_by_key_init_kernelINS1_19lookback_scan_stateINS0_5tupleIJjjEEELb1ELb1EEEjNS1_16block_id_wrapperIjLb1EEEEEvT_jbjPmPT0_T1_ ; -- Begin function _ZN7rocprim17ROCPRIM_400000_NS6detail25reduce_by_key_init_kernelINS1_19lookback_scan_stateINS0_5tupleIJjjEEELb1ELb1EEEjNS1_16block_id_wrapperIjLb1EEEEEvT_jbjPmPT0_T1_
	.globl	_ZN7rocprim17ROCPRIM_400000_NS6detail25reduce_by_key_init_kernelINS1_19lookback_scan_stateINS0_5tupleIJjjEEELb1ELb1EEEjNS1_16block_id_wrapperIjLb1EEEEEvT_jbjPmPT0_T1_
	.p2align	8
	.type	_ZN7rocprim17ROCPRIM_400000_NS6detail25reduce_by_key_init_kernelINS1_19lookback_scan_stateINS0_5tupleIJjjEEELb1ELb1EEEjNS1_16block_id_wrapperIjLb1EEEEEvT_jbjPmPT0_T1_,@function
_ZN7rocprim17ROCPRIM_400000_NS6detail25reduce_by_key_init_kernelINS1_19lookback_scan_stateINS0_5tupleIJjjEEELb1ELb1EEEjNS1_16block_id_wrapperIjLb1EEEEEvT_jbjPmPT0_T1_: ; @_ZN7rocprim17ROCPRIM_400000_NS6detail25reduce_by_key_init_kernelINS1_19lookback_scan_stateINS0_5tupleIJjjEEELb1ELb1EEEjNS1_16block_id_wrapperIjLb1EEEEEvT_jbjPmPT0_T1_
; %bb.0:
	s_load_dwordx8 s[4:11], s[0:1], 0x8
	s_load_dword s3, s[0:1], 0x3c
	s_load_dwordx2 s[14:15], s[0:1], 0x28
	s_load_dwordx2 s[12:13], s[0:1], 0x0
	s_waitcnt lgkmcnt(0)
	s_and_b32 s0, s5, 1
	s_and_b32 s1, s3, 0xffff
	s_mul_i32 s2, s2, s1
	s_cmp_eq_u32 s0, 0
	v_add_u32_e32 v0, s2, v0
	s_mov_b64 s[0:1], -1
	s_cbranch_scc1 .LBB67_6
; %bb.1:
	s_andn2_b64 vcc, exec, s[0:1]
	v_cmp_eq_u32_e64 s[0:1], 0, v0
	s_cbranch_vccz .LBB67_15
.LBB67_2:
	v_cmp_eq_u32_e32 vcc, 0, v0
	s_and_saveexec_b64 s[0:1], vcc
	s_cbranch_execnz .LBB67_18
.LBB67_3:
	s_or_b64 exec, exec, s[0:1]
	v_cmp_gt_u32_e32 vcc, s4, v0
	s_and_saveexec_b64 s[0:1], vcc
	s_cbranch_execnz .LBB67_19
.LBB67_4:
	s_or_b64 exec, exec, s[0:1]
	v_cmp_gt_u32_e32 vcc, 64, v0
	s_and_saveexec_b64 s[0:1], vcc
	s_cbranch_execnz .LBB67_20
.LBB67_5:
	s_endpgm
.LBB67_6:
	s_cmp_lt_u32 s6, s4
	s_cselect_b32 s0, s6, 0
	v_cmp_eq_u32_e32 vcc, s0, v0
	s_and_saveexec_b64 s[0:1], vcc
	s_cbranch_execz .LBB67_14
; %bb.7:
	s_add_i32 s2, s6, 64
	s_mov_b32 s3, 0
	s_lshl_b64 s[2:3], s[2:3], 4
	s_add_u32 s16, s12, s2
	s_addc_u32 s17, s13, s3
	v_mov_b64_e32 v[2:3], s[16:17]
	;;#ASMSTART
	global_load_dwordx4 v[2:5], v[2:3] off sc1	
s_waitcnt vmcnt(0)
	;;#ASMEND
	v_mov_b32_e32 v7, 0
	v_and_b32_e32 v6, 0xff, v4
	s_mov_b64 s[6:7], 0
	v_cmp_eq_u64_e32 vcc, 0, v[6:7]
	s_and_saveexec_b64 s[2:3], vcc
	s_cbranch_execz .LBB67_13
; %bb.8:
	s_mov_b32 s5, 1
	v_mov_b64_e32 v[8:9], s[16:17]
.LBB67_9:                               ; =>This Loop Header: Depth=1
                                        ;     Child Loop BB67_10 Depth 2
	s_max_u32 s16, s5, 1
.LBB67_10:                              ;   Parent Loop BB67_9 Depth=1
                                        ; =>  This Inner Loop Header: Depth=2
	s_add_i32 s16, s16, -1
	s_cmp_eq_u32 s16, 0
	s_sleep 1
	s_cbranch_scc0 .LBB67_10
; %bb.11:                               ;   in Loop: Header=BB67_9 Depth=1
	s_cmp_lt_u32 s5, 32
	s_cselect_b64 s[16:17], -1, 0
	s_cmp_lg_u64 s[16:17], 0
	;;#ASMSTART
	global_load_dwordx4 v[2:5], v[8:9] off sc1	
s_waitcnt vmcnt(0)
	;;#ASMEND
	s_addc_u32 s5, s5, 0
	v_and_b32_e32 v6, 0xff, v4
	v_cmp_ne_u64_e32 vcc, 0, v[6:7]
	s_or_b64 s[6:7], vcc, s[6:7]
	s_andn2_b64 exec, exec, s[6:7]
	s_cbranch_execnz .LBB67_9
; %bb.12:
	s_or_b64 exec, exec, s[6:7]
.LBB67_13:
	s_or_b64 exec, exec, s[2:3]
	v_mov_b32_e32 v5, 0
	global_load_dwordx2 v[6:7], v5, s[8:9]
	v_mov_b32_e32 v4, v2
	s_waitcnt vmcnt(0)
	v_lshl_add_u64 v[6:7], v[6:7], 0, v[4:5]
	global_store_dwordx2 v5, v[6:7], s[8:9]
	global_store_dword v5, v3, s[10:11]
.LBB67_14:
	s_or_b64 exec, exec, s[0:1]
	v_cmp_eq_u32_e64 s[0:1], 0, v0
	s_cbranch_execnz .LBB67_2
.LBB67_15:
	s_cmp_lg_u64 s[8:9], 0
	s_cselect_b64 s[2:3], -1, 0
	s_and_b64 s[2:3], s[2:3], s[0:1]
	s_and_saveexec_b64 s[0:1], s[2:3]
	s_cbranch_execz .LBB67_17
; %bb.16:
	v_mov_b32_e32 v2, 0
	v_mov_b32_e32 v3, v2
	global_store_dwordx2 v2, v[2:3], s[8:9]
.LBB67_17:
	s_or_b64 exec, exec, s[0:1]
	v_cmp_eq_u32_e32 vcc, 0, v0
	s_and_saveexec_b64 s[0:1], vcc
	s_cbranch_execz .LBB67_3
.LBB67_18:
	v_mov_b32_e32 v1, 0
	global_store_dword v1, v1, s[14:15]
	s_or_b64 exec, exec, s[0:1]
	v_cmp_gt_u32_e32 vcc, s4, v0
	s_and_saveexec_b64 s[0:1], vcc
	s_cbranch_execz .LBB67_4
.LBB67_19:
	v_add_u32_e32 v2, 64, v0
	v_mov_b32_e32 v3, 0
	v_lshl_add_u64 v[6:7], v[2:3], 4, s[12:13]
	v_mov_b32_e32 v2, v3
	v_mov_b32_e32 v4, v3
	;; [unrolled: 1-line block ×3, first 2 shown]
	global_store_dwordx4 v[6:7], v[2:5], off
	s_or_b64 exec, exec, s[0:1]
	v_cmp_gt_u32_e32 vcc, 64, v0
	s_and_saveexec_b64 s[0:1], vcc
	s_cbranch_execz .LBB67_5
.LBB67_20:
	v_mov_b32_e32 v1, 0
	v_lshl_add_u64 v[4:5], v[0:1], 4, s[12:13]
	v_mov_b32_e32 v2, 0xff
	v_mov_b32_e32 v0, v1
	;; [unrolled: 1-line block ×3, first 2 shown]
	global_store_dwordx4 v[4:5], v[0:3], off
	s_endpgm
	.section	.rodata,"a",@progbits
	.p2align	6, 0x0
	.amdhsa_kernel _ZN7rocprim17ROCPRIM_400000_NS6detail25reduce_by_key_init_kernelINS1_19lookback_scan_stateINS0_5tupleIJjjEEELb1ELb1EEEjNS1_16block_id_wrapperIjLb1EEEEEvT_jbjPmPT0_T1_
		.amdhsa_group_segment_fixed_size 0
		.amdhsa_private_segment_fixed_size 0
		.amdhsa_kernarg_size 304
		.amdhsa_user_sgpr_count 2
		.amdhsa_user_sgpr_dispatch_ptr 0
		.amdhsa_user_sgpr_queue_ptr 0
		.amdhsa_user_sgpr_kernarg_segment_ptr 1
		.amdhsa_user_sgpr_dispatch_id 0
		.amdhsa_user_sgpr_kernarg_preload_length 0
		.amdhsa_user_sgpr_kernarg_preload_offset 0
		.amdhsa_user_sgpr_private_segment_size 0
		.amdhsa_uses_dynamic_stack 0
		.amdhsa_enable_private_segment 0
		.amdhsa_system_sgpr_workgroup_id_x 1
		.amdhsa_system_sgpr_workgroup_id_y 0
		.amdhsa_system_sgpr_workgroup_id_z 0
		.amdhsa_system_sgpr_workgroup_info 0
		.amdhsa_system_vgpr_workitem_id 0
		.amdhsa_next_free_vgpr 10
		.amdhsa_next_free_sgpr 18
		.amdhsa_accum_offset 12
		.amdhsa_reserve_vcc 1
		.amdhsa_float_round_mode_32 0
		.amdhsa_float_round_mode_16_64 0
		.amdhsa_float_denorm_mode_32 3
		.amdhsa_float_denorm_mode_16_64 3
		.amdhsa_dx10_clamp 1
		.amdhsa_ieee_mode 1
		.amdhsa_fp16_overflow 0
		.amdhsa_tg_split 0
		.amdhsa_exception_fp_ieee_invalid_op 0
		.amdhsa_exception_fp_denorm_src 0
		.amdhsa_exception_fp_ieee_div_zero 0
		.amdhsa_exception_fp_ieee_overflow 0
		.amdhsa_exception_fp_ieee_underflow 0
		.amdhsa_exception_fp_ieee_inexact 0
		.amdhsa_exception_int_div_zero 0
	.end_amdhsa_kernel
	.section	.text._ZN7rocprim17ROCPRIM_400000_NS6detail25reduce_by_key_init_kernelINS1_19lookback_scan_stateINS0_5tupleIJjjEEELb1ELb1EEEjNS1_16block_id_wrapperIjLb1EEEEEvT_jbjPmPT0_T1_,"axG",@progbits,_ZN7rocprim17ROCPRIM_400000_NS6detail25reduce_by_key_init_kernelINS1_19lookback_scan_stateINS0_5tupleIJjjEEELb1ELb1EEEjNS1_16block_id_wrapperIjLb1EEEEEvT_jbjPmPT0_T1_,comdat
.Lfunc_end67:
	.size	_ZN7rocprim17ROCPRIM_400000_NS6detail25reduce_by_key_init_kernelINS1_19lookback_scan_stateINS0_5tupleIJjjEEELb1ELb1EEEjNS1_16block_id_wrapperIjLb1EEEEEvT_jbjPmPT0_T1_, .Lfunc_end67-_ZN7rocprim17ROCPRIM_400000_NS6detail25reduce_by_key_init_kernelINS1_19lookback_scan_stateINS0_5tupleIJjjEEELb1ELb1EEEjNS1_16block_id_wrapperIjLb1EEEEEvT_jbjPmPT0_T1_
                                        ; -- End function
	.section	.AMDGPU.csdata,"",@progbits
; Kernel info:
; codeLenInByte = 544
; NumSgprs: 24
; NumVgprs: 10
; NumAgprs: 0
; TotalNumVgprs: 10
; ScratchSize: 0
; MemoryBound: 0
; FloatMode: 240
; IeeeMode: 1
; LDSByteSize: 0 bytes/workgroup (compile time only)
; SGPRBlocks: 2
; VGPRBlocks: 1
; NumSGPRsForWavesPerEU: 24
; NumVGPRsForWavesPerEU: 10
; AccumOffset: 12
; Occupancy: 8
; WaveLimiterHint : 0
; COMPUTE_PGM_RSRC2:SCRATCH_EN: 0
; COMPUTE_PGM_RSRC2:USER_SGPR: 2
; COMPUTE_PGM_RSRC2:TRAP_HANDLER: 0
; COMPUTE_PGM_RSRC2:TGID_X_EN: 1
; COMPUTE_PGM_RSRC2:TGID_Y_EN: 0
; COMPUTE_PGM_RSRC2:TGID_Z_EN: 0
; COMPUTE_PGM_RSRC2:TIDIG_COMP_CNT: 0
; COMPUTE_PGM_RSRC3_GFX90A:ACCUM_OFFSET: 2
; COMPUTE_PGM_RSRC3_GFX90A:TG_SPLIT: 0
	.section	.text._ZN7rocprim17ROCPRIM_400000_NS6detail17trampoline_kernelINS0_14default_configENS1_33run_length_encode_config_selectorIbjNS0_4plusIjEEEEZZNS1_33reduce_by_key_impl_wrapped_configILNS1_25lookback_scan_determinismE0ES3_S7_N6hipcub16HIPCUB_304000_NS22TransformInputIteratorIbN2at6native8internal12_GLOBAL__N_110LoadBoolOpEPKhlEENS0_17constant_iteratorIjlEEPbPlSO_S6_NS0_8equal_toIbEEEE10hipError_tPvRmT2_T3_mT4_T5_T6_T7_T8_P12ihipStream_tbENKUlT_T0_E_clISt17integral_constantIbLb1EES18_EEDaS13_S14_EUlS13_E_NS1_11comp_targetILNS1_3genE0ELNS1_11target_archE4294967295ELNS1_3gpuE0ELNS1_3repE0EEENS1_30default_config_static_selectorELNS0_4arch9wavefront6targetE1EEEvT1_,"axG",@progbits,_ZN7rocprim17ROCPRIM_400000_NS6detail17trampoline_kernelINS0_14default_configENS1_33run_length_encode_config_selectorIbjNS0_4plusIjEEEEZZNS1_33reduce_by_key_impl_wrapped_configILNS1_25lookback_scan_determinismE0ES3_S7_N6hipcub16HIPCUB_304000_NS22TransformInputIteratorIbN2at6native8internal12_GLOBAL__N_110LoadBoolOpEPKhlEENS0_17constant_iteratorIjlEEPbPlSO_S6_NS0_8equal_toIbEEEE10hipError_tPvRmT2_T3_mT4_T5_T6_T7_T8_P12ihipStream_tbENKUlT_T0_E_clISt17integral_constantIbLb1EES18_EEDaS13_S14_EUlS13_E_NS1_11comp_targetILNS1_3genE0ELNS1_11target_archE4294967295ELNS1_3gpuE0ELNS1_3repE0EEENS1_30default_config_static_selectorELNS0_4arch9wavefront6targetE1EEEvT1_,comdat
	.globl	_ZN7rocprim17ROCPRIM_400000_NS6detail17trampoline_kernelINS0_14default_configENS1_33run_length_encode_config_selectorIbjNS0_4plusIjEEEEZZNS1_33reduce_by_key_impl_wrapped_configILNS1_25lookback_scan_determinismE0ES3_S7_N6hipcub16HIPCUB_304000_NS22TransformInputIteratorIbN2at6native8internal12_GLOBAL__N_110LoadBoolOpEPKhlEENS0_17constant_iteratorIjlEEPbPlSO_S6_NS0_8equal_toIbEEEE10hipError_tPvRmT2_T3_mT4_T5_T6_T7_T8_P12ihipStream_tbENKUlT_T0_E_clISt17integral_constantIbLb1EES18_EEDaS13_S14_EUlS13_E_NS1_11comp_targetILNS1_3genE0ELNS1_11target_archE4294967295ELNS1_3gpuE0ELNS1_3repE0EEENS1_30default_config_static_selectorELNS0_4arch9wavefront6targetE1EEEvT1_ ; -- Begin function _ZN7rocprim17ROCPRIM_400000_NS6detail17trampoline_kernelINS0_14default_configENS1_33run_length_encode_config_selectorIbjNS0_4plusIjEEEEZZNS1_33reduce_by_key_impl_wrapped_configILNS1_25lookback_scan_determinismE0ES3_S7_N6hipcub16HIPCUB_304000_NS22TransformInputIteratorIbN2at6native8internal12_GLOBAL__N_110LoadBoolOpEPKhlEENS0_17constant_iteratorIjlEEPbPlSO_S6_NS0_8equal_toIbEEEE10hipError_tPvRmT2_T3_mT4_T5_T6_T7_T8_P12ihipStream_tbENKUlT_T0_E_clISt17integral_constantIbLb1EES18_EEDaS13_S14_EUlS13_E_NS1_11comp_targetILNS1_3genE0ELNS1_11target_archE4294967295ELNS1_3gpuE0ELNS1_3repE0EEENS1_30default_config_static_selectorELNS0_4arch9wavefront6targetE1EEEvT1_
	.p2align	8
	.type	_ZN7rocprim17ROCPRIM_400000_NS6detail17trampoline_kernelINS0_14default_configENS1_33run_length_encode_config_selectorIbjNS0_4plusIjEEEEZZNS1_33reduce_by_key_impl_wrapped_configILNS1_25lookback_scan_determinismE0ES3_S7_N6hipcub16HIPCUB_304000_NS22TransformInputIteratorIbN2at6native8internal12_GLOBAL__N_110LoadBoolOpEPKhlEENS0_17constant_iteratorIjlEEPbPlSO_S6_NS0_8equal_toIbEEEE10hipError_tPvRmT2_T3_mT4_T5_T6_T7_T8_P12ihipStream_tbENKUlT_T0_E_clISt17integral_constantIbLb1EES18_EEDaS13_S14_EUlS13_E_NS1_11comp_targetILNS1_3genE0ELNS1_11target_archE4294967295ELNS1_3gpuE0ELNS1_3repE0EEENS1_30default_config_static_selectorELNS0_4arch9wavefront6targetE1EEEvT1_,@function
_ZN7rocprim17ROCPRIM_400000_NS6detail17trampoline_kernelINS0_14default_configENS1_33run_length_encode_config_selectorIbjNS0_4plusIjEEEEZZNS1_33reduce_by_key_impl_wrapped_configILNS1_25lookback_scan_determinismE0ES3_S7_N6hipcub16HIPCUB_304000_NS22TransformInputIteratorIbN2at6native8internal12_GLOBAL__N_110LoadBoolOpEPKhlEENS0_17constant_iteratorIjlEEPbPlSO_S6_NS0_8equal_toIbEEEE10hipError_tPvRmT2_T3_mT4_T5_T6_T7_T8_P12ihipStream_tbENKUlT_T0_E_clISt17integral_constantIbLb1EES18_EEDaS13_S14_EUlS13_E_NS1_11comp_targetILNS1_3genE0ELNS1_11target_archE4294967295ELNS1_3gpuE0ELNS1_3repE0EEENS1_30default_config_static_selectorELNS0_4arch9wavefront6targetE1EEEvT1_: ; @_ZN7rocprim17ROCPRIM_400000_NS6detail17trampoline_kernelINS0_14default_configENS1_33run_length_encode_config_selectorIbjNS0_4plusIjEEEEZZNS1_33reduce_by_key_impl_wrapped_configILNS1_25lookback_scan_determinismE0ES3_S7_N6hipcub16HIPCUB_304000_NS22TransformInputIteratorIbN2at6native8internal12_GLOBAL__N_110LoadBoolOpEPKhlEENS0_17constant_iteratorIjlEEPbPlSO_S6_NS0_8equal_toIbEEEE10hipError_tPvRmT2_T3_mT4_T5_T6_T7_T8_P12ihipStream_tbENKUlT_T0_E_clISt17integral_constantIbLb1EES18_EEDaS13_S14_EUlS13_E_NS1_11comp_targetILNS1_3genE0ELNS1_11target_archE4294967295ELNS1_3gpuE0ELNS1_3repE0EEENS1_30default_config_static_selectorELNS0_4arch9wavefront6targetE1EEEvT1_
; %bb.0:
	.section	.rodata,"a",@progbits
	.p2align	6, 0x0
	.amdhsa_kernel _ZN7rocprim17ROCPRIM_400000_NS6detail17trampoline_kernelINS0_14default_configENS1_33run_length_encode_config_selectorIbjNS0_4plusIjEEEEZZNS1_33reduce_by_key_impl_wrapped_configILNS1_25lookback_scan_determinismE0ES3_S7_N6hipcub16HIPCUB_304000_NS22TransformInputIteratorIbN2at6native8internal12_GLOBAL__N_110LoadBoolOpEPKhlEENS0_17constant_iteratorIjlEEPbPlSO_S6_NS0_8equal_toIbEEEE10hipError_tPvRmT2_T3_mT4_T5_T6_T7_T8_P12ihipStream_tbENKUlT_T0_E_clISt17integral_constantIbLb1EES18_EEDaS13_S14_EUlS13_E_NS1_11comp_targetILNS1_3genE0ELNS1_11target_archE4294967295ELNS1_3gpuE0ELNS1_3repE0EEENS1_30default_config_static_selectorELNS0_4arch9wavefront6targetE1EEEvT1_
		.amdhsa_group_segment_fixed_size 0
		.amdhsa_private_segment_fixed_size 0
		.amdhsa_kernarg_size 136
		.amdhsa_user_sgpr_count 2
		.amdhsa_user_sgpr_dispatch_ptr 0
		.amdhsa_user_sgpr_queue_ptr 0
		.amdhsa_user_sgpr_kernarg_segment_ptr 1
		.amdhsa_user_sgpr_dispatch_id 0
		.amdhsa_user_sgpr_kernarg_preload_length 0
		.amdhsa_user_sgpr_kernarg_preload_offset 0
		.amdhsa_user_sgpr_private_segment_size 0
		.amdhsa_uses_dynamic_stack 0
		.amdhsa_enable_private_segment 0
		.amdhsa_system_sgpr_workgroup_id_x 1
		.amdhsa_system_sgpr_workgroup_id_y 0
		.amdhsa_system_sgpr_workgroup_id_z 0
		.amdhsa_system_sgpr_workgroup_info 0
		.amdhsa_system_vgpr_workitem_id 0
		.amdhsa_next_free_vgpr 1
		.amdhsa_next_free_sgpr 0
		.amdhsa_accum_offset 4
		.amdhsa_reserve_vcc 0
		.amdhsa_float_round_mode_32 0
		.amdhsa_float_round_mode_16_64 0
		.amdhsa_float_denorm_mode_32 3
		.amdhsa_float_denorm_mode_16_64 3
		.amdhsa_dx10_clamp 1
		.amdhsa_ieee_mode 1
		.amdhsa_fp16_overflow 0
		.amdhsa_tg_split 0
		.amdhsa_exception_fp_ieee_invalid_op 0
		.amdhsa_exception_fp_denorm_src 0
		.amdhsa_exception_fp_ieee_div_zero 0
		.amdhsa_exception_fp_ieee_overflow 0
		.amdhsa_exception_fp_ieee_underflow 0
		.amdhsa_exception_fp_ieee_inexact 0
		.amdhsa_exception_int_div_zero 0
	.end_amdhsa_kernel
	.section	.text._ZN7rocprim17ROCPRIM_400000_NS6detail17trampoline_kernelINS0_14default_configENS1_33run_length_encode_config_selectorIbjNS0_4plusIjEEEEZZNS1_33reduce_by_key_impl_wrapped_configILNS1_25lookback_scan_determinismE0ES3_S7_N6hipcub16HIPCUB_304000_NS22TransformInputIteratorIbN2at6native8internal12_GLOBAL__N_110LoadBoolOpEPKhlEENS0_17constant_iteratorIjlEEPbPlSO_S6_NS0_8equal_toIbEEEE10hipError_tPvRmT2_T3_mT4_T5_T6_T7_T8_P12ihipStream_tbENKUlT_T0_E_clISt17integral_constantIbLb1EES18_EEDaS13_S14_EUlS13_E_NS1_11comp_targetILNS1_3genE0ELNS1_11target_archE4294967295ELNS1_3gpuE0ELNS1_3repE0EEENS1_30default_config_static_selectorELNS0_4arch9wavefront6targetE1EEEvT1_,"axG",@progbits,_ZN7rocprim17ROCPRIM_400000_NS6detail17trampoline_kernelINS0_14default_configENS1_33run_length_encode_config_selectorIbjNS0_4plusIjEEEEZZNS1_33reduce_by_key_impl_wrapped_configILNS1_25lookback_scan_determinismE0ES3_S7_N6hipcub16HIPCUB_304000_NS22TransformInputIteratorIbN2at6native8internal12_GLOBAL__N_110LoadBoolOpEPKhlEENS0_17constant_iteratorIjlEEPbPlSO_S6_NS0_8equal_toIbEEEE10hipError_tPvRmT2_T3_mT4_T5_T6_T7_T8_P12ihipStream_tbENKUlT_T0_E_clISt17integral_constantIbLb1EES18_EEDaS13_S14_EUlS13_E_NS1_11comp_targetILNS1_3genE0ELNS1_11target_archE4294967295ELNS1_3gpuE0ELNS1_3repE0EEENS1_30default_config_static_selectorELNS0_4arch9wavefront6targetE1EEEvT1_,comdat
.Lfunc_end68:
	.size	_ZN7rocprim17ROCPRIM_400000_NS6detail17trampoline_kernelINS0_14default_configENS1_33run_length_encode_config_selectorIbjNS0_4plusIjEEEEZZNS1_33reduce_by_key_impl_wrapped_configILNS1_25lookback_scan_determinismE0ES3_S7_N6hipcub16HIPCUB_304000_NS22TransformInputIteratorIbN2at6native8internal12_GLOBAL__N_110LoadBoolOpEPKhlEENS0_17constant_iteratorIjlEEPbPlSO_S6_NS0_8equal_toIbEEEE10hipError_tPvRmT2_T3_mT4_T5_T6_T7_T8_P12ihipStream_tbENKUlT_T0_E_clISt17integral_constantIbLb1EES18_EEDaS13_S14_EUlS13_E_NS1_11comp_targetILNS1_3genE0ELNS1_11target_archE4294967295ELNS1_3gpuE0ELNS1_3repE0EEENS1_30default_config_static_selectorELNS0_4arch9wavefront6targetE1EEEvT1_, .Lfunc_end68-_ZN7rocprim17ROCPRIM_400000_NS6detail17trampoline_kernelINS0_14default_configENS1_33run_length_encode_config_selectorIbjNS0_4plusIjEEEEZZNS1_33reduce_by_key_impl_wrapped_configILNS1_25lookback_scan_determinismE0ES3_S7_N6hipcub16HIPCUB_304000_NS22TransformInputIteratorIbN2at6native8internal12_GLOBAL__N_110LoadBoolOpEPKhlEENS0_17constant_iteratorIjlEEPbPlSO_S6_NS0_8equal_toIbEEEE10hipError_tPvRmT2_T3_mT4_T5_T6_T7_T8_P12ihipStream_tbENKUlT_T0_E_clISt17integral_constantIbLb1EES18_EEDaS13_S14_EUlS13_E_NS1_11comp_targetILNS1_3genE0ELNS1_11target_archE4294967295ELNS1_3gpuE0ELNS1_3repE0EEENS1_30default_config_static_selectorELNS0_4arch9wavefront6targetE1EEEvT1_
                                        ; -- End function
	.section	.AMDGPU.csdata,"",@progbits
; Kernel info:
; codeLenInByte = 0
; NumSgprs: 6
; NumVgprs: 0
; NumAgprs: 0
; TotalNumVgprs: 0
; ScratchSize: 0
; MemoryBound: 0
; FloatMode: 240
; IeeeMode: 1
; LDSByteSize: 0 bytes/workgroup (compile time only)
; SGPRBlocks: 0
; VGPRBlocks: 0
; NumSGPRsForWavesPerEU: 6
; NumVGPRsForWavesPerEU: 1
; AccumOffset: 4
; Occupancy: 8
; WaveLimiterHint : 0
; COMPUTE_PGM_RSRC2:SCRATCH_EN: 0
; COMPUTE_PGM_RSRC2:USER_SGPR: 2
; COMPUTE_PGM_RSRC2:TRAP_HANDLER: 0
; COMPUTE_PGM_RSRC2:TGID_X_EN: 1
; COMPUTE_PGM_RSRC2:TGID_Y_EN: 0
; COMPUTE_PGM_RSRC2:TGID_Z_EN: 0
; COMPUTE_PGM_RSRC2:TIDIG_COMP_CNT: 0
; COMPUTE_PGM_RSRC3_GFX90A:ACCUM_OFFSET: 0
; COMPUTE_PGM_RSRC3_GFX90A:TG_SPLIT: 0
	.section	.text._ZN7rocprim17ROCPRIM_400000_NS6detail17trampoline_kernelINS0_14default_configENS1_33run_length_encode_config_selectorIbjNS0_4plusIjEEEEZZNS1_33reduce_by_key_impl_wrapped_configILNS1_25lookback_scan_determinismE0ES3_S7_N6hipcub16HIPCUB_304000_NS22TransformInputIteratorIbN2at6native8internal12_GLOBAL__N_110LoadBoolOpEPKhlEENS0_17constant_iteratorIjlEEPbPlSO_S6_NS0_8equal_toIbEEEE10hipError_tPvRmT2_T3_mT4_T5_T6_T7_T8_P12ihipStream_tbENKUlT_T0_E_clISt17integral_constantIbLb1EES18_EEDaS13_S14_EUlS13_E_NS1_11comp_targetILNS1_3genE5ELNS1_11target_archE942ELNS1_3gpuE9ELNS1_3repE0EEENS1_30default_config_static_selectorELNS0_4arch9wavefront6targetE1EEEvT1_,"axG",@progbits,_ZN7rocprim17ROCPRIM_400000_NS6detail17trampoline_kernelINS0_14default_configENS1_33run_length_encode_config_selectorIbjNS0_4plusIjEEEEZZNS1_33reduce_by_key_impl_wrapped_configILNS1_25lookback_scan_determinismE0ES3_S7_N6hipcub16HIPCUB_304000_NS22TransformInputIteratorIbN2at6native8internal12_GLOBAL__N_110LoadBoolOpEPKhlEENS0_17constant_iteratorIjlEEPbPlSO_S6_NS0_8equal_toIbEEEE10hipError_tPvRmT2_T3_mT4_T5_T6_T7_T8_P12ihipStream_tbENKUlT_T0_E_clISt17integral_constantIbLb1EES18_EEDaS13_S14_EUlS13_E_NS1_11comp_targetILNS1_3genE5ELNS1_11target_archE942ELNS1_3gpuE9ELNS1_3repE0EEENS1_30default_config_static_selectorELNS0_4arch9wavefront6targetE1EEEvT1_,comdat
	.globl	_ZN7rocprim17ROCPRIM_400000_NS6detail17trampoline_kernelINS0_14default_configENS1_33run_length_encode_config_selectorIbjNS0_4plusIjEEEEZZNS1_33reduce_by_key_impl_wrapped_configILNS1_25lookback_scan_determinismE0ES3_S7_N6hipcub16HIPCUB_304000_NS22TransformInputIteratorIbN2at6native8internal12_GLOBAL__N_110LoadBoolOpEPKhlEENS0_17constant_iteratorIjlEEPbPlSO_S6_NS0_8equal_toIbEEEE10hipError_tPvRmT2_T3_mT4_T5_T6_T7_T8_P12ihipStream_tbENKUlT_T0_E_clISt17integral_constantIbLb1EES18_EEDaS13_S14_EUlS13_E_NS1_11comp_targetILNS1_3genE5ELNS1_11target_archE942ELNS1_3gpuE9ELNS1_3repE0EEENS1_30default_config_static_selectorELNS0_4arch9wavefront6targetE1EEEvT1_ ; -- Begin function _ZN7rocprim17ROCPRIM_400000_NS6detail17trampoline_kernelINS0_14default_configENS1_33run_length_encode_config_selectorIbjNS0_4plusIjEEEEZZNS1_33reduce_by_key_impl_wrapped_configILNS1_25lookback_scan_determinismE0ES3_S7_N6hipcub16HIPCUB_304000_NS22TransformInputIteratorIbN2at6native8internal12_GLOBAL__N_110LoadBoolOpEPKhlEENS0_17constant_iteratorIjlEEPbPlSO_S6_NS0_8equal_toIbEEEE10hipError_tPvRmT2_T3_mT4_T5_T6_T7_T8_P12ihipStream_tbENKUlT_T0_E_clISt17integral_constantIbLb1EES18_EEDaS13_S14_EUlS13_E_NS1_11comp_targetILNS1_3genE5ELNS1_11target_archE942ELNS1_3gpuE9ELNS1_3repE0EEENS1_30default_config_static_selectorELNS0_4arch9wavefront6targetE1EEEvT1_
	.p2align	8
	.type	_ZN7rocprim17ROCPRIM_400000_NS6detail17trampoline_kernelINS0_14default_configENS1_33run_length_encode_config_selectorIbjNS0_4plusIjEEEEZZNS1_33reduce_by_key_impl_wrapped_configILNS1_25lookback_scan_determinismE0ES3_S7_N6hipcub16HIPCUB_304000_NS22TransformInputIteratorIbN2at6native8internal12_GLOBAL__N_110LoadBoolOpEPKhlEENS0_17constant_iteratorIjlEEPbPlSO_S6_NS0_8equal_toIbEEEE10hipError_tPvRmT2_T3_mT4_T5_T6_T7_T8_P12ihipStream_tbENKUlT_T0_E_clISt17integral_constantIbLb1EES18_EEDaS13_S14_EUlS13_E_NS1_11comp_targetILNS1_3genE5ELNS1_11target_archE942ELNS1_3gpuE9ELNS1_3repE0EEENS1_30default_config_static_selectorELNS0_4arch9wavefront6targetE1EEEvT1_,@function
_ZN7rocprim17ROCPRIM_400000_NS6detail17trampoline_kernelINS0_14default_configENS1_33run_length_encode_config_selectorIbjNS0_4plusIjEEEEZZNS1_33reduce_by_key_impl_wrapped_configILNS1_25lookback_scan_determinismE0ES3_S7_N6hipcub16HIPCUB_304000_NS22TransformInputIteratorIbN2at6native8internal12_GLOBAL__N_110LoadBoolOpEPKhlEENS0_17constant_iteratorIjlEEPbPlSO_S6_NS0_8equal_toIbEEEE10hipError_tPvRmT2_T3_mT4_T5_T6_T7_T8_P12ihipStream_tbENKUlT_T0_E_clISt17integral_constantIbLb1EES18_EEDaS13_S14_EUlS13_E_NS1_11comp_targetILNS1_3genE5ELNS1_11target_archE942ELNS1_3gpuE9ELNS1_3repE0EEENS1_30default_config_static_selectorELNS0_4arch9wavefront6targetE1EEEvT1_: ; @_ZN7rocprim17ROCPRIM_400000_NS6detail17trampoline_kernelINS0_14default_configENS1_33run_length_encode_config_selectorIbjNS0_4plusIjEEEEZZNS1_33reduce_by_key_impl_wrapped_configILNS1_25lookback_scan_determinismE0ES3_S7_N6hipcub16HIPCUB_304000_NS22TransformInputIteratorIbN2at6native8internal12_GLOBAL__N_110LoadBoolOpEPKhlEENS0_17constant_iteratorIjlEEPbPlSO_S6_NS0_8equal_toIbEEEE10hipError_tPvRmT2_T3_mT4_T5_T6_T7_T8_P12ihipStream_tbENKUlT_T0_E_clISt17integral_constantIbLb1EES18_EEDaS13_S14_EUlS13_E_NS1_11comp_targetILNS1_3genE5ELNS1_11target_archE942ELNS1_3gpuE9ELNS1_3repE0EEENS1_30default_config_static_selectorELNS0_4arch9wavefront6targetE1EEEvT1_
; %bb.0:
	s_load_dwordx2 s[4:5], s[0:1], 0x0
	s_load_dwordx2 s[6:7], s[0:1], 0x10
	s_load_dword s14, s[0:1], 0x18
	s_load_dwordx4 s[44:47], s[0:1], 0x28
	s_load_dwordx2 s[48:49], s[0:1], 0x38
	s_load_dwordx2 s[50:51], s[0:1], 0x78
	s_load_dwordx4 s[28:31], s[0:1], 0x68
	s_load_dwordx8 s[36:43], s[0:1], 0x48
	v_cmp_ne_u32_e64 s[2:3], 0, v0
	v_cmp_eq_u32_e64 s[34:35], 0, v0
	s_and_saveexec_b64 s[8:9], s[34:35]
	s_cbranch_execz .LBB69_4
; %bb.1:
	s_mov_b64 s[12:13], exec
	v_mbcnt_lo_u32_b32 v1, s12, 0
	v_mbcnt_hi_u32_b32 v1, s13, v1
	v_cmp_eq_u32_e32 vcc, 0, v1
                                        ; implicit-def: $vgpr2
	s_and_saveexec_b64 s[10:11], vcc
	s_cbranch_execz .LBB69_3
; %bb.2:
	s_load_dwordx2 s[0:1], s[0:1], 0x80
	s_bcnt1_i32_b64 s12, s[12:13]
	v_mov_b32_e32 v2, 0
	v_mov_b32_e32 v3, s12
	s_waitcnt lgkmcnt(0)
	global_atomic_add v2, v2, v3, s[0:1] sc0
.LBB69_3:
	s_or_b64 exec, exec, s[10:11]
	s_waitcnt vmcnt(0)
	v_readfirstlane_b32 s0, v2
	v_mov_b32_e32 v2, 0
	s_nop 0
	v_add_u32_e32 v1, s0, v1
	ds_write_b32 v2, v1
.LBB69_4:
	s_or_b64 exec, exec, s[8:9]
	v_mov_b32_e32 v5, 0
	s_waitcnt lgkmcnt(0)
	s_barrier
	ds_read_b32 v1, v5
	s_add_u32 s0, s4, s6
	s_addc_u32 s1, s5, s7
	s_mul_i32 s4, s40, s39
	s_mul_hi_u32 s5, s40, s38
	s_add_i32 s4, s5, s4
	s_mul_i32 s5, s41, s38
	s_movk_i32 s6, 0x1e00
	s_add_i32 s4, s4, s5
	s_mul_i32 s5, s40, s38
	s_waitcnt lgkmcnt(0)
	v_readfirstlane_b32 s60, v1
	v_mul_lo_u32 v4, v1, s6
	v_lshl_add_u64 v[2:3], s[0:1], 0, v[4:5]
	s_add_u32 s0, s5, s60
	s_addc_u32 s1, s4, 0
	s_add_u32 s4, s42, -1
	s_addc_u32 s5, s43, -1
	s_cmp_eq_u64 s[0:1], s[4:5]
	s_cselect_b64 s[40:41], -1, 0
	s_cmp_lg_u64 s[0:1], s[4:5]
	s_mov_b64 s[8:9], -1
	s_cselect_b64 s[6:7], -1, 0
	s_mul_i32 s33, s4, 0xffffe200
	s_and_b64 vcc, exec, s[40:41]
	v_mad_u32_u24 v4, v0, 14, v0
	s_barrier
	s_cbranch_vccnz .LBB69_6
; %bb.5:
	v_readfirstlane_b32 s4, v2
	v_readfirstlane_b32 s5, v3
	s_nop 4
	global_load_ubyte v8, v0, s[4:5]
	global_load_ubyte v9, v0, s[4:5] offset:512
	global_load_ubyte v10, v0, s[4:5] offset:1024
	;; [unrolled: 1-line block ×7, first 2 shown]
	v_mov_b32_e32 v1, v5
	s_movk_i32 s4, 0x1000
	v_lshl_add_u64 v[6:7], v[2:3], 0, v[0:1]
	v_add_co_u32_e32 v6, vcc, s4, v6
	s_nop 1
	v_addc_co_u32_e32 v7, vcc, 0, v7, vcc
	global_load_ubyte v1, v[6:7], off
	global_load_ubyte v5, v[6:7], off offset:512
	global_load_ubyte v16, v[6:7], off offset:1024
	global_load_ubyte v17, v[6:7], off offset:1536
	global_load_ubyte v18, v[6:7], off offset:2048
	global_load_ubyte v19, v[6:7], off offset:2560
	global_load_ubyte v20, v[6:7], off offset:3072
	s_mov_b64 s[4:5], -1
	s_waitcnt vmcnt(14)
	v_cmp_ne_u16_e32 vcc, 0, v8
	s_nop 1
	v_cndmask_b32_e64 v6, 0, 1, vcc
	s_waitcnt vmcnt(13)
	v_cmp_ne_u16_e32 vcc, 0, v9
	s_nop 1
	v_cndmask_b32_e64 v7, 0, 1, vcc
	;; [unrolled: 4-line block ×8, first 2 shown]
	s_waitcnt vmcnt(6)
	v_cmp_ne_u16_e32 vcc, 0, v1
	ds_write_b8 v0, v6
	ds_write_b8 v0, v7 offset:512
	ds_write_b8 v0, v8 offset:1024
	;; [unrolled: 1-line block ×7, first 2 shown]
	v_cndmask_b32_e64 v1, 0, 1, vcc
	s_waitcnt vmcnt(5)
	v_cmp_ne_u16_e32 vcc, 0, v5
	s_nop 1
	v_cndmask_b32_e64 v5, 0, 1, vcc
	s_waitcnt vmcnt(4)
	v_cmp_ne_u16_e32 vcc, 0, v16
	s_nop 1
	;; [unrolled: 4-line block ×6, first 2 shown]
	v_cndmask_b32_e64 v10, 0, 1, vcc
	ds_write_b8 v0, v1 offset:4096
	ds_write_b8 v0, v5 offset:4608
	;; [unrolled: 1-line block ×7, first 2 shown]
	s_waitcnt lgkmcnt(0)
	s_barrier
	ds_read_b96 v[8:10], v4
	ds_read_u8 v21, v4 offset:12
	ds_read_u8 v11, v4 offset:13
	;; [unrolled: 1-line block ×3, first 2 shown]
	s_waitcnt lgkmcnt(3)
	v_lshrrev_b32_e32 v64, 8, v8
	v_lshrrev_b32_e32 v63, 16, v8
	;; [unrolled: 1-line block ×9, first 2 shown]
	s_add_i32 s33, s33, s28
	s_cbranch_execz .LBB69_7
	s_branch .LBB69_38
.LBB69_6:
	s_mov_b64 s[4:5], 0
                                        ; implicit-def: $vgpr8
                                        ; implicit-def: $vgpr64
                                        ; implicit-def: $vgpr63
                                        ; implicit-def: $vgpr62
                                        ; implicit-def: $vgpr61
                                        ; implicit-def: $vgpr60
                                        ; implicit-def: $vgpr59
                                        ; implicit-def: $vgpr58
                                        ; implicit-def: $vgpr57
                                        ; implicit-def: $vgpr56
                                        ; implicit-def: $vgpr21
                                        ; implicit-def: $vgpr11
                                        ; implicit-def: $vgpr1
	s_add_i32 s33, s33, s28
	s_andn2_b64 vcc, exec, s[8:9]
	s_cbranch_vccnz .LBB69_38
.LBB69_7:
	v_cmp_gt_u32_e32 vcc, s33, v0
                                        ; implicit-def: $vgpr1
	s_and_saveexec_b64 s[4:5], vcc
	s_cbranch_execz .LBB69_9
; %bb.8:
	v_readfirstlane_b32 s8, v2
	v_readfirstlane_b32 s9, v3
	s_waitcnt lgkmcnt(0)
	s_nop 3
	global_load_ubyte v1, v0, s[8:9]
	s_waitcnt vmcnt(0)
	v_cmp_ne_u16_e32 vcc, 0, v1
	s_nop 1
	v_cndmask_b32_e64 v1, 0, 1, vcc
.LBB69_9:
	s_or_b64 exec, exec, s[4:5]
	v_or_b32_e32 v5, 0x200, v0
	v_cmp_gt_u32_e32 vcc, s33, v5
                                        ; implicit-def: $vgpr5
	s_and_saveexec_b64 s[4:5], vcc
	s_cbranch_execz .LBB69_11
; %bb.10:
	v_readfirstlane_b32 s8, v2
	v_readfirstlane_b32 s9, v3
	s_nop 4
	global_load_ubyte v5, v0, s[8:9] offset:512
	s_waitcnt vmcnt(0)
	v_cmp_ne_u16_e32 vcc, 0, v5
	s_nop 1
	v_cndmask_b32_e64 v5, 0, 1, vcc
.LBB69_11:
	s_or_b64 exec, exec, s[4:5]
	v_or_b32_e32 v6, 0x400, v0
	v_cmp_gt_u32_e32 vcc, s33, v6
                                        ; implicit-def: $vgpr6
	s_and_saveexec_b64 s[4:5], vcc
	s_cbranch_execz .LBB69_13
; %bb.12:
	v_readfirstlane_b32 s8, v2
	v_readfirstlane_b32 s9, v3
	s_nop 4
	global_load_ubyte v6, v0, s[8:9] offset:1024
	s_waitcnt vmcnt(0)
	v_cmp_ne_u16_e32 vcc, 0, v6
	s_nop 1
	v_cndmask_b32_e64 v6, 0, 1, vcc
.LBB69_13:
	s_or_b64 exec, exec, s[4:5]
	v_or_b32_e32 v7, 0x600, v0
	v_cmp_gt_u32_e32 vcc, s33, v7
                                        ; implicit-def: $vgpr7
	s_and_saveexec_b64 s[4:5], vcc
	s_cbranch_execz .LBB69_15
; %bb.14:
	v_readfirstlane_b32 s8, v2
	v_readfirstlane_b32 s9, v3
	s_nop 4
	global_load_ubyte v7, v0, s[8:9] offset:1536
	s_waitcnt vmcnt(0)
	v_cmp_ne_u16_e32 vcc, 0, v7
	s_nop 1
	v_cndmask_b32_e64 v7, 0, 1, vcc
.LBB69_15:
	s_or_b64 exec, exec, s[4:5]
	v_or_b32_e32 v8, 0x800, v0
	v_cmp_gt_u32_e32 vcc, s33, v8
                                        ; implicit-def: $vgpr8
	s_and_saveexec_b64 s[4:5], vcc
	s_cbranch_execz .LBB69_17
; %bb.16:
	v_readfirstlane_b32 s8, v2
	v_readfirstlane_b32 s9, v3
	s_nop 4
	global_load_ubyte v8, v0, s[8:9] offset:2048
	s_waitcnt vmcnt(0)
	v_cmp_ne_u16_e32 vcc, 0, v8
	s_nop 1
	v_cndmask_b32_e64 v8, 0, 1, vcc
.LBB69_17:
	s_or_b64 exec, exec, s[4:5]
	v_or_b32_e32 v9, 0xa00, v0
	v_cmp_gt_u32_e32 vcc, s33, v9
                                        ; implicit-def: $vgpr9
	s_and_saveexec_b64 s[4:5], vcc
	s_cbranch_execz .LBB69_19
; %bb.18:
	v_readfirstlane_b32 s8, v2
	v_readfirstlane_b32 s9, v3
	s_nop 4
	global_load_ubyte v9, v0, s[8:9] offset:2560
	s_waitcnt vmcnt(0)
	v_cmp_ne_u16_e32 vcc, 0, v9
	s_nop 1
	v_cndmask_b32_e64 v9, 0, 1, vcc
.LBB69_19:
	s_or_b64 exec, exec, s[4:5]
	v_or_b32_e32 v10, 0xc00, v0
	v_cmp_gt_u32_e32 vcc, s33, v10
                                        ; implicit-def: $vgpr10
	s_and_saveexec_b64 s[4:5], vcc
	s_cbranch_execz .LBB69_21
; %bb.20:
	v_readfirstlane_b32 s8, v2
	v_readfirstlane_b32 s9, v3
	s_nop 4
	global_load_ubyte v10, v0, s[8:9] offset:3072
	s_waitcnt vmcnt(0)
	v_cmp_ne_u16_e32 vcc, 0, v10
	s_nop 1
	v_cndmask_b32_e64 v10, 0, 1, vcc
.LBB69_21:
	s_or_b64 exec, exec, s[4:5]
	s_waitcnt lgkmcnt(1)
	v_or_b32_e32 v11, 0xe00, v0
	v_cmp_gt_u32_e32 vcc, s33, v11
                                        ; implicit-def: $vgpr11
	s_and_saveexec_b64 s[4:5], vcc
	s_cbranch_execz .LBB69_23
; %bb.22:
	v_readfirstlane_b32 s8, v2
	v_readfirstlane_b32 s9, v3
	s_nop 4
	global_load_ubyte v11, v0, s[8:9] offset:3584
	s_waitcnt vmcnt(0)
	v_cmp_ne_u16_e32 vcc, 0, v11
	s_nop 1
	v_cndmask_b32_e64 v11, 0, 1, vcc
.LBB69_23:
	s_or_b64 exec, exec, s[4:5]
	v_or_b32_e32 v13, 0x1000, v0
	v_cmp_gt_u32_e32 vcc, s33, v13
                                        ; implicit-def: $vgpr12
	s_and_saveexec_b64 s[4:5], vcc
	s_cbranch_execz .LBB69_25
; %bb.24:
	v_readfirstlane_b32 s8, v2
	v_readfirstlane_b32 s9, v3
	s_nop 4
	global_load_ubyte v12, v13, s[8:9]
	s_waitcnt vmcnt(0)
	v_cmp_ne_u16_e32 vcc, 0, v12
	s_nop 1
	v_cndmask_b32_e64 v12, 0, 1, vcc
.LBB69_25:
	s_or_b64 exec, exec, s[4:5]
	v_or_b32_e32 v14, 0x1200, v0
	v_cmp_gt_u32_e32 vcc, s33, v14
                                        ; implicit-def: $vgpr13
	s_and_saveexec_b64 s[4:5], vcc
	s_cbranch_execz .LBB69_27
; %bb.26:
	v_readfirstlane_b32 s8, v2
	v_readfirstlane_b32 s9, v3
	s_nop 4
	global_load_ubyte v13, v14, s[8:9]
	s_waitcnt vmcnt(0)
	v_cmp_ne_u16_e32 vcc, 0, v13
	s_nop 1
	v_cndmask_b32_e64 v13, 0, 1, vcc
.LBB69_27:
	s_or_b64 exec, exec, s[4:5]
	v_or_b32_e32 v15, 0x1400, v0
	v_cmp_gt_u32_e32 vcc, s33, v15
                                        ; implicit-def: $vgpr14
	s_and_saveexec_b64 s[4:5], vcc
	s_cbranch_execz .LBB69_29
; %bb.28:
	v_readfirstlane_b32 s8, v2
	v_readfirstlane_b32 s9, v3
	s_nop 4
	global_load_ubyte v14, v15, s[8:9]
	s_waitcnt vmcnt(0)
	v_cmp_ne_u16_e32 vcc, 0, v14
	s_nop 1
	v_cndmask_b32_e64 v14, 0, 1, vcc
.LBB69_29:
	s_or_b64 exec, exec, s[4:5]
	v_or_b32_e32 v16, 0x1600, v0
	v_cmp_gt_u32_e32 vcc, s33, v16
                                        ; implicit-def: $vgpr15
	s_and_saveexec_b64 s[4:5], vcc
	s_cbranch_execz .LBB69_31
; %bb.30:
	v_readfirstlane_b32 s8, v2
	v_readfirstlane_b32 s9, v3
	s_nop 4
	global_load_ubyte v15, v16, s[8:9]
	s_waitcnt vmcnt(0)
	v_cmp_ne_u16_e32 vcc, 0, v15
	s_nop 1
	v_cndmask_b32_e64 v15, 0, 1, vcc
.LBB69_31:
	s_or_b64 exec, exec, s[4:5]
	v_or_b32_e32 v17, 0x1800, v0
	v_cmp_gt_u32_e32 vcc, s33, v17
                                        ; implicit-def: $vgpr16
	s_and_saveexec_b64 s[4:5], vcc
	s_cbranch_execz .LBB69_33
; %bb.32:
	v_readfirstlane_b32 s8, v2
	v_readfirstlane_b32 s9, v3
	s_nop 4
	global_load_ubyte v16, v17, s[8:9]
	s_waitcnt vmcnt(0)
	v_cmp_ne_u16_e32 vcc, 0, v16
	s_nop 1
	v_cndmask_b32_e64 v16, 0, 1, vcc
.LBB69_33:
	s_or_b64 exec, exec, s[4:5]
	v_or_b32_e32 v18, 0x1a00, v0
	v_cmp_gt_u32_e32 vcc, s33, v18
                                        ; implicit-def: $vgpr17
	s_and_saveexec_b64 s[4:5], vcc
	s_cbranch_execz .LBB69_35
; %bb.34:
	v_readfirstlane_b32 s8, v2
	v_readfirstlane_b32 s9, v3
	s_nop 4
	global_load_ubyte v17, v18, s[8:9]
	s_waitcnt vmcnt(0)
	v_cmp_ne_u16_e32 vcc, 0, v17
	s_nop 1
	v_cndmask_b32_e64 v17, 0, 1, vcc
.LBB69_35:
	s_or_b64 exec, exec, s[4:5]
	v_or_b32_e32 v19, 0x1c00, v0
	v_cmp_gt_u32_e32 vcc, s33, v19
                                        ; implicit-def: $vgpr18
	s_and_saveexec_b64 s[4:5], vcc
	s_cbranch_execz .LBB69_37
; %bb.36:
	v_readfirstlane_b32 s8, v2
	v_readfirstlane_b32 s9, v3
	s_nop 4
	global_load_ubyte v18, v19, s[8:9]
	s_waitcnt vmcnt(0)
	v_cmp_ne_u16_e32 vcc, 0, v18
	s_nop 1
	v_cndmask_b32_e64 v18, 0, 1, vcc
.LBB69_37:
	s_or_b64 exec, exec, s[4:5]
	s_waitcnt lgkmcnt(0)
	ds_write_b8 v0, v1
	ds_write_b8 v0, v5 offset:512
	ds_write_b8 v0, v6 offset:1024
	;; [unrolled: 1-line block ×14, first 2 shown]
	s_waitcnt lgkmcnt(0)
	s_barrier
	ds_read_b96 v[8:10], v4
	ds_read_u8 v21, v4 offset:12
	ds_read_u8 v11, v4 offset:13
	;; [unrolled: 1-line block ×3, first 2 shown]
	v_mad_u32_u24 v4, v0, 15, 14
	s_waitcnt lgkmcnt(3)
	v_lshrrev_b32_e32 v64, 8, v8
	v_lshrrev_b32_e32 v63, 16, v8
	;; [unrolled: 1-line block ×9, first 2 shown]
	v_cmp_gt_u32_e64 s[4:5], s33, v4
.LBB69_38:
	v_mov_b32_e32 v52, s14
                                        ; implicit-def: $vgpr53
	s_and_saveexec_b64 s[8:9], s[4:5]
; %bb.39:
	v_mov_b32_e32 v53, s14
; %bb.40:
	s_or_b64 exec, exec, s[8:9]
	s_cmp_eq_u64 s[0:1], 0
	s_cselect_b64 s[42:43], -1, 0
	s_cmp_lg_u64 s[0:1], 0
	s_mov_b64 s[4:5], 0
	s_cselect_b64 s[8:9], -1, 0
	s_and_b64 vcc, exec, s[6:7]
	s_waitcnt lgkmcnt(0)
	s_barrier
	s_cbranch_vccz .LBB69_46
; %bb.41:
	s_and_b64 vcc, exec, s[8:9]
	s_cbranch_vccz .LBB69_47
; %bb.42:
	global_load_ubyte v4, v[2:3], off offset:-1
	v_cmp_ne_u16_sdwa s[4:5], v11, v1 src0_sel:BYTE_0 src1_sel:BYTE_0
	v_cmp_ne_u16_sdwa s[6:7], v21, v11 src0_sel:BYTE_0 src1_sel:BYTE_0
	;; [unrolled: 1-line block ×14, first 2 shown]
	ds_write_b8 v0, v1
	s_waitcnt lgkmcnt(0)
	s_barrier
	s_waitcnt vmcnt(0)
	v_cmp_ne_u16_e32 vcc, 0, v4
	s_nop 1
	v_cndmask_b32_e64 v4, 0, 1, vcc
	s_and_saveexec_b64 s[58:59], s[2:3]
	s_cbranch_execz .LBB69_44
; %bb.43:
	v_add_u32_e32 v4, -1, v0
	ds_read_u8 v4, v4
.LBB69_44:
	s_or_b64 exec, exec, s[58:59]
	s_waitcnt lgkmcnt(0)
	v_and_b32_e32 v4, 0xff, v4
	v_cndmask_b32_e64 v65, 0, 1, s[4:5]
	v_cndmask_b32_e64 v66, 0, 1, s[6:7]
	;; [unrolled: 1-line block ×14, first 2 shown]
	v_cmp_ne_u16_sdwa s[6:7], v4, v8 src0_sel:DWORD src1_sel:BYTE_0
	s_mov_b64 s[4:5], -1
.LBB69_45:
                                        ; implicit-def: $sgpr12
	s_branch .LBB69_59
.LBB69_46:
                                        ; implicit-def: $sgpr6_sgpr7
                                        ; implicit-def: $vgpr65
                                        ; implicit-def: $vgpr66
                                        ; implicit-def: $vgpr67
                                        ; implicit-def: $vgpr68
                                        ; implicit-def: $vgpr69
                                        ; implicit-def: $vgpr70
                                        ; implicit-def: $vgpr71
                                        ; implicit-def: $vgpr72
                                        ; implicit-def: $vgpr73
                                        ; implicit-def: $vgpr74
                                        ; implicit-def: $vgpr75
                                        ; implicit-def: $vgpr76
                                        ; implicit-def: $vgpr77
                                        ; implicit-def: $vgpr78
                                        ; implicit-def: $sgpr12
	s_cbranch_execnz .LBB69_51
	s_branch .LBB69_59
.LBB69_47:
                                        ; implicit-def: $sgpr6_sgpr7
                                        ; implicit-def: $vgpr65
                                        ; implicit-def: $vgpr66
                                        ; implicit-def: $vgpr67
                                        ; implicit-def: $vgpr68
                                        ; implicit-def: $vgpr69
                                        ; implicit-def: $vgpr70
                                        ; implicit-def: $vgpr71
                                        ; implicit-def: $vgpr72
                                        ; implicit-def: $vgpr73
                                        ; implicit-def: $vgpr74
                                        ; implicit-def: $vgpr75
                                        ; implicit-def: $vgpr76
                                        ; implicit-def: $vgpr77
                                        ; implicit-def: $vgpr78
	s_cbranch_execz .LBB69_45
; %bb.48:
	v_cmp_ne_u16_sdwa s[6:7], v11, v1 src0_sel:BYTE_0 src1_sel:BYTE_0
	ds_write_b8 v0, v1
	s_waitcnt lgkmcnt(0)
	v_cndmask_b32_e64 v65, 0, 1, s[6:7]
	v_cmp_ne_u16_sdwa s[6:7], v21, v11 src0_sel:BYTE_0 src1_sel:BYTE_0
	s_barrier
	s_nop 0
	v_cndmask_b32_e64 v66, 0, 1, s[6:7]
	v_cmp_ne_u16_sdwa s[6:7], v56, v21 src0_sel:BYTE_0 src1_sel:BYTE_0
	s_nop 1
	v_cndmask_b32_e64 v67, 0, 1, s[6:7]
	v_cmp_ne_u16_sdwa s[6:7], v57, v56 src0_sel:BYTE_0 src1_sel:BYTE_0
	;; [unrolled: 3-line block ×12, first 2 shown]
	s_nop 1
	v_cndmask_b32_e64 v78, 0, 1, s[6:7]
                                        ; implicit-def: $sgpr6_sgpr7
	s_and_saveexec_b64 s[10:11], s[2:3]
	s_xor_b64 s[10:11], exec, s[10:11]
	s_cbranch_execz .LBB69_50
; %bb.49:
	v_add_u32_e32 v4, -1, v0
	ds_read_u8 v4, v4
	s_or_b64 s[4:5], s[4:5], exec
	s_waitcnt lgkmcnt(0)
	v_cmp_ne_u16_sdwa s[6:7], v4, v8 src0_sel:DWORD src1_sel:BYTE_0
	s_and_b64 s[6:7], s[6:7], exec
.LBB69_50:
	s_or_b64 exec, exec, s[10:11]
	s_mov_b32 s12, 1
	s_branch .LBB69_59
.LBB69_51:
	s_mul_hi_u32 s6, s0, 0xffffe200
	s_mulk_i32 s1, 0xe200
	s_sub_i32 s6, s6, s0
	s_add_i32 s6, s6, s1
	s_mulk_i32 s0, 0xe200
	s_add_u32 s0, s0, s28
	s_addc_u32 s1, s6, s29
	s_and_b64 vcc, exec, s[8:9]
	s_cbranch_vccz .LBB69_56
; %bb.52:
	global_load_ubyte v3, v[2:3], off offset:-1
	v_mad_u32_u24 v4, v0, 15, 14
	v_mov_b32_e32 v5, 0
	v_cmp_ne_u16_sdwa s[4:5], v11, v1 src0_sel:BYTE_0 src1_sel:BYTE_0
	v_cmp_gt_u64_e32 vcc, s[0:1], v[4:5]
	v_mad_u32_u24 v4, v0, 15, 13
	v_cmp_ne_u16_sdwa s[6:7], v21, v11 src0_sel:BYTE_0 src1_sel:BYTE_0
	s_and_b64 s[4:5], vcc, s[4:5]
	v_cmp_gt_u64_e32 vcc, s[0:1], v[4:5]
	v_mad_u32_u24 v4, v0, 15, 12
	v_cmp_ne_u16_sdwa s[8:9], v56, v21 src0_sel:BYTE_0 src1_sel:BYTE_0
	s_and_b64 s[6:7], vcc, s[6:7]
	;; [unrolled: 4-line block ×13, first 2 shown]
	v_cmp_gt_u64_e32 vcc, s[0:1], v[4:5]
	s_and_b64 s[52:53], vcc, s[52:53]
	v_mul_u32_u24_e32 v2, 15, v0
	ds_write_b8 v0, v1
	s_waitcnt lgkmcnt(0)
	s_barrier
	s_waitcnt vmcnt(0)
	v_cmp_ne_u16_e32 vcc, 0, v3
	s_nop 1
	v_cndmask_b32_e64 v4, 0, 1, vcc
	s_and_saveexec_b64 s[54:55], s[2:3]
	s_cbranch_execz .LBB69_54
; %bb.53:
	v_add_u32_e32 v3, -1, v0
	ds_read_u8 v4, v3
.LBB69_54:
	s_or_b64 exec, exec, s[54:55]
	v_mov_b32_e32 v3, v5
	v_cmp_gt_u64_e32 vcc, s[0:1], v[2:3]
	s_waitcnt lgkmcnt(0)
	v_and_b32_e32 v2, 0xff, v4
	v_cndmask_b32_e64 v65, 0, 1, s[4:5]
	v_cmp_ne_u16_sdwa s[4:5], v2, v8 src0_sel:DWORD src1_sel:BYTE_0
	v_cndmask_b32_e64 v66, 0, 1, s[6:7]
	v_cndmask_b32_e64 v67, 0, 1, s[8:9]
	;; [unrolled: 1-line block ×13, first 2 shown]
	s_and_b64 s[6:7], vcc, s[4:5]
	s_mov_b64 s[4:5], -1
.LBB69_55:
                                        ; implicit-def: $sgpr12
	v_mov_b32_e32 v79, s12
	s_and_saveexec_b64 s[0:1], s[4:5]
	s_cbranch_execnz .LBB69_60
	s_branch .LBB69_61
.LBB69_56:
                                        ; implicit-def: $sgpr6_sgpr7
                                        ; implicit-def: $vgpr65
                                        ; implicit-def: $vgpr66
                                        ; implicit-def: $vgpr67
                                        ; implicit-def: $vgpr68
                                        ; implicit-def: $vgpr69
                                        ; implicit-def: $vgpr70
                                        ; implicit-def: $vgpr71
                                        ; implicit-def: $vgpr72
                                        ; implicit-def: $vgpr73
                                        ; implicit-def: $vgpr74
                                        ; implicit-def: $vgpr75
                                        ; implicit-def: $vgpr76
                                        ; implicit-def: $vgpr77
                                        ; implicit-def: $vgpr78
	s_cbranch_execz .LBB69_55
; %bb.57:
	v_mad_u32_u24 v2, v0, 15, 14
	v_mov_b32_e32 v3, 0
	v_cmp_gt_u64_e32 vcc, s[0:1], v[2:3]
	v_cmp_ne_u16_sdwa s[6:7], v11, v1 src0_sel:BYTE_0 src1_sel:BYTE_0
	s_and_b64 s[6:7], vcc, s[6:7]
	v_mad_u32_u24 v2, v0, 15, 13
	v_cndmask_b32_e64 v65, 0, 1, s[6:7]
	v_cmp_gt_u64_e32 vcc, s[0:1], v[2:3]
	v_cmp_ne_u16_sdwa s[6:7], v21, v11 src0_sel:BYTE_0 src1_sel:BYTE_0
	s_and_b64 s[6:7], vcc, s[6:7]
	v_mad_u32_u24 v2, v0, 15, 12
	v_cndmask_b32_e64 v66, 0, 1, s[6:7]
	;; [unrolled: 5-line block ×13, first 2 shown]
	v_cmp_gt_u64_e32 vcc, s[0:1], v[2:3]
	v_cmp_ne_u16_sdwa s[6:7], v8, v64 src0_sel:BYTE_0 src1_sel:BYTE_0
	s_and_b64 s[6:7], vcc, s[6:7]
	s_mov_b32 s12, 1
	v_cndmask_b32_e64 v78, 0, 1, s[6:7]
	ds_write_b8 v0, v1
	s_waitcnt lgkmcnt(0)
	s_barrier
	s_waitcnt lgkmcnt(0)
                                        ; implicit-def: $sgpr6_sgpr7
	s_and_saveexec_b64 s[8:9], s[2:3]
	s_cbranch_execz .LBB69_153
; %bb.58:
	v_add_u32_e32 v2, -1, v0
	ds_read_u8 v4, v2
	v_mul_u32_u24_e32 v2, 15, v0
	v_cmp_gt_u64_e32 vcc, s[0:1], v[2:3]
	s_or_b64 s[4:5], s[4:5], exec
	s_waitcnt lgkmcnt(0)
	v_and_b32_e32 v2, 0xff, v4
	v_cmp_ne_u16_sdwa s[0:1], v2, v8 src0_sel:DWORD src1_sel:BYTE_0
	s_and_b64 s[0:1], vcc, s[0:1]
	s_and_b64 s[6:7], s[0:1], exec
	s_or_b64 exec, exec, s[8:9]
.LBB69_59:
	v_mov_b32_e32 v79, s12
	s_and_saveexec_b64 s[0:1], s[4:5]
.LBB69_60:
	v_cndmask_b32_e64 v79, 0, 1, s[6:7]
.LBB69_61:
	s_or_b64 exec, exec, s[0:1]
	s_cmp_eq_u64 s[38:39], 0
	v_add3_u32 v2, v78, v79, v77
	s_cselect_b64 s[38:39], -1, 0
	s_cmp_lg_u32 s60, 0
	v_cmp_eq_u32_e64 s[26:27], 0, v78
	v_cmp_eq_u32_e64 s[24:25], 0, v77
	;; [unrolled: 1-line block ×3, first 2 shown]
	v_add3_u32 v81, v2, v76, v75
	v_cmp_eq_u32_e64 s[20:21], 0, v75
	v_cmp_eq_u32_e64 s[18:19], 0, v74
	;; [unrolled: 1-line block ×10, first 2 shown]
	v_cmp_eq_u32_e32 vcc, 0, v65
	v_mbcnt_lo_u32_b32 v80, -1, 0
	v_lshrrev_b32_e32 v54, 6, v0
	v_or_b32_e32 v55, 63, v0
	s_cbranch_scc0 .LBB69_92
; %bb.62:
	v_cndmask_b32_e64 v2, 0, v52, s[26:27]
	v_add_u32_e32 v2, v2, v52
	v_cndmask_b32_e64 v2, 0, v2, s[24:25]
	v_add_u32_e32 v2, v2, v52
	;; [unrolled: 2-line block ×11, first 2 shown]
	v_cndmask_b32_e64 v2, 0, v2, s[4:5]
	v_add3_u32 v3, v81, v74, v73
	v_add_u32_e32 v2, v2, v52
	v_add3_u32 v3, v3, v72, v71
	v_cndmask_b32_e64 v2, 0, v2, s[2:3]
	v_add3_u32 v3, v3, v70, v69
	v_add_u32_e32 v2, v2, v52
	v_add3_u32 v3, v3, v68, v67
	v_cndmask_b32_e32 v2, 0, v2, vcc
	v_add3_u32 v3, v3, v66, v65
	v_add_u32_e32 v2, v2, v53
	v_mbcnt_hi_u32_b32 v15, -1, v80
	v_and_b32_e32 v4, 15, v15
	v_mov_b32_dpp v6, v2 row_shr:1 row_mask:0xf bank_mask:0xf
	v_cmp_eq_u32_e32 vcc, 0, v3
	v_mov_b32_dpp v5, v3 row_shr:1 row_mask:0xf bank_mask:0xf
	v_cmp_lt_u32_e64 s[0:1], 1, v4
	v_cndmask_b32_e32 v6, 0, v6, vcc
	v_cmp_eq_u32_e32 vcc, 0, v4
	s_nop 1
	v_cndmask_b32_e64 v5, v5, 0, vcc
	v_add_u32_e32 v3, v5, v3
	v_cndmask_b32_e64 v5, v6, 0, vcc
	v_add_u32_e32 v2, v5, v2
	v_cmp_eq_u32_e32 vcc, 0, v3
	v_mov_b32_dpp v5, v3 row_shr:2 row_mask:0xf bank_mask:0xf
	v_mov_b32_dpp v6, v2 row_shr:2 row_mask:0xf bank_mask:0xf
	v_cndmask_b32_e64 v5, 0, v5, s[0:1]
	s_and_b64 vcc, s[0:1], vcc
	v_cndmask_b32_e32 v6, 0, v6, vcc
	v_add_u32_e32 v3, v3, v5
	v_add_u32_e32 v2, v6, v2
	v_cmp_eq_u32_e32 vcc, 0, v3
	v_mov_b32_dpp v5, v3 row_shr:4 row_mask:0xf bank_mask:0xf
	v_cmp_lt_u32_e64 s[0:1], 3, v4
	v_mov_b32_dpp v6, v2 row_shr:4 row_mask:0xf bank_mask:0xf
	s_and_b64 vcc, s[0:1], vcc
	v_cndmask_b32_e64 v5, 0, v5, s[0:1]
	v_cndmask_b32_e32 v6, 0, v6, vcc
	v_add_u32_e32 v3, v5, v3
	v_add_u32_e32 v2, v2, v6
	v_cmp_eq_u32_e32 vcc, 0, v3
	v_cmp_lt_u32_e64 s[0:1], 7, v4
	v_mov_b32_dpp v5, v3 row_shr:8 row_mask:0xf bank_mask:0xf
	v_mov_b32_dpp v6, v2 row_shr:8 row_mask:0xf bank_mask:0xf
	s_and_b64 vcc, s[0:1], vcc
	v_cndmask_b32_e64 v4, 0, v5, s[0:1]
	v_cndmask_b32_e32 v5, 0, v6, vcc
	v_add_u32_e32 v2, v5, v2
	v_add_u32_e32 v3, v4, v3
	v_bfe_i32 v6, v15, 4, 1
	v_mov_b32_dpp v5, v2 row_bcast:15 row_mask:0xf bank_mask:0xf
	v_mov_b32_dpp v4, v3 row_bcast:15 row_mask:0xf bank_mask:0xf
	v_cmp_eq_u32_e32 vcc, 0, v3
	v_and_b32_e32 v4, v6, v4
	v_add_u32_e32 v3, v4, v3
	v_cndmask_b32_e32 v5, 0, v5, vcc
	v_and_b32_e32 v4, v6, v5
	v_add_u32_e32 v4, v4, v2
	v_mov_b32_dpp v2, v3 row_bcast:31 row_mask:0xf bank_mask:0xf
	v_cmp_eq_u32_e32 vcc, 0, v3
	v_cmp_lt_u32_e64 s[0:1], 31, v15
	v_mov_b32_dpp v5, v4 row_bcast:31 row_mask:0xf bank_mask:0xf
	s_and_b64 vcc, s[0:1], vcc
	v_cndmask_b32_e64 v2, 0, v2, s[0:1]
	v_add_u32_e32 v2, v2, v3
	v_cndmask_b32_e32 v3, 0, v5, vcc
	v_add_u32_e32 v3, v3, v4
	v_cmp_eq_u32_e32 vcc, v55, v0
	v_lshlrev_b32_e32 v4, 3, v54
	s_and_saveexec_b64 s[0:1], vcc
	s_cbranch_execz .LBB69_64
; %bb.63:
	ds_write_b64 v4, v[2:3] offset:1040
.LBB69_64:
	s_or_b64 exec, exec, s[0:1]
	v_cmp_gt_u32_e32 vcc, 8, v0
	s_waitcnt lgkmcnt(0)
	s_barrier
	s_and_saveexec_b64 s[28:29], vcc
	s_cbranch_execz .LBB69_66
; %bb.65:
	v_lshlrev_b32_e32 v5, 3, v0
	ds_read_b64 v[6:7], v5 offset:1040
	v_and_b32_e32 v12, 7, v15
	v_cmp_lt_u32_e64 s[0:1], 1, v12
	s_waitcnt lgkmcnt(0)
	v_mov_b32_dpp v14, v7 row_shr:1 row_mask:0xf bank_mask:0xf
	v_cmp_eq_u32_e32 vcc, 0, v6
	v_mov_b32_dpp v13, v6 row_shr:1 row_mask:0xf bank_mask:0xf
	s_nop 0
	v_cndmask_b32_e32 v14, 0, v14, vcc
	v_cmp_eq_u32_e32 vcc, 0, v12
	s_nop 1
	v_cndmask_b32_e64 v13, v13, 0, vcc
	v_add_u32_e32 v6, v13, v6
	v_cndmask_b32_e64 v13, v14, 0, vcc
	v_add_u32_e32 v7, v13, v7
	v_cmp_eq_u32_e32 vcc, 0, v6
	v_mov_b32_dpp v13, v6 row_shr:2 row_mask:0xf bank_mask:0xf
	v_mov_b32_dpp v14, v7 row_shr:2 row_mask:0xf bank_mask:0xf
	v_cndmask_b32_e64 v13, 0, v13, s[0:1]
	s_and_b64 vcc, s[0:1], vcc
	v_cndmask_b32_e32 v14, 0, v14, vcc
	v_add_u32_e32 v6, v13, v6
	v_add_u32_e32 v7, v14, v7
	v_cmp_eq_u32_e32 vcc, 0, v6
	v_mov_b32_dpp v13, v6 row_shr:4 row_mask:0xf bank_mask:0xf
	v_cmp_lt_u32_e64 s[0:1], 3, v12
	v_mov_b32_dpp v14, v7 row_shr:4 row_mask:0xf bank_mask:0xf
	s_and_b64 vcc, s[0:1], vcc
	v_cndmask_b32_e64 v12, 0, v13, s[0:1]
	v_add_u32_e32 v6, v12, v6
	v_cndmask_b32_e32 v12, 0, v14, vcc
	v_add_u32_e32 v7, v12, v7
	ds_write_b64 v5, v[6:7] offset:1040
.LBB69_66:
	s_or_b64 exec, exec, s[28:29]
	v_cmp_gt_u32_e32 vcc, 64, v0
	v_cmp_lt_u32_e64 s[0:1], 63, v0
	v_mov_b32_e32 v12, 0
	v_mov_b32_e32 v13, 0
	s_waitcnt lgkmcnt(0)
	s_barrier
	s_and_saveexec_b64 s[28:29], s[0:1]
	s_cbranch_execz .LBB69_68
; %bb.67:
	ds_read_b64 v[12:13], v4 offset:1032
	v_cmp_eq_u32_e64 s[0:1], 0, v2
	s_waitcnt lgkmcnt(0)
	v_add_u32_e32 v4, v12, v2
	v_cndmask_b32_e64 v2, 0, v13, s[0:1]
	v_add_u32_e32 v3, v2, v3
	v_mov_b32_e32 v2, v4
.LBB69_68:
	s_or_b64 exec, exec, s[28:29]
	v_add_u32_e32 v4, -1, v15
	v_and_b32_e32 v5, 64, v15
	v_cmp_lt_i32_e64 s[0:1], v4, v5
	v_cmp_eq_u32_e64 s[28:29], 0, v15
	s_nop 0
	v_cndmask_b32_e64 v4, v4, v15, s[0:1]
	v_lshlrev_b32_e32 v4, 2, v4
	ds_bpermute_b32 v20, v4, v2
	ds_bpermute_b32 v22, v4, v3
	s_and_saveexec_b64 s[52:53], vcc
	s_cbranch_execz .LBB69_91
; %bb.69:
	v_mov_b32_e32 v7, 0
	ds_read_b64 v[2:3], v7 offset:1096
	s_waitcnt lgkmcnt(0)
	v_readfirstlane_b32 s56, v2
	v_readfirstlane_b32 s57, v3
	s_and_saveexec_b64 s[0:1], s[28:29]
	s_cbranch_execz .LBB69_71
; %bb.70:
	s_add_i32 s54, s60, 64
	s_mov_b32 s55, 0
	s_lshl_b64 s[58:59], s[54:55], 4
	s_add_u32 s58, s36, s58
	s_addc_u32 s59, s37, s59
	s_and_b32 s63, s57, 0xff000000
	s_mov_b32 s62, s55
	s_and_b32 s65, s57, 0xff0000
	s_mov_b32 s64, s55
	s_or_b64 s[62:63], s[64:65], s[62:63]
	s_and_b32 s65, s57, 0xff00
	s_or_b64 s[62:63], s[62:63], s[64:65]
	s_and_b32 s65, s57, 0xff
	s_or_b64 s[54:55], s[62:63], s[64:65]
	v_mov_b32_e32 v4, s56
	v_mov_b32_e32 v5, s55
	;; [unrolled: 1-line block ×3, first 2 shown]
	v_mov_b64_e32 v[2:3], s[58:59]
	;;#ASMSTART
	global_store_dwordx4 v[2:3], v[4:7] off sc1	
s_waitcnt vmcnt(0)
	;;#ASMEND
.LBB69_71:
	s_or_b64 exec, exec, s[0:1]
	v_xad_u32 v14, v15, -1, s60
	v_add_u32_e32 v6, 64, v14
	v_lshl_add_u64 v[16:17], v[6:7], 4, s[36:37]
	;;#ASMSTART
	global_load_dwordx4 v[2:5], v[16:17] off sc1	
s_waitcnt vmcnt(0)
	;;#ASMEND
	s_nop 0
	v_and_b32_e32 v5, 0xff, v3
	v_and_b32_e32 v6, 0xff00, v3
	v_or3_b32 v2, v2, 0, 0
	v_and_b32_e32 v18, 0xff000000, v3
	v_or3_b32 v5, 0, v5, v6
	;; [unrolled: 2-line block ×3, first 2 shown]
	v_or3_b32 v2, v2, 0, 0
	v_cmp_eq_u16_sdwa s[54:55], v4, v7 src0_sel:BYTE_0 src1_sel:DWORD
	s_and_saveexec_b64 s[0:1], s[54:55]
	s_cbranch_execz .LBB69_77
; %bb.72:
	s_mov_b32 s58, 1
	s_mov_b64 s[54:55], 0
	v_mov_b32_e32 v6, 0
.LBB69_73:                              ; =>This Loop Header: Depth=1
                                        ;     Child Loop BB69_74 Depth 2
	s_max_u32 s59, s58, 1
.LBB69_74:                              ;   Parent Loop BB69_73 Depth=1
                                        ; =>  This Inner Loop Header: Depth=2
	s_add_i32 s59, s59, -1
	s_cmp_eq_u32 s59, 0
	s_sleep 1
	s_cbranch_scc0 .LBB69_74
; %bb.75:                               ;   in Loop: Header=BB69_73 Depth=1
	s_cmp_lt_u32 s58, 32
	s_cselect_b64 s[62:63], -1, 0
	s_cmp_lg_u64 s[62:63], 0
	s_addc_u32 s58, s58, 0
	;;#ASMSTART
	global_load_dwordx4 v[2:5], v[16:17] off sc1	
s_waitcnt vmcnt(0)
	;;#ASMEND
	s_nop 0
	v_cmp_ne_u16_sdwa s[62:63], v4, v6 src0_sel:BYTE_0 src1_sel:DWORD
	s_or_b64 s[54:55], s[62:63], s[54:55]
	s_andn2_b64 exec, exec, s[54:55]
	s_cbranch_execnz .LBB69_73
; %bb.76:
	s_or_b64 exec, exec, s[54:55]
.LBB69_77:
	s_or_b64 exec, exec, s[0:1]
	v_mov_b32_e32 v23, 2
	v_cmp_eq_u16_sdwa s[0:1], v4, v23 src0_sel:BYTE_0 src1_sel:DWORD
	v_lshlrev_b64 v[16:17], v15, -1
	v_and_b32_e32 v24, 63, v15
	v_and_b32_e32 v5, s1, v17
	v_or_b32_e32 v5, 0x80000000, v5
	v_cmp_ne_u32_e32 vcc, 63, v24
	v_and_b32_e32 v6, s0, v16
	v_ffbl_b32_e32 v5, v5
	v_addc_co_u32_e32 v7, vcc, 0, v15, vcc
	v_add_u32_e32 v5, 32, v5
	v_ffbl_b32_e32 v6, v6
	v_lshlrev_b32_e32 v25, 2, v7
	v_min_u32_e32 v5, v6, v5
	ds_bpermute_b32 v6, v25, v3
	v_cmp_eq_u32_e32 vcc, 0, v2
	v_cmp_lt_u32_e64 s[0:1], v24, v5
	ds_bpermute_b32 v7, v25, v2
	s_and_b64 vcc, s[0:1], vcc
	s_waitcnt lgkmcnt(1)
	v_cndmask_b32_e32 v6, 0, v6, vcc
	v_cmp_gt_u32_e32 vcc, 62, v24
	v_add_u32_e32 v3, v6, v3
	s_waitcnt lgkmcnt(0)
	v_cndmask_b32_e64 v7, 0, v7, s[0:1]
	v_cndmask_b32_e64 v6, 0, 1, vcc
	v_lshlrev_b32_e32 v6, 1, v6
	v_add_lshl_u32 v26, v6, v15, 2
	ds_bpermute_b32 v6, v26, v3
	v_add_u32_e32 v2, v7, v2
	ds_bpermute_b32 v7, v26, v2
	v_add_u32_e32 v27, 2, v24
	v_cmp_eq_u32_e32 vcc, 0, v2
	v_add_u32_e32 v29, 4, v24
	v_add_u32_e32 v31, 8, v24
	s_waitcnt lgkmcnt(1)
	v_cndmask_b32_e32 v6, 0, v6, vcc
	v_cmp_gt_u32_e32 vcc, v27, v5
	v_add_u32_e32 v33, 16, v24
	v_add_u32_e32 v35, 32, v24
	v_cndmask_b32_e64 v6, v6, 0, vcc
	v_add_u32_e32 v3, v6, v3
	s_waitcnt lgkmcnt(0)
	v_cndmask_b32_e64 v6, v7, 0, vcc
	v_cmp_gt_u32_e32 vcc, 60, v24
	v_add_u32_e32 v2, v2, v6
	s_nop 0
	v_cndmask_b32_e64 v7, 0, 1, vcc
	v_lshlrev_b32_e32 v7, 2, v7
	v_add_lshl_u32 v28, v7, v15, 2
	ds_bpermute_b32 v7, v28, v3
	ds_bpermute_b32 v6, v28, v2
	v_cmp_eq_u32_e32 vcc, 0, v2
	s_waitcnt lgkmcnt(1)
	s_nop 0
	v_cndmask_b32_e32 v7, 0, v7, vcc
	v_cmp_gt_u32_e32 vcc, v29, v5
	s_nop 1
	v_cndmask_b32_e64 v7, v7, 0, vcc
	s_waitcnt lgkmcnt(0)
	v_cndmask_b32_e64 v6, v6, 0, vcc
	v_cmp_gt_u32_e32 vcc, 56, v24
	v_add_u32_e32 v3, v3, v7
	v_add_u32_e32 v2, v2, v6
	v_cndmask_b32_e64 v7, 0, 1, vcc
	v_lshlrev_b32_e32 v7, 3, v7
	v_add_lshl_u32 v30, v7, v15, 2
	ds_bpermute_b32 v7, v30, v3
	ds_bpermute_b32 v6, v30, v2
	v_cmp_eq_u32_e32 vcc, 0, v2
	s_waitcnt lgkmcnt(1)
	s_nop 0
	v_cndmask_b32_e32 v7, 0, v7, vcc
	v_cmp_gt_u32_e32 vcc, v31, v5
	s_nop 1
	v_cndmask_b32_e64 v7, v7, 0, vcc
	s_waitcnt lgkmcnt(0)
	v_cndmask_b32_e64 v6, v6, 0, vcc
	v_cmp_gt_u32_e32 vcc, 48, v24
	v_add_u32_e32 v3, v3, v7
	v_add_u32_e32 v2, v2, v6
	v_cndmask_b32_e64 v7, 0, 1, vcc
	v_lshlrev_b32_e32 v7, 4, v7
	v_add_lshl_u32 v32, v7, v15, 2
	ds_bpermute_b32 v7, v32, v3
	ds_bpermute_b32 v6, v32, v2
	v_cmp_eq_u32_e32 vcc, 0, v2
	s_waitcnt lgkmcnt(1)
	s_nop 0
	v_cndmask_b32_e32 v7, 0, v7, vcc
	v_cmp_gt_u32_e32 vcc, v33, v5
	s_nop 1
	v_cndmask_b32_e64 v7, v7, 0, vcc
	s_waitcnt lgkmcnt(0)
	v_cndmask_b32_e64 v6, v6, 0, vcc
	v_cmp_gt_u32_e32 vcc, 32, v24
	v_add_u32_e32 v3, v3, v7
	v_add_u32_e32 v2, v2, v6
	v_cndmask_b32_e64 v7, 0, 1, vcc
	v_lshlrev_b32_e32 v7, 5, v7
	v_add_lshl_u32 v34, v7, v15, 2
	ds_bpermute_b32 v7, v34, v3
	ds_bpermute_b32 v6, v34, v2
	v_cmp_eq_u32_e32 vcc, 0, v2
	v_mov_b32_e32 v15, 0
	s_waitcnt lgkmcnt(1)
	v_cndmask_b32_e32 v7, 0, v7, vcc
	v_cmp_gt_u32_e32 vcc, v35, v5
	s_nop 1
	v_cndmask_b32_e64 v5, v7, 0, vcc
	v_add_u32_e32 v3, v5, v3
	s_waitcnt lgkmcnt(0)
	v_cndmask_b32_e64 v5, v6, 0, vcc
	v_add_u32_e32 v2, v5, v2
	s_branch .LBB69_79
.LBB69_78:                              ;   in Loop: Header=BB69_79 Depth=1
	s_or_b64 exec, exec, s[0:1]
	v_cmp_eq_u16_sdwa s[0:1], v4, v23 src0_sel:BYTE_0 src1_sel:DWORD
	v_cmp_eq_u32_e32 vcc, 0, v2
	ds_bpermute_b32 v19, v25, v2
	v_and_b32_e32 v5, s1, v17
	v_or_b32_e32 v5, 0x80000000, v5
	v_and_b32_e32 v18, s0, v16
	v_ffbl_b32_e32 v5, v5
	v_add_u32_e32 v5, 32, v5
	v_ffbl_b32_e32 v18, v18
	v_min_u32_e32 v5, v18, v5
	ds_bpermute_b32 v18, v25, v3
	v_cmp_lt_u32_e64 s[0:1], v24, v5
	s_and_b64 vcc, s[0:1], vcc
	v_subrev_u32_e32 v14, 64, v14
	s_waitcnt lgkmcnt(1)
	v_cndmask_b32_e64 v19, 0, v19, s[0:1]
	s_waitcnt lgkmcnt(0)
	v_cndmask_b32_e32 v18, 0, v18, vcc
	v_add_u32_e32 v3, v18, v3
	ds_bpermute_b32 v18, v26, v3
	v_add_u32_e32 v2, v19, v2
	v_cmp_eq_u32_e32 vcc, 0, v2
	ds_bpermute_b32 v19, v26, v2
	s_waitcnt lgkmcnt(1)
	v_cndmask_b32_e32 v18, 0, v18, vcc
	v_cmp_gt_u32_e32 vcc, v27, v5
	s_nop 1
	v_cndmask_b32_e64 v18, v18, 0, vcc
	v_add_u32_e32 v3, v18, v3
	ds_bpermute_b32 v18, v28, v3
	s_waitcnt lgkmcnt(1)
	v_cndmask_b32_e64 v19, v19, 0, vcc
	v_add_u32_e32 v2, v2, v19
	v_cmp_eq_u32_e32 vcc, 0, v2
	ds_bpermute_b32 v19, v28, v2
	s_waitcnt lgkmcnt(1)
	v_cndmask_b32_e32 v18, 0, v18, vcc
	v_cmp_gt_u32_e32 vcc, v29, v5
	s_nop 1
	v_cndmask_b32_e64 v18, v18, 0, vcc
	v_add_u32_e32 v3, v3, v18
	ds_bpermute_b32 v18, v30, v3
	s_waitcnt lgkmcnt(1)
	v_cndmask_b32_e64 v19, v19, 0, vcc
	v_add_u32_e32 v2, v2, v19
	ds_bpermute_b32 v19, v30, v2
	v_cmp_eq_u32_e32 vcc, 0, v2
	s_waitcnt lgkmcnt(1)
	s_nop 0
	v_cndmask_b32_e32 v18, 0, v18, vcc
	v_cmp_gt_u32_e32 vcc, v31, v5
	s_nop 1
	v_cndmask_b32_e64 v18, v18, 0, vcc
	v_add_u32_e32 v3, v3, v18
	ds_bpermute_b32 v18, v32, v3
	s_waitcnt lgkmcnt(1)
	v_cndmask_b32_e64 v19, v19, 0, vcc
	v_add_u32_e32 v2, v2, v19
	ds_bpermute_b32 v19, v32, v2
	v_cmp_eq_u32_e32 vcc, 0, v2
	s_waitcnt lgkmcnt(1)
	s_nop 0
	v_cndmask_b32_e32 v18, 0, v18, vcc
	v_cmp_gt_u32_e32 vcc, v33, v5
	s_nop 1
	v_cndmask_b32_e64 v18, v18, 0, vcc
	v_add_u32_e32 v3, v3, v18
	ds_bpermute_b32 v18, v34, v3
	s_waitcnt lgkmcnt(1)
	v_cndmask_b32_e64 v19, v19, 0, vcc
	v_add_u32_e32 v2, v2, v19
	ds_bpermute_b32 v19, v34, v2
	v_cmp_eq_u32_e32 vcc, 0, v2
	s_waitcnt lgkmcnt(1)
	s_nop 0
	v_cndmask_b32_e32 v18, 0, v18, vcc
	v_cmp_gt_u32_e32 vcc, v35, v5
	s_nop 1
	v_cndmask_b32_e64 v5, v18, 0, vcc
	v_add_u32_e32 v3, v5, v3
	s_waitcnt lgkmcnt(0)
	v_cndmask_b32_e64 v5, v19, 0, vcc
	v_cmp_eq_u32_e32 vcc, 0, v6
	v_add3_u32 v2, v2, v6, v5
	s_nop 0
	v_cndmask_b32_e32 v3, 0, v3, vcc
	v_add_u32_e32 v3, v3, v7
.LBB69_79:                              ; =>This Loop Header: Depth=1
                                        ;     Child Loop BB69_82 Depth 2
                                        ;       Child Loop BB69_83 Depth 3
	v_cmp_ne_u16_sdwa s[0:1], v4, v23 src0_sel:BYTE_0 src1_sel:DWORD
	v_mov_b32_e32 v7, v3
	v_mov_b32_e32 v6, v2
	v_cndmask_b32_e64 v3, 0, 1, s[0:1]
	;;#ASMSTART
	;;#ASMEND
	s_nop 0
	v_cmp_ne_u32_e32 vcc, 0, v3
	s_cmp_lg_u64 vcc, exec
	s_cbranch_scc1 .LBB69_86
; %bb.80:                               ;   in Loop: Header=BB69_79 Depth=1
	v_lshl_add_u64 v[18:19], v[14:15], 4, s[36:37]
	;;#ASMSTART
	global_load_dwordx4 v[2:5], v[18:19] off sc1	
s_waitcnt vmcnt(0)
	;;#ASMEND
	s_nop 0
	v_and_b32_e32 v5, 0xff, v3
	v_and_b32_e32 v36, 0xff00, v3
	v_or3_b32 v2, v2, 0, 0
	v_and_b32_e32 v37, 0xff000000, v3
	v_or3_b32 v5, 0, v5, v36
	;; [unrolled: 2-line block ×3, first 2 shown]
	v_or3_b32 v2, v2, 0, 0
	v_cmp_eq_u16_sdwa s[54:55], v4, v15 src0_sel:BYTE_0 src1_sel:DWORD
	s_and_saveexec_b64 s[0:1], s[54:55]
	s_cbranch_execz .LBB69_78
; %bb.81:                               ;   in Loop: Header=BB69_79 Depth=1
	s_mov_b32 s58, 1
	s_mov_b64 s[54:55], 0
.LBB69_82:                              ;   Parent Loop BB69_79 Depth=1
                                        ; =>  This Loop Header: Depth=2
                                        ;       Child Loop BB69_83 Depth 3
	s_max_u32 s59, s58, 1
.LBB69_83:                              ;   Parent Loop BB69_79 Depth=1
                                        ;     Parent Loop BB69_82 Depth=2
                                        ; =>    This Inner Loop Header: Depth=3
	s_add_i32 s59, s59, -1
	s_cmp_eq_u32 s59, 0
	s_sleep 1
	s_cbranch_scc0 .LBB69_83
; %bb.84:                               ;   in Loop: Header=BB69_82 Depth=2
	s_cmp_lt_u32 s58, 32
	s_cselect_b64 s[62:63], -1, 0
	s_cmp_lg_u64 s[62:63], 0
	s_addc_u32 s58, s58, 0
	;;#ASMSTART
	global_load_dwordx4 v[2:5], v[18:19] off sc1	
s_waitcnt vmcnt(0)
	;;#ASMEND
	s_nop 0
	v_cmp_ne_u16_sdwa s[62:63], v4, v15 src0_sel:BYTE_0 src1_sel:DWORD
	s_or_b64 s[54:55], s[62:63], s[54:55]
	s_andn2_b64 exec, exec, s[54:55]
	s_cbranch_execnz .LBB69_82
; %bb.85:                               ;   in Loop: Header=BB69_79 Depth=1
	s_or_b64 exec, exec, s[54:55]
	s_branch .LBB69_78
.LBB69_86:                              ;   in Loop: Header=BB69_79 Depth=1
                                        ; implicit-def: $vgpr3
                                        ; implicit-def: $vgpr2
                                        ; implicit-def: $vgpr4
	s_cbranch_execz .LBB69_79
; %bb.87:
	s_and_saveexec_b64 s[0:1], s[28:29]
	s_cbranch_execz .LBB69_89
; %bb.88:
	s_cmp_eq_u32 s56, 0
	s_cselect_b64 vcc, -1, 0
	s_mov_b32 s55, 0
	v_cndmask_b32_e32 v2, 0, v7, vcc
	s_add_i32 s54, s60, 64
	v_add_u32_e32 v2, s57, v2
	s_lshl_b64 s[54:55], s[54:55], 4
	s_add_u32 s54, s36, s54
	v_and_b32_e32 v3, 0xff000000, v2
	v_and_b32_e32 v4, 0xff0000, v2
	s_addc_u32 s55, s37, s55
	v_or_b32_e32 v3, v4, v3
	v_and_b32_e32 v4, 0xff00, v2
	v_and_b32_e32 v2, 0xff, v2
	v_add_u32_e32 v14, s56, v6
	v_mov_b32_e32 v17, 0
	v_or3_b32 v15, v3, v4, v2
	v_mov_b32_e32 v16, 2
	v_mov_b64_e32 v[2:3], s[54:55]
	;;#ASMSTART
	global_store_dwordx4 v[2:3], v[14:17] off sc1	
s_waitcnt vmcnt(0)
	;;#ASMEND
	v_mov_b32_e32 v4, s56
	v_mov_b32_e32 v5, s57
	ds_write_b128 v17, v[4:7] offset:1024
.LBB69_89:
	s_or_b64 exec, exec, s[0:1]
	s_and_b64 exec, exec, s[34:35]
	s_cbranch_execz .LBB69_91
; %bb.90:
	v_mov_b32_e32 v2, 0
	ds_write_b64 v2, v[6:7] offset:1096
.LBB69_91:
	s_or_b64 exec, exec, s[52:53]
	v_mov_b32_e32 v4, 0
	s_waitcnt lgkmcnt(0)
	s_barrier
	ds_read_b64 v[2:3], v4 offset:1096
	v_cndmask_b32_e64 v6, v20, v12, s[28:29]
	v_cmp_eq_u32_e32 vcc, 0, v6
	v_cndmask_b32_e64 v5, v22, v13, s[28:29]
	s_waitcnt lgkmcnt(0)
	v_cndmask_b32_e32 v7, 0, v3, vcc
	v_add_u32_e32 v5, v7, v5
	v_cndmask_b32_e64 v51, v5, v3, s[34:35]
	v_cndmask_b32_e64 v3, v6, 0, s[34:35]
	v_cmp_eq_u32_e32 vcc, 0, v79
	v_add_u32_e32 v50, v2, v3
	v_add_u32_e32 v48, v50, v79
	v_cndmask_b32_e32 v2, 0, v51, vcc
	v_add_u32_e32 v49, v2, v52
	v_cndmask_b32_e64 v2, 0, v49, s[26:27]
	v_add_u32_e32 v47, v2, v52
	v_cndmask_b32_e64 v2, 0, v47, s[24:25]
	;; [unrolled: 2-line block ×7, first 2 shown]
	v_add_u32_e32 v35, v2, v52
	v_add_u32_e32 v46, v48, v78
	v_cndmask_b32_e64 v2, 0, v35, s[12:13]
	v_add_u32_e32 v44, v46, v77
	v_add_u32_e32 v33, v2, v52
	v_add_u32_e32 v42, v44, v76
	v_cndmask_b32_e64 v2, 0, v33, s[10:11]
	v_add_u32_e32 v40, v42, v75
	;; [unrolled: 4-line block ×3, first 2 shown]
	v_add_u32_e32 v29, v2, v52
	s_barrier
	ds_read_b128 v[16:19], v4 offset:1024
	v_add_u32_e32 v34, v36, v72
	v_cndmask_b32_e64 v2, 0, v29, s[6:7]
	v_add_u32_e32 v32, v34, v71
	v_add_u32_e32 v27, v2, v52
	;; [unrolled: 1-line block ×3, first 2 shown]
	v_cndmask_b32_e64 v2, 0, v27, s[4:5]
	v_add_u32_e32 v28, v30, v69
	v_add_u32_e32 v23, v2, v52
	;; [unrolled: 1-line block ×3, first 2 shown]
	v_cndmask_b32_e64 v2, 0, v23, s[2:3]
	s_waitcnt lgkmcnt(0)
	v_cmp_eq_u32_e32 vcc, 0, v16
	v_add_u32_e32 v22, v26, v67
	v_add_u32_e32 v25, v2, v52
	v_cndmask_b32_e32 v2, 0, v19, vcc
	v_add_u32_e32 v24, v22, v66
	v_add_u32_e32 v20, v2, v17
	s_branch .LBB69_104
.LBB69_92:
                                        ; implicit-def: $vgpr16
                                        ; implicit-def: $vgpr20
                                        ; implicit-def: $vgpr24_vgpr25
                                        ; implicit-def: $vgpr22_vgpr23
                                        ; implicit-def: $vgpr26_vgpr27
                                        ; implicit-def: $vgpr28_vgpr29
                                        ; implicit-def: $vgpr50_vgpr51
                                        ; implicit-def: $vgpr48_vgpr49
                                        ; implicit-def: $vgpr46_vgpr47
                                        ; implicit-def: $vgpr44_vgpr45
                                        ; implicit-def: $vgpr42_vgpr43
                                        ; implicit-def: $vgpr40_vgpr41
                                        ; implicit-def: $vgpr38_vgpr39
                                        ; implicit-def: $vgpr36_vgpr37
                                        ; implicit-def: $vgpr34_vgpr35
                                        ; implicit-def: $vgpr32_vgpr33
                                        ; implicit-def: $vgpr30_vgpr31
	s_cbranch_execz .LBB69_104
; %bb.93:
	s_and_b64 s[0:1], s[38:39], exec
	s_cselect_b32 s1, 0, s51
	s_cselect_b32 s0, 0, s50
	s_cmp_eq_u64 s[0:1], 0
	v_mov_b32_e32 v6, v52
	s_cbranch_scc1 .LBB69_95
; %bb.94:
	v_mov_b32_e32 v2, 0
	global_load_dword v6, v2, s[0:1]
.LBB69_95:
	v_cmp_eq_u32_e64 s[2:3], 0, v78
	v_cmp_eq_u32_e64 s[4:5], 0, v77
	v_cmp_eq_u32_e64 s[6:7], 0, v76
	v_cndmask_b32_e64 v2, 0, v52, s[2:3]
	v_add_u32_e32 v2, v2, v52
	v_cndmask_b32_e64 v2, 0, v2, s[4:5]
	v_add_u32_e32 v2, v2, v52
	v_cndmask_b32_e64 v2, 0, v2, s[6:7]
	v_add_u32_e32 v2, v2, v52
	v_cmp_eq_u32_e64 s[8:9], 0, v75
	v_cmp_eq_u32_e64 s[10:11], 0, v74
	v_cmp_eq_u32_e64 s[12:13], 0, v73
	v_cndmask_b32_e64 v2, 0, v2, s[8:9]
	v_add_u32_e32 v2, v2, v52
	v_cndmask_b32_e64 v2, 0, v2, s[10:11]
	v_add_u32_e32 v2, v2, v52
	v_cndmask_b32_e64 v2, 0, v2, s[12:13]
	v_add_u32_e32 v2, v2, v52
	;; [unrolled: 9-line block ×3, first 2 shown]
	v_cmp_eq_u32_e64 s[20:21], 0, v69
	v_cmp_eq_u32_e64 s[22:23], 0, v68
	;; [unrolled: 1-line block ×3, first 2 shown]
	v_cndmask_b32_e64 v2, 0, v2, s[20:21]
	v_add_u32_e32 v2, v2, v52
	v_cndmask_b32_e64 v2, 0, v2, s[22:23]
	v_add_u32_e32 v2, v2, v52
	v_cndmask_b32_e64 v2, 0, v2, s[24:25]
	v_add3_u32 v3, v81, v74, v73
	v_add_u32_e32 v2, v2, v52
	v_cmp_eq_u32_e32 vcc, 0, v66
	v_add3_u32 v3, v3, v72, v71
	v_add3_u32 v3, v3, v70, v69
	v_cndmask_b32_e32 v2, 0, v2, vcc
	v_add_u32_e32 v2, v2, v52
	v_cmp_eq_u32_e64 s[0:1], 0, v65
	v_add3_u32 v3, v3, v68, v67
	v_add3_u32 v3, v3, v66, v65
	v_cndmask_b32_e64 v2, 0, v2, s[0:1]
	v_add_u32_e32 v2, v2, v53
	v_mbcnt_hi_u32_b32 v7, -1, v80
	v_and_b32_e32 v4, 15, v7
	v_mov_b32_dpp v12, v2 row_shr:1 row_mask:0xf bank_mask:0xf
	v_cmp_eq_u32_e64 s[0:1], 0, v3
	v_mov_b32_dpp v5, v3 row_shr:1 row_mask:0xf bank_mask:0xf
	v_cmp_lt_u32_e64 s[26:27], 1, v4
	v_cndmask_b32_e64 v12, 0, v12, s[0:1]
	v_cmp_eq_u32_e64 s[0:1], 0, v4
	s_nop 1
	v_cndmask_b32_e64 v5, v5, 0, s[0:1]
	v_add_u32_e32 v3, v5, v3
	v_cndmask_b32_e64 v5, v12, 0, s[0:1]
	v_add_u32_e32 v2, v5, v2
	v_cmp_eq_u32_e64 s[0:1], 0, v3
	v_mov_b32_dpp v5, v3 row_shr:2 row_mask:0xf bank_mask:0xf
	v_mov_b32_dpp v12, v2 row_shr:2 row_mask:0xf bank_mask:0xf
	v_cndmask_b32_e64 v5, 0, v5, s[26:27]
	s_and_b64 s[0:1], s[26:27], s[0:1]
	v_cndmask_b32_e64 v12, 0, v12, s[0:1]
	v_add_u32_e32 v3, v3, v5
	v_add_u32_e32 v2, v12, v2
	v_cmp_eq_u32_e64 s[0:1], 0, v3
	v_mov_b32_dpp v5, v3 row_shr:4 row_mask:0xf bank_mask:0xf
	v_cmp_lt_u32_e64 s[26:27], 3, v4
	v_mov_b32_dpp v12, v2 row_shr:4 row_mask:0xf bank_mask:0xf
	s_and_b64 s[0:1], s[26:27], s[0:1]
	v_cndmask_b32_e64 v5, 0, v5, s[26:27]
	v_cndmask_b32_e64 v12, 0, v12, s[0:1]
	v_add_u32_e32 v3, v5, v3
	v_add_u32_e32 v2, v2, v12
	v_cmp_eq_u32_e64 s[0:1], 0, v3
	v_cmp_lt_u32_e64 s[26:27], 7, v4
	v_mov_b32_dpp v5, v3 row_shr:8 row_mask:0xf bank_mask:0xf
	v_mov_b32_dpp v12, v2 row_shr:8 row_mask:0xf bank_mask:0xf
	s_and_b64 s[0:1], s[26:27], s[0:1]
	v_cndmask_b32_e64 v4, 0, v5, s[26:27]
	v_cndmask_b32_e64 v5, 0, v12, s[0:1]
	v_add_u32_e32 v2, v5, v2
	v_add_u32_e32 v3, v4, v3
	v_bfe_i32 v12, v7, 4, 1
	v_mov_b32_dpp v5, v2 row_bcast:15 row_mask:0xf bank_mask:0xf
	v_mov_b32_dpp v4, v3 row_bcast:15 row_mask:0xf bank_mask:0xf
	v_cmp_eq_u32_e64 s[0:1], 0, v3
	v_and_b32_e32 v4, v12, v4
	v_add_u32_e32 v3, v4, v3
	v_cndmask_b32_e64 v5, 0, v5, s[0:1]
	v_and_b32_e32 v4, v12, v5
	v_add_u32_e32 v4, v4, v2
	v_mov_b32_dpp v2, v3 row_bcast:31 row_mask:0xf bank_mask:0xf
	v_cmp_eq_u32_e64 s[0:1], 0, v3
	v_cmp_lt_u32_e64 s[26:27], 31, v7
	v_mov_b32_dpp v5, v4 row_bcast:31 row_mask:0xf bank_mask:0xf
	s_and_b64 s[0:1], s[26:27], s[0:1]
	v_cndmask_b32_e64 v2, 0, v2, s[26:27]
	v_add_u32_e32 v2, v2, v3
	v_cndmask_b32_e64 v3, 0, v5, s[0:1]
	v_add_u32_e32 v3, v3, v4
	v_cmp_eq_u32_e64 s[0:1], v55, v0
	s_and_saveexec_b64 s[26:27], s[0:1]
	s_cbranch_execz .LBB69_97
; %bb.96:
	v_lshlrev_b32_e32 v4, 3, v54
	ds_write_b64 v4, v[2:3] offset:1040
.LBB69_97:
	s_or_b64 exec, exec, s[26:27]
	v_cmp_gt_u32_e64 s[0:1], 8, v0
	s_waitcnt lgkmcnt(0)
	s_barrier
	s_and_saveexec_b64 s[28:29], s[0:1]
	s_cbranch_execz .LBB69_99
; %bb.98:
	v_lshlrev_b32_e32 v12, 3, v0
	ds_read_b64 v[4:5], v12 offset:1040
	v_and_b32_e32 v13, 7, v7
	v_cmp_lt_u32_e64 s[26:27], 1, v13
	s_waitcnt lgkmcnt(0)
	v_mov_b32_dpp v15, v5 row_shr:1 row_mask:0xf bank_mask:0xf
	v_cmp_eq_u32_e64 s[0:1], 0, v4
	v_mov_b32_dpp v14, v4 row_shr:1 row_mask:0xf bank_mask:0xf
	s_nop 0
	v_cndmask_b32_e64 v15, 0, v15, s[0:1]
	v_cmp_eq_u32_e64 s[0:1], 0, v13
	s_nop 1
	v_cndmask_b32_e64 v14, v14, 0, s[0:1]
	v_add_u32_e32 v4, v14, v4
	v_cndmask_b32_e64 v14, v15, 0, s[0:1]
	v_add_u32_e32 v5, v14, v5
	v_cmp_eq_u32_e64 s[0:1], 0, v4
	v_mov_b32_dpp v14, v4 row_shr:2 row_mask:0xf bank_mask:0xf
	v_mov_b32_dpp v15, v5 row_shr:2 row_mask:0xf bank_mask:0xf
	v_cndmask_b32_e64 v14, 0, v14, s[26:27]
	s_and_b64 s[0:1], s[26:27], s[0:1]
	v_cndmask_b32_e64 v15, 0, v15, s[0:1]
	v_add_u32_e32 v4, v14, v4
	v_add_u32_e32 v5, v15, v5
	v_cmp_eq_u32_e64 s[0:1], 0, v4
	v_mov_b32_dpp v14, v4 row_shr:4 row_mask:0xf bank_mask:0xf
	v_cmp_lt_u32_e64 s[26:27], 3, v13
	v_mov_b32_dpp v15, v5 row_shr:4 row_mask:0xf bank_mask:0xf
	s_and_b64 s[0:1], s[26:27], s[0:1]
	v_cndmask_b32_e64 v13, 0, v14, s[26:27]
	v_add_u32_e32 v4, v13, v4
	v_cndmask_b32_e64 v13, 0, v15, s[0:1]
	v_add_u32_e32 v5, v13, v5
	ds_write_b64 v12, v[4:5] offset:1040
.LBB69_99:
	s_or_b64 exec, exec, s[28:29]
	v_cmp_lt_u32_e64 s[0:1], 63, v0
	v_mov_b32_e32 v12, 0
	v_mov_b32_e32 v4, 0
	s_waitcnt vmcnt(0)
	v_mov_b32_e32 v5, v6
	s_waitcnt lgkmcnt(0)
	s_barrier
	s_and_saveexec_b64 s[26:27], s[0:1]
	s_cbranch_execz .LBB69_101
; %bb.100:
	v_lshlrev_b32_e32 v4, 3, v54
	ds_read_b64 v[4:5], v4 offset:1032
	s_waitcnt lgkmcnt(0)
	v_cmp_eq_u32_e64 s[0:1], 0, v4
	s_nop 1
	v_cndmask_b32_e64 v13, 0, v6, s[0:1]
	v_add_u32_e32 v5, v13, v5
.LBB69_101:
	s_or_b64 exec, exec, s[26:27]
	v_cmp_eq_u32_e64 s[0:1], 0, v2
	v_add_u32_e32 v13, v4, v2
	v_and_b32_e32 v14, 64, v7
	v_cndmask_b32_e64 v2, 0, v5, s[0:1]
	v_add_u32_e32 v2, v2, v3
	v_add_u32_e32 v3, -1, v7
	v_cmp_lt_i32_e64 s[0:1], v3, v14
	ds_read_b64 v[16:17], v12 offset:1096
	s_nop 0
	v_cndmask_b32_e64 v3, v3, v7, s[0:1]
	v_lshlrev_b32_e32 v3, 2, v3
	ds_bpermute_b32 v2, v3, v2
	ds_bpermute_b32 v13, v3, v13
	v_cmp_eq_u32_e64 s[0:1], 0, v7
	s_waitcnt lgkmcnt(1)
	s_nop 0
	v_cndmask_b32_e64 v2, v2, v5, s[0:1]
	s_waitcnt lgkmcnt(0)
	v_cndmask_b32_e64 v3, v13, v4, s[0:1]
	v_cndmask_b32_e64 v51, v2, v6, s[34:35]
	v_cmp_eq_u32_e64 s[0:1], 0, v79
	v_cndmask_b32_e64 v50, v3, 0, s[34:35]
	v_add_u32_e32 v48, v50, v79
	v_cndmask_b32_e64 v2, 0, v51, s[0:1]
	v_add_u32_e32 v49, v2, v52
	;; [unrolled: 2-line block ×9, first 2 shown]
	v_add_u32_e32 v46, v48, v78
	v_cndmask_b32_e64 v2, 0, v35, s[16:17]
	v_add_u32_e32 v44, v46, v77
	v_add_u32_e32 v33, v2, v52
	v_add_u32_e32 v42, v44, v76
	v_cndmask_b32_e64 v2, 0, v33, s[18:19]
	v_add_u32_e32 v40, v42, v75
	v_add_u32_e32 v31, v2, v52
	;; [unrolled: 4-line block ×5, first 2 shown]
	v_add_u32_e32 v26, v28, v68
	v_cndmask_b32_e32 v2, 0, v23, vcc
	v_cmp_eq_u32_e32 vcc, 0, v16
	v_add_u32_e32 v22, v26, v67
	v_add_u32_e32 v25, v2, v52
	v_cndmask_b32_e32 v2, 0, v6, vcc
	v_add_u32_e32 v24, v22, v66
	v_add_u32_e32 v20, v2, v17
	s_and_saveexec_b64 s[0:1], s[34:35]
	s_cbranch_execz .LBB69_103
; %bb.102:
	s_add_u32 s2, s36, 0x400
	v_and_b32_e32 v2, 0xff000000, v20
	v_and_b32_e32 v3, 0xff0000, v20
	s_addc_u32 s3, s37, 0
	v_or_b32_e32 v2, v3, v2
	v_and_b32_e32 v3, 0xff00, v20
	v_and_b32_e32 v4, 0xff, v20
	v_mov_b32_e32 v19, 0
	v_or3_b32 v17, v2, v3, v4
	v_mov_b32_e32 v18, 2
	v_mov_b64_e32 v[2:3], s[2:3]
	;;#ASMSTART
	global_store_dwordx4 v[2:3], v[16:19] off sc1	
s_waitcnt vmcnt(0)
	;;#ASMEND
.LBB69_103:
	s_or_b64 exec, exec, s[0:1]
	v_mov_b32_e32 v18, 0
.LBB69_104:
	s_and_b64 s[0:1], s[38:39], exec
	s_cselect_b32 s1, 0, s31
	s_cselect_b32 s0, 0, s30
	s_cmp_eq_u64 s[0:1], 0
	v_mov_b64_e32 v[52:53], 0
	s_barrier
	s_cbranch_scc1 .LBB69_106
; %bb.105:
	v_mov_b32_e32 v2, 0
	global_load_dwordx2 v[52:53], v2, s[0:1]
.LBB69_106:
	s_waitcnt vmcnt(0)
	v_lshl_add_u64 v[2:3], s[44:45], 0, v[52:53]
	v_mov_b32_e32 v19, 0
	v_cmp_eq_u32_e32 vcc, 0, v79
	v_lshl_add_u64 v[54:55], v[2:3], 0, v[18:19]
	s_movk_i32 s0, 0x200
	v_cndmask_b32_e64 v2, 1, 2, vcc
	v_cmp_eq_u32_e32 vcc, 0, v78
	v_cmp_ne_u32_e64 s[30:31], 0, v79
	v_cmp_ne_u32_e64 s[28:29], 0, v78
	v_cndmask_b32_e64 v3, 1, 2, vcc
	v_cmp_eq_u32_e32 vcc, 0, v77
	v_and_b32_e32 v2, v3, v2
	v_cmp_ne_u32_e64 s[26:27], 0, v77
	v_cndmask_b32_e64 v3, 1, 2, vcc
	v_cmp_eq_u32_e32 vcc, 0, v76
	v_and_b32_e32 v2, v2, v3
	;; [unrolled: 4-line block ×13, first 2 shown]
	v_cmp_ne_u32_e64 s[2:3], 0, v65
	v_cndmask_b32_e64 v3, 1, 2, vcc
	v_and_b32_e32 v2, v2, v3
	v_cmp_gt_u32_e32 vcc, s0, v16
	s_mov_b64 s[36:37], -1
	v_cmp_gt_i16_e64 s[0:1], 2, v2
	s_cbranch_vccz .LBB69_113
; %bb.107:
	s_and_saveexec_b64 s[36:37], s[0:1]
	s_cbranch_execz .LBB69_112
; %bb.108:
	v_cmp_ne_u16_e32 vcc, 1, v2
	s_mov_b64 s[38:39], 0
	s_and_saveexec_b64 s[0:1], vcc
	s_xor_b64 s[0:1], exec, s[0:1]
	s_cbranch_execnz .LBB69_154
; %bb.109:
	s_andn2_saveexec_b64 s[0:1], s[0:1]
	s_cbranch_execnz .LBB69_170
.LBB69_110:
	s_or_b64 exec, exec, s[0:1]
	s_and_b64 exec, exec, s[38:39]
	s_cbranch_execz .LBB69_112
.LBB69_111:
	v_sub_u32_e32 v3, v24, v18
	v_readfirstlane_b32 s0, v54
	v_readfirstlane_b32 s1, v55
	s_nop 4
	global_store_byte v3, v1, s[0:1]
.LBB69_112:
	s_or_b64 exec, exec, s[36:37]
	s_mov_b64 s[36:37], 0
.LBB69_113:
	s_and_b64 vcc, exec, s[36:37]
	s_cbranch_vccz .LBB69_132
; %bb.114:
	v_cmp_gt_i16_e32 vcc, 2, v2
	s_and_saveexec_b64 s[0:1], vcc
	s_cbranch_execz .LBB69_119
; %bb.115:
	v_cmp_ne_u16_e32 vcc, 1, v2
	s_mov_b64 s[38:39], 0
	s_and_saveexec_b64 s[36:37], vcc
	s_xor_b64 s[36:37], exec, s[36:37]
	s_cbranch_execnz .LBB69_171
; %bb.116:
	s_andn2_saveexec_b64 s[2:3], s[36:37]
	s_cbranch_execnz .LBB69_187
.LBB69_117:
	s_or_b64 exec, exec, s[2:3]
	s_and_b64 exec, exec, s[38:39]
	s_cbranch_execz .LBB69_119
.LBB69_118:
	v_sub_u32_e32 v2, v24, v18
	ds_write_b8 v2, v1
.LBB69_119:
	s_or_b64 exec, exec, s[0:1]
	v_cmp_lt_u32_e32 vcc, v0, v16
	s_waitcnt lgkmcnt(0)
	s_barrier
	s_and_saveexec_b64 s[0:1], vcc
	s_cbranch_execz .LBB69_131
; %bb.120:
	v_xad_u32 v2, v0, -1, v16
	s_movk_i32 s2, 0xdff
	v_cmp_lt_u32_e32 vcc, s2, v2
	s_mov_b64 s[4:5], -1
	v_mov_b32_e32 v1, v0
	s_and_saveexec_b64 s[2:3], vcc
	s_cbranch_execz .LBB69_128
; %bb.121:
	v_lshrrev_b32_e32 v17, 9, v2
	v_or_b32_e32 v7, 0xe00, v0
	v_or_b32_e32 v6, 0xc00, v0
	;; [unrolled: 1-line block ×7, first 2 shown]
	v_add_u32_e32 v21, -7, v17
	v_mov_b64_e32 v[14:15], v[6:7]
	v_cmp_lt_u32_e32 vcc, 7, v21
	v_mov_b32_e32 v60, 0
	v_mov_b64_e32 v[12:13], v[4:5]
	v_mov_b64_e32 v[10:11], v[2:3]
	;; [unrolled: 1-line block ×3, first 2 shown]
	s_and_saveexec_b64 s[4:5], vcc
	s_cbranch_execz .LBB69_125
; %bb.122:
	v_lshrrev_b32_e32 v8, 3, v21
	v_add_u32_e32 v8, 1, v8
	v_and_b32_e32 v58, 0x3ffffffe, v8
	v_mov_b64_e32 v[14:15], v[6:7]
	s_mov_b32 s8, 0
	s_mov_b64 s[6:7], 0
	v_mov_b32_e32 v57, 0
	v_mov_b32_e32 v59, v0
	v_mov_b64_e32 v[12:13], v[4:5]
	v_mov_b64_e32 v[10:11], v[2:3]
	;; [unrolled: 1-line block ×3, first 2 shown]
.LBB69_123:                             ; =>This Inner Loop Header: Depth=1
	v_mov_b32_e32 v56, v8
	v_lshl_add_u64 v[84:85], v[54:55], 0, v[56:57]
	v_mov_b32_e32 v56, v9
	v_lshl_add_u64 v[88:89], v[54:55], 0, v[56:57]
	;; [unrolled: 2-line block ×3, first 2 shown]
	v_mov_b32_e32 v56, v11
	ds_read_u8 v1, v59
	ds_read_u8 v64, v59 offset:512
	ds_read_u8 v96, v59 offset:1024
	;; [unrolled: 1-line block ×7, first 2 shown]
	v_lshl_add_u64 v[92:93], v[54:55], 0, v[56:57]
	v_mov_b32_e32 v56, v12
	ds_read_u8 v102, v59 offset:4096
	ds_read_u8 v103, v59 offset:4608
	;; [unrolled: 1-line block ×8, first 2 shown]
	v_lshl_add_u64 v[94:95], v[54:55], 0, v[56:57]
	v_mov_b32_e32 v56, v13
	s_waitcnt lgkmcnt(14)
	global_store_byte v[84:85], v1, off
	global_store_byte v[88:89], v64, off
	s_waitcnt lgkmcnt(13)
	global_store_byte v[90:91], v96, off
	s_waitcnt lgkmcnt(12)
	global_store_byte v[92:93], v97, off
	v_lshl_add_u64 v[84:85], v[54:55], 0, v[56:57]
	v_mov_b32_e32 v56, v14
	v_add_u32_e32 v58, -2, v58
	v_lshl_add_u64 v[88:89], v[54:55], 0, v[56:57]
	v_mov_b32_e32 v56, v15
	v_add_u32_e32 v60, 0x1000, v12
	v_mov_b32_e32 v61, v57
	s_add_i32 s8, s8, 16
	v_cmp_eq_u32_e32 vcc, 0, v58
	s_waitcnt lgkmcnt(11)
	global_store_byte v[94:95], v98, off
	s_waitcnt lgkmcnt(10)
	global_store_byte v[84:85], v99, off
	v_lshl_add_u64 v[84:85], v[54:55], 0, v[56:57]
	v_add_u32_e32 v56, 0x1000, v8
	v_add_u32_e32 v2, 0x1000, v15
	;; [unrolled: 1-line block ×7, first 2 shown]
	v_mov_b32_e32 v83, v57
	v_mov_b32_e32 v81, v57
	;; [unrolled: 1-line block ×6, first 2 shown]
	v_add_u32_e32 v59, 0x2000, v59
	v_lshl_add_u64 v[86:87], v[54:55], 0, v[60:61]
	v_add_u32_e32 v9, 0x2000, v9
	v_mov_b32_e32 v60, s8
	v_add_u32_e32 v10, 0x2000, v10
	s_or_b64 s[6:7], vcc, s[6:7]
	v_add_u32_e32 v11, 0x2000, v11
	v_add_u32_e32 v12, 0x2000, v12
	;; [unrolled: 1-line block ×5, first 2 shown]
	s_waitcnt lgkmcnt(9)
	global_store_byte v[88:89], v100, off
	v_add_u32_e32 v8, 0x2000, v8
	s_waitcnt lgkmcnt(8)
	global_store_byte v[84:85], v101, off
	v_lshl_add_u64 v[84:85], v[54:55], 0, v[56:57]
	v_lshl_add_u64 v[82:83], v[54:55], 0, v[82:83]
	;; [unrolled: 1-line block ×7, first 2 shown]
	s_waitcnt lgkmcnt(7)
	global_store_byte v[84:85], v102, off
	s_waitcnt lgkmcnt(6)
	global_store_byte v[82:83], v103, off
	;; [unrolled: 2-line block ×8, first 2 shown]
	s_andn2_b64 exec, exec, s[6:7]
	s_cbranch_execnz .LBB69_123
; %bb.124:
	s_or_b64 exec, exec, s[6:7]
.LBB69_125:
	s_or_b64 exec, exec, s[4:5]
	v_and_b32_e32 v1, 8, v21
	v_cmp_eq_u32_e32 vcc, 0, v1
	s_and_saveexec_b64 s[4:5], vcc
	s_cbranch_execz .LBB69_127
; %bb.126:
	v_mov_b32_e32 v3, 0
	v_mov_b32_e32 v2, v8
	v_lshl_add_u64 v[4:5], v[54:55], 0, v[2:3]
	v_mov_b32_e32 v2, v9
	v_lshl_or_b32 v1, v60, 9, v0
	v_lshl_add_u64 v[6:7], v[54:55], 0, v[2:3]
	v_mov_b32_e32 v2, v10
	ds_read_u8 v21, v1
	ds_read_u8 v60, v1 offset:512
	ds_read_u8 v61, v1 offset:1024
	;; [unrolled: 1-line block ×7, first 2 shown]
	v_lshl_add_u64 v[8:9], v[54:55], 0, v[2:3]
	v_mov_b32_e32 v2, v11
	v_lshl_add_u64 v[10:11], v[54:55], 0, v[2:3]
	v_mov_b32_e32 v2, v12
	;; [unrolled: 2-line block ×5, first 2 shown]
	v_lshl_add_u64 v[2:3], v[54:55], 0, v[2:3]
	s_waitcnt lgkmcnt(7)
	global_store_byte v[4:5], v21, off
	s_waitcnt lgkmcnt(6)
	global_store_byte v[6:7], v60, off
	;; [unrolled: 2-line block ×8, first 2 shown]
.LBB69_127:
	s_or_b64 exec, exec, s[4:5]
	v_add_u32_e32 v2, 1, v17
	v_and_b32_e32 v3, 0xfffff8, v2
	v_cmp_ne_u32_e32 vcc, v2, v3
	v_lshl_or_b32 v1, v3, 9, v0
	s_orn2_b64 s[4:5], vcc, exec
.LBB69_128:
	s_or_b64 exec, exec, s[2:3]
	s_and_b64 exec, exec, s[4:5]
	s_cbranch_execz .LBB69_131
; %bb.129:
	s_mov_b64 s[2:3], 0
.LBB69_130:                             ; =>This Inner Loop Header: Depth=1
	ds_read_u8 v2, v1
	v_readfirstlane_b32 s4, v54
	v_readfirstlane_b32 s5, v55
	s_waitcnt lgkmcnt(0)
	s_nop 3
	global_store_byte v1, v2, s[4:5]
	v_add_u32_e32 v1, 0x200, v1
	v_cmp_ge_u32_e32 vcc, v1, v16
	s_or_b64 s[2:3], vcc, s[2:3]
	s_andn2_b64 exec, exec, s[2:3]
	s_cbranch_execnz .LBB69_130
.LBB69_131:
	s_or_b64 exec, exec, s[0:1]
.LBB69_132:
	s_cmpk_lg_i32 s33, 0x1e00
	s_cselect_b64 s[0:1], -1, 0
	v_cndmask_b32_e64 v10, 0, 1, s[42:43]
	s_and_b64 s[0:1], s[0:1], s[40:41]
	v_sub_u32_e32 v1, v16, v10
	v_cndmask_b32_e64 v2, 0, 1, s[0:1]
	s_and_b64 s[0:1], s[34:35], s[42:43]
	v_add_u32_e32 v1, v1, v2
	v_cndmask_b32_e64 v2, v79, 0, s[0:1]
	s_mul_hi_u32 s0, s33, 0x88888889
	s_lshr_b32 s0, s0, 3
	v_mad_i32_i24 v3, v0, -15, s33
	v_cmp_eq_u32_e32 vcc, s0, v0
	v_cmp_ne_u32_e64 s[0:1], 0, v3
	s_and_b64 vcc, vcc, s[40:41]
	s_mov_b32 s2, 0
	v_cndmask_b32_e64 v4, 1, v2, s[0:1]
	v_cmp_ne_u32_e64 s[0:1], 1, v3
	v_cndmask_b32_e32 v63, v2, v4, vcc
	s_movk_i32 s30, 0x200
	v_cndmask_b32_e64 v5, 1, v78, s[0:1]
	v_cmp_ne_u32_e64 s[0:1], 2, v3
	v_cndmask_b32_e32 v62, v78, v5, vcc
	v_lshlrev_b64 v[4:5], 3, v[52:53]
	v_cndmask_b32_e64 v6, 1, v77, s[0:1]
	v_cmp_ne_u32_e64 s[0:1], 3, v3
	v_cndmask_b32_e32 v61, v77, v6, vcc
	s_mov_b64 s[34:35], -1
	v_cndmask_b32_e64 v7, 1, v76, s[0:1]
	v_cmp_ne_u32_e64 s[0:1], 4, v3
	v_cndmask_b32_e32 v60, v76, v7, vcc
	v_lshlrev_b64 v[6:7], 3, v[18:19]
	v_cndmask_b32_e64 v8, 1, v75, s[0:1]
	v_cmp_ne_u32_e64 s[0:1], 5, v3
	v_cndmask_b32_e32 v59, v75, v8, vcc
	v_cmp_ne_u32_e64 s[28:29], 0, v63
	v_cndmask_b32_e64 v9, 1, v74, s[0:1]
	v_cmp_ne_u32_e64 s[0:1], 6, v3
	v_cndmask_b32_e32 v58, v74, v9, vcc
	v_cmp_ne_u32_e64 s[26:27], 0, v62
	v_cndmask_b32_e64 v11, 1, v73, s[0:1]
	v_cmp_ne_u32_e64 s[0:1], 7, v3
	v_cndmask_b32_e32 v57, v73, v11, vcc
	v_mov_b32_e32 v11, s2
	v_cndmask_b32_e64 v12, 1, v72, s[0:1]
	v_cmp_ne_u32_e64 s[0:1], 8, v3
	v_cndmask_b32_e32 v56, v72, v12, vcc
	v_lshl_add_u64 v[8:9], v[10:11], 0, -1
	v_cndmask_b32_e64 v13, 1, v71, s[0:1]
	v_cmp_ne_u32_e64 s[0:1], 9, v3
	v_cndmask_b32_e32 v13, v71, v13, vcc
	v_add_u32_e32 v12, v18, v10
	v_cndmask_b32_e64 v14, 1, v70, s[0:1]
	v_cmp_ne_u32_e64 s[0:1], 10, v3
	v_cndmask_b32_e32 v14, v70, v14, vcc
	v_cmp_ne_u32_e64 s[12:13], 0, v13
	v_cndmask_b32_e64 v15, 1, v69, s[0:1]
	v_cmp_ne_u32_e64 s[0:1], 11, v3
	v_cndmask_b32_e32 v15, v69, v15, vcc
	v_cmp_ne_u32_e64 s[24:25], 0, v61
	;; [unrolled: 4-line block ×5, first 2 shown]
	v_cndmask_b32_e64 v3, 1, v65, s[0:1]
	v_cndmask_b32_e32 v55, v65, v3, vcc
	v_cmp_eq_u32_e32 vcc, 0, v63
	v_lshl_add_u64 v[2:3], s[46:47], 0, v[4:5]
	v_lshl_add_u64 v[2:3], v[2:3], 0, v[6:7]
	v_cndmask_b32_e64 v10, 1, 2, vcc
	v_cmp_eq_u32_e32 vcc, 0, v62
	v_cmp_ne_u32_e64 s[16:17], 0, v57
	v_cmp_ne_u32_e64 s[14:15], 0, v56
	v_cndmask_b32_e64 v11, 1, 2, vcc
	v_cmp_eq_u32_e32 vcc, 0, v61
	v_and_b32_e32 v10, v11, v10
	v_cmp_ne_u32_e64 s[10:11], 0, v14
	v_cndmask_b32_e64 v11, 1, 2, vcc
	v_cmp_eq_u32_e32 vcc, 0, v60
	v_and_b32_e32 v10, v10, v11
	;; [unrolled: 4-line block ×7, first 2 shown]
	s_nop 0
	v_cndmask_b32_e64 v11, 1, 2, vcc
	v_cmp_eq_u32_e32 vcc, 0, v14
	v_and_b32_e32 v10, v10, v11
	s_barrier
	v_cndmask_b32_e64 v11, 1, 2, vcc
	v_cmp_eq_u32_e32 vcc, 0, v15
	v_and_b32_e32 v10, v10, v11
	s_nop 0
	v_cndmask_b32_e64 v11, 1, 2, vcc
	v_cmp_eq_u32_e32 vcc, 0, v17
	v_and_b32_e32 v10, v10, v11
	s_nop 0
	;; [unrolled: 4-line block ×5, first 2 shown]
	v_cndmask_b32_e64 v11, 1, 2, vcc
	v_and_b32_e32 v13, v10, v11
	v_cmp_gt_u32_e32 vcc, s30, v1
	v_cmp_gt_i16_e64 s[30:31], 2, v13
	s_cbranch_vccz .LBB69_139
; %bb.133:
	s_and_saveexec_b64 s[34:35], s[30:31]
	s_cbranch_execz .LBB69_138
; %bb.134:
	v_lshlrev_b64 v[10:11], 3, v[8:9]
	v_lshl_add_u64 v[10:11], v[2:3], 0, v[10:11]
	v_cmp_ne_u16_e32 vcc, 1, v13
	s_mov_b64 s[36:37], 0
	s_and_saveexec_b64 s[30:31], vcc
	s_xor_b64 s[30:31], exec, s[30:31]
	s_cbranch_execnz .LBB69_188
; %bb.135:
	s_andn2_saveexec_b64 s[30:31], s[30:31]
	s_cbranch_execnz .LBB69_204
.LBB69_136:
	s_or_b64 exec, exec, s[30:31]
	s_and_b64 exec, exec, s[36:37]
	s_cbranch_execz .LBB69_138
.LBB69_137:
	v_mov_b32_e32 v15, 0
	v_sub_u32_e32 v54, v24, v12
	v_mov_b32_e32 v55, v15
	v_mov_b32_e32 v14, v25
	v_lshl_add_u64 v[10:11], v[54:55], 3, v[10:11]
	global_store_dwordx2 v[10:11], v[14:15], off
.LBB69_138:
	s_or_b64 exec, exec, s[34:35]
	s_mov_b64 s[34:35], 0
.LBB69_139:
	s_and_b64 vcc, exec, s[34:35]
	s_cbranch_vccz .LBB69_149
; %bb.140:
	v_cmp_gt_i16_e32 vcc, 2, v13
	s_and_saveexec_b64 s[30:31], vcc
	s_cbranch_execz .LBB69_145
; %bb.141:
	v_cmp_ne_u16_e32 vcc, 1, v13
	s_mov_b64 s[36:37], 0
	s_and_saveexec_b64 s[34:35], vcc
	s_xor_b64 s[34:35], exec, s[34:35]
	s_cbranch_execnz .LBB69_205
; %bb.142:
	s_andn2_saveexec_b64 s[0:1], s[34:35]
	s_cbranch_execnz .LBB69_221
.LBB69_143:
	s_or_b64 exec, exec, s[0:1]
	s_and_b64 exec, exec, s[36:37]
	s_cbranch_execz .LBB69_145
.LBB69_144:
	v_sub_u32_e32 v10, v24, v12
	v_lshlrev_b32_e32 v10, 2, v10
	ds_write_b32 v10, v25
.LBB69_145:
	s_or_b64 exec, exec, s[30:31]
	v_cmp_lt_u32_e32 vcc, v0, v1
	s_waitcnt lgkmcnt(0)
	s_barrier
	s_and_saveexec_b64 s[0:1], vcc
	s_cbranch_execz .LBB69_148
; %bb.146:
	v_lshlrev_b64 v[8:9], 3, v[8:9]
	v_lshl_add_u64 v[4:5], v[4:5], 0, v[8:9]
	v_lshl_add_u64 v[6:7], v[4:5], 0, v[6:7]
	v_lshlrev_b32_e32 v4, 3, v0
	v_mov_b32_e32 v5, 0
	v_lshl_add_u64 v[6:7], s[46:47], 0, v[6:7]
	v_lshlrev_b32_e32 v10, 2, v0
	v_lshl_add_u64 v[6:7], v[6:7], 0, v[4:5]
	s_mov_b64 s[2:3], 0
	s_mov_b64 s[4:5], 0x1000
	v_mov_b32_e32 v8, v0
.LBB69_147:                             ; =>This Inner Loop Header: Depth=1
	ds_read_b32 v4, v10
	v_add_u32_e32 v8, 0x200, v8
	v_cmp_ge_u32_e32 vcc, v8, v1
	v_add_u32_e32 v10, 0x800, v10
	s_or_b64 s[2:3], vcc, s[2:3]
	s_waitcnt lgkmcnt(0)
	global_store_dwordx2 v[6:7], v[4:5], off
	v_lshl_add_u64 v[6:7], v[6:7], 0, s[4:5]
	s_andn2_b64 exec, exec, s[2:3]
	s_cbranch_execnz .LBB69_147
.LBB69_148:
	s_or_b64 exec, exec, s[0:1]
.LBB69_149:
	s_movk_i32 s0, 0x1ff
	v_cmp_eq_u32_e32 vcc, s0, v0
	s_and_b64 s[0:1], vcc, s[40:41]
	s_and_saveexec_b64 s[2:3], s[0:1]
	s_cbranch_execz .LBB69_152
; %bb.150:
	v_mov_b32_e32 v17, 0
	v_lshl_add_u64 v[0:1], v[16:17], 0, v[18:19]
	v_lshl_add_u64 v[0:1], v[0:1], 0, v[52:53]
	s_cmpk_lg_i32 s33, 0x1e00
	global_store_dwordx2 v17, v[0:1], s[48:49]
	s_cbranch_scc1 .LBB69_152
; %bb.151:
	v_lshlrev_b64 v[0:1], 3, v[16:17]
	v_mov_b32_e32 v21, v17
	v_lshl_add_u64 v[0:1], v[2:3], 0, v[0:1]
	global_store_dwordx2 v[0:1], v[20:21], off offset:-8
.LBB69_152:
	s_endpgm
.LBB69_153:
	s_or_b64 exec, exec, s[8:9]
	v_mov_b32_e32 v79, s12
	s_and_saveexec_b64 s[0:1], s[4:5]
	s_cbranch_execnz .LBB69_60
	s_branch .LBB69_61
.LBB69_154:
	s_and_saveexec_b64 s[38:39], s[30:31]
	s_cbranch_execnz .LBB69_222
; %bb.155:
	s_or_b64 exec, exec, s[38:39]
	s_and_saveexec_b64 s[38:39], s[28:29]
	s_cbranch_execnz .LBB69_223
.LBB69_156:
	s_or_b64 exec, exec, s[38:39]
	s_and_saveexec_b64 s[38:39], s[26:27]
	s_cbranch_execnz .LBB69_224
.LBB69_157:
	s_or_b64 exec, exec, s[38:39]
	s_and_saveexec_b64 s[38:39], s[24:25]
	s_cbranch_execnz .LBB69_225
.LBB69_158:
	s_or_b64 exec, exec, s[38:39]
	s_and_saveexec_b64 s[38:39], s[22:23]
	s_cbranch_execnz .LBB69_226
.LBB69_159:
	s_or_b64 exec, exec, s[38:39]
	s_and_saveexec_b64 s[38:39], s[20:21]
	s_cbranch_execnz .LBB69_227
.LBB69_160:
	s_or_b64 exec, exec, s[38:39]
	s_and_saveexec_b64 s[38:39], s[18:19]
	s_cbranch_execnz .LBB69_228
.LBB69_161:
	s_or_b64 exec, exec, s[38:39]
	s_and_saveexec_b64 s[38:39], s[16:17]
	s_cbranch_execnz .LBB69_229
.LBB69_162:
	s_or_b64 exec, exec, s[38:39]
	s_and_saveexec_b64 s[38:39], s[14:15]
	s_cbranch_execnz .LBB69_230
.LBB69_163:
	s_or_b64 exec, exec, s[38:39]
	s_and_saveexec_b64 s[38:39], s[12:13]
	s_cbranch_execnz .LBB69_231
.LBB69_164:
	s_or_b64 exec, exec, s[38:39]
	s_and_saveexec_b64 s[38:39], s[10:11]
	s_cbranch_execnz .LBB69_232
.LBB69_165:
	s_or_b64 exec, exec, s[38:39]
	s_and_saveexec_b64 s[38:39], s[8:9]
	s_cbranch_execnz .LBB69_233
.LBB69_166:
	s_or_b64 exec, exec, s[38:39]
	s_and_saveexec_b64 s[38:39], s[6:7]
	s_cbranch_execnz .LBB69_234
.LBB69_167:
	s_or_b64 exec, exec, s[38:39]
	s_and_saveexec_b64 s[38:39], s[4:5]
	s_cbranch_execz .LBB69_169
.LBB69_168:
	v_sub_u32_e32 v3, v22, v18
	v_readfirstlane_b32 s44, v54
	v_readfirstlane_b32 s45, v55
	s_nop 4
	global_store_byte v3, v11, s[44:45]
.LBB69_169:
	s_or_b64 exec, exec, s[38:39]
	s_and_b64 s[38:39], s[2:3], exec
	s_andn2_saveexec_b64 s[0:1], s[0:1]
	s_cbranch_execz .LBB69_110
.LBB69_170:
	v_sub_u32_e32 v3, v50, v18
	v_readfirstlane_b32 s44, v54
	v_readfirstlane_b32 s45, v55
	s_or_b64 s[38:39], s[38:39], exec
	s_nop 3
	global_store_byte v3, v8, s[44:45]
	v_sub_u32_e32 v3, v48, v18
	global_store_byte v3, v64, s[44:45]
	v_sub_u32_e32 v3, v46, v18
	;; [unrolled: 2-line block ×13, first 2 shown]
	global_store_byte v3, v11, s[44:45]
	s_or_b64 exec, exec, s[0:1]
	s_and_b64 exec, exec, s[38:39]
	s_cbranch_execnz .LBB69_111
	s_branch .LBB69_112
.LBB69_171:
	s_and_saveexec_b64 s[38:39], s[30:31]
	s_cbranch_execnz .LBB69_235
; %bb.172:
	s_or_b64 exec, exec, s[38:39]
	s_and_saveexec_b64 s[30:31], s[28:29]
	s_cbranch_execnz .LBB69_236
.LBB69_173:
	s_or_b64 exec, exec, s[30:31]
	s_and_saveexec_b64 s[28:29], s[26:27]
	s_cbranch_execnz .LBB69_237
.LBB69_174:
	s_or_b64 exec, exec, s[28:29]
	s_and_saveexec_b64 s[26:27], s[24:25]
	s_cbranch_execnz .LBB69_238
.LBB69_175:
	s_or_b64 exec, exec, s[26:27]
	s_and_saveexec_b64 s[24:25], s[22:23]
	s_cbranch_execnz .LBB69_239
.LBB69_176:
	s_or_b64 exec, exec, s[24:25]
	s_and_saveexec_b64 s[22:23], s[20:21]
	s_cbranch_execnz .LBB69_240
.LBB69_177:
	s_or_b64 exec, exec, s[22:23]
	s_and_saveexec_b64 s[20:21], s[18:19]
	s_cbranch_execnz .LBB69_241
.LBB69_178:
	s_or_b64 exec, exec, s[20:21]
	s_and_saveexec_b64 s[18:19], s[16:17]
	s_cbranch_execnz .LBB69_242
.LBB69_179:
	s_or_b64 exec, exec, s[18:19]
	s_and_saveexec_b64 s[16:17], s[14:15]
	s_cbranch_execnz .LBB69_243
.LBB69_180:
	s_or_b64 exec, exec, s[16:17]
	s_and_saveexec_b64 s[14:15], s[12:13]
	s_cbranch_execnz .LBB69_244
.LBB69_181:
	s_or_b64 exec, exec, s[14:15]
	s_and_saveexec_b64 s[12:13], s[10:11]
	s_cbranch_execnz .LBB69_245
.LBB69_182:
	s_or_b64 exec, exec, s[12:13]
	s_and_saveexec_b64 s[10:11], s[8:9]
	s_cbranch_execnz .LBB69_246
.LBB69_183:
	s_or_b64 exec, exec, s[10:11]
	s_and_saveexec_b64 s[8:9], s[6:7]
	s_cbranch_execnz .LBB69_247
.LBB69_184:
	s_or_b64 exec, exec, s[8:9]
	s_and_saveexec_b64 s[6:7], s[4:5]
	s_cbranch_execz .LBB69_186
.LBB69_185:
	v_sub_u32_e32 v2, v22, v18
	ds_write_b8 v2, v11
.LBB69_186:
	s_or_b64 exec, exec, s[6:7]
	s_and_b64 s[38:39], s[2:3], exec
                                        ; implicit-def: $vgpr11
                                        ; implicit-def: $vgpr21
                                        ; implicit-def: $vgpr56
                                        ; implicit-def: $vgpr57
                                        ; implicit-def: $vgpr58
                                        ; implicit-def: $vgpr10
                                        ; implicit-def: $vgpr59
                                        ; implicit-def: $vgpr60
                                        ; implicit-def: $vgpr61
                                        ; implicit-def: $vgpr62
                                        ; implicit-def: $vgpr63
                                        ; implicit-def: $vgpr64
	s_andn2_saveexec_b64 s[2:3], s[36:37]
	s_cbranch_execz .LBB69_117
.LBB69_187:
	v_sub_u32_e32 v2, v50, v18
	ds_write_b8 v2, v8
	v_sub_u32_e32 v2, v48, v18
	ds_write_b8 v2, v64
	;; [unrolled: 2-line block ×13, first 2 shown]
	v_sub_u32_e32 v2, v22, v18
	s_or_b64 s[38:39], s[38:39], exec
	ds_write_b8 v2, v11
	s_or_b64 exec, exec, s[2:3]
	s_and_b64 exec, exec, s[38:39]
	s_cbranch_execnz .LBB69_118
	s_branch .LBB69_119
.LBB69_188:
	s_and_saveexec_b64 s[36:37], s[28:29]
	s_cbranch_execnz .LBB69_248
; %bb.189:
	s_or_b64 exec, exec, s[36:37]
	s_and_saveexec_b64 s[36:37], s[26:27]
	s_cbranch_execnz .LBB69_249
.LBB69_190:
	s_or_b64 exec, exec, s[36:37]
	s_and_saveexec_b64 s[36:37], s[24:25]
	s_cbranch_execnz .LBB69_250
.LBB69_191:
	s_or_b64 exec, exec, s[36:37]
	s_and_saveexec_b64 s[36:37], s[22:23]
	s_cbranch_execnz .LBB69_251
.LBB69_192:
	s_or_b64 exec, exec, s[36:37]
	s_and_saveexec_b64 s[36:37], s[20:21]
	s_cbranch_execnz .LBB69_252
.LBB69_193:
	s_or_b64 exec, exec, s[36:37]
	s_and_saveexec_b64 s[36:37], s[18:19]
	s_cbranch_execnz .LBB69_253
.LBB69_194:
	s_or_b64 exec, exec, s[36:37]
	s_and_saveexec_b64 s[36:37], s[16:17]
	s_cbranch_execnz .LBB69_254
.LBB69_195:
	s_or_b64 exec, exec, s[36:37]
	s_and_saveexec_b64 s[36:37], s[14:15]
	s_cbranch_execnz .LBB69_255
.LBB69_196:
	s_or_b64 exec, exec, s[36:37]
	s_and_saveexec_b64 s[36:37], s[12:13]
	s_cbranch_execnz .LBB69_256
.LBB69_197:
	s_or_b64 exec, exec, s[36:37]
	s_and_saveexec_b64 s[36:37], s[10:11]
	s_cbranch_execnz .LBB69_257
.LBB69_198:
	s_or_b64 exec, exec, s[36:37]
	s_and_saveexec_b64 s[36:37], s[8:9]
	s_cbranch_execnz .LBB69_258
.LBB69_199:
	s_or_b64 exec, exec, s[36:37]
	s_and_saveexec_b64 s[36:37], s[6:7]
	s_cbranch_execnz .LBB69_259
.LBB69_200:
	s_or_b64 exec, exec, s[36:37]
	s_and_saveexec_b64 s[36:37], s[4:5]
	s_cbranch_execnz .LBB69_260
.LBB69_201:
	s_or_b64 exec, exec, s[36:37]
	s_and_saveexec_b64 s[36:37], s[2:3]
	s_cbranch_execz .LBB69_203
.LBB69_202:
	v_sub_u32_e32 v14, v22, v12
	v_mov_b32_e32 v15, 0
	v_lshl_add_u64 v[54:55], v[14:15], 3, v[10:11]
	v_mov_b32_e32 v14, v23
	global_store_dwordx2 v[54:55], v[14:15], off
.LBB69_203:
	s_or_b64 exec, exec, s[36:37]
	s_and_b64 s[36:37], s[0:1], exec
	s_andn2_saveexec_b64 s[30:31], s[30:31]
	s_cbranch_execz .LBB69_136
.LBB69_204:
	v_mov_b32_e32 v15, 0
	v_sub_u32_e32 v54, v50, v12
	v_mov_b32_e32 v55, v15
	v_mov_b32_e32 v14, v51
	v_lshl_add_u64 v[54:55], v[54:55], 3, v[10:11]
	global_store_dwordx2 v[54:55], v[14:15], off
	v_sub_u32_e32 v54, v48, v12
	v_mov_b32_e32 v55, v15
	v_mov_b32_e32 v14, v49
	v_lshl_add_u64 v[54:55], v[54:55], 3, v[10:11]
	global_store_dwordx2 v[54:55], v[14:15], off
	;; [unrolled: 5-line block ×13, first 2 shown]
	v_sub_u32_e32 v54, v22, v12
	v_mov_b32_e32 v55, v15
	v_mov_b32_e32 v14, v23
	v_lshl_add_u64 v[54:55], v[54:55], 3, v[10:11]
	s_or_b64 s[36:37], s[36:37], exec
	global_store_dwordx2 v[54:55], v[14:15], off
	s_or_b64 exec, exec, s[30:31]
	s_and_b64 exec, exec, s[36:37]
	s_cbranch_execnz .LBB69_137
	s_branch .LBB69_138
.LBB69_205:
	s_and_saveexec_b64 s[36:37], s[28:29]
	s_cbranch_execnz .LBB69_261
; %bb.206:
	s_or_b64 exec, exec, s[36:37]
	s_and_saveexec_b64 s[28:29], s[26:27]
	s_cbranch_execnz .LBB69_262
.LBB69_207:
	s_or_b64 exec, exec, s[28:29]
	s_and_saveexec_b64 s[26:27], s[24:25]
	s_cbranch_execnz .LBB69_263
.LBB69_208:
	s_or_b64 exec, exec, s[26:27]
	s_and_saveexec_b64 s[24:25], s[22:23]
	s_cbranch_execnz .LBB69_264
.LBB69_209:
	s_or_b64 exec, exec, s[24:25]
	s_and_saveexec_b64 s[22:23], s[20:21]
	s_cbranch_execnz .LBB69_265
.LBB69_210:
	s_or_b64 exec, exec, s[22:23]
	s_and_saveexec_b64 s[20:21], s[18:19]
	s_cbranch_execnz .LBB69_266
.LBB69_211:
	s_or_b64 exec, exec, s[20:21]
	s_and_saveexec_b64 s[18:19], s[16:17]
	s_cbranch_execnz .LBB69_267
.LBB69_212:
	s_or_b64 exec, exec, s[18:19]
	s_and_saveexec_b64 s[16:17], s[14:15]
	s_cbranch_execnz .LBB69_268
.LBB69_213:
	s_or_b64 exec, exec, s[16:17]
	s_and_saveexec_b64 s[14:15], s[12:13]
	s_cbranch_execnz .LBB69_269
.LBB69_214:
	s_or_b64 exec, exec, s[14:15]
	s_and_saveexec_b64 s[12:13], s[10:11]
	s_cbranch_execnz .LBB69_270
.LBB69_215:
	s_or_b64 exec, exec, s[12:13]
	s_and_saveexec_b64 s[10:11], s[8:9]
	s_cbranch_execnz .LBB69_271
.LBB69_216:
	s_or_b64 exec, exec, s[10:11]
	s_and_saveexec_b64 s[8:9], s[6:7]
	s_cbranch_execnz .LBB69_272
.LBB69_217:
	s_or_b64 exec, exec, s[8:9]
	s_and_saveexec_b64 s[6:7], s[4:5]
	s_cbranch_execnz .LBB69_273
.LBB69_218:
	s_or_b64 exec, exec, s[6:7]
	s_and_saveexec_b64 s[4:5], s[2:3]
	s_cbranch_execz .LBB69_220
.LBB69_219:
	v_sub_u32_e32 v10, v22, v12
	v_lshlrev_b32_e32 v10, 2, v10
	ds_write_b32 v10, v23
.LBB69_220:
	s_or_b64 exec, exec, s[4:5]
	s_and_b64 s[36:37], s[0:1], exec
                                        ; implicit-def: $vgpr22_vgpr23
                                        ; implicit-def: $vgpr26_vgpr27
                                        ; implicit-def: $vgpr28_vgpr29
                                        ; implicit-def: $vgpr50_vgpr51
                                        ; implicit-def: $vgpr48_vgpr49
                                        ; implicit-def: $vgpr46_vgpr47
                                        ; implicit-def: $vgpr44_vgpr45
                                        ; implicit-def: $vgpr42_vgpr43
                                        ; implicit-def: $vgpr40_vgpr41
                                        ; implicit-def: $vgpr38_vgpr39
                                        ; implicit-def: $vgpr36_vgpr37
                                        ; implicit-def: $vgpr34_vgpr35
                                        ; implicit-def: $vgpr32_vgpr33
                                        ; implicit-def: $vgpr30_vgpr31
	s_andn2_saveexec_b64 s[0:1], s[34:35]
	s_cbranch_execz .LBB69_143
.LBB69_221:
	v_sub_u32_e32 v10, v50, v12
	v_lshlrev_b32_e32 v10, 2, v10
	ds_write_b32 v10, v51
	v_sub_u32_e32 v10, v48, v12
	v_lshlrev_b32_e32 v10, 2, v10
	ds_write_b32 v10, v49
	v_sub_u32_e32 v10, v46, v12
	v_lshlrev_b32_e32 v10, 2, v10
	ds_write_b32 v10, v47
	v_sub_u32_e32 v10, v44, v12
	v_lshlrev_b32_e32 v10, 2, v10
	ds_write_b32 v10, v45
	v_sub_u32_e32 v10, v42, v12
	v_lshlrev_b32_e32 v10, 2, v10
	ds_write_b32 v10, v43
	v_sub_u32_e32 v10, v40, v12
	v_lshlrev_b32_e32 v10, 2, v10
	ds_write_b32 v10, v41
	v_sub_u32_e32 v10, v38, v12
	v_lshlrev_b32_e32 v10, 2, v10
	ds_write_b32 v10, v39
	v_sub_u32_e32 v10, v36, v12
	v_lshlrev_b32_e32 v10, 2, v10
	ds_write_b32 v10, v37
	v_sub_u32_e32 v10, v34, v12
	v_lshlrev_b32_e32 v10, 2, v10
	ds_write_b32 v10, v35
	v_sub_u32_e32 v10, v32, v12
	v_lshlrev_b32_e32 v10, 2, v10
	ds_write_b32 v10, v33
	v_sub_u32_e32 v10, v30, v12
	v_lshlrev_b32_e32 v10, 2, v10
	ds_write_b32 v10, v31
	v_sub_u32_e32 v10, v28, v12
	v_lshlrev_b32_e32 v10, 2, v10
	ds_write_b32 v10, v29
	v_sub_u32_e32 v10, v26, v12
	v_lshlrev_b32_e32 v10, 2, v10
	ds_write_b32 v10, v27
	v_sub_u32_e32 v10, v22, v12
	v_lshlrev_b32_e32 v10, 2, v10
	s_or_b64 s[36:37], s[36:37], exec
	ds_write_b32 v10, v23
	s_or_b64 exec, exec, s[0:1]
	s_and_b64 exec, exec, s[36:37]
	s_cbranch_execnz .LBB69_144
	s_branch .LBB69_145
.LBB69_222:
	v_sub_u32_e32 v3, v50, v18
	v_readfirstlane_b32 s44, v54
	v_readfirstlane_b32 s45, v55
	s_nop 4
	global_store_byte v3, v8, s[44:45]
	s_or_b64 exec, exec, s[38:39]
	s_and_saveexec_b64 s[38:39], s[28:29]
	s_cbranch_execz .LBB69_156
.LBB69_223:
	v_sub_u32_e32 v3, v48, v18
	v_readfirstlane_b32 s44, v54
	v_readfirstlane_b32 s45, v55
	s_nop 4
	global_store_byte v3, v64, s[44:45]
	s_or_b64 exec, exec, s[38:39]
	s_and_saveexec_b64 s[38:39], s[26:27]
	s_cbranch_execz .LBB69_157
.LBB69_224:
	v_sub_u32_e32 v3, v46, v18
	v_readfirstlane_b32 s44, v54
	v_readfirstlane_b32 s45, v55
	s_nop 4
	global_store_byte v3, v63, s[44:45]
	s_or_b64 exec, exec, s[38:39]
	s_and_saveexec_b64 s[38:39], s[24:25]
	s_cbranch_execz .LBB69_158
.LBB69_225:
	v_sub_u32_e32 v3, v44, v18
	v_readfirstlane_b32 s44, v54
	v_readfirstlane_b32 s45, v55
	s_nop 4
	global_store_byte v3, v62, s[44:45]
	s_or_b64 exec, exec, s[38:39]
	s_and_saveexec_b64 s[38:39], s[22:23]
	s_cbranch_execz .LBB69_159
.LBB69_226:
	v_sub_u32_e32 v3, v42, v18
	v_readfirstlane_b32 s44, v54
	v_readfirstlane_b32 s45, v55
	s_nop 4
	global_store_byte v3, v9, s[44:45]
	s_or_b64 exec, exec, s[38:39]
	s_and_saveexec_b64 s[38:39], s[20:21]
	s_cbranch_execz .LBB69_160
.LBB69_227:
	v_sub_u32_e32 v3, v40, v18
	v_readfirstlane_b32 s44, v54
	v_readfirstlane_b32 s45, v55
	s_nop 4
	global_store_byte v3, v61, s[44:45]
	s_or_b64 exec, exec, s[38:39]
	s_and_saveexec_b64 s[38:39], s[18:19]
	s_cbranch_execz .LBB69_161
.LBB69_228:
	v_sub_u32_e32 v3, v38, v18
	v_readfirstlane_b32 s44, v54
	v_readfirstlane_b32 s45, v55
	s_nop 4
	global_store_byte v3, v60, s[44:45]
	s_or_b64 exec, exec, s[38:39]
	s_and_saveexec_b64 s[38:39], s[16:17]
	s_cbranch_execz .LBB69_162
.LBB69_229:
	v_sub_u32_e32 v3, v36, v18
	v_readfirstlane_b32 s44, v54
	v_readfirstlane_b32 s45, v55
	s_nop 4
	global_store_byte v3, v59, s[44:45]
	s_or_b64 exec, exec, s[38:39]
	s_and_saveexec_b64 s[38:39], s[14:15]
	s_cbranch_execz .LBB69_163
.LBB69_230:
	v_sub_u32_e32 v3, v34, v18
	v_readfirstlane_b32 s44, v54
	v_readfirstlane_b32 s45, v55
	s_nop 4
	global_store_byte v3, v10, s[44:45]
	s_or_b64 exec, exec, s[38:39]
	s_and_saveexec_b64 s[38:39], s[12:13]
	s_cbranch_execz .LBB69_164
.LBB69_231:
	v_sub_u32_e32 v3, v32, v18
	v_readfirstlane_b32 s44, v54
	v_readfirstlane_b32 s45, v55
	s_nop 4
	global_store_byte v3, v58, s[44:45]
	s_or_b64 exec, exec, s[38:39]
	s_and_saveexec_b64 s[38:39], s[10:11]
	s_cbranch_execz .LBB69_165
.LBB69_232:
	v_sub_u32_e32 v3, v30, v18
	v_readfirstlane_b32 s44, v54
	v_readfirstlane_b32 s45, v55
	s_nop 4
	global_store_byte v3, v57, s[44:45]
	s_or_b64 exec, exec, s[38:39]
	s_and_saveexec_b64 s[38:39], s[8:9]
	s_cbranch_execz .LBB69_166
.LBB69_233:
	v_sub_u32_e32 v3, v28, v18
	v_readfirstlane_b32 s44, v54
	v_readfirstlane_b32 s45, v55
	s_nop 4
	global_store_byte v3, v56, s[44:45]
	s_or_b64 exec, exec, s[38:39]
	s_and_saveexec_b64 s[38:39], s[6:7]
	s_cbranch_execz .LBB69_167
.LBB69_234:
	v_sub_u32_e32 v3, v26, v18
	v_readfirstlane_b32 s44, v54
	v_readfirstlane_b32 s45, v55
	s_nop 4
	global_store_byte v3, v21, s[44:45]
	s_or_b64 exec, exec, s[38:39]
	s_and_saveexec_b64 s[38:39], s[4:5]
	s_cbranch_execnz .LBB69_168
	s_branch .LBB69_169
.LBB69_235:
	v_sub_u32_e32 v2, v50, v18
	ds_write_b8 v2, v8
	s_or_b64 exec, exec, s[38:39]
	s_and_saveexec_b64 s[30:31], s[28:29]
	s_cbranch_execz .LBB69_173
.LBB69_236:
	v_sub_u32_e32 v2, v48, v18
	ds_write_b8 v2, v64
	s_or_b64 exec, exec, s[30:31]
	s_and_saveexec_b64 s[28:29], s[26:27]
	s_cbranch_execz .LBB69_174
.LBB69_237:
	v_sub_u32_e32 v2, v46, v18
	ds_write_b8 v2, v63
	s_or_b64 exec, exec, s[28:29]
	s_and_saveexec_b64 s[26:27], s[24:25]
	s_cbranch_execz .LBB69_175
.LBB69_238:
	v_sub_u32_e32 v2, v44, v18
	ds_write_b8 v2, v62
	s_or_b64 exec, exec, s[26:27]
	s_and_saveexec_b64 s[24:25], s[22:23]
	s_cbranch_execz .LBB69_176
.LBB69_239:
	v_sub_u32_e32 v2, v42, v18
	ds_write_b8 v2, v9
	s_or_b64 exec, exec, s[24:25]
	s_and_saveexec_b64 s[22:23], s[20:21]
	s_cbranch_execz .LBB69_177
.LBB69_240:
	v_sub_u32_e32 v2, v40, v18
	ds_write_b8 v2, v61
	s_or_b64 exec, exec, s[22:23]
	s_and_saveexec_b64 s[20:21], s[18:19]
	s_cbranch_execz .LBB69_178
.LBB69_241:
	v_sub_u32_e32 v2, v38, v18
	ds_write_b8 v2, v60
	s_or_b64 exec, exec, s[20:21]
	s_and_saveexec_b64 s[18:19], s[16:17]
	s_cbranch_execz .LBB69_179
.LBB69_242:
	v_sub_u32_e32 v2, v36, v18
	ds_write_b8 v2, v59
	s_or_b64 exec, exec, s[18:19]
	s_and_saveexec_b64 s[16:17], s[14:15]
	s_cbranch_execz .LBB69_180
.LBB69_243:
	v_sub_u32_e32 v2, v34, v18
	ds_write_b8 v2, v10
	s_or_b64 exec, exec, s[16:17]
	s_and_saveexec_b64 s[14:15], s[12:13]
	s_cbranch_execz .LBB69_181
.LBB69_244:
	v_sub_u32_e32 v2, v32, v18
	ds_write_b8 v2, v58
	s_or_b64 exec, exec, s[14:15]
	s_and_saveexec_b64 s[12:13], s[10:11]
	s_cbranch_execz .LBB69_182
.LBB69_245:
	v_sub_u32_e32 v2, v30, v18
	ds_write_b8 v2, v57
	s_or_b64 exec, exec, s[12:13]
	s_and_saveexec_b64 s[10:11], s[8:9]
	s_cbranch_execz .LBB69_183
.LBB69_246:
	v_sub_u32_e32 v2, v28, v18
	ds_write_b8 v2, v56
	s_or_b64 exec, exec, s[10:11]
	s_and_saveexec_b64 s[8:9], s[6:7]
	s_cbranch_execz .LBB69_184
.LBB69_247:
	v_sub_u32_e32 v2, v26, v18
	ds_write_b8 v2, v21
	s_or_b64 exec, exec, s[8:9]
	s_and_saveexec_b64 s[6:7], s[4:5]
	s_cbranch_execnz .LBB69_185
	s_branch .LBB69_186
.LBB69_248:
	v_sub_u32_e32 v14, v50, v12
	v_mov_b32_e32 v15, 0
	v_lshl_add_u64 v[54:55], v[14:15], 3, v[10:11]
	v_mov_b32_e32 v14, v51
	global_store_dwordx2 v[54:55], v[14:15], off
	s_or_b64 exec, exec, s[36:37]
	s_and_saveexec_b64 s[36:37], s[26:27]
	s_cbranch_execz .LBB69_190
.LBB69_249:
	v_sub_u32_e32 v14, v48, v12
	v_mov_b32_e32 v15, 0
	v_lshl_add_u64 v[54:55], v[14:15], 3, v[10:11]
	v_mov_b32_e32 v14, v49
	global_store_dwordx2 v[54:55], v[14:15], off
	s_or_b64 exec, exec, s[36:37]
	s_and_saveexec_b64 s[36:37], s[24:25]
	s_cbranch_execz .LBB69_191
.LBB69_250:
	v_sub_u32_e32 v14, v46, v12
	v_mov_b32_e32 v15, 0
	v_lshl_add_u64 v[54:55], v[14:15], 3, v[10:11]
	v_mov_b32_e32 v14, v47
	global_store_dwordx2 v[54:55], v[14:15], off
	s_or_b64 exec, exec, s[36:37]
	s_and_saveexec_b64 s[36:37], s[22:23]
	s_cbranch_execz .LBB69_192
.LBB69_251:
	v_sub_u32_e32 v14, v44, v12
	v_mov_b32_e32 v15, 0
	v_lshl_add_u64 v[54:55], v[14:15], 3, v[10:11]
	v_mov_b32_e32 v14, v45
	global_store_dwordx2 v[54:55], v[14:15], off
	s_or_b64 exec, exec, s[36:37]
	s_and_saveexec_b64 s[36:37], s[20:21]
	s_cbranch_execz .LBB69_193
.LBB69_252:
	v_sub_u32_e32 v14, v42, v12
	v_mov_b32_e32 v15, 0
	v_lshl_add_u64 v[54:55], v[14:15], 3, v[10:11]
	v_mov_b32_e32 v14, v43
	global_store_dwordx2 v[54:55], v[14:15], off
	s_or_b64 exec, exec, s[36:37]
	s_and_saveexec_b64 s[36:37], s[18:19]
	s_cbranch_execz .LBB69_194
.LBB69_253:
	v_sub_u32_e32 v14, v40, v12
	v_mov_b32_e32 v15, 0
	v_lshl_add_u64 v[54:55], v[14:15], 3, v[10:11]
	v_mov_b32_e32 v14, v41
	global_store_dwordx2 v[54:55], v[14:15], off
	s_or_b64 exec, exec, s[36:37]
	s_and_saveexec_b64 s[36:37], s[16:17]
	s_cbranch_execz .LBB69_195
.LBB69_254:
	v_sub_u32_e32 v14, v38, v12
	v_mov_b32_e32 v15, 0
	v_lshl_add_u64 v[54:55], v[14:15], 3, v[10:11]
	v_mov_b32_e32 v14, v39
	global_store_dwordx2 v[54:55], v[14:15], off
	s_or_b64 exec, exec, s[36:37]
	s_and_saveexec_b64 s[36:37], s[14:15]
	s_cbranch_execz .LBB69_196
.LBB69_255:
	v_sub_u32_e32 v14, v36, v12
	v_mov_b32_e32 v15, 0
	v_lshl_add_u64 v[54:55], v[14:15], 3, v[10:11]
	v_mov_b32_e32 v14, v37
	global_store_dwordx2 v[54:55], v[14:15], off
	s_or_b64 exec, exec, s[36:37]
	s_and_saveexec_b64 s[36:37], s[12:13]
	s_cbranch_execz .LBB69_197
.LBB69_256:
	v_sub_u32_e32 v14, v34, v12
	v_mov_b32_e32 v15, 0
	v_lshl_add_u64 v[54:55], v[14:15], 3, v[10:11]
	v_mov_b32_e32 v14, v35
	global_store_dwordx2 v[54:55], v[14:15], off
	s_or_b64 exec, exec, s[36:37]
	s_and_saveexec_b64 s[36:37], s[10:11]
	s_cbranch_execz .LBB69_198
.LBB69_257:
	v_sub_u32_e32 v14, v32, v12
	v_mov_b32_e32 v15, 0
	v_lshl_add_u64 v[54:55], v[14:15], 3, v[10:11]
	v_mov_b32_e32 v14, v33
	global_store_dwordx2 v[54:55], v[14:15], off
	s_or_b64 exec, exec, s[36:37]
	s_and_saveexec_b64 s[36:37], s[8:9]
	s_cbranch_execz .LBB69_199
.LBB69_258:
	v_sub_u32_e32 v14, v30, v12
	v_mov_b32_e32 v15, 0
	v_lshl_add_u64 v[54:55], v[14:15], 3, v[10:11]
	v_mov_b32_e32 v14, v31
	global_store_dwordx2 v[54:55], v[14:15], off
	s_or_b64 exec, exec, s[36:37]
	s_and_saveexec_b64 s[36:37], s[6:7]
	s_cbranch_execz .LBB69_200
.LBB69_259:
	v_sub_u32_e32 v14, v28, v12
	v_mov_b32_e32 v15, 0
	v_lshl_add_u64 v[54:55], v[14:15], 3, v[10:11]
	v_mov_b32_e32 v14, v29
	global_store_dwordx2 v[54:55], v[14:15], off
	s_or_b64 exec, exec, s[36:37]
	s_and_saveexec_b64 s[36:37], s[4:5]
	s_cbranch_execz .LBB69_201
.LBB69_260:
	v_sub_u32_e32 v14, v26, v12
	v_mov_b32_e32 v15, 0
	v_lshl_add_u64 v[54:55], v[14:15], 3, v[10:11]
	v_mov_b32_e32 v14, v27
	global_store_dwordx2 v[54:55], v[14:15], off
	s_or_b64 exec, exec, s[36:37]
	s_and_saveexec_b64 s[36:37], s[2:3]
	s_cbranch_execnz .LBB69_202
	s_branch .LBB69_203
.LBB69_261:
	v_sub_u32_e32 v10, v50, v12
	v_lshlrev_b32_e32 v10, 2, v10
	ds_write_b32 v10, v51
	s_or_b64 exec, exec, s[36:37]
	s_and_saveexec_b64 s[28:29], s[26:27]
	s_cbranch_execz .LBB69_207
.LBB69_262:
	v_sub_u32_e32 v10, v48, v12
	v_lshlrev_b32_e32 v10, 2, v10
	ds_write_b32 v10, v49
	s_or_b64 exec, exec, s[28:29]
	s_and_saveexec_b64 s[26:27], s[24:25]
	s_cbranch_execz .LBB69_208
.LBB69_263:
	v_sub_u32_e32 v10, v46, v12
	v_lshlrev_b32_e32 v10, 2, v10
	ds_write_b32 v10, v47
	s_or_b64 exec, exec, s[26:27]
	s_and_saveexec_b64 s[24:25], s[22:23]
	s_cbranch_execz .LBB69_209
.LBB69_264:
	v_sub_u32_e32 v10, v44, v12
	v_lshlrev_b32_e32 v10, 2, v10
	ds_write_b32 v10, v45
	s_or_b64 exec, exec, s[24:25]
	s_and_saveexec_b64 s[22:23], s[20:21]
	s_cbranch_execz .LBB69_210
.LBB69_265:
	v_sub_u32_e32 v10, v42, v12
	v_lshlrev_b32_e32 v10, 2, v10
	ds_write_b32 v10, v43
	s_or_b64 exec, exec, s[22:23]
	s_and_saveexec_b64 s[20:21], s[18:19]
	s_cbranch_execz .LBB69_211
.LBB69_266:
	v_sub_u32_e32 v10, v40, v12
	v_lshlrev_b32_e32 v10, 2, v10
	ds_write_b32 v10, v41
	s_or_b64 exec, exec, s[20:21]
	s_and_saveexec_b64 s[18:19], s[16:17]
	s_cbranch_execz .LBB69_212
.LBB69_267:
	v_sub_u32_e32 v10, v38, v12
	v_lshlrev_b32_e32 v10, 2, v10
	ds_write_b32 v10, v39
	s_or_b64 exec, exec, s[18:19]
	s_and_saveexec_b64 s[16:17], s[14:15]
	s_cbranch_execz .LBB69_213
.LBB69_268:
	v_sub_u32_e32 v10, v36, v12
	v_lshlrev_b32_e32 v10, 2, v10
	ds_write_b32 v10, v37
	s_or_b64 exec, exec, s[16:17]
	s_and_saveexec_b64 s[14:15], s[12:13]
	s_cbranch_execz .LBB69_214
.LBB69_269:
	v_sub_u32_e32 v10, v34, v12
	v_lshlrev_b32_e32 v10, 2, v10
	ds_write_b32 v10, v35
	s_or_b64 exec, exec, s[14:15]
	s_and_saveexec_b64 s[12:13], s[10:11]
	s_cbranch_execz .LBB69_215
.LBB69_270:
	v_sub_u32_e32 v10, v32, v12
	v_lshlrev_b32_e32 v10, 2, v10
	ds_write_b32 v10, v33
	s_or_b64 exec, exec, s[12:13]
	s_and_saveexec_b64 s[10:11], s[8:9]
	s_cbranch_execz .LBB69_216
.LBB69_271:
	v_sub_u32_e32 v10, v30, v12
	v_lshlrev_b32_e32 v10, 2, v10
	ds_write_b32 v10, v31
	s_or_b64 exec, exec, s[10:11]
	s_and_saveexec_b64 s[8:9], s[6:7]
	s_cbranch_execz .LBB69_217
.LBB69_272:
	v_sub_u32_e32 v10, v28, v12
	v_lshlrev_b32_e32 v10, 2, v10
	ds_write_b32 v10, v29
	s_or_b64 exec, exec, s[8:9]
	s_and_saveexec_b64 s[6:7], s[4:5]
	s_cbranch_execz .LBB69_218
.LBB69_273:
	v_sub_u32_e32 v10, v26, v12
	v_lshlrev_b32_e32 v10, 2, v10
	ds_write_b32 v10, v27
	s_or_b64 exec, exec, s[6:7]
	s_and_saveexec_b64 s[4:5], s[2:3]
	s_cbranch_execnz .LBB69_219
	s_branch .LBB69_220
	.section	.rodata,"a",@progbits
	.p2align	6, 0x0
	.amdhsa_kernel _ZN7rocprim17ROCPRIM_400000_NS6detail17trampoline_kernelINS0_14default_configENS1_33run_length_encode_config_selectorIbjNS0_4plusIjEEEEZZNS1_33reduce_by_key_impl_wrapped_configILNS1_25lookback_scan_determinismE0ES3_S7_N6hipcub16HIPCUB_304000_NS22TransformInputIteratorIbN2at6native8internal12_GLOBAL__N_110LoadBoolOpEPKhlEENS0_17constant_iteratorIjlEEPbPlSO_S6_NS0_8equal_toIbEEEE10hipError_tPvRmT2_T3_mT4_T5_T6_T7_T8_P12ihipStream_tbENKUlT_T0_E_clISt17integral_constantIbLb1EES18_EEDaS13_S14_EUlS13_E_NS1_11comp_targetILNS1_3genE5ELNS1_11target_archE942ELNS1_3gpuE9ELNS1_3repE0EEENS1_30default_config_static_selectorELNS0_4arch9wavefront6targetE1EEEvT1_
		.amdhsa_group_segment_fixed_size 30720
		.amdhsa_private_segment_fixed_size 0
		.amdhsa_kernarg_size 136
		.amdhsa_user_sgpr_count 2
		.amdhsa_user_sgpr_dispatch_ptr 0
		.amdhsa_user_sgpr_queue_ptr 0
		.amdhsa_user_sgpr_kernarg_segment_ptr 1
		.amdhsa_user_sgpr_dispatch_id 0
		.amdhsa_user_sgpr_kernarg_preload_length 0
		.amdhsa_user_sgpr_kernarg_preload_offset 0
		.amdhsa_user_sgpr_private_segment_size 0
		.amdhsa_uses_dynamic_stack 0
		.amdhsa_enable_private_segment 0
		.amdhsa_system_sgpr_workgroup_id_x 1
		.amdhsa_system_sgpr_workgroup_id_y 0
		.amdhsa_system_sgpr_workgroup_id_z 0
		.amdhsa_system_sgpr_workgroup_info 0
		.amdhsa_system_vgpr_workitem_id 0
		.amdhsa_next_free_vgpr 110
		.amdhsa_next_free_sgpr 66
		.amdhsa_accum_offset 112
		.amdhsa_reserve_vcc 1
		.amdhsa_float_round_mode_32 0
		.amdhsa_float_round_mode_16_64 0
		.amdhsa_float_denorm_mode_32 3
		.amdhsa_float_denorm_mode_16_64 3
		.amdhsa_dx10_clamp 1
		.amdhsa_ieee_mode 1
		.amdhsa_fp16_overflow 0
		.amdhsa_tg_split 0
		.amdhsa_exception_fp_ieee_invalid_op 0
		.amdhsa_exception_fp_denorm_src 0
		.amdhsa_exception_fp_ieee_div_zero 0
		.amdhsa_exception_fp_ieee_overflow 0
		.amdhsa_exception_fp_ieee_underflow 0
		.amdhsa_exception_fp_ieee_inexact 0
		.amdhsa_exception_int_div_zero 0
	.end_amdhsa_kernel
	.section	.text._ZN7rocprim17ROCPRIM_400000_NS6detail17trampoline_kernelINS0_14default_configENS1_33run_length_encode_config_selectorIbjNS0_4plusIjEEEEZZNS1_33reduce_by_key_impl_wrapped_configILNS1_25lookback_scan_determinismE0ES3_S7_N6hipcub16HIPCUB_304000_NS22TransformInputIteratorIbN2at6native8internal12_GLOBAL__N_110LoadBoolOpEPKhlEENS0_17constant_iteratorIjlEEPbPlSO_S6_NS0_8equal_toIbEEEE10hipError_tPvRmT2_T3_mT4_T5_T6_T7_T8_P12ihipStream_tbENKUlT_T0_E_clISt17integral_constantIbLb1EES18_EEDaS13_S14_EUlS13_E_NS1_11comp_targetILNS1_3genE5ELNS1_11target_archE942ELNS1_3gpuE9ELNS1_3repE0EEENS1_30default_config_static_selectorELNS0_4arch9wavefront6targetE1EEEvT1_,"axG",@progbits,_ZN7rocprim17ROCPRIM_400000_NS6detail17trampoline_kernelINS0_14default_configENS1_33run_length_encode_config_selectorIbjNS0_4plusIjEEEEZZNS1_33reduce_by_key_impl_wrapped_configILNS1_25lookback_scan_determinismE0ES3_S7_N6hipcub16HIPCUB_304000_NS22TransformInputIteratorIbN2at6native8internal12_GLOBAL__N_110LoadBoolOpEPKhlEENS0_17constant_iteratorIjlEEPbPlSO_S6_NS0_8equal_toIbEEEE10hipError_tPvRmT2_T3_mT4_T5_T6_T7_T8_P12ihipStream_tbENKUlT_T0_E_clISt17integral_constantIbLb1EES18_EEDaS13_S14_EUlS13_E_NS1_11comp_targetILNS1_3genE5ELNS1_11target_archE942ELNS1_3gpuE9ELNS1_3repE0EEENS1_30default_config_static_selectorELNS0_4arch9wavefront6targetE1EEEvT1_,comdat
.Lfunc_end69:
	.size	_ZN7rocprim17ROCPRIM_400000_NS6detail17trampoline_kernelINS0_14default_configENS1_33run_length_encode_config_selectorIbjNS0_4plusIjEEEEZZNS1_33reduce_by_key_impl_wrapped_configILNS1_25lookback_scan_determinismE0ES3_S7_N6hipcub16HIPCUB_304000_NS22TransformInputIteratorIbN2at6native8internal12_GLOBAL__N_110LoadBoolOpEPKhlEENS0_17constant_iteratorIjlEEPbPlSO_S6_NS0_8equal_toIbEEEE10hipError_tPvRmT2_T3_mT4_T5_T6_T7_T8_P12ihipStream_tbENKUlT_T0_E_clISt17integral_constantIbLb1EES18_EEDaS13_S14_EUlS13_E_NS1_11comp_targetILNS1_3genE5ELNS1_11target_archE942ELNS1_3gpuE9ELNS1_3repE0EEENS1_30default_config_static_selectorELNS0_4arch9wavefront6targetE1EEEvT1_, .Lfunc_end69-_ZN7rocprim17ROCPRIM_400000_NS6detail17trampoline_kernelINS0_14default_configENS1_33run_length_encode_config_selectorIbjNS0_4plusIjEEEEZZNS1_33reduce_by_key_impl_wrapped_configILNS1_25lookback_scan_determinismE0ES3_S7_N6hipcub16HIPCUB_304000_NS22TransformInputIteratorIbN2at6native8internal12_GLOBAL__N_110LoadBoolOpEPKhlEENS0_17constant_iteratorIjlEEPbPlSO_S6_NS0_8equal_toIbEEEE10hipError_tPvRmT2_T3_mT4_T5_T6_T7_T8_P12ihipStream_tbENKUlT_T0_E_clISt17integral_constantIbLb1EES18_EEDaS13_S14_EUlS13_E_NS1_11comp_targetILNS1_3genE5ELNS1_11target_archE942ELNS1_3gpuE9ELNS1_3repE0EEENS1_30default_config_static_selectorELNS0_4arch9wavefront6targetE1EEEvT1_
                                        ; -- End function
	.section	.AMDGPU.csdata,"",@progbits
; Kernel info:
; codeLenInByte = 15588
; NumSgprs: 72
; NumVgprs: 110
; NumAgprs: 0
; TotalNumVgprs: 110
; ScratchSize: 0
; MemoryBound: 0
; FloatMode: 240
; IeeeMode: 1
; LDSByteSize: 30720 bytes/workgroup (compile time only)
; SGPRBlocks: 8
; VGPRBlocks: 13
; NumSGPRsForWavesPerEU: 72
; NumVGPRsForWavesPerEU: 110
; AccumOffset: 112
; Occupancy: 4
; WaveLimiterHint : 1
; COMPUTE_PGM_RSRC2:SCRATCH_EN: 0
; COMPUTE_PGM_RSRC2:USER_SGPR: 2
; COMPUTE_PGM_RSRC2:TRAP_HANDLER: 0
; COMPUTE_PGM_RSRC2:TGID_X_EN: 1
; COMPUTE_PGM_RSRC2:TGID_Y_EN: 0
; COMPUTE_PGM_RSRC2:TGID_Z_EN: 0
; COMPUTE_PGM_RSRC2:TIDIG_COMP_CNT: 0
; COMPUTE_PGM_RSRC3_GFX90A:ACCUM_OFFSET: 27
; COMPUTE_PGM_RSRC3_GFX90A:TG_SPLIT: 0
	.section	.text._ZN7rocprim17ROCPRIM_400000_NS6detail17trampoline_kernelINS0_14default_configENS1_33run_length_encode_config_selectorIbjNS0_4plusIjEEEEZZNS1_33reduce_by_key_impl_wrapped_configILNS1_25lookback_scan_determinismE0ES3_S7_N6hipcub16HIPCUB_304000_NS22TransformInputIteratorIbN2at6native8internal12_GLOBAL__N_110LoadBoolOpEPKhlEENS0_17constant_iteratorIjlEEPbPlSO_S6_NS0_8equal_toIbEEEE10hipError_tPvRmT2_T3_mT4_T5_T6_T7_T8_P12ihipStream_tbENKUlT_T0_E_clISt17integral_constantIbLb1EES18_EEDaS13_S14_EUlS13_E_NS1_11comp_targetILNS1_3genE4ELNS1_11target_archE910ELNS1_3gpuE8ELNS1_3repE0EEENS1_30default_config_static_selectorELNS0_4arch9wavefront6targetE1EEEvT1_,"axG",@progbits,_ZN7rocprim17ROCPRIM_400000_NS6detail17trampoline_kernelINS0_14default_configENS1_33run_length_encode_config_selectorIbjNS0_4plusIjEEEEZZNS1_33reduce_by_key_impl_wrapped_configILNS1_25lookback_scan_determinismE0ES3_S7_N6hipcub16HIPCUB_304000_NS22TransformInputIteratorIbN2at6native8internal12_GLOBAL__N_110LoadBoolOpEPKhlEENS0_17constant_iteratorIjlEEPbPlSO_S6_NS0_8equal_toIbEEEE10hipError_tPvRmT2_T3_mT4_T5_T6_T7_T8_P12ihipStream_tbENKUlT_T0_E_clISt17integral_constantIbLb1EES18_EEDaS13_S14_EUlS13_E_NS1_11comp_targetILNS1_3genE4ELNS1_11target_archE910ELNS1_3gpuE8ELNS1_3repE0EEENS1_30default_config_static_selectorELNS0_4arch9wavefront6targetE1EEEvT1_,comdat
	.globl	_ZN7rocprim17ROCPRIM_400000_NS6detail17trampoline_kernelINS0_14default_configENS1_33run_length_encode_config_selectorIbjNS0_4plusIjEEEEZZNS1_33reduce_by_key_impl_wrapped_configILNS1_25lookback_scan_determinismE0ES3_S7_N6hipcub16HIPCUB_304000_NS22TransformInputIteratorIbN2at6native8internal12_GLOBAL__N_110LoadBoolOpEPKhlEENS0_17constant_iteratorIjlEEPbPlSO_S6_NS0_8equal_toIbEEEE10hipError_tPvRmT2_T3_mT4_T5_T6_T7_T8_P12ihipStream_tbENKUlT_T0_E_clISt17integral_constantIbLb1EES18_EEDaS13_S14_EUlS13_E_NS1_11comp_targetILNS1_3genE4ELNS1_11target_archE910ELNS1_3gpuE8ELNS1_3repE0EEENS1_30default_config_static_selectorELNS0_4arch9wavefront6targetE1EEEvT1_ ; -- Begin function _ZN7rocprim17ROCPRIM_400000_NS6detail17trampoline_kernelINS0_14default_configENS1_33run_length_encode_config_selectorIbjNS0_4plusIjEEEEZZNS1_33reduce_by_key_impl_wrapped_configILNS1_25lookback_scan_determinismE0ES3_S7_N6hipcub16HIPCUB_304000_NS22TransformInputIteratorIbN2at6native8internal12_GLOBAL__N_110LoadBoolOpEPKhlEENS0_17constant_iteratorIjlEEPbPlSO_S6_NS0_8equal_toIbEEEE10hipError_tPvRmT2_T3_mT4_T5_T6_T7_T8_P12ihipStream_tbENKUlT_T0_E_clISt17integral_constantIbLb1EES18_EEDaS13_S14_EUlS13_E_NS1_11comp_targetILNS1_3genE4ELNS1_11target_archE910ELNS1_3gpuE8ELNS1_3repE0EEENS1_30default_config_static_selectorELNS0_4arch9wavefront6targetE1EEEvT1_
	.p2align	8
	.type	_ZN7rocprim17ROCPRIM_400000_NS6detail17trampoline_kernelINS0_14default_configENS1_33run_length_encode_config_selectorIbjNS0_4plusIjEEEEZZNS1_33reduce_by_key_impl_wrapped_configILNS1_25lookback_scan_determinismE0ES3_S7_N6hipcub16HIPCUB_304000_NS22TransformInputIteratorIbN2at6native8internal12_GLOBAL__N_110LoadBoolOpEPKhlEENS0_17constant_iteratorIjlEEPbPlSO_S6_NS0_8equal_toIbEEEE10hipError_tPvRmT2_T3_mT4_T5_T6_T7_T8_P12ihipStream_tbENKUlT_T0_E_clISt17integral_constantIbLb1EES18_EEDaS13_S14_EUlS13_E_NS1_11comp_targetILNS1_3genE4ELNS1_11target_archE910ELNS1_3gpuE8ELNS1_3repE0EEENS1_30default_config_static_selectorELNS0_4arch9wavefront6targetE1EEEvT1_,@function
_ZN7rocprim17ROCPRIM_400000_NS6detail17trampoline_kernelINS0_14default_configENS1_33run_length_encode_config_selectorIbjNS0_4plusIjEEEEZZNS1_33reduce_by_key_impl_wrapped_configILNS1_25lookback_scan_determinismE0ES3_S7_N6hipcub16HIPCUB_304000_NS22TransformInputIteratorIbN2at6native8internal12_GLOBAL__N_110LoadBoolOpEPKhlEENS0_17constant_iteratorIjlEEPbPlSO_S6_NS0_8equal_toIbEEEE10hipError_tPvRmT2_T3_mT4_T5_T6_T7_T8_P12ihipStream_tbENKUlT_T0_E_clISt17integral_constantIbLb1EES18_EEDaS13_S14_EUlS13_E_NS1_11comp_targetILNS1_3genE4ELNS1_11target_archE910ELNS1_3gpuE8ELNS1_3repE0EEENS1_30default_config_static_selectorELNS0_4arch9wavefront6targetE1EEEvT1_: ; @_ZN7rocprim17ROCPRIM_400000_NS6detail17trampoline_kernelINS0_14default_configENS1_33run_length_encode_config_selectorIbjNS0_4plusIjEEEEZZNS1_33reduce_by_key_impl_wrapped_configILNS1_25lookback_scan_determinismE0ES3_S7_N6hipcub16HIPCUB_304000_NS22TransformInputIteratorIbN2at6native8internal12_GLOBAL__N_110LoadBoolOpEPKhlEENS0_17constant_iteratorIjlEEPbPlSO_S6_NS0_8equal_toIbEEEE10hipError_tPvRmT2_T3_mT4_T5_T6_T7_T8_P12ihipStream_tbENKUlT_T0_E_clISt17integral_constantIbLb1EES18_EEDaS13_S14_EUlS13_E_NS1_11comp_targetILNS1_3genE4ELNS1_11target_archE910ELNS1_3gpuE8ELNS1_3repE0EEENS1_30default_config_static_selectorELNS0_4arch9wavefront6targetE1EEEvT1_
; %bb.0:
	.section	.rodata,"a",@progbits
	.p2align	6, 0x0
	.amdhsa_kernel _ZN7rocprim17ROCPRIM_400000_NS6detail17trampoline_kernelINS0_14default_configENS1_33run_length_encode_config_selectorIbjNS0_4plusIjEEEEZZNS1_33reduce_by_key_impl_wrapped_configILNS1_25lookback_scan_determinismE0ES3_S7_N6hipcub16HIPCUB_304000_NS22TransformInputIteratorIbN2at6native8internal12_GLOBAL__N_110LoadBoolOpEPKhlEENS0_17constant_iteratorIjlEEPbPlSO_S6_NS0_8equal_toIbEEEE10hipError_tPvRmT2_T3_mT4_T5_T6_T7_T8_P12ihipStream_tbENKUlT_T0_E_clISt17integral_constantIbLb1EES18_EEDaS13_S14_EUlS13_E_NS1_11comp_targetILNS1_3genE4ELNS1_11target_archE910ELNS1_3gpuE8ELNS1_3repE0EEENS1_30default_config_static_selectorELNS0_4arch9wavefront6targetE1EEEvT1_
		.amdhsa_group_segment_fixed_size 0
		.amdhsa_private_segment_fixed_size 0
		.amdhsa_kernarg_size 136
		.amdhsa_user_sgpr_count 2
		.amdhsa_user_sgpr_dispatch_ptr 0
		.amdhsa_user_sgpr_queue_ptr 0
		.amdhsa_user_sgpr_kernarg_segment_ptr 1
		.amdhsa_user_sgpr_dispatch_id 0
		.amdhsa_user_sgpr_kernarg_preload_length 0
		.amdhsa_user_sgpr_kernarg_preload_offset 0
		.amdhsa_user_sgpr_private_segment_size 0
		.amdhsa_uses_dynamic_stack 0
		.amdhsa_enable_private_segment 0
		.amdhsa_system_sgpr_workgroup_id_x 1
		.amdhsa_system_sgpr_workgroup_id_y 0
		.amdhsa_system_sgpr_workgroup_id_z 0
		.amdhsa_system_sgpr_workgroup_info 0
		.amdhsa_system_vgpr_workitem_id 0
		.amdhsa_next_free_vgpr 1
		.amdhsa_next_free_sgpr 0
		.amdhsa_accum_offset 4
		.amdhsa_reserve_vcc 0
		.amdhsa_float_round_mode_32 0
		.amdhsa_float_round_mode_16_64 0
		.amdhsa_float_denorm_mode_32 3
		.amdhsa_float_denorm_mode_16_64 3
		.amdhsa_dx10_clamp 1
		.amdhsa_ieee_mode 1
		.amdhsa_fp16_overflow 0
		.amdhsa_tg_split 0
		.amdhsa_exception_fp_ieee_invalid_op 0
		.amdhsa_exception_fp_denorm_src 0
		.amdhsa_exception_fp_ieee_div_zero 0
		.amdhsa_exception_fp_ieee_overflow 0
		.amdhsa_exception_fp_ieee_underflow 0
		.amdhsa_exception_fp_ieee_inexact 0
		.amdhsa_exception_int_div_zero 0
	.end_amdhsa_kernel
	.section	.text._ZN7rocprim17ROCPRIM_400000_NS6detail17trampoline_kernelINS0_14default_configENS1_33run_length_encode_config_selectorIbjNS0_4plusIjEEEEZZNS1_33reduce_by_key_impl_wrapped_configILNS1_25lookback_scan_determinismE0ES3_S7_N6hipcub16HIPCUB_304000_NS22TransformInputIteratorIbN2at6native8internal12_GLOBAL__N_110LoadBoolOpEPKhlEENS0_17constant_iteratorIjlEEPbPlSO_S6_NS0_8equal_toIbEEEE10hipError_tPvRmT2_T3_mT4_T5_T6_T7_T8_P12ihipStream_tbENKUlT_T0_E_clISt17integral_constantIbLb1EES18_EEDaS13_S14_EUlS13_E_NS1_11comp_targetILNS1_3genE4ELNS1_11target_archE910ELNS1_3gpuE8ELNS1_3repE0EEENS1_30default_config_static_selectorELNS0_4arch9wavefront6targetE1EEEvT1_,"axG",@progbits,_ZN7rocprim17ROCPRIM_400000_NS6detail17trampoline_kernelINS0_14default_configENS1_33run_length_encode_config_selectorIbjNS0_4plusIjEEEEZZNS1_33reduce_by_key_impl_wrapped_configILNS1_25lookback_scan_determinismE0ES3_S7_N6hipcub16HIPCUB_304000_NS22TransformInputIteratorIbN2at6native8internal12_GLOBAL__N_110LoadBoolOpEPKhlEENS0_17constant_iteratorIjlEEPbPlSO_S6_NS0_8equal_toIbEEEE10hipError_tPvRmT2_T3_mT4_T5_T6_T7_T8_P12ihipStream_tbENKUlT_T0_E_clISt17integral_constantIbLb1EES18_EEDaS13_S14_EUlS13_E_NS1_11comp_targetILNS1_3genE4ELNS1_11target_archE910ELNS1_3gpuE8ELNS1_3repE0EEENS1_30default_config_static_selectorELNS0_4arch9wavefront6targetE1EEEvT1_,comdat
.Lfunc_end70:
	.size	_ZN7rocprim17ROCPRIM_400000_NS6detail17trampoline_kernelINS0_14default_configENS1_33run_length_encode_config_selectorIbjNS0_4plusIjEEEEZZNS1_33reduce_by_key_impl_wrapped_configILNS1_25lookback_scan_determinismE0ES3_S7_N6hipcub16HIPCUB_304000_NS22TransformInputIteratorIbN2at6native8internal12_GLOBAL__N_110LoadBoolOpEPKhlEENS0_17constant_iteratorIjlEEPbPlSO_S6_NS0_8equal_toIbEEEE10hipError_tPvRmT2_T3_mT4_T5_T6_T7_T8_P12ihipStream_tbENKUlT_T0_E_clISt17integral_constantIbLb1EES18_EEDaS13_S14_EUlS13_E_NS1_11comp_targetILNS1_3genE4ELNS1_11target_archE910ELNS1_3gpuE8ELNS1_3repE0EEENS1_30default_config_static_selectorELNS0_4arch9wavefront6targetE1EEEvT1_, .Lfunc_end70-_ZN7rocprim17ROCPRIM_400000_NS6detail17trampoline_kernelINS0_14default_configENS1_33run_length_encode_config_selectorIbjNS0_4plusIjEEEEZZNS1_33reduce_by_key_impl_wrapped_configILNS1_25lookback_scan_determinismE0ES3_S7_N6hipcub16HIPCUB_304000_NS22TransformInputIteratorIbN2at6native8internal12_GLOBAL__N_110LoadBoolOpEPKhlEENS0_17constant_iteratorIjlEEPbPlSO_S6_NS0_8equal_toIbEEEE10hipError_tPvRmT2_T3_mT4_T5_T6_T7_T8_P12ihipStream_tbENKUlT_T0_E_clISt17integral_constantIbLb1EES18_EEDaS13_S14_EUlS13_E_NS1_11comp_targetILNS1_3genE4ELNS1_11target_archE910ELNS1_3gpuE8ELNS1_3repE0EEENS1_30default_config_static_selectorELNS0_4arch9wavefront6targetE1EEEvT1_
                                        ; -- End function
	.section	.AMDGPU.csdata,"",@progbits
; Kernel info:
; codeLenInByte = 0
; NumSgprs: 6
; NumVgprs: 0
; NumAgprs: 0
; TotalNumVgprs: 0
; ScratchSize: 0
; MemoryBound: 0
; FloatMode: 240
; IeeeMode: 1
; LDSByteSize: 0 bytes/workgroup (compile time only)
; SGPRBlocks: 0
; VGPRBlocks: 0
; NumSGPRsForWavesPerEU: 6
; NumVGPRsForWavesPerEU: 1
; AccumOffset: 4
; Occupancy: 8
; WaveLimiterHint : 0
; COMPUTE_PGM_RSRC2:SCRATCH_EN: 0
; COMPUTE_PGM_RSRC2:USER_SGPR: 2
; COMPUTE_PGM_RSRC2:TRAP_HANDLER: 0
; COMPUTE_PGM_RSRC2:TGID_X_EN: 1
; COMPUTE_PGM_RSRC2:TGID_Y_EN: 0
; COMPUTE_PGM_RSRC2:TGID_Z_EN: 0
; COMPUTE_PGM_RSRC2:TIDIG_COMP_CNT: 0
; COMPUTE_PGM_RSRC3_GFX90A:ACCUM_OFFSET: 0
; COMPUTE_PGM_RSRC3_GFX90A:TG_SPLIT: 0
	.section	.text._ZN7rocprim17ROCPRIM_400000_NS6detail17trampoline_kernelINS0_14default_configENS1_33run_length_encode_config_selectorIbjNS0_4plusIjEEEEZZNS1_33reduce_by_key_impl_wrapped_configILNS1_25lookback_scan_determinismE0ES3_S7_N6hipcub16HIPCUB_304000_NS22TransformInputIteratorIbN2at6native8internal12_GLOBAL__N_110LoadBoolOpEPKhlEENS0_17constant_iteratorIjlEEPbPlSO_S6_NS0_8equal_toIbEEEE10hipError_tPvRmT2_T3_mT4_T5_T6_T7_T8_P12ihipStream_tbENKUlT_T0_E_clISt17integral_constantIbLb1EES18_EEDaS13_S14_EUlS13_E_NS1_11comp_targetILNS1_3genE3ELNS1_11target_archE908ELNS1_3gpuE7ELNS1_3repE0EEENS1_30default_config_static_selectorELNS0_4arch9wavefront6targetE1EEEvT1_,"axG",@progbits,_ZN7rocprim17ROCPRIM_400000_NS6detail17trampoline_kernelINS0_14default_configENS1_33run_length_encode_config_selectorIbjNS0_4plusIjEEEEZZNS1_33reduce_by_key_impl_wrapped_configILNS1_25lookback_scan_determinismE0ES3_S7_N6hipcub16HIPCUB_304000_NS22TransformInputIteratorIbN2at6native8internal12_GLOBAL__N_110LoadBoolOpEPKhlEENS0_17constant_iteratorIjlEEPbPlSO_S6_NS0_8equal_toIbEEEE10hipError_tPvRmT2_T3_mT4_T5_T6_T7_T8_P12ihipStream_tbENKUlT_T0_E_clISt17integral_constantIbLb1EES18_EEDaS13_S14_EUlS13_E_NS1_11comp_targetILNS1_3genE3ELNS1_11target_archE908ELNS1_3gpuE7ELNS1_3repE0EEENS1_30default_config_static_selectorELNS0_4arch9wavefront6targetE1EEEvT1_,comdat
	.globl	_ZN7rocprim17ROCPRIM_400000_NS6detail17trampoline_kernelINS0_14default_configENS1_33run_length_encode_config_selectorIbjNS0_4plusIjEEEEZZNS1_33reduce_by_key_impl_wrapped_configILNS1_25lookback_scan_determinismE0ES3_S7_N6hipcub16HIPCUB_304000_NS22TransformInputIteratorIbN2at6native8internal12_GLOBAL__N_110LoadBoolOpEPKhlEENS0_17constant_iteratorIjlEEPbPlSO_S6_NS0_8equal_toIbEEEE10hipError_tPvRmT2_T3_mT4_T5_T6_T7_T8_P12ihipStream_tbENKUlT_T0_E_clISt17integral_constantIbLb1EES18_EEDaS13_S14_EUlS13_E_NS1_11comp_targetILNS1_3genE3ELNS1_11target_archE908ELNS1_3gpuE7ELNS1_3repE0EEENS1_30default_config_static_selectorELNS0_4arch9wavefront6targetE1EEEvT1_ ; -- Begin function _ZN7rocprim17ROCPRIM_400000_NS6detail17trampoline_kernelINS0_14default_configENS1_33run_length_encode_config_selectorIbjNS0_4plusIjEEEEZZNS1_33reduce_by_key_impl_wrapped_configILNS1_25lookback_scan_determinismE0ES3_S7_N6hipcub16HIPCUB_304000_NS22TransformInputIteratorIbN2at6native8internal12_GLOBAL__N_110LoadBoolOpEPKhlEENS0_17constant_iteratorIjlEEPbPlSO_S6_NS0_8equal_toIbEEEE10hipError_tPvRmT2_T3_mT4_T5_T6_T7_T8_P12ihipStream_tbENKUlT_T0_E_clISt17integral_constantIbLb1EES18_EEDaS13_S14_EUlS13_E_NS1_11comp_targetILNS1_3genE3ELNS1_11target_archE908ELNS1_3gpuE7ELNS1_3repE0EEENS1_30default_config_static_selectorELNS0_4arch9wavefront6targetE1EEEvT1_
	.p2align	8
	.type	_ZN7rocprim17ROCPRIM_400000_NS6detail17trampoline_kernelINS0_14default_configENS1_33run_length_encode_config_selectorIbjNS0_4plusIjEEEEZZNS1_33reduce_by_key_impl_wrapped_configILNS1_25lookback_scan_determinismE0ES3_S7_N6hipcub16HIPCUB_304000_NS22TransformInputIteratorIbN2at6native8internal12_GLOBAL__N_110LoadBoolOpEPKhlEENS0_17constant_iteratorIjlEEPbPlSO_S6_NS0_8equal_toIbEEEE10hipError_tPvRmT2_T3_mT4_T5_T6_T7_T8_P12ihipStream_tbENKUlT_T0_E_clISt17integral_constantIbLb1EES18_EEDaS13_S14_EUlS13_E_NS1_11comp_targetILNS1_3genE3ELNS1_11target_archE908ELNS1_3gpuE7ELNS1_3repE0EEENS1_30default_config_static_selectorELNS0_4arch9wavefront6targetE1EEEvT1_,@function
_ZN7rocprim17ROCPRIM_400000_NS6detail17trampoline_kernelINS0_14default_configENS1_33run_length_encode_config_selectorIbjNS0_4plusIjEEEEZZNS1_33reduce_by_key_impl_wrapped_configILNS1_25lookback_scan_determinismE0ES3_S7_N6hipcub16HIPCUB_304000_NS22TransformInputIteratorIbN2at6native8internal12_GLOBAL__N_110LoadBoolOpEPKhlEENS0_17constant_iteratorIjlEEPbPlSO_S6_NS0_8equal_toIbEEEE10hipError_tPvRmT2_T3_mT4_T5_T6_T7_T8_P12ihipStream_tbENKUlT_T0_E_clISt17integral_constantIbLb1EES18_EEDaS13_S14_EUlS13_E_NS1_11comp_targetILNS1_3genE3ELNS1_11target_archE908ELNS1_3gpuE7ELNS1_3repE0EEENS1_30default_config_static_selectorELNS0_4arch9wavefront6targetE1EEEvT1_: ; @_ZN7rocprim17ROCPRIM_400000_NS6detail17trampoline_kernelINS0_14default_configENS1_33run_length_encode_config_selectorIbjNS0_4plusIjEEEEZZNS1_33reduce_by_key_impl_wrapped_configILNS1_25lookback_scan_determinismE0ES3_S7_N6hipcub16HIPCUB_304000_NS22TransformInputIteratorIbN2at6native8internal12_GLOBAL__N_110LoadBoolOpEPKhlEENS0_17constant_iteratorIjlEEPbPlSO_S6_NS0_8equal_toIbEEEE10hipError_tPvRmT2_T3_mT4_T5_T6_T7_T8_P12ihipStream_tbENKUlT_T0_E_clISt17integral_constantIbLb1EES18_EEDaS13_S14_EUlS13_E_NS1_11comp_targetILNS1_3genE3ELNS1_11target_archE908ELNS1_3gpuE7ELNS1_3repE0EEENS1_30default_config_static_selectorELNS0_4arch9wavefront6targetE1EEEvT1_
; %bb.0:
	.section	.rodata,"a",@progbits
	.p2align	6, 0x0
	.amdhsa_kernel _ZN7rocprim17ROCPRIM_400000_NS6detail17trampoline_kernelINS0_14default_configENS1_33run_length_encode_config_selectorIbjNS0_4plusIjEEEEZZNS1_33reduce_by_key_impl_wrapped_configILNS1_25lookback_scan_determinismE0ES3_S7_N6hipcub16HIPCUB_304000_NS22TransformInputIteratorIbN2at6native8internal12_GLOBAL__N_110LoadBoolOpEPKhlEENS0_17constant_iteratorIjlEEPbPlSO_S6_NS0_8equal_toIbEEEE10hipError_tPvRmT2_T3_mT4_T5_T6_T7_T8_P12ihipStream_tbENKUlT_T0_E_clISt17integral_constantIbLb1EES18_EEDaS13_S14_EUlS13_E_NS1_11comp_targetILNS1_3genE3ELNS1_11target_archE908ELNS1_3gpuE7ELNS1_3repE0EEENS1_30default_config_static_selectorELNS0_4arch9wavefront6targetE1EEEvT1_
		.amdhsa_group_segment_fixed_size 0
		.amdhsa_private_segment_fixed_size 0
		.amdhsa_kernarg_size 136
		.amdhsa_user_sgpr_count 2
		.amdhsa_user_sgpr_dispatch_ptr 0
		.amdhsa_user_sgpr_queue_ptr 0
		.amdhsa_user_sgpr_kernarg_segment_ptr 1
		.amdhsa_user_sgpr_dispatch_id 0
		.amdhsa_user_sgpr_kernarg_preload_length 0
		.amdhsa_user_sgpr_kernarg_preload_offset 0
		.amdhsa_user_sgpr_private_segment_size 0
		.amdhsa_uses_dynamic_stack 0
		.amdhsa_enable_private_segment 0
		.amdhsa_system_sgpr_workgroup_id_x 1
		.amdhsa_system_sgpr_workgroup_id_y 0
		.amdhsa_system_sgpr_workgroup_id_z 0
		.amdhsa_system_sgpr_workgroup_info 0
		.amdhsa_system_vgpr_workitem_id 0
		.amdhsa_next_free_vgpr 1
		.amdhsa_next_free_sgpr 0
		.amdhsa_accum_offset 4
		.amdhsa_reserve_vcc 0
		.amdhsa_float_round_mode_32 0
		.amdhsa_float_round_mode_16_64 0
		.amdhsa_float_denorm_mode_32 3
		.amdhsa_float_denorm_mode_16_64 3
		.amdhsa_dx10_clamp 1
		.amdhsa_ieee_mode 1
		.amdhsa_fp16_overflow 0
		.amdhsa_tg_split 0
		.amdhsa_exception_fp_ieee_invalid_op 0
		.amdhsa_exception_fp_denorm_src 0
		.amdhsa_exception_fp_ieee_div_zero 0
		.amdhsa_exception_fp_ieee_overflow 0
		.amdhsa_exception_fp_ieee_underflow 0
		.amdhsa_exception_fp_ieee_inexact 0
		.amdhsa_exception_int_div_zero 0
	.end_amdhsa_kernel
	.section	.text._ZN7rocprim17ROCPRIM_400000_NS6detail17trampoline_kernelINS0_14default_configENS1_33run_length_encode_config_selectorIbjNS0_4plusIjEEEEZZNS1_33reduce_by_key_impl_wrapped_configILNS1_25lookback_scan_determinismE0ES3_S7_N6hipcub16HIPCUB_304000_NS22TransformInputIteratorIbN2at6native8internal12_GLOBAL__N_110LoadBoolOpEPKhlEENS0_17constant_iteratorIjlEEPbPlSO_S6_NS0_8equal_toIbEEEE10hipError_tPvRmT2_T3_mT4_T5_T6_T7_T8_P12ihipStream_tbENKUlT_T0_E_clISt17integral_constantIbLb1EES18_EEDaS13_S14_EUlS13_E_NS1_11comp_targetILNS1_3genE3ELNS1_11target_archE908ELNS1_3gpuE7ELNS1_3repE0EEENS1_30default_config_static_selectorELNS0_4arch9wavefront6targetE1EEEvT1_,"axG",@progbits,_ZN7rocprim17ROCPRIM_400000_NS6detail17trampoline_kernelINS0_14default_configENS1_33run_length_encode_config_selectorIbjNS0_4plusIjEEEEZZNS1_33reduce_by_key_impl_wrapped_configILNS1_25lookback_scan_determinismE0ES3_S7_N6hipcub16HIPCUB_304000_NS22TransformInputIteratorIbN2at6native8internal12_GLOBAL__N_110LoadBoolOpEPKhlEENS0_17constant_iteratorIjlEEPbPlSO_S6_NS0_8equal_toIbEEEE10hipError_tPvRmT2_T3_mT4_T5_T6_T7_T8_P12ihipStream_tbENKUlT_T0_E_clISt17integral_constantIbLb1EES18_EEDaS13_S14_EUlS13_E_NS1_11comp_targetILNS1_3genE3ELNS1_11target_archE908ELNS1_3gpuE7ELNS1_3repE0EEENS1_30default_config_static_selectorELNS0_4arch9wavefront6targetE1EEEvT1_,comdat
.Lfunc_end71:
	.size	_ZN7rocprim17ROCPRIM_400000_NS6detail17trampoline_kernelINS0_14default_configENS1_33run_length_encode_config_selectorIbjNS0_4plusIjEEEEZZNS1_33reduce_by_key_impl_wrapped_configILNS1_25lookback_scan_determinismE0ES3_S7_N6hipcub16HIPCUB_304000_NS22TransformInputIteratorIbN2at6native8internal12_GLOBAL__N_110LoadBoolOpEPKhlEENS0_17constant_iteratorIjlEEPbPlSO_S6_NS0_8equal_toIbEEEE10hipError_tPvRmT2_T3_mT4_T5_T6_T7_T8_P12ihipStream_tbENKUlT_T0_E_clISt17integral_constantIbLb1EES18_EEDaS13_S14_EUlS13_E_NS1_11comp_targetILNS1_3genE3ELNS1_11target_archE908ELNS1_3gpuE7ELNS1_3repE0EEENS1_30default_config_static_selectorELNS0_4arch9wavefront6targetE1EEEvT1_, .Lfunc_end71-_ZN7rocprim17ROCPRIM_400000_NS6detail17trampoline_kernelINS0_14default_configENS1_33run_length_encode_config_selectorIbjNS0_4plusIjEEEEZZNS1_33reduce_by_key_impl_wrapped_configILNS1_25lookback_scan_determinismE0ES3_S7_N6hipcub16HIPCUB_304000_NS22TransformInputIteratorIbN2at6native8internal12_GLOBAL__N_110LoadBoolOpEPKhlEENS0_17constant_iteratorIjlEEPbPlSO_S6_NS0_8equal_toIbEEEE10hipError_tPvRmT2_T3_mT4_T5_T6_T7_T8_P12ihipStream_tbENKUlT_T0_E_clISt17integral_constantIbLb1EES18_EEDaS13_S14_EUlS13_E_NS1_11comp_targetILNS1_3genE3ELNS1_11target_archE908ELNS1_3gpuE7ELNS1_3repE0EEENS1_30default_config_static_selectorELNS0_4arch9wavefront6targetE1EEEvT1_
                                        ; -- End function
	.section	.AMDGPU.csdata,"",@progbits
; Kernel info:
; codeLenInByte = 0
; NumSgprs: 6
; NumVgprs: 0
; NumAgprs: 0
; TotalNumVgprs: 0
; ScratchSize: 0
; MemoryBound: 0
; FloatMode: 240
; IeeeMode: 1
; LDSByteSize: 0 bytes/workgroup (compile time only)
; SGPRBlocks: 0
; VGPRBlocks: 0
; NumSGPRsForWavesPerEU: 6
; NumVGPRsForWavesPerEU: 1
; AccumOffset: 4
; Occupancy: 8
; WaveLimiterHint : 0
; COMPUTE_PGM_RSRC2:SCRATCH_EN: 0
; COMPUTE_PGM_RSRC2:USER_SGPR: 2
; COMPUTE_PGM_RSRC2:TRAP_HANDLER: 0
; COMPUTE_PGM_RSRC2:TGID_X_EN: 1
; COMPUTE_PGM_RSRC2:TGID_Y_EN: 0
; COMPUTE_PGM_RSRC2:TGID_Z_EN: 0
; COMPUTE_PGM_RSRC2:TIDIG_COMP_CNT: 0
; COMPUTE_PGM_RSRC3_GFX90A:ACCUM_OFFSET: 0
; COMPUTE_PGM_RSRC3_GFX90A:TG_SPLIT: 0
	.section	.text._ZN7rocprim17ROCPRIM_400000_NS6detail17trampoline_kernelINS0_14default_configENS1_33run_length_encode_config_selectorIbjNS0_4plusIjEEEEZZNS1_33reduce_by_key_impl_wrapped_configILNS1_25lookback_scan_determinismE0ES3_S7_N6hipcub16HIPCUB_304000_NS22TransformInputIteratorIbN2at6native8internal12_GLOBAL__N_110LoadBoolOpEPKhlEENS0_17constant_iteratorIjlEEPbPlSO_S6_NS0_8equal_toIbEEEE10hipError_tPvRmT2_T3_mT4_T5_T6_T7_T8_P12ihipStream_tbENKUlT_T0_E_clISt17integral_constantIbLb1EES18_EEDaS13_S14_EUlS13_E_NS1_11comp_targetILNS1_3genE2ELNS1_11target_archE906ELNS1_3gpuE6ELNS1_3repE0EEENS1_30default_config_static_selectorELNS0_4arch9wavefront6targetE1EEEvT1_,"axG",@progbits,_ZN7rocprim17ROCPRIM_400000_NS6detail17trampoline_kernelINS0_14default_configENS1_33run_length_encode_config_selectorIbjNS0_4plusIjEEEEZZNS1_33reduce_by_key_impl_wrapped_configILNS1_25lookback_scan_determinismE0ES3_S7_N6hipcub16HIPCUB_304000_NS22TransformInputIteratorIbN2at6native8internal12_GLOBAL__N_110LoadBoolOpEPKhlEENS0_17constant_iteratorIjlEEPbPlSO_S6_NS0_8equal_toIbEEEE10hipError_tPvRmT2_T3_mT4_T5_T6_T7_T8_P12ihipStream_tbENKUlT_T0_E_clISt17integral_constantIbLb1EES18_EEDaS13_S14_EUlS13_E_NS1_11comp_targetILNS1_3genE2ELNS1_11target_archE906ELNS1_3gpuE6ELNS1_3repE0EEENS1_30default_config_static_selectorELNS0_4arch9wavefront6targetE1EEEvT1_,comdat
	.globl	_ZN7rocprim17ROCPRIM_400000_NS6detail17trampoline_kernelINS0_14default_configENS1_33run_length_encode_config_selectorIbjNS0_4plusIjEEEEZZNS1_33reduce_by_key_impl_wrapped_configILNS1_25lookback_scan_determinismE0ES3_S7_N6hipcub16HIPCUB_304000_NS22TransformInputIteratorIbN2at6native8internal12_GLOBAL__N_110LoadBoolOpEPKhlEENS0_17constant_iteratorIjlEEPbPlSO_S6_NS0_8equal_toIbEEEE10hipError_tPvRmT2_T3_mT4_T5_T6_T7_T8_P12ihipStream_tbENKUlT_T0_E_clISt17integral_constantIbLb1EES18_EEDaS13_S14_EUlS13_E_NS1_11comp_targetILNS1_3genE2ELNS1_11target_archE906ELNS1_3gpuE6ELNS1_3repE0EEENS1_30default_config_static_selectorELNS0_4arch9wavefront6targetE1EEEvT1_ ; -- Begin function _ZN7rocprim17ROCPRIM_400000_NS6detail17trampoline_kernelINS0_14default_configENS1_33run_length_encode_config_selectorIbjNS0_4plusIjEEEEZZNS1_33reduce_by_key_impl_wrapped_configILNS1_25lookback_scan_determinismE0ES3_S7_N6hipcub16HIPCUB_304000_NS22TransformInputIteratorIbN2at6native8internal12_GLOBAL__N_110LoadBoolOpEPKhlEENS0_17constant_iteratorIjlEEPbPlSO_S6_NS0_8equal_toIbEEEE10hipError_tPvRmT2_T3_mT4_T5_T6_T7_T8_P12ihipStream_tbENKUlT_T0_E_clISt17integral_constantIbLb1EES18_EEDaS13_S14_EUlS13_E_NS1_11comp_targetILNS1_3genE2ELNS1_11target_archE906ELNS1_3gpuE6ELNS1_3repE0EEENS1_30default_config_static_selectorELNS0_4arch9wavefront6targetE1EEEvT1_
	.p2align	8
	.type	_ZN7rocprim17ROCPRIM_400000_NS6detail17trampoline_kernelINS0_14default_configENS1_33run_length_encode_config_selectorIbjNS0_4plusIjEEEEZZNS1_33reduce_by_key_impl_wrapped_configILNS1_25lookback_scan_determinismE0ES3_S7_N6hipcub16HIPCUB_304000_NS22TransformInputIteratorIbN2at6native8internal12_GLOBAL__N_110LoadBoolOpEPKhlEENS0_17constant_iteratorIjlEEPbPlSO_S6_NS0_8equal_toIbEEEE10hipError_tPvRmT2_T3_mT4_T5_T6_T7_T8_P12ihipStream_tbENKUlT_T0_E_clISt17integral_constantIbLb1EES18_EEDaS13_S14_EUlS13_E_NS1_11comp_targetILNS1_3genE2ELNS1_11target_archE906ELNS1_3gpuE6ELNS1_3repE0EEENS1_30default_config_static_selectorELNS0_4arch9wavefront6targetE1EEEvT1_,@function
_ZN7rocprim17ROCPRIM_400000_NS6detail17trampoline_kernelINS0_14default_configENS1_33run_length_encode_config_selectorIbjNS0_4plusIjEEEEZZNS1_33reduce_by_key_impl_wrapped_configILNS1_25lookback_scan_determinismE0ES3_S7_N6hipcub16HIPCUB_304000_NS22TransformInputIteratorIbN2at6native8internal12_GLOBAL__N_110LoadBoolOpEPKhlEENS0_17constant_iteratorIjlEEPbPlSO_S6_NS0_8equal_toIbEEEE10hipError_tPvRmT2_T3_mT4_T5_T6_T7_T8_P12ihipStream_tbENKUlT_T0_E_clISt17integral_constantIbLb1EES18_EEDaS13_S14_EUlS13_E_NS1_11comp_targetILNS1_3genE2ELNS1_11target_archE906ELNS1_3gpuE6ELNS1_3repE0EEENS1_30default_config_static_selectorELNS0_4arch9wavefront6targetE1EEEvT1_: ; @_ZN7rocprim17ROCPRIM_400000_NS6detail17trampoline_kernelINS0_14default_configENS1_33run_length_encode_config_selectorIbjNS0_4plusIjEEEEZZNS1_33reduce_by_key_impl_wrapped_configILNS1_25lookback_scan_determinismE0ES3_S7_N6hipcub16HIPCUB_304000_NS22TransformInputIteratorIbN2at6native8internal12_GLOBAL__N_110LoadBoolOpEPKhlEENS0_17constant_iteratorIjlEEPbPlSO_S6_NS0_8equal_toIbEEEE10hipError_tPvRmT2_T3_mT4_T5_T6_T7_T8_P12ihipStream_tbENKUlT_T0_E_clISt17integral_constantIbLb1EES18_EEDaS13_S14_EUlS13_E_NS1_11comp_targetILNS1_3genE2ELNS1_11target_archE906ELNS1_3gpuE6ELNS1_3repE0EEENS1_30default_config_static_selectorELNS0_4arch9wavefront6targetE1EEEvT1_
; %bb.0:
	.section	.rodata,"a",@progbits
	.p2align	6, 0x0
	.amdhsa_kernel _ZN7rocprim17ROCPRIM_400000_NS6detail17trampoline_kernelINS0_14default_configENS1_33run_length_encode_config_selectorIbjNS0_4plusIjEEEEZZNS1_33reduce_by_key_impl_wrapped_configILNS1_25lookback_scan_determinismE0ES3_S7_N6hipcub16HIPCUB_304000_NS22TransformInputIteratorIbN2at6native8internal12_GLOBAL__N_110LoadBoolOpEPKhlEENS0_17constant_iteratorIjlEEPbPlSO_S6_NS0_8equal_toIbEEEE10hipError_tPvRmT2_T3_mT4_T5_T6_T7_T8_P12ihipStream_tbENKUlT_T0_E_clISt17integral_constantIbLb1EES18_EEDaS13_S14_EUlS13_E_NS1_11comp_targetILNS1_3genE2ELNS1_11target_archE906ELNS1_3gpuE6ELNS1_3repE0EEENS1_30default_config_static_selectorELNS0_4arch9wavefront6targetE1EEEvT1_
		.amdhsa_group_segment_fixed_size 0
		.amdhsa_private_segment_fixed_size 0
		.amdhsa_kernarg_size 136
		.amdhsa_user_sgpr_count 2
		.amdhsa_user_sgpr_dispatch_ptr 0
		.amdhsa_user_sgpr_queue_ptr 0
		.amdhsa_user_sgpr_kernarg_segment_ptr 1
		.amdhsa_user_sgpr_dispatch_id 0
		.amdhsa_user_sgpr_kernarg_preload_length 0
		.amdhsa_user_sgpr_kernarg_preload_offset 0
		.amdhsa_user_sgpr_private_segment_size 0
		.amdhsa_uses_dynamic_stack 0
		.amdhsa_enable_private_segment 0
		.amdhsa_system_sgpr_workgroup_id_x 1
		.amdhsa_system_sgpr_workgroup_id_y 0
		.amdhsa_system_sgpr_workgroup_id_z 0
		.amdhsa_system_sgpr_workgroup_info 0
		.amdhsa_system_vgpr_workitem_id 0
		.amdhsa_next_free_vgpr 1
		.amdhsa_next_free_sgpr 0
		.amdhsa_accum_offset 4
		.amdhsa_reserve_vcc 0
		.amdhsa_float_round_mode_32 0
		.amdhsa_float_round_mode_16_64 0
		.amdhsa_float_denorm_mode_32 3
		.amdhsa_float_denorm_mode_16_64 3
		.amdhsa_dx10_clamp 1
		.amdhsa_ieee_mode 1
		.amdhsa_fp16_overflow 0
		.amdhsa_tg_split 0
		.amdhsa_exception_fp_ieee_invalid_op 0
		.amdhsa_exception_fp_denorm_src 0
		.amdhsa_exception_fp_ieee_div_zero 0
		.amdhsa_exception_fp_ieee_overflow 0
		.amdhsa_exception_fp_ieee_underflow 0
		.amdhsa_exception_fp_ieee_inexact 0
		.amdhsa_exception_int_div_zero 0
	.end_amdhsa_kernel
	.section	.text._ZN7rocprim17ROCPRIM_400000_NS6detail17trampoline_kernelINS0_14default_configENS1_33run_length_encode_config_selectorIbjNS0_4plusIjEEEEZZNS1_33reduce_by_key_impl_wrapped_configILNS1_25lookback_scan_determinismE0ES3_S7_N6hipcub16HIPCUB_304000_NS22TransformInputIteratorIbN2at6native8internal12_GLOBAL__N_110LoadBoolOpEPKhlEENS0_17constant_iteratorIjlEEPbPlSO_S6_NS0_8equal_toIbEEEE10hipError_tPvRmT2_T3_mT4_T5_T6_T7_T8_P12ihipStream_tbENKUlT_T0_E_clISt17integral_constantIbLb1EES18_EEDaS13_S14_EUlS13_E_NS1_11comp_targetILNS1_3genE2ELNS1_11target_archE906ELNS1_3gpuE6ELNS1_3repE0EEENS1_30default_config_static_selectorELNS0_4arch9wavefront6targetE1EEEvT1_,"axG",@progbits,_ZN7rocprim17ROCPRIM_400000_NS6detail17trampoline_kernelINS0_14default_configENS1_33run_length_encode_config_selectorIbjNS0_4plusIjEEEEZZNS1_33reduce_by_key_impl_wrapped_configILNS1_25lookback_scan_determinismE0ES3_S7_N6hipcub16HIPCUB_304000_NS22TransformInputIteratorIbN2at6native8internal12_GLOBAL__N_110LoadBoolOpEPKhlEENS0_17constant_iteratorIjlEEPbPlSO_S6_NS0_8equal_toIbEEEE10hipError_tPvRmT2_T3_mT4_T5_T6_T7_T8_P12ihipStream_tbENKUlT_T0_E_clISt17integral_constantIbLb1EES18_EEDaS13_S14_EUlS13_E_NS1_11comp_targetILNS1_3genE2ELNS1_11target_archE906ELNS1_3gpuE6ELNS1_3repE0EEENS1_30default_config_static_selectorELNS0_4arch9wavefront6targetE1EEEvT1_,comdat
.Lfunc_end72:
	.size	_ZN7rocprim17ROCPRIM_400000_NS6detail17trampoline_kernelINS0_14default_configENS1_33run_length_encode_config_selectorIbjNS0_4plusIjEEEEZZNS1_33reduce_by_key_impl_wrapped_configILNS1_25lookback_scan_determinismE0ES3_S7_N6hipcub16HIPCUB_304000_NS22TransformInputIteratorIbN2at6native8internal12_GLOBAL__N_110LoadBoolOpEPKhlEENS0_17constant_iteratorIjlEEPbPlSO_S6_NS0_8equal_toIbEEEE10hipError_tPvRmT2_T3_mT4_T5_T6_T7_T8_P12ihipStream_tbENKUlT_T0_E_clISt17integral_constantIbLb1EES18_EEDaS13_S14_EUlS13_E_NS1_11comp_targetILNS1_3genE2ELNS1_11target_archE906ELNS1_3gpuE6ELNS1_3repE0EEENS1_30default_config_static_selectorELNS0_4arch9wavefront6targetE1EEEvT1_, .Lfunc_end72-_ZN7rocprim17ROCPRIM_400000_NS6detail17trampoline_kernelINS0_14default_configENS1_33run_length_encode_config_selectorIbjNS0_4plusIjEEEEZZNS1_33reduce_by_key_impl_wrapped_configILNS1_25lookback_scan_determinismE0ES3_S7_N6hipcub16HIPCUB_304000_NS22TransformInputIteratorIbN2at6native8internal12_GLOBAL__N_110LoadBoolOpEPKhlEENS0_17constant_iteratorIjlEEPbPlSO_S6_NS0_8equal_toIbEEEE10hipError_tPvRmT2_T3_mT4_T5_T6_T7_T8_P12ihipStream_tbENKUlT_T0_E_clISt17integral_constantIbLb1EES18_EEDaS13_S14_EUlS13_E_NS1_11comp_targetILNS1_3genE2ELNS1_11target_archE906ELNS1_3gpuE6ELNS1_3repE0EEENS1_30default_config_static_selectorELNS0_4arch9wavefront6targetE1EEEvT1_
                                        ; -- End function
	.section	.AMDGPU.csdata,"",@progbits
; Kernel info:
; codeLenInByte = 0
; NumSgprs: 6
; NumVgprs: 0
; NumAgprs: 0
; TotalNumVgprs: 0
; ScratchSize: 0
; MemoryBound: 0
; FloatMode: 240
; IeeeMode: 1
; LDSByteSize: 0 bytes/workgroup (compile time only)
; SGPRBlocks: 0
; VGPRBlocks: 0
; NumSGPRsForWavesPerEU: 6
; NumVGPRsForWavesPerEU: 1
; AccumOffset: 4
; Occupancy: 8
; WaveLimiterHint : 0
; COMPUTE_PGM_RSRC2:SCRATCH_EN: 0
; COMPUTE_PGM_RSRC2:USER_SGPR: 2
; COMPUTE_PGM_RSRC2:TRAP_HANDLER: 0
; COMPUTE_PGM_RSRC2:TGID_X_EN: 1
; COMPUTE_PGM_RSRC2:TGID_Y_EN: 0
; COMPUTE_PGM_RSRC2:TGID_Z_EN: 0
; COMPUTE_PGM_RSRC2:TIDIG_COMP_CNT: 0
; COMPUTE_PGM_RSRC3_GFX90A:ACCUM_OFFSET: 0
; COMPUTE_PGM_RSRC3_GFX90A:TG_SPLIT: 0
	.section	.text._ZN7rocprim17ROCPRIM_400000_NS6detail17trampoline_kernelINS0_14default_configENS1_33run_length_encode_config_selectorIbjNS0_4plusIjEEEEZZNS1_33reduce_by_key_impl_wrapped_configILNS1_25lookback_scan_determinismE0ES3_S7_N6hipcub16HIPCUB_304000_NS22TransformInputIteratorIbN2at6native8internal12_GLOBAL__N_110LoadBoolOpEPKhlEENS0_17constant_iteratorIjlEEPbPlSO_S6_NS0_8equal_toIbEEEE10hipError_tPvRmT2_T3_mT4_T5_T6_T7_T8_P12ihipStream_tbENKUlT_T0_E_clISt17integral_constantIbLb1EES18_EEDaS13_S14_EUlS13_E_NS1_11comp_targetILNS1_3genE10ELNS1_11target_archE1201ELNS1_3gpuE5ELNS1_3repE0EEENS1_30default_config_static_selectorELNS0_4arch9wavefront6targetE1EEEvT1_,"axG",@progbits,_ZN7rocprim17ROCPRIM_400000_NS6detail17trampoline_kernelINS0_14default_configENS1_33run_length_encode_config_selectorIbjNS0_4plusIjEEEEZZNS1_33reduce_by_key_impl_wrapped_configILNS1_25lookback_scan_determinismE0ES3_S7_N6hipcub16HIPCUB_304000_NS22TransformInputIteratorIbN2at6native8internal12_GLOBAL__N_110LoadBoolOpEPKhlEENS0_17constant_iteratorIjlEEPbPlSO_S6_NS0_8equal_toIbEEEE10hipError_tPvRmT2_T3_mT4_T5_T6_T7_T8_P12ihipStream_tbENKUlT_T0_E_clISt17integral_constantIbLb1EES18_EEDaS13_S14_EUlS13_E_NS1_11comp_targetILNS1_3genE10ELNS1_11target_archE1201ELNS1_3gpuE5ELNS1_3repE0EEENS1_30default_config_static_selectorELNS0_4arch9wavefront6targetE1EEEvT1_,comdat
	.globl	_ZN7rocprim17ROCPRIM_400000_NS6detail17trampoline_kernelINS0_14default_configENS1_33run_length_encode_config_selectorIbjNS0_4plusIjEEEEZZNS1_33reduce_by_key_impl_wrapped_configILNS1_25lookback_scan_determinismE0ES3_S7_N6hipcub16HIPCUB_304000_NS22TransformInputIteratorIbN2at6native8internal12_GLOBAL__N_110LoadBoolOpEPKhlEENS0_17constant_iteratorIjlEEPbPlSO_S6_NS0_8equal_toIbEEEE10hipError_tPvRmT2_T3_mT4_T5_T6_T7_T8_P12ihipStream_tbENKUlT_T0_E_clISt17integral_constantIbLb1EES18_EEDaS13_S14_EUlS13_E_NS1_11comp_targetILNS1_3genE10ELNS1_11target_archE1201ELNS1_3gpuE5ELNS1_3repE0EEENS1_30default_config_static_selectorELNS0_4arch9wavefront6targetE1EEEvT1_ ; -- Begin function _ZN7rocprim17ROCPRIM_400000_NS6detail17trampoline_kernelINS0_14default_configENS1_33run_length_encode_config_selectorIbjNS0_4plusIjEEEEZZNS1_33reduce_by_key_impl_wrapped_configILNS1_25lookback_scan_determinismE0ES3_S7_N6hipcub16HIPCUB_304000_NS22TransformInputIteratorIbN2at6native8internal12_GLOBAL__N_110LoadBoolOpEPKhlEENS0_17constant_iteratorIjlEEPbPlSO_S6_NS0_8equal_toIbEEEE10hipError_tPvRmT2_T3_mT4_T5_T6_T7_T8_P12ihipStream_tbENKUlT_T0_E_clISt17integral_constantIbLb1EES18_EEDaS13_S14_EUlS13_E_NS1_11comp_targetILNS1_3genE10ELNS1_11target_archE1201ELNS1_3gpuE5ELNS1_3repE0EEENS1_30default_config_static_selectorELNS0_4arch9wavefront6targetE1EEEvT1_
	.p2align	8
	.type	_ZN7rocprim17ROCPRIM_400000_NS6detail17trampoline_kernelINS0_14default_configENS1_33run_length_encode_config_selectorIbjNS0_4plusIjEEEEZZNS1_33reduce_by_key_impl_wrapped_configILNS1_25lookback_scan_determinismE0ES3_S7_N6hipcub16HIPCUB_304000_NS22TransformInputIteratorIbN2at6native8internal12_GLOBAL__N_110LoadBoolOpEPKhlEENS0_17constant_iteratorIjlEEPbPlSO_S6_NS0_8equal_toIbEEEE10hipError_tPvRmT2_T3_mT4_T5_T6_T7_T8_P12ihipStream_tbENKUlT_T0_E_clISt17integral_constantIbLb1EES18_EEDaS13_S14_EUlS13_E_NS1_11comp_targetILNS1_3genE10ELNS1_11target_archE1201ELNS1_3gpuE5ELNS1_3repE0EEENS1_30default_config_static_selectorELNS0_4arch9wavefront6targetE1EEEvT1_,@function
_ZN7rocprim17ROCPRIM_400000_NS6detail17trampoline_kernelINS0_14default_configENS1_33run_length_encode_config_selectorIbjNS0_4plusIjEEEEZZNS1_33reduce_by_key_impl_wrapped_configILNS1_25lookback_scan_determinismE0ES3_S7_N6hipcub16HIPCUB_304000_NS22TransformInputIteratorIbN2at6native8internal12_GLOBAL__N_110LoadBoolOpEPKhlEENS0_17constant_iteratorIjlEEPbPlSO_S6_NS0_8equal_toIbEEEE10hipError_tPvRmT2_T3_mT4_T5_T6_T7_T8_P12ihipStream_tbENKUlT_T0_E_clISt17integral_constantIbLb1EES18_EEDaS13_S14_EUlS13_E_NS1_11comp_targetILNS1_3genE10ELNS1_11target_archE1201ELNS1_3gpuE5ELNS1_3repE0EEENS1_30default_config_static_selectorELNS0_4arch9wavefront6targetE1EEEvT1_: ; @_ZN7rocprim17ROCPRIM_400000_NS6detail17trampoline_kernelINS0_14default_configENS1_33run_length_encode_config_selectorIbjNS0_4plusIjEEEEZZNS1_33reduce_by_key_impl_wrapped_configILNS1_25lookback_scan_determinismE0ES3_S7_N6hipcub16HIPCUB_304000_NS22TransformInputIteratorIbN2at6native8internal12_GLOBAL__N_110LoadBoolOpEPKhlEENS0_17constant_iteratorIjlEEPbPlSO_S6_NS0_8equal_toIbEEEE10hipError_tPvRmT2_T3_mT4_T5_T6_T7_T8_P12ihipStream_tbENKUlT_T0_E_clISt17integral_constantIbLb1EES18_EEDaS13_S14_EUlS13_E_NS1_11comp_targetILNS1_3genE10ELNS1_11target_archE1201ELNS1_3gpuE5ELNS1_3repE0EEENS1_30default_config_static_selectorELNS0_4arch9wavefront6targetE1EEEvT1_
; %bb.0:
	.section	.rodata,"a",@progbits
	.p2align	6, 0x0
	.amdhsa_kernel _ZN7rocprim17ROCPRIM_400000_NS6detail17trampoline_kernelINS0_14default_configENS1_33run_length_encode_config_selectorIbjNS0_4plusIjEEEEZZNS1_33reduce_by_key_impl_wrapped_configILNS1_25lookback_scan_determinismE0ES3_S7_N6hipcub16HIPCUB_304000_NS22TransformInputIteratorIbN2at6native8internal12_GLOBAL__N_110LoadBoolOpEPKhlEENS0_17constant_iteratorIjlEEPbPlSO_S6_NS0_8equal_toIbEEEE10hipError_tPvRmT2_T3_mT4_T5_T6_T7_T8_P12ihipStream_tbENKUlT_T0_E_clISt17integral_constantIbLb1EES18_EEDaS13_S14_EUlS13_E_NS1_11comp_targetILNS1_3genE10ELNS1_11target_archE1201ELNS1_3gpuE5ELNS1_3repE0EEENS1_30default_config_static_selectorELNS0_4arch9wavefront6targetE1EEEvT1_
		.amdhsa_group_segment_fixed_size 0
		.amdhsa_private_segment_fixed_size 0
		.amdhsa_kernarg_size 136
		.amdhsa_user_sgpr_count 2
		.amdhsa_user_sgpr_dispatch_ptr 0
		.amdhsa_user_sgpr_queue_ptr 0
		.amdhsa_user_sgpr_kernarg_segment_ptr 1
		.amdhsa_user_sgpr_dispatch_id 0
		.amdhsa_user_sgpr_kernarg_preload_length 0
		.amdhsa_user_sgpr_kernarg_preload_offset 0
		.amdhsa_user_sgpr_private_segment_size 0
		.amdhsa_uses_dynamic_stack 0
		.amdhsa_enable_private_segment 0
		.amdhsa_system_sgpr_workgroup_id_x 1
		.amdhsa_system_sgpr_workgroup_id_y 0
		.amdhsa_system_sgpr_workgroup_id_z 0
		.amdhsa_system_sgpr_workgroup_info 0
		.amdhsa_system_vgpr_workitem_id 0
		.amdhsa_next_free_vgpr 1
		.amdhsa_next_free_sgpr 0
		.amdhsa_accum_offset 4
		.amdhsa_reserve_vcc 0
		.amdhsa_float_round_mode_32 0
		.amdhsa_float_round_mode_16_64 0
		.amdhsa_float_denorm_mode_32 3
		.amdhsa_float_denorm_mode_16_64 3
		.amdhsa_dx10_clamp 1
		.amdhsa_ieee_mode 1
		.amdhsa_fp16_overflow 0
		.amdhsa_tg_split 0
		.amdhsa_exception_fp_ieee_invalid_op 0
		.amdhsa_exception_fp_denorm_src 0
		.amdhsa_exception_fp_ieee_div_zero 0
		.amdhsa_exception_fp_ieee_overflow 0
		.amdhsa_exception_fp_ieee_underflow 0
		.amdhsa_exception_fp_ieee_inexact 0
		.amdhsa_exception_int_div_zero 0
	.end_amdhsa_kernel
	.section	.text._ZN7rocprim17ROCPRIM_400000_NS6detail17trampoline_kernelINS0_14default_configENS1_33run_length_encode_config_selectorIbjNS0_4plusIjEEEEZZNS1_33reduce_by_key_impl_wrapped_configILNS1_25lookback_scan_determinismE0ES3_S7_N6hipcub16HIPCUB_304000_NS22TransformInputIteratorIbN2at6native8internal12_GLOBAL__N_110LoadBoolOpEPKhlEENS0_17constant_iteratorIjlEEPbPlSO_S6_NS0_8equal_toIbEEEE10hipError_tPvRmT2_T3_mT4_T5_T6_T7_T8_P12ihipStream_tbENKUlT_T0_E_clISt17integral_constantIbLb1EES18_EEDaS13_S14_EUlS13_E_NS1_11comp_targetILNS1_3genE10ELNS1_11target_archE1201ELNS1_3gpuE5ELNS1_3repE0EEENS1_30default_config_static_selectorELNS0_4arch9wavefront6targetE1EEEvT1_,"axG",@progbits,_ZN7rocprim17ROCPRIM_400000_NS6detail17trampoline_kernelINS0_14default_configENS1_33run_length_encode_config_selectorIbjNS0_4plusIjEEEEZZNS1_33reduce_by_key_impl_wrapped_configILNS1_25lookback_scan_determinismE0ES3_S7_N6hipcub16HIPCUB_304000_NS22TransformInputIteratorIbN2at6native8internal12_GLOBAL__N_110LoadBoolOpEPKhlEENS0_17constant_iteratorIjlEEPbPlSO_S6_NS0_8equal_toIbEEEE10hipError_tPvRmT2_T3_mT4_T5_T6_T7_T8_P12ihipStream_tbENKUlT_T0_E_clISt17integral_constantIbLb1EES18_EEDaS13_S14_EUlS13_E_NS1_11comp_targetILNS1_3genE10ELNS1_11target_archE1201ELNS1_3gpuE5ELNS1_3repE0EEENS1_30default_config_static_selectorELNS0_4arch9wavefront6targetE1EEEvT1_,comdat
.Lfunc_end73:
	.size	_ZN7rocprim17ROCPRIM_400000_NS6detail17trampoline_kernelINS0_14default_configENS1_33run_length_encode_config_selectorIbjNS0_4plusIjEEEEZZNS1_33reduce_by_key_impl_wrapped_configILNS1_25lookback_scan_determinismE0ES3_S7_N6hipcub16HIPCUB_304000_NS22TransformInputIteratorIbN2at6native8internal12_GLOBAL__N_110LoadBoolOpEPKhlEENS0_17constant_iteratorIjlEEPbPlSO_S6_NS0_8equal_toIbEEEE10hipError_tPvRmT2_T3_mT4_T5_T6_T7_T8_P12ihipStream_tbENKUlT_T0_E_clISt17integral_constantIbLb1EES18_EEDaS13_S14_EUlS13_E_NS1_11comp_targetILNS1_3genE10ELNS1_11target_archE1201ELNS1_3gpuE5ELNS1_3repE0EEENS1_30default_config_static_selectorELNS0_4arch9wavefront6targetE1EEEvT1_, .Lfunc_end73-_ZN7rocprim17ROCPRIM_400000_NS6detail17trampoline_kernelINS0_14default_configENS1_33run_length_encode_config_selectorIbjNS0_4plusIjEEEEZZNS1_33reduce_by_key_impl_wrapped_configILNS1_25lookback_scan_determinismE0ES3_S7_N6hipcub16HIPCUB_304000_NS22TransformInputIteratorIbN2at6native8internal12_GLOBAL__N_110LoadBoolOpEPKhlEENS0_17constant_iteratorIjlEEPbPlSO_S6_NS0_8equal_toIbEEEE10hipError_tPvRmT2_T3_mT4_T5_T6_T7_T8_P12ihipStream_tbENKUlT_T0_E_clISt17integral_constantIbLb1EES18_EEDaS13_S14_EUlS13_E_NS1_11comp_targetILNS1_3genE10ELNS1_11target_archE1201ELNS1_3gpuE5ELNS1_3repE0EEENS1_30default_config_static_selectorELNS0_4arch9wavefront6targetE1EEEvT1_
                                        ; -- End function
	.section	.AMDGPU.csdata,"",@progbits
; Kernel info:
; codeLenInByte = 0
; NumSgprs: 6
; NumVgprs: 0
; NumAgprs: 0
; TotalNumVgprs: 0
; ScratchSize: 0
; MemoryBound: 0
; FloatMode: 240
; IeeeMode: 1
; LDSByteSize: 0 bytes/workgroup (compile time only)
; SGPRBlocks: 0
; VGPRBlocks: 0
; NumSGPRsForWavesPerEU: 6
; NumVGPRsForWavesPerEU: 1
; AccumOffset: 4
; Occupancy: 8
; WaveLimiterHint : 0
; COMPUTE_PGM_RSRC2:SCRATCH_EN: 0
; COMPUTE_PGM_RSRC2:USER_SGPR: 2
; COMPUTE_PGM_RSRC2:TRAP_HANDLER: 0
; COMPUTE_PGM_RSRC2:TGID_X_EN: 1
; COMPUTE_PGM_RSRC2:TGID_Y_EN: 0
; COMPUTE_PGM_RSRC2:TGID_Z_EN: 0
; COMPUTE_PGM_RSRC2:TIDIG_COMP_CNT: 0
; COMPUTE_PGM_RSRC3_GFX90A:ACCUM_OFFSET: 0
; COMPUTE_PGM_RSRC3_GFX90A:TG_SPLIT: 0
	.section	.text._ZN7rocprim17ROCPRIM_400000_NS6detail17trampoline_kernelINS0_14default_configENS1_33run_length_encode_config_selectorIbjNS0_4plusIjEEEEZZNS1_33reduce_by_key_impl_wrapped_configILNS1_25lookback_scan_determinismE0ES3_S7_N6hipcub16HIPCUB_304000_NS22TransformInputIteratorIbN2at6native8internal12_GLOBAL__N_110LoadBoolOpEPKhlEENS0_17constant_iteratorIjlEEPbPlSO_S6_NS0_8equal_toIbEEEE10hipError_tPvRmT2_T3_mT4_T5_T6_T7_T8_P12ihipStream_tbENKUlT_T0_E_clISt17integral_constantIbLb1EES18_EEDaS13_S14_EUlS13_E_NS1_11comp_targetILNS1_3genE10ELNS1_11target_archE1200ELNS1_3gpuE4ELNS1_3repE0EEENS1_30default_config_static_selectorELNS0_4arch9wavefront6targetE1EEEvT1_,"axG",@progbits,_ZN7rocprim17ROCPRIM_400000_NS6detail17trampoline_kernelINS0_14default_configENS1_33run_length_encode_config_selectorIbjNS0_4plusIjEEEEZZNS1_33reduce_by_key_impl_wrapped_configILNS1_25lookback_scan_determinismE0ES3_S7_N6hipcub16HIPCUB_304000_NS22TransformInputIteratorIbN2at6native8internal12_GLOBAL__N_110LoadBoolOpEPKhlEENS0_17constant_iteratorIjlEEPbPlSO_S6_NS0_8equal_toIbEEEE10hipError_tPvRmT2_T3_mT4_T5_T6_T7_T8_P12ihipStream_tbENKUlT_T0_E_clISt17integral_constantIbLb1EES18_EEDaS13_S14_EUlS13_E_NS1_11comp_targetILNS1_3genE10ELNS1_11target_archE1200ELNS1_3gpuE4ELNS1_3repE0EEENS1_30default_config_static_selectorELNS0_4arch9wavefront6targetE1EEEvT1_,comdat
	.globl	_ZN7rocprim17ROCPRIM_400000_NS6detail17trampoline_kernelINS0_14default_configENS1_33run_length_encode_config_selectorIbjNS0_4plusIjEEEEZZNS1_33reduce_by_key_impl_wrapped_configILNS1_25lookback_scan_determinismE0ES3_S7_N6hipcub16HIPCUB_304000_NS22TransformInputIteratorIbN2at6native8internal12_GLOBAL__N_110LoadBoolOpEPKhlEENS0_17constant_iteratorIjlEEPbPlSO_S6_NS0_8equal_toIbEEEE10hipError_tPvRmT2_T3_mT4_T5_T6_T7_T8_P12ihipStream_tbENKUlT_T0_E_clISt17integral_constantIbLb1EES18_EEDaS13_S14_EUlS13_E_NS1_11comp_targetILNS1_3genE10ELNS1_11target_archE1200ELNS1_3gpuE4ELNS1_3repE0EEENS1_30default_config_static_selectorELNS0_4arch9wavefront6targetE1EEEvT1_ ; -- Begin function _ZN7rocprim17ROCPRIM_400000_NS6detail17trampoline_kernelINS0_14default_configENS1_33run_length_encode_config_selectorIbjNS0_4plusIjEEEEZZNS1_33reduce_by_key_impl_wrapped_configILNS1_25lookback_scan_determinismE0ES3_S7_N6hipcub16HIPCUB_304000_NS22TransformInputIteratorIbN2at6native8internal12_GLOBAL__N_110LoadBoolOpEPKhlEENS0_17constant_iteratorIjlEEPbPlSO_S6_NS0_8equal_toIbEEEE10hipError_tPvRmT2_T3_mT4_T5_T6_T7_T8_P12ihipStream_tbENKUlT_T0_E_clISt17integral_constantIbLb1EES18_EEDaS13_S14_EUlS13_E_NS1_11comp_targetILNS1_3genE10ELNS1_11target_archE1200ELNS1_3gpuE4ELNS1_3repE0EEENS1_30default_config_static_selectorELNS0_4arch9wavefront6targetE1EEEvT1_
	.p2align	8
	.type	_ZN7rocprim17ROCPRIM_400000_NS6detail17trampoline_kernelINS0_14default_configENS1_33run_length_encode_config_selectorIbjNS0_4plusIjEEEEZZNS1_33reduce_by_key_impl_wrapped_configILNS1_25lookback_scan_determinismE0ES3_S7_N6hipcub16HIPCUB_304000_NS22TransformInputIteratorIbN2at6native8internal12_GLOBAL__N_110LoadBoolOpEPKhlEENS0_17constant_iteratorIjlEEPbPlSO_S6_NS0_8equal_toIbEEEE10hipError_tPvRmT2_T3_mT4_T5_T6_T7_T8_P12ihipStream_tbENKUlT_T0_E_clISt17integral_constantIbLb1EES18_EEDaS13_S14_EUlS13_E_NS1_11comp_targetILNS1_3genE10ELNS1_11target_archE1200ELNS1_3gpuE4ELNS1_3repE0EEENS1_30default_config_static_selectorELNS0_4arch9wavefront6targetE1EEEvT1_,@function
_ZN7rocprim17ROCPRIM_400000_NS6detail17trampoline_kernelINS0_14default_configENS1_33run_length_encode_config_selectorIbjNS0_4plusIjEEEEZZNS1_33reduce_by_key_impl_wrapped_configILNS1_25lookback_scan_determinismE0ES3_S7_N6hipcub16HIPCUB_304000_NS22TransformInputIteratorIbN2at6native8internal12_GLOBAL__N_110LoadBoolOpEPKhlEENS0_17constant_iteratorIjlEEPbPlSO_S6_NS0_8equal_toIbEEEE10hipError_tPvRmT2_T3_mT4_T5_T6_T7_T8_P12ihipStream_tbENKUlT_T0_E_clISt17integral_constantIbLb1EES18_EEDaS13_S14_EUlS13_E_NS1_11comp_targetILNS1_3genE10ELNS1_11target_archE1200ELNS1_3gpuE4ELNS1_3repE0EEENS1_30default_config_static_selectorELNS0_4arch9wavefront6targetE1EEEvT1_: ; @_ZN7rocprim17ROCPRIM_400000_NS6detail17trampoline_kernelINS0_14default_configENS1_33run_length_encode_config_selectorIbjNS0_4plusIjEEEEZZNS1_33reduce_by_key_impl_wrapped_configILNS1_25lookback_scan_determinismE0ES3_S7_N6hipcub16HIPCUB_304000_NS22TransformInputIteratorIbN2at6native8internal12_GLOBAL__N_110LoadBoolOpEPKhlEENS0_17constant_iteratorIjlEEPbPlSO_S6_NS0_8equal_toIbEEEE10hipError_tPvRmT2_T3_mT4_T5_T6_T7_T8_P12ihipStream_tbENKUlT_T0_E_clISt17integral_constantIbLb1EES18_EEDaS13_S14_EUlS13_E_NS1_11comp_targetILNS1_3genE10ELNS1_11target_archE1200ELNS1_3gpuE4ELNS1_3repE0EEENS1_30default_config_static_selectorELNS0_4arch9wavefront6targetE1EEEvT1_
; %bb.0:
	.section	.rodata,"a",@progbits
	.p2align	6, 0x0
	.amdhsa_kernel _ZN7rocprim17ROCPRIM_400000_NS6detail17trampoline_kernelINS0_14default_configENS1_33run_length_encode_config_selectorIbjNS0_4plusIjEEEEZZNS1_33reduce_by_key_impl_wrapped_configILNS1_25lookback_scan_determinismE0ES3_S7_N6hipcub16HIPCUB_304000_NS22TransformInputIteratorIbN2at6native8internal12_GLOBAL__N_110LoadBoolOpEPKhlEENS0_17constant_iteratorIjlEEPbPlSO_S6_NS0_8equal_toIbEEEE10hipError_tPvRmT2_T3_mT4_T5_T6_T7_T8_P12ihipStream_tbENKUlT_T0_E_clISt17integral_constantIbLb1EES18_EEDaS13_S14_EUlS13_E_NS1_11comp_targetILNS1_3genE10ELNS1_11target_archE1200ELNS1_3gpuE4ELNS1_3repE0EEENS1_30default_config_static_selectorELNS0_4arch9wavefront6targetE1EEEvT1_
		.amdhsa_group_segment_fixed_size 0
		.amdhsa_private_segment_fixed_size 0
		.amdhsa_kernarg_size 136
		.amdhsa_user_sgpr_count 2
		.amdhsa_user_sgpr_dispatch_ptr 0
		.amdhsa_user_sgpr_queue_ptr 0
		.amdhsa_user_sgpr_kernarg_segment_ptr 1
		.amdhsa_user_sgpr_dispatch_id 0
		.amdhsa_user_sgpr_kernarg_preload_length 0
		.amdhsa_user_sgpr_kernarg_preload_offset 0
		.amdhsa_user_sgpr_private_segment_size 0
		.amdhsa_uses_dynamic_stack 0
		.amdhsa_enable_private_segment 0
		.amdhsa_system_sgpr_workgroup_id_x 1
		.amdhsa_system_sgpr_workgroup_id_y 0
		.amdhsa_system_sgpr_workgroup_id_z 0
		.amdhsa_system_sgpr_workgroup_info 0
		.amdhsa_system_vgpr_workitem_id 0
		.amdhsa_next_free_vgpr 1
		.amdhsa_next_free_sgpr 0
		.amdhsa_accum_offset 4
		.amdhsa_reserve_vcc 0
		.amdhsa_float_round_mode_32 0
		.amdhsa_float_round_mode_16_64 0
		.amdhsa_float_denorm_mode_32 3
		.amdhsa_float_denorm_mode_16_64 3
		.amdhsa_dx10_clamp 1
		.amdhsa_ieee_mode 1
		.amdhsa_fp16_overflow 0
		.amdhsa_tg_split 0
		.amdhsa_exception_fp_ieee_invalid_op 0
		.amdhsa_exception_fp_denorm_src 0
		.amdhsa_exception_fp_ieee_div_zero 0
		.amdhsa_exception_fp_ieee_overflow 0
		.amdhsa_exception_fp_ieee_underflow 0
		.amdhsa_exception_fp_ieee_inexact 0
		.amdhsa_exception_int_div_zero 0
	.end_amdhsa_kernel
	.section	.text._ZN7rocprim17ROCPRIM_400000_NS6detail17trampoline_kernelINS0_14default_configENS1_33run_length_encode_config_selectorIbjNS0_4plusIjEEEEZZNS1_33reduce_by_key_impl_wrapped_configILNS1_25lookback_scan_determinismE0ES3_S7_N6hipcub16HIPCUB_304000_NS22TransformInputIteratorIbN2at6native8internal12_GLOBAL__N_110LoadBoolOpEPKhlEENS0_17constant_iteratorIjlEEPbPlSO_S6_NS0_8equal_toIbEEEE10hipError_tPvRmT2_T3_mT4_T5_T6_T7_T8_P12ihipStream_tbENKUlT_T0_E_clISt17integral_constantIbLb1EES18_EEDaS13_S14_EUlS13_E_NS1_11comp_targetILNS1_3genE10ELNS1_11target_archE1200ELNS1_3gpuE4ELNS1_3repE0EEENS1_30default_config_static_selectorELNS0_4arch9wavefront6targetE1EEEvT1_,"axG",@progbits,_ZN7rocprim17ROCPRIM_400000_NS6detail17trampoline_kernelINS0_14default_configENS1_33run_length_encode_config_selectorIbjNS0_4plusIjEEEEZZNS1_33reduce_by_key_impl_wrapped_configILNS1_25lookback_scan_determinismE0ES3_S7_N6hipcub16HIPCUB_304000_NS22TransformInputIteratorIbN2at6native8internal12_GLOBAL__N_110LoadBoolOpEPKhlEENS0_17constant_iteratorIjlEEPbPlSO_S6_NS0_8equal_toIbEEEE10hipError_tPvRmT2_T3_mT4_T5_T6_T7_T8_P12ihipStream_tbENKUlT_T0_E_clISt17integral_constantIbLb1EES18_EEDaS13_S14_EUlS13_E_NS1_11comp_targetILNS1_3genE10ELNS1_11target_archE1200ELNS1_3gpuE4ELNS1_3repE0EEENS1_30default_config_static_selectorELNS0_4arch9wavefront6targetE1EEEvT1_,comdat
.Lfunc_end74:
	.size	_ZN7rocprim17ROCPRIM_400000_NS6detail17trampoline_kernelINS0_14default_configENS1_33run_length_encode_config_selectorIbjNS0_4plusIjEEEEZZNS1_33reduce_by_key_impl_wrapped_configILNS1_25lookback_scan_determinismE0ES3_S7_N6hipcub16HIPCUB_304000_NS22TransformInputIteratorIbN2at6native8internal12_GLOBAL__N_110LoadBoolOpEPKhlEENS0_17constant_iteratorIjlEEPbPlSO_S6_NS0_8equal_toIbEEEE10hipError_tPvRmT2_T3_mT4_T5_T6_T7_T8_P12ihipStream_tbENKUlT_T0_E_clISt17integral_constantIbLb1EES18_EEDaS13_S14_EUlS13_E_NS1_11comp_targetILNS1_3genE10ELNS1_11target_archE1200ELNS1_3gpuE4ELNS1_3repE0EEENS1_30default_config_static_selectorELNS0_4arch9wavefront6targetE1EEEvT1_, .Lfunc_end74-_ZN7rocprim17ROCPRIM_400000_NS6detail17trampoline_kernelINS0_14default_configENS1_33run_length_encode_config_selectorIbjNS0_4plusIjEEEEZZNS1_33reduce_by_key_impl_wrapped_configILNS1_25lookback_scan_determinismE0ES3_S7_N6hipcub16HIPCUB_304000_NS22TransformInputIteratorIbN2at6native8internal12_GLOBAL__N_110LoadBoolOpEPKhlEENS0_17constant_iteratorIjlEEPbPlSO_S6_NS0_8equal_toIbEEEE10hipError_tPvRmT2_T3_mT4_T5_T6_T7_T8_P12ihipStream_tbENKUlT_T0_E_clISt17integral_constantIbLb1EES18_EEDaS13_S14_EUlS13_E_NS1_11comp_targetILNS1_3genE10ELNS1_11target_archE1200ELNS1_3gpuE4ELNS1_3repE0EEENS1_30default_config_static_selectorELNS0_4arch9wavefront6targetE1EEEvT1_
                                        ; -- End function
	.section	.AMDGPU.csdata,"",@progbits
; Kernel info:
; codeLenInByte = 0
; NumSgprs: 6
; NumVgprs: 0
; NumAgprs: 0
; TotalNumVgprs: 0
; ScratchSize: 0
; MemoryBound: 0
; FloatMode: 240
; IeeeMode: 1
; LDSByteSize: 0 bytes/workgroup (compile time only)
; SGPRBlocks: 0
; VGPRBlocks: 0
; NumSGPRsForWavesPerEU: 6
; NumVGPRsForWavesPerEU: 1
; AccumOffset: 4
; Occupancy: 8
; WaveLimiterHint : 0
; COMPUTE_PGM_RSRC2:SCRATCH_EN: 0
; COMPUTE_PGM_RSRC2:USER_SGPR: 2
; COMPUTE_PGM_RSRC2:TRAP_HANDLER: 0
; COMPUTE_PGM_RSRC2:TGID_X_EN: 1
; COMPUTE_PGM_RSRC2:TGID_Y_EN: 0
; COMPUTE_PGM_RSRC2:TGID_Z_EN: 0
; COMPUTE_PGM_RSRC2:TIDIG_COMP_CNT: 0
; COMPUTE_PGM_RSRC3_GFX90A:ACCUM_OFFSET: 0
; COMPUTE_PGM_RSRC3_GFX90A:TG_SPLIT: 0
	.section	.text._ZN7rocprim17ROCPRIM_400000_NS6detail17trampoline_kernelINS0_14default_configENS1_33run_length_encode_config_selectorIbjNS0_4plusIjEEEEZZNS1_33reduce_by_key_impl_wrapped_configILNS1_25lookback_scan_determinismE0ES3_S7_N6hipcub16HIPCUB_304000_NS22TransformInputIteratorIbN2at6native8internal12_GLOBAL__N_110LoadBoolOpEPKhlEENS0_17constant_iteratorIjlEEPbPlSO_S6_NS0_8equal_toIbEEEE10hipError_tPvRmT2_T3_mT4_T5_T6_T7_T8_P12ihipStream_tbENKUlT_T0_E_clISt17integral_constantIbLb1EES18_EEDaS13_S14_EUlS13_E_NS1_11comp_targetILNS1_3genE9ELNS1_11target_archE1100ELNS1_3gpuE3ELNS1_3repE0EEENS1_30default_config_static_selectorELNS0_4arch9wavefront6targetE1EEEvT1_,"axG",@progbits,_ZN7rocprim17ROCPRIM_400000_NS6detail17trampoline_kernelINS0_14default_configENS1_33run_length_encode_config_selectorIbjNS0_4plusIjEEEEZZNS1_33reduce_by_key_impl_wrapped_configILNS1_25lookback_scan_determinismE0ES3_S7_N6hipcub16HIPCUB_304000_NS22TransformInputIteratorIbN2at6native8internal12_GLOBAL__N_110LoadBoolOpEPKhlEENS0_17constant_iteratorIjlEEPbPlSO_S6_NS0_8equal_toIbEEEE10hipError_tPvRmT2_T3_mT4_T5_T6_T7_T8_P12ihipStream_tbENKUlT_T0_E_clISt17integral_constantIbLb1EES18_EEDaS13_S14_EUlS13_E_NS1_11comp_targetILNS1_3genE9ELNS1_11target_archE1100ELNS1_3gpuE3ELNS1_3repE0EEENS1_30default_config_static_selectorELNS0_4arch9wavefront6targetE1EEEvT1_,comdat
	.globl	_ZN7rocprim17ROCPRIM_400000_NS6detail17trampoline_kernelINS0_14default_configENS1_33run_length_encode_config_selectorIbjNS0_4plusIjEEEEZZNS1_33reduce_by_key_impl_wrapped_configILNS1_25lookback_scan_determinismE0ES3_S7_N6hipcub16HIPCUB_304000_NS22TransformInputIteratorIbN2at6native8internal12_GLOBAL__N_110LoadBoolOpEPKhlEENS0_17constant_iteratorIjlEEPbPlSO_S6_NS0_8equal_toIbEEEE10hipError_tPvRmT2_T3_mT4_T5_T6_T7_T8_P12ihipStream_tbENKUlT_T0_E_clISt17integral_constantIbLb1EES18_EEDaS13_S14_EUlS13_E_NS1_11comp_targetILNS1_3genE9ELNS1_11target_archE1100ELNS1_3gpuE3ELNS1_3repE0EEENS1_30default_config_static_selectorELNS0_4arch9wavefront6targetE1EEEvT1_ ; -- Begin function _ZN7rocprim17ROCPRIM_400000_NS6detail17trampoline_kernelINS0_14default_configENS1_33run_length_encode_config_selectorIbjNS0_4plusIjEEEEZZNS1_33reduce_by_key_impl_wrapped_configILNS1_25lookback_scan_determinismE0ES3_S7_N6hipcub16HIPCUB_304000_NS22TransformInputIteratorIbN2at6native8internal12_GLOBAL__N_110LoadBoolOpEPKhlEENS0_17constant_iteratorIjlEEPbPlSO_S6_NS0_8equal_toIbEEEE10hipError_tPvRmT2_T3_mT4_T5_T6_T7_T8_P12ihipStream_tbENKUlT_T0_E_clISt17integral_constantIbLb1EES18_EEDaS13_S14_EUlS13_E_NS1_11comp_targetILNS1_3genE9ELNS1_11target_archE1100ELNS1_3gpuE3ELNS1_3repE0EEENS1_30default_config_static_selectorELNS0_4arch9wavefront6targetE1EEEvT1_
	.p2align	8
	.type	_ZN7rocprim17ROCPRIM_400000_NS6detail17trampoline_kernelINS0_14default_configENS1_33run_length_encode_config_selectorIbjNS0_4plusIjEEEEZZNS1_33reduce_by_key_impl_wrapped_configILNS1_25lookback_scan_determinismE0ES3_S7_N6hipcub16HIPCUB_304000_NS22TransformInputIteratorIbN2at6native8internal12_GLOBAL__N_110LoadBoolOpEPKhlEENS0_17constant_iteratorIjlEEPbPlSO_S6_NS0_8equal_toIbEEEE10hipError_tPvRmT2_T3_mT4_T5_T6_T7_T8_P12ihipStream_tbENKUlT_T0_E_clISt17integral_constantIbLb1EES18_EEDaS13_S14_EUlS13_E_NS1_11comp_targetILNS1_3genE9ELNS1_11target_archE1100ELNS1_3gpuE3ELNS1_3repE0EEENS1_30default_config_static_selectorELNS0_4arch9wavefront6targetE1EEEvT1_,@function
_ZN7rocprim17ROCPRIM_400000_NS6detail17trampoline_kernelINS0_14default_configENS1_33run_length_encode_config_selectorIbjNS0_4plusIjEEEEZZNS1_33reduce_by_key_impl_wrapped_configILNS1_25lookback_scan_determinismE0ES3_S7_N6hipcub16HIPCUB_304000_NS22TransformInputIteratorIbN2at6native8internal12_GLOBAL__N_110LoadBoolOpEPKhlEENS0_17constant_iteratorIjlEEPbPlSO_S6_NS0_8equal_toIbEEEE10hipError_tPvRmT2_T3_mT4_T5_T6_T7_T8_P12ihipStream_tbENKUlT_T0_E_clISt17integral_constantIbLb1EES18_EEDaS13_S14_EUlS13_E_NS1_11comp_targetILNS1_3genE9ELNS1_11target_archE1100ELNS1_3gpuE3ELNS1_3repE0EEENS1_30default_config_static_selectorELNS0_4arch9wavefront6targetE1EEEvT1_: ; @_ZN7rocprim17ROCPRIM_400000_NS6detail17trampoline_kernelINS0_14default_configENS1_33run_length_encode_config_selectorIbjNS0_4plusIjEEEEZZNS1_33reduce_by_key_impl_wrapped_configILNS1_25lookback_scan_determinismE0ES3_S7_N6hipcub16HIPCUB_304000_NS22TransformInputIteratorIbN2at6native8internal12_GLOBAL__N_110LoadBoolOpEPKhlEENS0_17constant_iteratorIjlEEPbPlSO_S6_NS0_8equal_toIbEEEE10hipError_tPvRmT2_T3_mT4_T5_T6_T7_T8_P12ihipStream_tbENKUlT_T0_E_clISt17integral_constantIbLb1EES18_EEDaS13_S14_EUlS13_E_NS1_11comp_targetILNS1_3genE9ELNS1_11target_archE1100ELNS1_3gpuE3ELNS1_3repE0EEENS1_30default_config_static_selectorELNS0_4arch9wavefront6targetE1EEEvT1_
; %bb.0:
	.section	.rodata,"a",@progbits
	.p2align	6, 0x0
	.amdhsa_kernel _ZN7rocprim17ROCPRIM_400000_NS6detail17trampoline_kernelINS0_14default_configENS1_33run_length_encode_config_selectorIbjNS0_4plusIjEEEEZZNS1_33reduce_by_key_impl_wrapped_configILNS1_25lookback_scan_determinismE0ES3_S7_N6hipcub16HIPCUB_304000_NS22TransformInputIteratorIbN2at6native8internal12_GLOBAL__N_110LoadBoolOpEPKhlEENS0_17constant_iteratorIjlEEPbPlSO_S6_NS0_8equal_toIbEEEE10hipError_tPvRmT2_T3_mT4_T5_T6_T7_T8_P12ihipStream_tbENKUlT_T0_E_clISt17integral_constantIbLb1EES18_EEDaS13_S14_EUlS13_E_NS1_11comp_targetILNS1_3genE9ELNS1_11target_archE1100ELNS1_3gpuE3ELNS1_3repE0EEENS1_30default_config_static_selectorELNS0_4arch9wavefront6targetE1EEEvT1_
		.amdhsa_group_segment_fixed_size 0
		.amdhsa_private_segment_fixed_size 0
		.amdhsa_kernarg_size 136
		.amdhsa_user_sgpr_count 2
		.amdhsa_user_sgpr_dispatch_ptr 0
		.amdhsa_user_sgpr_queue_ptr 0
		.amdhsa_user_sgpr_kernarg_segment_ptr 1
		.amdhsa_user_sgpr_dispatch_id 0
		.amdhsa_user_sgpr_kernarg_preload_length 0
		.amdhsa_user_sgpr_kernarg_preload_offset 0
		.amdhsa_user_sgpr_private_segment_size 0
		.amdhsa_uses_dynamic_stack 0
		.amdhsa_enable_private_segment 0
		.amdhsa_system_sgpr_workgroup_id_x 1
		.amdhsa_system_sgpr_workgroup_id_y 0
		.amdhsa_system_sgpr_workgroup_id_z 0
		.amdhsa_system_sgpr_workgroup_info 0
		.amdhsa_system_vgpr_workitem_id 0
		.amdhsa_next_free_vgpr 1
		.amdhsa_next_free_sgpr 0
		.amdhsa_accum_offset 4
		.amdhsa_reserve_vcc 0
		.amdhsa_float_round_mode_32 0
		.amdhsa_float_round_mode_16_64 0
		.amdhsa_float_denorm_mode_32 3
		.amdhsa_float_denorm_mode_16_64 3
		.amdhsa_dx10_clamp 1
		.amdhsa_ieee_mode 1
		.amdhsa_fp16_overflow 0
		.amdhsa_tg_split 0
		.amdhsa_exception_fp_ieee_invalid_op 0
		.amdhsa_exception_fp_denorm_src 0
		.amdhsa_exception_fp_ieee_div_zero 0
		.amdhsa_exception_fp_ieee_overflow 0
		.amdhsa_exception_fp_ieee_underflow 0
		.amdhsa_exception_fp_ieee_inexact 0
		.amdhsa_exception_int_div_zero 0
	.end_amdhsa_kernel
	.section	.text._ZN7rocprim17ROCPRIM_400000_NS6detail17trampoline_kernelINS0_14default_configENS1_33run_length_encode_config_selectorIbjNS0_4plusIjEEEEZZNS1_33reduce_by_key_impl_wrapped_configILNS1_25lookback_scan_determinismE0ES3_S7_N6hipcub16HIPCUB_304000_NS22TransformInputIteratorIbN2at6native8internal12_GLOBAL__N_110LoadBoolOpEPKhlEENS0_17constant_iteratorIjlEEPbPlSO_S6_NS0_8equal_toIbEEEE10hipError_tPvRmT2_T3_mT4_T5_T6_T7_T8_P12ihipStream_tbENKUlT_T0_E_clISt17integral_constantIbLb1EES18_EEDaS13_S14_EUlS13_E_NS1_11comp_targetILNS1_3genE9ELNS1_11target_archE1100ELNS1_3gpuE3ELNS1_3repE0EEENS1_30default_config_static_selectorELNS0_4arch9wavefront6targetE1EEEvT1_,"axG",@progbits,_ZN7rocprim17ROCPRIM_400000_NS6detail17trampoline_kernelINS0_14default_configENS1_33run_length_encode_config_selectorIbjNS0_4plusIjEEEEZZNS1_33reduce_by_key_impl_wrapped_configILNS1_25lookback_scan_determinismE0ES3_S7_N6hipcub16HIPCUB_304000_NS22TransformInputIteratorIbN2at6native8internal12_GLOBAL__N_110LoadBoolOpEPKhlEENS0_17constant_iteratorIjlEEPbPlSO_S6_NS0_8equal_toIbEEEE10hipError_tPvRmT2_T3_mT4_T5_T6_T7_T8_P12ihipStream_tbENKUlT_T0_E_clISt17integral_constantIbLb1EES18_EEDaS13_S14_EUlS13_E_NS1_11comp_targetILNS1_3genE9ELNS1_11target_archE1100ELNS1_3gpuE3ELNS1_3repE0EEENS1_30default_config_static_selectorELNS0_4arch9wavefront6targetE1EEEvT1_,comdat
.Lfunc_end75:
	.size	_ZN7rocprim17ROCPRIM_400000_NS6detail17trampoline_kernelINS0_14default_configENS1_33run_length_encode_config_selectorIbjNS0_4plusIjEEEEZZNS1_33reduce_by_key_impl_wrapped_configILNS1_25lookback_scan_determinismE0ES3_S7_N6hipcub16HIPCUB_304000_NS22TransformInputIteratorIbN2at6native8internal12_GLOBAL__N_110LoadBoolOpEPKhlEENS0_17constant_iteratorIjlEEPbPlSO_S6_NS0_8equal_toIbEEEE10hipError_tPvRmT2_T3_mT4_T5_T6_T7_T8_P12ihipStream_tbENKUlT_T0_E_clISt17integral_constantIbLb1EES18_EEDaS13_S14_EUlS13_E_NS1_11comp_targetILNS1_3genE9ELNS1_11target_archE1100ELNS1_3gpuE3ELNS1_3repE0EEENS1_30default_config_static_selectorELNS0_4arch9wavefront6targetE1EEEvT1_, .Lfunc_end75-_ZN7rocprim17ROCPRIM_400000_NS6detail17trampoline_kernelINS0_14default_configENS1_33run_length_encode_config_selectorIbjNS0_4plusIjEEEEZZNS1_33reduce_by_key_impl_wrapped_configILNS1_25lookback_scan_determinismE0ES3_S7_N6hipcub16HIPCUB_304000_NS22TransformInputIteratorIbN2at6native8internal12_GLOBAL__N_110LoadBoolOpEPKhlEENS0_17constant_iteratorIjlEEPbPlSO_S6_NS0_8equal_toIbEEEE10hipError_tPvRmT2_T3_mT4_T5_T6_T7_T8_P12ihipStream_tbENKUlT_T0_E_clISt17integral_constantIbLb1EES18_EEDaS13_S14_EUlS13_E_NS1_11comp_targetILNS1_3genE9ELNS1_11target_archE1100ELNS1_3gpuE3ELNS1_3repE0EEENS1_30default_config_static_selectorELNS0_4arch9wavefront6targetE1EEEvT1_
                                        ; -- End function
	.section	.AMDGPU.csdata,"",@progbits
; Kernel info:
; codeLenInByte = 0
; NumSgprs: 6
; NumVgprs: 0
; NumAgprs: 0
; TotalNumVgprs: 0
; ScratchSize: 0
; MemoryBound: 0
; FloatMode: 240
; IeeeMode: 1
; LDSByteSize: 0 bytes/workgroup (compile time only)
; SGPRBlocks: 0
; VGPRBlocks: 0
; NumSGPRsForWavesPerEU: 6
; NumVGPRsForWavesPerEU: 1
; AccumOffset: 4
; Occupancy: 8
; WaveLimiterHint : 0
; COMPUTE_PGM_RSRC2:SCRATCH_EN: 0
; COMPUTE_PGM_RSRC2:USER_SGPR: 2
; COMPUTE_PGM_RSRC2:TRAP_HANDLER: 0
; COMPUTE_PGM_RSRC2:TGID_X_EN: 1
; COMPUTE_PGM_RSRC2:TGID_Y_EN: 0
; COMPUTE_PGM_RSRC2:TGID_Z_EN: 0
; COMPUTE_PGM_RSRC2:TIDIG_COMP_CNT: 0
; COMPUTE_PGM_RSRC3_GFX90A:ACCUM_OFFSET: 0
; COMPUTE_PGM_RSRC3_GFX90A:TG_SPLIT: 0
	.section	.text._ZN7rocprim17ROCPRIM_400000_NS6detail17trampoline_kernelINS0_14default_configENS1_33run_length_encode_config_selectorIbjNS0_4plusIjEEEEZZNS1_33reduce_by_key_impl_wrapped_configILNS1_25lookback_scan_determinismE0ES3_S7_N6hipcub16HIPCUB_304000_NS22TransformInputIteratorIbN2at6native8internal12_GLOBAL__N_110LoadBoolOpEPKhlEENS0_17constant_iteratorIjlEEPbPlSO_S6_NS0_8equal_toIbEEEE10hipError_tPvRmT2_T3_mT4_T5_T6_T7_T8_P12ihipStream_tbENKUlT_T0_E_clISt17integral_constantIbLb1EES18_EEDaS13_S14_EUlS13_E_NS1_11comp_targetILNS1_3genE8ELNS1_11target_archE1030ELNS1_3gpuE2ELNS1_3repE0EEENS1_30default_config_static_selectorELNS0_4arch9wavefront6targetE1EEEvT1_,"axG",@progbits,_ZN7rocprim17ROCPRIM_400000_NS6detail17trampoline_kernelINS0_14default_configENS1_33run_length_encode_config_selectorIbjNS0_4plusIjEEEEZZNS1_33reduce_by_key_impl_wrapped_configILNS1_25lookback_scan_determinismE0ES3_S7_N6hipcub16HIPCUB_304000_NS22TransformInputIteratorIbN2at6native8internal12_GLOBAL__N_110LoadBoolOpEPKhlEENS0_17constant_iteratorIjlEEPbPlSO_S6_NS0_8equal_toIbEEEE10hipError_tPvRmT2_T3_mT4_T5_T6_T7_T8_P12ihipStream_tbENKUlT_T0_E_clISt17integral_constantIbLb1EES18_EEDaS13_S14_EUlS13_E_NS1_11comp_targetILNS1_3genE8ELNS1_11target_archE1030ELNS1_3gpuE2ELNS1_3repE0EEENS1_30default_config_static_selectorELNS0_4arch9wavefront6targetE1EEEvT1_,comdat
	.globl	_ZN7rocprim17ROCPRIM_400000_NS6detail17trampoline_kernelINS0_14default_configENS1_33run_length_encode_config_selectorIbjNS0_4plusIjEEEEZZNS1_33reduce_by_key_impl_wrapped_configILNS1_25lookback_scan_determinismE0ES3_S7_N6hipcub16HIPCUB_304000_NS22TransformInputIteratorIbN2at6native8internal12_GLOBAL__N_110LoadBoolOpEPKhlEENS0_17constant_iteratorIjlEEPbPlSO_S6_NS0_8equal_toIbEEEE10hipError_tPvRmT2_T3_mT4_T5_T6_T7_T8_P12ihipStream_tbENKUlT_T0_E_clISt17integral_constantIbLb1EES18_EEDaS13_S14_EUlS13_E_NS1_11comp_targetILNS1_3genE8ELNS1_11target_archE1030ELNS1_3gpuE2ELNS1_3repE0EEENS1_30default_config_static_selectorELNS0_4arch9wavefront6targetE1EEEvT1_ ; -- Begin function _ZN7rocprim17ROCPRIM_400000_NS6detail17trampoline_kernelINS0_14default_configENS1_33run_length_encode_config_selectorIbjNS0_4plusIjEEEEZZNS1_33reduce_by_key_impl_wrapped_configILNS1_25lookback_scan_determinismE0ES3_S7_N6hipcub16HIPCUB_304000_NS22TransformInputIteratorIbN2at6native8internal12_GLOBAL__N_110LoadBoolOpEPKhlEENS0_17constant_iteratorIjlEEPbPlSO_S6_NS0_8equal_toIbEEEE10hipError_tPvRmT2_T3_mT4_T5_T6_T7_T8_P12ihipStream_tbENKUlT_T0_E_clISt17integral_constantIbLb1EES18_EEDaS13_S14_EUlS13_E_NS1_11comp_targetILNS1_3genE8ELNS1_11target_archE1030ELNS1_3gpuE2ELNS1_3repE0EEENS1_30default_config_static_selectorELNS0_4arch9wavefront6targetE1EEEvT1_
	.p2align	8
	.type	_ZN7rocprim17ROCPRIM_400000_NS6detail17trampoline_kernelINS0_14default_configENS1_33run_length_encode_config_selectorIbjNS0_4plusIjEEEEZZNS1_33reduce_by_key_impl_wrapped_configILNS1_25lookback_scan_determinismE0ES3_S7_N6hipcub16HIPCUB_304000_NS22TransformInputIteratorIbN2at6native8internal12_GLOBAL__N_110LoadBoolOpEPKhlEENS0_17constant_iteratorIjlEEPbPlSO_S6_NS0_8equal_toIbEEEE10hipError_tPvRmT2_T3_mT4_T5_T6_T7_T8_P12ihipStream_tbENKUlT_T0_E_clISt17integral_constantIbLb1EES18_EEDaS13_S14_EUlS13_E_NS1_11comp_targetILNS1_3genE8ELNS1_11target_archE1030ELNS1_3gpuE2ELNS1_3repE0EEENS1_30default_config_static_selectorELNS0_4arch9wavefront6targetE1EEEvT1_,@function
_ZN7rocprim17ROCPRIM_400000_NS6detail17trampoline_kernelINS0_14default_configENS1_33run_length_encode_config_selectorIbjNS0_4plusIjEEEEZZNS1_33reduce_by_key_impl_wrapped_configILNS1_25lookback_scan_determinismE0ES3_S7_N6hipcub16HIPCUB_304000_NS22TransformInputIteratorIbN2at6native8internal12_GLOBAL__N_110LoadBoolOpEPKhlEENS0_17constant_iteratorIjlEEPbPlSO_S6_NS0_8equal_toIbEEEE10hipError_tPvRmT2_T3_mT4_T5_T6_T7_T8_P12ihipStream_tbENKUlT_T0_E_clISt17integral_constantIbLb1EES18_EEDaS13_S14_EUlS13_E_NS1_11comp_targetILNS1_3genE8ELNS1_11target_archE1030ELNS1_3gpuE2ELNS1_3repE0EEENS1_30default_config_static_selectorELNS0_4arch9wavefront6targetE1EEEvT1_: ; @_ZN7rocprim17ROCPRIM_400000_NS6detail17trampoline_kernelINS0_14default_configENS1_33run_length_encode_config_selectorIbjNS0_4plusIjEEEEZZNS1_33reduce_by_key_impl_wrapped_configILNS1_25lookback_scan_determinismE0ES3_S7_N6hipcub16HIPCUB_304000_NS22TransformInputIteratorIbN2at6native8internal12_GLOBAL__N_110LoadBoolOpEPKhlEENS0_17constant_iteratorIjlEEPbPlSO_S6_NS0_8equal_toIbEEEE10hipError_tPvRmT2_T3_mT4_T5_T6_T7_T8_P12ihipStream_tbENKUlT_T0_E_clISt17integral_constantIbLb1EES18_EEDaS13_S14_EUlS13_E_NS1_11comp_targetILNS1_3genE8ELNS1_11target_archE1030ELNS1_3gpuE2ELNS1_3repE0EEENS1_30default_config_static_selectorELNS0_4arch9wavefront6targetE1EEEvT1_
; %bb.0:
	.section	.rodata,"a",@progbits
	.p2align	6, 0x0
	.amdhsa_kernel _ZN7rocprim17ROCPRIM_400000_NS6detail17trampoline_kernelINS0_14default_configENS1_33run_length_encode_config_selectorIbjNS0_4plusIjEEEEZZNS1_33reduce_by_key_impl_wrapped_configILNS1_25lookback_scan_determinismE0ES3_S7_N6hipcub16HIPCUB_304000_NS22TransformInputIteratorIbN2at6native8internal12_GLOBAL__N_110LoadBoolOpEPKhlEENS0_17constant_iteratorIjlEEPbPlSO_S6_NS0_8equal_toIbEEEE10hipError_tPvRmT2_T3_mT4_T5_T6_T7_T8_P12ihipStream_tbENKUlT_T0_E_clISt17integral_constantIbLb1EES18_EEDaS13_S14_EUlS13_E_NS1_11comp_targetILNS1_3genE8ELNS1_11target_archE1030ELNS1_3gpuE2ELNS1_3repE0EEENS1_30default_config_static_selectorELNS0_4arch9wavefront6targetE1EEEvT1_
		.amdhsa_group_segment_fixed_size 0
		.amdhsa_private_segment_fixed_size 0
		.amdhsa_kernarg_size 136
		.amdhsa_user_sgpr_count 2
		.amdhsa_user_sgpr_dispatch_ptr 0
		.amdhsa_user_sgpr_queue_ptr 0
		.amdhsa_user_sgpr_kernarg_segment_ptr 1
		.amdhsa_user_sgpr_dispatch_id 0
		.amdhsa_user_sgpr_kernarg_preload_length 0
		.amdhsa_user_sgpr_kernarg_preload_offset 0
		.amdhsa_user_sgpr_private_segment_size 0
		.amdhsa_uses_dynamic_stack 0
		.amdhsa_enable_private_segment 0
		.amdhsa_system_sgpr_workgroup_id_x 1
		.amdhsa_system_sgpr_workgroup_id_y 0
		.amdhsa_system_sgpr_workgroup_id_z 0
		.amdhsa_system_sgpr_workgroup_info 0
		.amdhsa_system_vgpr_workitem_id 0
		.amdhsa_next_free_vgpr 1
		.amdhsa_next_free_sgpr 0
		.amdhsa_accum_offset 4
		.amdhsa_reserve_vcc 0
		.amdhsa_float_round_mode_32 0
		.amdhsa_float_round_mode_16_64 0
		.amdhsa_float_denorm_mode_32 3
		.amdhsa_float_denorm_mode_16_64 3
		.amdhsa_dx10_clamp 1
		.amdhsa_ieee_mode 1
		.amdhsa_fp16_overflow 0
		.amdhsa_tg_split 0
		.amdhsa_exception_fp_ieee_invalid_op 0
		.amdhsa_exception_fp_denorm_src 0
		.amdhsa_exception_fp_ieee_div_zero 0
		.amdhsa_exception_fp_ieee_overflow 0
		.amdhsa_exception_fp_ieee_underflow 0
		.amdhsa_exception_fp_ieee_inexact 0
		.amdhsa_exception_int_div_zero 0
	.end_amdhsa_kernel
	.section	.text._ZN7rocprim17ROCPRIM_400000_NS6detail17trampoline_kernelINS0_14default_configENS1_33run_length_encode_config_selectorIbjNS0_4plusIjEEEEZZNS1_33reduce_by_key_impl_wrapped_configILNS1_25lookback_scan_determinismE0ES3_S7_N6hipcub16HIPCUB_304000_NS22TransformInputIteratorIbN2at6native8internal12_GLOBAL__N_110LoadBoolOpEPKhlEENS0_17constant_iteratorIjlEEPbPlSO_S6_NS0_8equal_toIbEEEE10hipError_tPvRmT2_T3_mT4_T5_T6_T7_T8_P12ihipStream_tbENKUlT_T0_E_clISt17integral_constantIbLb1EES18_EEDaS13_S14_EUlS13_E_NS1_11comp_targetILNS1_3genE8ELNS1_11target_archE1030ELNS1_3gpuE2ELNS1_3repE0EEENS1_30default_config_static_selectorELNS0_4arch9wavefront6targetE1EEEvT1_,"axG",@progbits,_ZN7rocprim17ROCPRIM_400000_NS6detail17trampoline_kernelINS0_14default_configENS1_33run_length_encode_config_selectorIbjNS0_4plusIjEEEEZZNS1_33reduce_by_key_impl_wrapped_configILNS1_25lookback_scan_determinismE0ES3_S7_N6hipcub16HIPCUB_304000_NS22TransformInputIteratorIbN2at6native8internal12_GLOBAL__N_110LoadBoolOpEPKhlEENS0_17constant_iteratorIjlEEPbPlSO_S6_NS0_8equal_toIbEEEE10hipError_tPvRmT2_T3_mT4_T5_T6_T7_T8_P12ihipStream_tbENKUlT_T0_E_clISt17integral_constantIbLb1EES18_EEDaS13_S14_EUlS13_E_NS1_11comp_targetILNS1_3genE8ELNS1_11target_archE1030ELNS1_3gpuE2ELNS1_3repE0EEENS1_30default_config_static_selectorELNS0_4arch9wavefront6targetE1EEEvT1_,comdat
.Lfunc_end76:
	.size	_ZN7rocprim17ROCPRIM_400000_NS6detail17trampoline_kernelINS0_14default_configENS1_33run_length_encode_config_selectorIbjNS0_4plusIjEEEEZZNS1_33reduce_by_key_impl_wrapped_configILNS1_25lookback_scan_determinismE0ES3_S7_N6hipcub16HIPCUB_304000_NS22TransformInputIteratorIbN2at6native8internal12_GLOBAL__N_110LoadBoolOpEPKhlEENS0_17constant_iteratorIjlEEPbPlSO_S6_NS0_8equal_toIbEEEE10hipError_tPvRmT2_T3_mT4_T5_T6_T7_T8_P12ihipStream_tbENKUlT_T0_E_clISt17integral_constantIbLb1EES18_EEDaS13_S14_EUlS13_E_NS1_11comp_targetILNS1_3genE8ELNS1_11target_archE1030ELNS1_3gpuE2ELNS1_3repE0EEENS1_30default_config_static_selectorELNS0_4arch9wavefront6targetE1EEEvT1_, .Lfunc_end76-_ZN7rocprim17ROCPRIM_400000_NS6detail17trampoline_kernelINS0_14default_configENS1_33run_length_encode_config_selectorIbjNS0_4plusIjEEEEZZNS1_33reduce_by_key_impl_wrapped_configILNS1_25lookback_scan_determinismE0ES3_S7_N6hipcub16HIPCUB_304000_NS22TransformInputIteratorIbN2at6native8internal12_GLOBAL__N_110LoadBoolOpEPKhlEENS0_17constant_iteratorIjlEEPbPlSO_S6_NS0_8equal_toIbEEEE10hipError_tPvRmT2_T3_mT4_T5_T6_T7_T8_P12ihipStream_tbENKUlT_T0_E_clISt17integral_constantIbLb1EES18_EEDaS13_S14_EUlS13_E_NS1_11comp_targetILNS1_3genE8ELNS1_11target_archE1030ELNS1_3gpuE2ELNS1_3repE0EEENS1_30default_config_static_selectorELNS0_4arch9wavefront6targetE1EEEvT1_
                                        ; -- End function
	.section	.AMDGPU.csdata,"",@progbits
; Kernel info:
; codeLenInByte = 0
; NumSgprs: 6
; NumVgprs: 0
; NumAgprs: 0
; TotalNumVgprs: 0
; ScratchSize: 0
; MemoryBound: 0
; FloatMode: 240
; IeeeMode: 1
; LDSByteSize: 0 bytes/workgroup (compile time only)
; SGPRBlocks: 0
; VGPRBlocks: 0
; NumSGPRsForWavesPerEU: 6
; NumVGPRsForWavesPerEU: 1
; AccumOffset: 4
; Occupancy: 8
; WaveLimiterHint : 0
; COMPUTE_PGM_RSRC2:SCRATCH_EN: 0
; COMPUTE_PGM_RSRC2:USER_SGPR: 2
; COMPUTE_PGM_RSRC2:TRAP_HANDLER: 0
; COMPUTE_PGM_RSRC2:TGID_X_EN: 1
; COMPUTE_PGM_RSRC2:TGID_Y_EN: 0
; COMPUTE_PGM_RSRC2:TGID_Z_EN: 0
; COMPUTE_PGM_RSRC2:TIDIG_COMP_CNT: 0
; COMPUTE_PGM_RSRC3_GFX90A:ACCUM_OFFSET: 0
; COMPUTE_PGM_RSRC3_GFX90A:TG_SPLIT: 0
	.section	.text._ZN7rocprim17ROCPRIM_400000_NS6detail25reduce_by_key_init_kernelINS1_19lookback_scan_stateINS0_5tupleIJjjEEELb1ELb1EEEjNS1_16block_id_wrapperIjLb0EEEEEvT_jbjPmPT0_T1_,"axG",@progbits,_ZN7rocprim17ROCPRIM_400000_NS6detail25reduce_by_key_init_kernelINS1_19lookback_scan_stateINS0_5tupleIJjjEEELb1ELb1EEEjNS1_16block_id_wrapperIjLb0EEEEEvT_jbjPmPT0_T1_,comdat
	.protected	_ZN7rocprim17ROCPRIM_400000_NS6detail25reduce_by_key_init_kernelINS1_19lookback_scan_stateINS0_5tupleIJjjEEELb1ELb1EEEjNS1_16block_id_wrapperIjLb0EEEEEvT_jbjPmPT0_T1_ ; -- Begin function _ZN7rocprim17ROCPRIM_400000_NS6detail25reduce_by_key_init_kernelINS1_19lookback_scan_stateINS0_5tupleIJjjEEELb1ELb1EEEjNS1_16block_id_wrapperIjLb0EEEEEvT_jbjPmPT0_T1_
	.globl	_ZN7rocprim17ROCPRIM_400000_NS6detail25reduce_by_key_init_kernelINS1_19lookback_scan_stateINS0_5tupleIJjjEEELb1ELb1EEEjNS1_16block_id_wrapperIjLb0EEEEEvT_jbjPmPT0_T1_
	.p2align	8
	.type	_ZN7rocprim17ROCPRIM_400000_NS6detail25reduce_by_key_init_kernelINS1_19lookback_scan_stateINS0_5tupleIJjjEEELb1ELb1EEEjNS1_16block_id_wrapperIjLb0EEEEEvT_jbjPmPT0_T1_,@function
_ZN7rocprim17ROCPRIM_400000_NS6detail25reduce_by_key_init_kernelINS1_19lookback_scan_stateINS0_5tupleIJjjEEELb1ELb1EEEjNS1_16block_id_wrapperIjLb0EEEEEvT_jbjPmPT0_T1_: ; @_ZN7rocprim17ROCPRIM_400000_NS6detail25reduce_by_key_init_kernelINS1_19lookback_scan_stateINS0_5tupleIJjjEEELb1ELb1EEEjNS1_16block_id_wrapperIjLb0EEEEEvT_jbjPmPT0_T1_
; %bb.0:
	s_load_dwordx8 s[4:11], s[0:1], 0x8
	s_load_dword s3, s[0:1], 0x3c
	s_load_dwordx2 s[12:13], s[0:1], 0x0
	s_waitcnt lgkmcnt(0)
	s_and_b32 s0, s5, 1
	s_and_b32 s1, s3, 0xffff
	s_mul_i32 s2, s2, s1
	s_cmp_eq_u32 s0, 0
	v_add_u32_e32 v0, s2, v0
	s_mov_b64 s[0:1], -1
	s_cbranch_scc1 .LBB77_5
; %bb.1:
	s_andn2_b64 vcc, exec, s[0:1]
	s_cbranch_vccz .LBB77_14
.LBB77_2:
	v_cmp_gt_u32_e32 vcc, s4, v0
	s_and_saveexec_b64 s[0:1], vcc
	s_cbranch_execnz .LBB77_17
.LBB77_3:
	s_or_b64 exec, exec, s[0:1]
	v_cmp_gt_u32_e32 vcc, 64, v0
	s_and_saveexec_b64 s[0:1], vcc
	s_cbranch_execnz .LBB77_18
.LBB77_4:
	s_endpgm
.LBB77_5:
	s_cmp_lt_u32 s6, s4
	s_cselect_b32 s0, s6, 0
	v_cmp_eq_u32_e32 vcc, s0, v0
	s_and_saveexec_b64 s[0:1], vcc
	s_cbranch_execz .LBB77_13
; %bb.6:
	s_add_i32 s2, s6, 64
	s_mov_b32 s3, 0
	s_lshl_b64 s[2:3], s[2:3], 4
	s_add_u32 s14, s12, s2
	s_addc_u32 s15, s13, s3
	v_mov_b64_e32 v[2:3], s[14:15]
	;;#ASMSTART
	global_load_dwordx4 v[2:5], v[2:3] off sc1	
s_waitcnt vmcnt(0)
	;;#ASMEND
	v_mov_b32_e32 v7, 0
	v_and_b32_e32 v6, 0xff, v4
	s_mov_b64 s[6:7], 0
	v_cmp_eq_u64_e32 vcc, 0, v[6:7]
	s_and_saveexec_b64 s[2:3], vcc
	s_cbranch_execz .LBB77_12
; %bb.7:
	s_mov_b32 s5, 1
	v_mov_b64_e32 v[8:9], s[14:15]
.LBB77_8:                               ; =>This Loop Header: Depth=1
                                        ;     Child Loop BB77_9 Depth 2
	s_max_u32 s14, s5, 1
.LBB77_9:                               ;   Parent Loop BB77_8 Depth=1
                                        ; =>  This Inner Loop Header: Depth=2
	s_add_i32 s14, s14, -1
	s_cmp_eq_u32 s14, 0
	s_sleep 1
	s_cbranch_scc0 .LBB77_9
; %bb.10:                               ;   in Loop: Header=BB77_8 Depth=1
	s_cmp_lt_u32 s5, 32
	s_cselect_b64 s[14:15], -1, 0
	s_cmp_lg_u64 s[14:15], 0
	;;#ASMSTART
	global_load_dwordx4 v[2:5], v[8:9] off sc1	
s_waitcnt vmcnt(0)
	;;#ASMEND
	s_addc_u32 s5, s5, 0
	v_and_b32_e32 v6, 0xff, v4
	v_cmp_ne_u64_e32 vcc, 0, v[6:7]
	s_or_b64 s[6:7], vcc, s[6:7]
	s_andn2_b64 exec, exec, s[6:7]
	s_cbranch_execnz .LBB77_8
; %bb.11:
	s_or_b64 exec, exec, s[6:7]
.LBB77_12:
	s_or_b64 exec, exec, s[2:3]
	v_mov_b32_e32 v5, 0
	global_load_dwordx2 v[6:7], v5, s[8:9]
	v_mov_b32_e32 v4, v2
	s_waitcnt vmcnt(0)
	v_lshl_add_u64 v[6:7], v[6:7], 0, v[4:5]
	global_store_dwordx2 v5, v[6:7], s[8:9]
	global_store_dword v5, v3, s[10:11]
.LBB77_13:
	s_or_b64 exec, exec, s[0:1]
	s_cbranch_execnz .LBB77_2
.LBB77_14:
	s_cmp_lg_u64 s[8:9], 0
	s_cselect_b64 s[0:1], -1, 0
	v_cmp_eq_u32_e32 vcc, 0, v0
	s_and_b64 s[2:3], s[0:1], vcc
	s_and_saveexec_b64 s[0:1], s[2:3]
	s_cbranch_execz .LBB77_16
; %bb.15:
	v_mov_b32_e32 v2, 0
	v_mov_b32_e32 v3, v2
	global_store_dwordx2 v2, v[2:3], s[8:9]
.LBB77_16:
	s_or_b64 exec, exec, s[0:1]
	v_cmp_gt_u32_e32 vcc, s4, v0
	s_and_saveexec_b64 s[0:1], vcc
	s_cbranch_execz .LBB77_3
.LBB77_17:
	v_add_u32_e32 v2, 64, v0
	v_mov_b32_e32 v3, 0
	v_lshl_add_u64 v[6:7], v[2:3], 4, s[12:13]
	v_mov_b32_e32 v2, v3
	v_mov_b32_e32 v4, v3
	;; [unrolled: 1-line block ×3, first 2 shown]
	global_store_dwordx4 v[6:7], v[2:5], off
	s_or_b64 exec, exec, s[0:1]
	v_cmp_gt_u32_e32 vcc, 64, v0
	s_and_saveexec_b64 s[0:1], vcc
	s_cbranch_execz .LBB77_4
.LBB77_18:
	v_mov_b32_e32 v1, 0
	v_lshl_add_u64 v[4:5], v[0:1], 4, s[12:13]
	v_mov_b32_e32 v2, 0xff
	v_mov_b32_e32 v0, v1
	;; [unrolled: 1-line block ×3, first 2 shown]
	global_store_dwordx4 v[4:5], v[0:3], off
	s_endpgm
	.section	.rodata,"a",@progbits
	.p2align	6, 0x0
	.amdhsa_kernel _ZN7rocprim17ROCPRIM_400000_NS6detail25reduce_by_key_init_kernelINS1_19lookback_scan_stateINS0_5tupleIJjjEEELb1ELb1EEEjNS1_16block_id_wrapperIjLb0EEEEEvT_jbjPmPT0_T1_
		.amdhsa_group_segment_fixed_size 0
		.amdhsa_private_segment_fixed_size 0
		.amdhsa_kernarg_size 304
		.amdhsa_user_sgpr_count 2
		.amdhsa_user_sgpr_dispatch_ptr 0
		.amdhsa_user_sgpr_queue_ptr 0
		.amdhsa_user_sgpr_kernarg_segment_ptr 1
		.amdhsa_user_sgpr_dispatch_id 0
		.amdhsa_user_sgpr_kernarg_preload_length 0
		.amdhsa_user_sgpr_kernarg_preload_offset 0
		.amdhsa_user_sgpr_private_segment_size 0
		.amdhsa_uses_dynamic_stack 0
		.amdhsa_enable_private_segment 0
		.amdhsa_system_sgpr_workgroup_id_x 1
		.amdhsa_system_sgpr_workgroup_id_y 0
		.amdhsa_system_sgpr_workgroup_id_z 0
		.amdhsa_system_sgpr_workgroup_info 0
		.amdhsa_system_vgpr_workitem_id 0
		.amdhsa_next_free_vgpr 10
		.amdhsa_next_free_sgpr 16
		.amdhsa_accum_offset 12
		.amdhsa_reserve_vcc 1
		.amdhsa_float_round_mode_32 0
		.amdhsa_float_round_mode_16_64 0
		.amdhsa_float_denorm_mode_32 3
		.amdhsa_float_denorm_mode_16_64 3
		.amdhsa_dx10_clamp 1
		.amdhsa_ieee_mode 1
		.amdhsa_fp16_overflow 0
		.amdhsa_tg_split 0
		.amdhsa_exception_fp_ieee_invalid_op 0
		.amdhsa_exception_fp_denorm_src 0
		.amdhsa_exception_fp_ieee_div_zero 0
		.amdhsa_exception_fp_ieee_overflow 0
		.amdhsa_exception_fp_ieee_underflow 0
		.amdhsa_exception_fp_ieee_inexact 0
		.amdhsa_exception_int_div_zero 0
	.end_amdhsa_kernel
	.section	.text._ZN7rocprim17ROCPRIM_400000_NS6detail25reduce_by_key_init_kernelINS1_19lookback_scan_stateINS0_5tupleIJjjEEELb1ELb1EEEjNS1_16block_id_wrapperIjLb0EEEEEvT_jbjPmPT0_T1_,"axG",@progbits,_ZN7rocprim17ROCPRIM_400000_NS6detail25reduce_by_key_init_kernelINS1_19lookback_scan_stateINS0_5tupleIJjjEEELb1ELb1EEEjNS1_16block_id_wrapperIjLb0EEEEEvT_jbjPmPT0_T1_,comdat
.Lfunc_end77:
	.size	_ZN7rocprim17ROCPRIM_400000_NS6detail25reduce_by_key_init_kernelINS1_19lookback_scan_stateINS0_5tupleIJjjEEELb1ELb1EEEjNS1_16block_id_wrapperIjLb0EEEEEvT_jbjPmPT0_T1_, .Lfunc_end77-_ZN7rocprim17ROCPRIM_400000_NS6detail25reduce_by_key_init_kernelINS1_19lookback_scan_stateINS0_5tupleIJjjEEELb1ELb1EEEjNS1_16block_id_wrapperIjLb0EEEEEvT_jbjPmPT0_T1_
                                        ; -- End function
	.section	.AMDGPU.csdata,"",@progbits
; Kernel info:
; codeLenInByte = 480
; NumSgprs: 22
; NumVgprs: 10
; NumAgprs: 0
; TotalNumVgprs: 10
; ScratchSize: 0
; MemoryBound: 0
; FloatMode: 240
; IeeeMode: 1
; LDSByteSize: 0 bytes/workgroup (compile time only)
; SGPRBlocks: 2
; VGPRBlocks: 1
; NumSGPRsForWavesPerEU: 22
; NumVGPRsForWavesPerEU: 10
; AccumOffset: 12
; Occupancy: 8
; WaveLimiterHint : 0
; COMPUTE_PGM_RSRC2:SCRATCH_EN: 0
; COMPUTE_PGM_RSRC2:USER_SGPR: 2
; COMPUTE_PGM_RSRC2:TRAP_HANDLER: 0
; COMPUTE_PGM_RSRC2:TGID_X_EN: 1
; COMPUTE_PGM_RSRC2:TGID_Y_EN: 0
; COMPUTE_PGM_RSRC2:TGID_Z_EN: 0
; COMPUTE_PGM_RSRC2:TIDIG_COMP_CNT: 0
; COMPUTE_PGM_RSRC3_GFX90A:ACCUM_OFFSET: 2
; COMPUTE_PGM_RSRC3_GFX90A:TG_SPLIT: 0
	.section	.text._ZN7rocprim17ROCPRIM_400000_NS6detail17trampoline_kernelINS0_14default_configENS1_33run_length_encode_config_selectorIbjNS0_4plusIjEEEEZZNS1_33reduce_by_key_impl_wrapped_configILNS1_25lookback_scan_determinismE0ES3_S7_N6hipcub16HIPCUB_304000_NS22TransformInputIteratorIbN2at6native8internal12_GLOBAL__N_110LoadBoolOpEPKhlEENS0_17constant_iteratorIjlEEPbPlSO_S6_NS0_8equal_toIbEEEE10hipError_tPvRmT2_T3_mT4_T5_T6_T7_T8_P12ihipStream_tbENKUlT_T0_E_clISt17integral_constantIbLb1EES17_IbLb0EEEEDaS13_S14_EUlS13_E_NS1_11comp_targetILNS1_3genE0ELNS1_11target_archE4294967295ELNS1_3gpuE0ELNS1_3repE0EEENS1_30default_config_static_selectorELNS0_4arch9wavefront6targetE1EEEvT1_,"axG",@progbits,_ZN7rocprim17ROCPRIM_400000_NS6detail17trampoline_kernelINS0_14default_configENS1_33run_length_encode_config_selectorIbjNS0_4plusIjEEEEZZNS1_33reduce_by_key_impl_wrapped_configILNS1_25lookback_scan_determinismE0ES3_S7_N6hipcub16HIPCUB_304000_NS22TransformInputIteratorIbN2at6native8internal12_GLOBAL__N_110LoadBoolOpEPKhlEENS0_17constant_iteratorIjlEEPbPlSO_S6_NS0_8equal_toIbEEEE10hipError_tPvRmT2_T3_mT4_T5_T6_T7_T8_P12ihipStream_tbENKUlT_T0_E_clISt17integral_constantIbLb1EES17_IbLb0EEEEDaS13_S14_EUlS13_E_NS1_11comp_targetILNS1_3genE0ELNS1_11target_archE4294967295ELNS1_3gpuE0ELNS1_3repE0EEENS1_30default_config_static_selectorELNS0_4arch9wavefront6targetE1EEEvT1_,comdat
	.globl	_ZN7rocprim17ROCPRIM_400000_NS6detail17trampoline_kernelINS0_14default_configENS1_33run_length_encode_config_selectorIbjNS0_4plusIjEEEEZZNS1_33reduce_by_key_impl_wrapped_configILNS1_25lookback_scan_determinismE0ES3_S7_N6hipcub16HIPCUB_304000_NS22TransformInputIteratorIbN2at6native8internal12_GLOBAL__N_110LoadBoolOpEPKhlEENS0_17constant_iteratorIjlEEPbPlSO_S6_NS0_8equal_toIbEEEE10hipError_tPvRmT2_T3_mT4_T5_T6_T7_T8_P12ihipStream_tbENKUlT_T0_E_clISt17integral_constantIbLb1EES17_IbLb0EEEEDaS13_S14_EUlS13_E_NS1_11comp_targetILNS1_3genE0ELNS1_11target_archE4294967295ELNS1_3gpuE0ELNS1_3repE0EEENS1_30default_config_static_selectorELNS0_4arch9wavefront6targetE1EEEvT1_ ; -- Begin function _ZN7rocprim17ROCPRIM_400000_NS6detail17trampoline_kernelINS0_14default_configENS1_33run_length_encode_config_selectorIbjNS0_4plusIjEEEEZZNS1_33reduce_by_key_impl_wrapped_configILNS1_25lookback_scan_determinismE0ES3_S7_N6hipcub16HIPCUB_304000_NS22TransformInputIteratorIbN2at6native8internal12_GLOBAL__N_110LoadBoolOpEPKhlEENS0_17constant_iteratorIjlEEPbPlSO_S6_NS0_8equal_toIbEEEE10hipError_tPvRmT2_T3_mT4_T5_T6_T7_T8_P12ihipStream_tbENKUlT_T0_E_clISt17integral_constantIbLb1EES17_IbLb0EEEEDaS13_S14_EUlS13_E_NS1_11comp_targetILNS1_3genE0ELNS1_11target_archE4294967295ELNS1_3gpuE0ELNS1_3repE0EEENS1_30default_config_static_selectorELNS0_4arch9wavefront6targetE1EEEvT1_
	.p2align	8
	.type	_ZN7rocprim17ROCPRIM_400000_NS6detail17trampoline_kernelINS0_14default_configENS1_33run_length_encode_config_selectorIbjNS0_4plusIjEEEEZZNS1_33reduce_by_key_impl_wrapped_configILNS1_25lookback_scan_determinismE0ES3_S7_N6hipcub16HIPCUB_304000_NS22TransformInputIteratorIbN2at6native8internal12_GLOBAL__N_110LoadBoolOpEPKhlEENS0_17constant_iteratorIjlEEPbPlSO_S6_NS0_8equal_toIbEEEE10hipError_tPvRmT2_T3_mT4_T5_T6_T7_T8_P12ihipStream_tbENKUlT_T0_E_clISt17integral_constantIbLb1EES17_IbLb0EEEEDaS13_S14_EUlS13_E_NS1_11comp_targetILNS1_3genE0ELNS1_11target_archE4294967295ELNS1_3gpuE0ELNS1_3repE0EEENS1_30default_config_static_selectorELNS0_4arch9wavefront6targetE1EEEvT1_,@function
_ZN7rocprim17ROCPRIM_400000_NS6detail17trampoline_kernelINS0_14default_configENS1_33run_length_encode_config_selectorIbjNS0_4plusIjEEEEZZNS1_33reduce_by_key_impl_wrapped_configILNS1_25lookback_scan_determinismE0ES3_S7_N6hipcub16HIPCUB_304000_NS22TransformInputIteratorIbN2at6native8internal12_GLOBAL__N_110LoadBoolOpEPKhlEENS0_17constant_iteratorIjlEEPbPlSO_S6_NS0_8equal_toIbEEEE10hipError_tPvRmT2_T3_mT4_T5_T6_T7_T8_P12ihipStream_tbENKUlT_T0_E_clISt17integral_constantIbLb1EES17_IbLb0EEEEDaS13_S14_EUlS13_E_NS1_11comp_targetILNS1_3genE0ELNS1_11target_archE4294967295ELNS1_3gpuE0ELNS1_3repE0EEENS1_30default_config_static_selectorELNS0_4arch9wavefront6targetE1EEEvT1_: ; @_ZN7rocprim17ROCPRIM_400000_NS6detail17trampoline_kernelINS0_14default_configENS1_33run_length_encode_config_selectorIbjNS0_4plusIjEEEEZZNS1_33reduce_by_key_impl_wrapped_configILNS1_25lookback_scan_determinismE0ES3_S7_N6hipcub16HIPCUB_304000_NS22TransformInputIteratorIbN2at6native8internal12_GLOBAL__N_110LoadBoolOpEPKhlEENS0_17constant_iteratorIjlEEPbPlSO_S6_NS0_8equal_toIbEEEE10hipError_tPvRmT2_T3_mT4_T5_T6_T7_T8_P12ihipStream_tbENKUlT_T0_E_clISt17integral_constantIbLb1EES17_IbLb0EEEEDaS13_S14_EUlS13_E_NS1_11comp_targetILNS1_3genE0ELNS1_11target_archE4294967295ELNS1_3gpuE0ELNS1_3repE0EEENS1_30default_config_static_selectorELNS0_4arch9wavefront6targetE1EEEvT1_
; %bb.0:
	.section	.rodata,"a",@progbits
	.p2align	6, 0x0
	.amdhsa_kernel _ZN7rocprim17ROCPRIM_400000_NS6detail17trampoline_kernelINS0_14default_configENS1_33run_length_encode_config_selectorIbjNS0_4plusIjEEEEZZNS1_33reduce_by_key_impl_wrapped_configILNS1_25lookback_scan_determinismE0ES3_S7_N6hipcub16HIPCUB_304000_NS22TransformInputIteratorIbN2at6native8internal12_GLOBAL__N_110LoadBoolOpEPKhlEENS0_17constant_iteratorIjlEEPbPlSO_S6_NS0_8equal_toIbEEEE10hipError_tPvRmT2_T3_mT4_T5_T6_T7_T8_P12ihipStream_tbENKUlT_T0_E_clISt17integral_constantIbLb1EES17_IbLb0EEEEDaS13_S14_EUlS13_E_NS1_11comp_targetILNS1_3genE0ELNS1_11target_archE4294967295ELNS1_3gpuE0ELNS1_3repE0EEENS1_30default_config_static_selectorELNS0_4arch9wavefront6targetE1EEEvT1_
		.amdhsa_group_segment_fixed_size 0
		.amdhsa_private_segment_fixed_size 0
		.amdhsa_kernarg_size 136
		.amdhsa_user_sgpr_count 2
		.amdhsa_user_sgpr_dispatch_ptr 0
		.amdhsa_user_sgpr_queue_ptr 0
		.amdhsa_user_sgpr_kernarg_segment_ptr 1
		.amdhsa_user_sgpr_dispatch_id 0
		.amdhsa_user_sgpr_kernarg_preload_length 0
		.amdhsa_user_sgpr_kernarg_preload_offset 0
		.amdhsa_user_sgpr_private_segment_size 0
		.amdhsa_uses_dynamic_stack 0
		.amdhsa_enable_private_segment 0
		.amdhsa_system_sgpr_workgroup_id_x 1
		.amdhsa_system_sgpr_workgroup_id_y 0
		.amdhsa_system_sgpr_workgroup_id_z 0
		.amdhsa_system_sgpr_workgroup_info 0
		.amdhsa_system_vgpr_workitem_id 0
		.amdhsa_next_free_vgpr 1
		.amdhsa_next_free_sgpr 0
		.amdhsa_accum_offset 4
		.amdhsa_reserve_vcc 0
		.amdhsa_float_round_mode_32 0
		.amdhsa_float_round_mode_16_64 0
		.amdhsa_float_denorm_mode_32 3
		.amdhsa_float_denorm_mode_16_64 3
		.amdhsa_dx10_clamp 1
		.amdhsa_ieee_mode 1
		.amdhsa_fp16_overflow 0
		.amdhsa_tg_split 0
		.amdhsa_exception_fp_ieee_invalid_op 0
		.amdhsa_exception_fp_denorm_src 0
		.amdhsa_exception_fp_ieee_div_zero 0
		.amdhsa_exception_fp_ieee_overflow 0
		.amdhsa_exception_fp_ieee_underflow 0
		.amdhsa_exception_fp_ieee_inexact 0
		.amdhsa_exception_int_div_zero 0
	.end_amdhsa_kernel
	.section	.text._ZN7rocprim17ROCPRIM_400000_NS6detail17trampoline_kernelINS0_14default_configENS1_33run_length_encode_config_selectorIbjNS0_4plusIjEEEEZZNS1_33reduce_by_key_impl_wrapped_configILNS1_25lookback_scan_determinismE0ES3_S7_N6hipcub16HIPCUB_304000_NS22TransformInputIteratorIbN2at6native8internal12_GLOBAL__N_110LoadBoolOpEPKhlEENS0_17constant_iteratorIjlEEPbPlSO_S6_NS0_8equal_toIbEEEE10hipError_tPvRmT2_T3_mT4_T5_T6_T7_T8_P12ihipStream_tbENKUlT_T0_E_clISt17integral_constantIbLb1EES17_IbLb0EEEEDaS13_S14_EUlS13_E_NS1_11comp_targetILNS1_3genE0ELNS1_11target_archE4294967295ELNS1_3gpuE0ELNS1_3repE0EEENS1_30default_config_static_selectorELNS0_4arch9wavefront6targetE1EEEvT1_,"axG",@progbits,_ZN7rocprim17ROCPRIM_400000_NS6detail17trampoline_kernelINS0_14default_configENS1_33run_length_encode_config_selectorIbjNS0_4plusIjEEEEZZNS1_33reduce_by_key_impl_wrapped_configILNS1_25lookback_scan_determinismE0ES3_S7_N6hipcub16HIPCUB_304000_NS22TransformInputIteratorIbN2at6native8internal12_GLOBAL__N_110LoadBoolOpEPKhlEENS0_17constant_iteratorIjlEEPbPlSO_S6_NS0_8equal_toIbEEEE10hipError_tPvRmT2_T3_mT4_T5_T6_T7_T8_P12ihipStream_tbENKUlT_T0_E_clISt17integral_constantIbLb1EES17_IbLb0EEEEDaS13_S14_EUlS13_E_NS1_11comp_targetILNS1_3genE0ELNS1_11target_archE4294967295ELNS1_3gpuE0ELNS1_3repE0EEENS1_30default_config_static_selectorELNS0_4arch9wavefront6targetE1EEEvT1_,comdat
.Lfunc_end78:
	.size	_ZN7rocprim17ROCPRIM_400000_NS6detail17trampoline_kernelINS0_14default_configENS1_33run_length_encode_config_selectorIbjNS0_4plusIjEEEEZZNS1_33reduce_by_key_impl_wrapped_configILNS1_25lookback_scan_determinismE0ES3_S7_N6hipcub16HIPCUB_304000_NS22TransformInputIteratorIbN2at6native8internal12_GLOBAL__N_110LoadBoolOpEPKhlEENS0_17constant_iteratorIjlEEPbPlSO_S6_NS0_8equal_toIbEEEE10hipError_tPvRmT2_T3_mT4_T5_T6_T7_T8_P12ihipStream_tbENKUlT_T0_E_clISt17integral_constantIbLb1EES17_IbLb0EEEEDaS13_S14_EUlS13_E_NS1_11comp_targetILNS1_3genE0ELNS1_11target_archE4294967295ELNS1_3gpuE0ELNS1_3repE0EEENS1_30default_config_static_selectorELNS0_4arch9wavefront6targetE1EEEvT1_, .Lfunc_end78-_ZN7rocprim17ROCPRIM_400000_NS6detail17trampoline_kernelINS0_14default_configENS1_33run_length_encode_config_selectorIbjNS0_4plusIjEEEEZZNS1_33reduce_by_key_impl_wrapped_configILNS1_25lookback_scan_determinismE0ES3_S7_N6hipcub16HIPCUB_304000_NS22TransformInputIteratorIbN2at6native8internal12_GLOBAL__N_110LoadBoolOpEPKhlEENS0_17constant_iteratorIjlEEPbPlSO_S6_NS0_8equal_toIbEEEE10hipError_tPvRmT2_T3_mT4_T5_T6_T7_T8_P12ihipStream_tbENKUlT_T0_E_clISt17integral_constantIbLb1EES17_IbLb0EEEEDaS13_S14_EUlS13_E_NS1_11comp_targetILNS1_3genE0ELNS1_11target_archE4294967295ELNS1_3gpuE0ELNS1_3repE0EEENS1_30default_config_static_selectorELNS0_4arch9wavefront6targetE1EEEvT1_
                                        ; -- End function
	.section	.AMDGPU.csdata,"",@progbits
; Kernel info:
; codeLenInByte = 0
; NumSgprs: 6
; NumVgprs: 0
; NumAgprs: 0
; TotalNumVgprs: 0
; ScratchSize: 0
; MemoryBound: 0
; FloatMode: 240
; IeeeMode: 1
; LDSByteSize: 0 bytes/workgroup (compile time only)
; SGPRBlocks: 0
; VGPRBlocks: 0
; NumSGPRsForWavesPerEU: 6
; NumVGPRsForWavesPerEU: 1
; AccumOffset: 4
; Occupancy: 8
; WaveLimiterHint : 0
; COMPUTE_PGM_RSRC2:SCRATCH_EN: 0
; COMPUTE_PGM_RSRC2:USER_SGPR: 2
; COMPUTE_PGM_RSRC2:TRAP_HANDLER: 0
; COMPUTE_PGM_RSRC2:TGID_X_EN: 1
; COMPUTE_PGM_RSRC2:TGID_Y_EN: 0
; COMPUTE_PGM_RSRC2:TGID_Z_EN: 0
; COMPUTE_PGM_RSRC2:TIDIG_COMP_CNT: 0
; COMPUTE_PGM_RSRC3_GFX90A:ACCUM_OFFSET: 0
; COMPUTE_PGM_RSRC3_GFX90A:TG_SPLIT: 0
	.section	.text._ZN7rocprim17ROCPRIM_400000_NS6detail17trampoline_kernelINS0_14default_configENS1_33run_length_encode_config_selectorIbjNS0_4plusIjEEEEZZNS1_33reduce_by_key_impl_wrapped_configILNS1_25lookback_scan_determinismE0ES3_S7_N6hipcub16HIPCUB_304000_NS22TransformInputIteratorIbN2at6native8internal12_GLOBAL__N_110LoadBoolOpEPKhlEENS0_17constant_iteratorIjlEEPbPlSO_S6_NS0_8equal_toIbEEEE10hipError_tPvRmT2_T3_mT4_T5_T6_T7_T8_P12ihipStream_tbENKUlT_T0_E_clISt17integral_constantIbLb1EES17_IbLb0EEEEDaS13_S14_EUlS13_E_NS1_11comp_targetILNS1_3genE5ELNS1_11target_archE942ELNS1_3gpuE9ELNS1_3repE0EEENS1_30default_config_static_selectorELNS0_4arch9wavefront6targetE1EEEvT1_,"axG",@progbits,_ZN7rocprim17ROCPRIM_400000_NS6detail17trampoline_kernelINS0_14default_configENS1_33run_length_encode_config_selectorIbjNS0_4plusIjEEEEZZNS1_33reduce_by_key_impl_wrapped_configILNS1_25lookback_scan_determinismE0ES3_S7_N6hipcub16HIPCUB_304000_NS22TransformInputIteratorIbN2at6native8internal12_GLOBAL__N_110LoadBoolOpEPKhlEENS0_17constant_iteratorIjlEEPbPlSO_S6_NS0_8equal_toIbEEEE10hipError_tPvRmT2_T3_mT4_T5_T6_T7_T8_P12ihipStream_tbENKUlT_T0_E_clISt17integral_constantIbLb1EES17_IbLb0EEEEDaS13_S14_EUlS13_E_NS1_11comp_targetILNS1_3genE5ELNS1_11target_archE942ELNS1_3gpuE9ELNS1_3repE0EEENS1_30default_config_static_selectorELNS0_4arch9wavefront6targetE1EEEvT1_,comdat
	.globl	_ZN7rocprim17ROCPRIM_400000_NS6detail17trampoline_kernelINS0_14default_configENS1_33run_length_encode_config_selectorIbjNS0_4plusIjEEEEZZNS1_33reduce_by_key_impl_wrapped_configILNS1_25lookback_scan_determinismE0ES3_S7_N6hipcub16HIPCUB_304000_NS22TransformInputIteratorIbN2at6native8internal12_GLOBAL__N_110LoadBoolOpEPKhlEENS0_17constant_iteratorIjlEEPbPlSO_S6_NS0_8equal_toIbEEEE10hipError_tPvRmT2_T3_mT4_T5_T6_T7_T8_P12ihipStream_tbENKUlT_T0_E_clISt17integral_constantIbLb1EES17_IbLb0EEEEDaS13_S14_EUlS13_E_NS1_11comp_targetILNS1_3genE5ELNS1_11target_archE942ELNS1_3gpuE9ELNS1_3repE0EEENS1_30default_config_static_selectorELNS0_4arch9wavefront6targetE1EEEvT1_ ; -- Begin function _ZN7rocprim17ROCPRIM_400000_NS6detail17trampoline_kernelINS0_14default_configENS1_33run_length_encode_config_selectorIbjNS0_4plusIjEEEEZZNS1_33reduce_by_key_impl_wrapped_configILNS1_25lookback_scan_determinismE0ES3_S7_N6hipcub16HIPCUB_304000_NS22TransformInputIteratorIbN2at6native8internal12_GLOBAL__N_110LoadBoolOpEPKhlEENS0_17constant_iteratorIjlEEPbPlSO_S6_NS0_8equal_toIbEEEE10hipError_tPvRmT2_T3_mT4_T5_T6_T7_T8_P12ihipStream_tbENKUlT_T0_E_clISt17integral_constantIbLb1EES17_IbLb0EEEEDaS13_S14_EUlS13_E_NS1_11comp_targetILNS1_3genE5ELNS1_11target_archE942ELNS1_3gpuE9ELNS1_3repE0EEENS1_30default_config_static_selectorELNS0_4arch9wavefront6targetE1EEEvT1_
	.p2align	8
	.type	_ZN7rocprim17ROCPRIM_400000_NS6detail17trampoline_kernelINS0_14default_configENS1_33run_length_encode_config_selectorIbjNS0_4plusIjEEEEZZNS1_33reduce_by_key_impl_wrapped_configILNS1_25lookback_scan_determinismE0ES3_S7_N6hipcub16HIPCUB_304000_NS22TransformInputIteratorIbN2at6native8internal12_GLOBAL__N_110LoadBoolOpEPKhlEENS0_17constant_iteratorIjlEEPbPlSO_S6_NS0_8equal_toIbEEEE10hipError_tPvRmT2_T3_mT4_T5_T6_T7_T8_P12ihipStream_tbENKUlT_T0_E_clISt17integral_constantIbLb1EES17_IbLb0EEEEDaS13_S14_EUlS13_E_NS1_11comp_targetILNS1_3genE5ELNS1_11target_archE942ELNS1_3gpuE9ELNS1_3repE0EEENS1_30default_config_static_selectorELNS0_4arch9wavefront6targetE1EEEvT1_,@function
_ZN7rocprim17ROCPRIM_400000_NS6detail17trampoline_kernelINS0_14default_configENS1_33run_length_encode_config_selectorIbjNS0_4plusIjEEEEZZNS1_33reduce_by_key_impl_wrapped_configILNS1_25lookback_scan_determinismE0ES3_S7_N6hipcub16HIPCUB_304000_NS22TransformInputIteratorIbN2at6native8internal12_GLOBAL__N_110LoadBoolOpEPKhlEENS0_17constant_iteratorIjlEEPbPlSO_S6_NS0_8equal_toIbEEEE10hipError_tPvRmT2_T3_mT4_T5_T6_T7_T8_P12ihipStream_tbENKUlT_T0_E_clISt17integral_constantIbLb1EES17_IbLb0EEEEDaS13_S14_EUlS13_E_NS1_11comp_targetILNS1_3genE5ELNS1_11target_archE942ELNS1_3gpuE9ELNS1_3repE0EEENS1_30default_config_static_selectorELNS0_4arch9wavefront6targetE1EEEvT1_: ; @_ZN7rocprim17ROCPRIM_400000_NS6detail17trampoline_kernelINS0_14default_configENS1_33run_length_encode_config_selectorIbjNS0_4plusIjEEEEZZNS1_33reduce_by_key_impl_wrapped_configILNS1_25lookback_scan_determinismE0ES3_S7_N6hipcub16HIPCUB_304000_NS22TransformInputIteratorIbN2at6native8internal12_GLOBAL__N_110LoadBoolOpEPKhlEENS0_17constant_iteratorIjlEEPbPlSO_S6_NS0_8equal_toIbEEEE10hipError_tPvRmT2_T3_mT4_T5_T6_T7_T8_P12ihipStream_tbENKUlT_T0_E_clISt17integral_constantIbLb1EES17_IbLb0EEEEDaS13_S14_EUlS13_E_NS1_11comp_targetILNS1_3genE5ELNS1_11target_archE942ELNS1_3gpuE9ELNS1_3repE0EEENS1_30default_config_static_selectorELNS0_4arch9wavefront6targetE1EEEvT1_
; %bb.0:
	s_load_dwordx2 s[4:5], s[0:1], 0x0
	s_load_dwordx2 s[6:7], s[0:1], 0x10
	s_load_dwordx8 s[36:43], s[0:1], 0x48
	s_load_dword s3, s[0:1], 0x18
	s_load_dwordx4 s[44:47], s[0:1], 0x68
	s_mul_i32 s8, s2, 0x1e00
	s_waitcnt lgkmcnt(0)
	s_add_u32 s4, s4, s6
	s_addc_u32 s5, s5, s7
	s_mul_i32 s6, s40, s39
	s_mul_hi_u32 s7, s40, s38
	s_add_i32 s6, s7, s6
	s_mul_i32 s7, s41, s38
	s_add_i32 s7, s6, s7
	s_add_u32 s4, s4, s8
	s_mul_i32 s6, s40, s38
	s_addc_u32 s5, s5, 0
	s_add_u32 s6, s6, s2
	s_addc_u32 s7, s7, 0
	s_add_u32 s8, s42, -1
	s_addc_u32 s9, s43, -1
	s_cmp_eq_u64 s[6:7], s[8:9]
	s_cselect_b64 s[34:35], -1, 0
	s_cmp_lg_u64 s[6:7], s[8:9]
	s_mov_b64 s[12:13], -1
	s_cselect_b64 s[10:11], -1, 0
	s_mul_i32 s33, s8, 0xffffe200
	s_and_b64 vcc, exec, s[34:35]
	v_mad_u32_u24 v2, v0, 14, v0
	s_cbranch_vccnz .LBB79_2
; %bb.1:
	global_load_ubyte v3, v0, s[4:5]
	global_load_ubyte v6, v0, s[4:5] offset:512
	global_load_ubyte v7, v0, s[4:5] offset:1024
	;; [unrolled: 1-line block ×7, first 2 shown]
	v_mov_b32_e32 v1, 0
	s_movk_i32 s8, 0x1000
	v_lshl_add_u64 v[4:5], s[4:5], 0, v[0:1]
	v_add_co_u32_e32 v4, vcc, s8, v4
	s_nop 1
	v_addc_co_u32_e32 v5, vcc, 0, v5, vcc
	global_load_ubyte v1, v[4:5], off
	global_load_ubyte v13, v[4:5], off offset:512
	global_load_ubyte v14, v[4:5], off offset:1024
	global_load_ubyte v15, v[4:5], off offset:1536
	global_load_ubyte v16, v[4:5], off offset:2048
	global_load_ubyte v17, v[4:5], off offset:2560
	global_load_ubyte v18, v[4:5], off offset:3072
	s_mov_b64 s[8:9], -1
	s_waitcnt vmcnt(14)
	v_cmp_ne_u16_e32 vcc, 0, v3
	s_nop 1
	v_cndmask_b32_e64 v3, 0, 1, vcc
	s_waitcnt vmcnt(13)
	v_cmp_ne_u16_e32 vcc, 0, v6
	s_nop 1
	v_cndmask_b32_e64 v4, 0, 1, vcc
	;; [unrolled: 4-line block ×8, first 2 shown]
	s_waitcnt vmcnt(6)
	v_cmp_ne_u16_e32 vcc, 0, v1
	ds_write_b8 v0, v3
	ds_write_b8 v0, v4 offset:512
	ds_write_b8 v0, v5 offset:1024
	;; [unrolled: 1-line block ×7, first 2 shown]
	v_cndmask_b32_e64 v1, 0, 1, vcc
	s_waitcnt vmcnt(5)
	v_cmp_ne_u16_e32 vcc, 0, v13
	s_nop 1
	v_cndmask_b32_e64 v3, 0, 1, vcc
	s_waitcnt vmcnt(4)
	v_cmp_ne_u16_e32 vcc, 0, v14
	s_nop 1
	;; [unrolled: 4-line block ×6, first 2 shown]
	v_cndmask_b32_e64 v8, 0, 1, vcc
	ds_write_b8 v0, v1 offset:4096
	ds_write_b8 v0, v3 offset:4608
	;; [unrolled: 1-line block ×7, first 2 shown]
	s_waitcnt lgkmcnt(0)
	s_barrier
	ds_read_b96 v[8:10], v2
	ds_read_u8 v21, v2 offset:12
	ds_read_u8 v11, v2 offset:13
	;; [unrolled: 1-line block ×3, first 2 shown]
	s_waitcnt lgkmcnt(3)
	v_lshrrev_b32_e32 v64, 8, v8
	v_lshrrev_b32_e32 v63, 16, v8
	;; [unrolled: 1-line block ×9, first 2 shown]
	s_add_i32 s33, s33, s44
	s_cbranch_execz .LBB79_3
	s_branch .LBB79_34
.LBB79_2:
	s_mov_b64 s[8:9], 0
                                        ; implicit-def: $vgpr8
                                        ; implicit-def: $vgpr64
                                        ; implicit-def: $vgpr63
                                        ; implicit-def: $vgpr62
                                        ; implicit-def: $vgpr61
                                        ; implicit-def: $vgpr60
                                        ; implicit-def: $vgpr59
                                        ; implicit-def: $vgpr58
                                        ; implicit-def: $vgpr57
                                        ; implicit-def: $vgpr56
                                        ; implicit-def: $vgpr21
                                        ; implicit-def: $vgpr11
                                        ; implicit-def: $vgpr1
	s_add_i32 s33, s33, s44
	s_andn2_b64 vcc, exec, s[12:13]
	s_cbranch_vccnz .LBB79_34
.LBB79_3:
	v_cmp_gt_u32_e32 vcc, s33, v0
                                        ; implicit-def: $vgpr1
	s_and_saveexec_b64 s[8:9], vcc
	s_cbranch_execz .LBB79_5
; %bb.4:
	s_waitcnt lgkmcnt(0)
	global_load_ubyte v1, v0, s[4:5]
	s_waitcnt vmcnt(0)
	v_cmp_ne_u16_e32 vcc, 0, v1
	s_nop 1
	v_cndmask_b32_e64 v1, 0, 1, vcc
.LBB79_5:
	s_or_b64 exec, exec, s[8:9]
	v_or_b32_e32 v3, 0x200, v0
	v_cmp_gt_u32_e32 vcc, s33, v3
                                        ; implicit-def: $vgpr3
	s_and_saveexec_b64 s[8:9], vcc
	s_cbranch_execz .LBB79_7
; %bb.6:
	global_load_ubyte v3, v0, s[4:5] offset:512
	s_waitcnt vmcnt(0)
	v_cmp_ne_u16_e32 vcc, 0, v3
	s_nop 1
	v_cndmask_b32_e64 v3, 0, 1, vcc
.LBB79_7:
	s_or_b64 exec, exec, s[8:9]
	v_or_b32_e32 v4, 0x400, v0
	v_cmp_gt_u32_e32 vcc, s33, v4
                                        ; implicit-def: $vgpr4
	s_and_saveexec_b64 s[8:9], vcc
	s_cbranch_execz .LBB79_9
; %bb.8:
	global_load_ubyte v4, v0, s[4:5] offset:1024
	s_waitcnt vmcnt(0)
	v_cmp_ne_u16_e32 vcc, 0, v4
	s_nop 1
	v_cndmask_b32_e64 v4, 0, 1, vcc
.LBB79_9:
	s_or_b64 exec, exec, s[8:9]
	v_or_b32_e32 v5, 0x600, v0
	v_cmp_gt_u32_e32 vcc, s33, v5
                                        ; implicit-def: $vgpr5
	s_and_saveexec_b64 s[8:9], vcc
	s_cbranch_execz .LBB79_11
; %bb.10:
	global_load_ubyte v5, v0, s[4:5] offset:1536
	s_waitcnt vmcnt(0)
	v_cmp_ne_u16_e32 vcc, 0, v5
	s_nop 1
	v_cndmask_b32_e64 v5, 0, 1, vcc
.LBB79_11:
	s_or_b64 exec, exec, s[8:9]
	v_or_b32_e32 v6, 0x800, v0
	v_cmp_gt_u32_e32 vcc, s33, v6
                                        ; implicit-def: $vgpr6
	s_and_saveexec_b64 s[8:9], vcc
	s_cbranch_execz .LBB79_13
; %bb.12:
	global_load_ubyte v6, v0, s[4:5] offset:2048
	s_waitcnt vmcnt(0)
	v_cmp_ne_u16_e32 vcc, 0, v6
	s_nop 1
	v_cndmask_b32_e64 v6, 0, 1, vcc
.LBB79_13:
	s_or_b64 exec, exec, s[8:9]
	v_or_b32_e32 v7, 0xa00, v0
	v_cmp_gt_u32_e32 vcc, s33, v7
                                        ; implicit-def: $vgpr7
	s_and_saveexec_b64 s[8:9], vcc
	s_cbranch_execz .LBB79_15
; %bb.14:
	global_load_ubyte v7, v0, s[4:5] offset:2560
	s_waitcnt vmcnt(0)
	v_cmp_ne_u16_e32 vcc, 0, v7
	s_nop 1
	v_cndmask_b32_e64 v7, 0, 1, vcc
.LBB79_15:
	s_or_b64 exec, exec, s[8:9]
	v_or_b32_e32 v8, 0xc00, v0
	v_cmp_gt_u32_e32 vcc, s33, v8
                                        ; implicit-def: $vgpr8
	s_and_saveexec_b64 s[8:9], vcc
	s_cbranch_execz .LBB79_17
; %bb.16:
	global_load_ubyte v8, v0, s[4:5] offset:3072
	s_waitcnt vmcnt(0)
	v_cmp_ne_u16_e32 vcc, 0, v8
	s_nop 1
	v_cndmask_b32_e64 v8, 0, 1, vcc
.LBB79_17:
	s_or_b64 exec, exec, s[8:9]
	v_or_b32_e32 v9, 0xe00, v0
	v_cmp_gt_u32_e32 vcc, s33, v9
                                        ; implicit-def: $vgpr9
	s_and_saveexec_b64 s[8:9], vcc
	s_cbranch_execz .LBB79_19
; %bb.18:
	global_load_ubyte v9, v0, s[4:5] offset:3584
	s_waitcnt vmcnt(0)
	v_cmp_ne_u16_e32 vcc, 0, v9
	s_nop 1
	v_cndmask_b32_e64 v9, 0, 1, vcc
.LBB79_19:
	s_or_b64 exec, exec, s[8:9]
	s_waitcnt lgkmcnt(1)
	v_or_b32_e32 v11, 0x1000, v0
	v_cmp_gt_u32_e32 vcc, s33, v11
                                        ; implicit-def: $vgpr10
	s_and_saveexec_b64 s[8:9], vcc
	s_cbranch_execz .LBB79_21
; %bb.20:
	global_load_ubyte v10, v11, s[4:5]
	s_waitcnt vmcnt(0)
	v_cmp_ne_u16_e32 vcc, 0, v10
	s_nop 1
	v_cndmask_b32_e64 v10, 0, 1, vcc
.LBB79_21:
	s_or_b64 exec, exec, s[8:9]
	v_or_b32_e32 v12, 0x1200, v0
	v_cmp_gt_u32_e32 vcc, s33, v12
                                        ; implicit-def: $vgpr11
	s_and_saveexec_b64 s[8:9], vcc
	s_cbranch_execz .LBB79_23
; %bb.22:
	global_load_ubyte v11, v12, s[4:5]
	s_waitcnt vmcnt(0)
	v_cmp_ne_u16_e32 vcc, 0, v11
	s_nop 1
	v_cndmask_b32_e64 v11, 0, 1, vcc
.LBB79_23:
	s_or_b64 exec, exec, s[8:9]
	v_or_b32_e32 v13, 0x1400, v0
	v_cmp_gt_u32_e32 vcc, s33, v13
                                        ; implicit-def: $vgpr12
	s_and_saveexec_b64 s[8:9], vcc
	s_cbranch_execz .LBB79_25
; %bb.24:
	global_load_ubyte v12, v13, s[4:5]
	s_waitcnt vmcnt(0)
	v_cmp_ne_u16_e32 vcc, 0, v12
	s_nop 1
	v_cndmask_b32_e64 v12, 0, 1, vcc
.LBB79_25:
	s_or_b64 exec, exec, s[8:9]
	v_or_b32_e32 v14, 0x1600, v0
	v_cmp_gt_u32_e32 vcc, s33, v14
                                        ; implicit-def: $vgpr13
	s_and_saveexec_b64 s[8:9], vcc
	s_cbranch_execz .LBB79_27
; %bb.26:
	global_load_ubyte v13, v14, s[4:5]
	s_waitcnt vmcnt(0)
	v_cmp_ne_u16_e32 vcc, 0, v13
	s_nop 1
	v_cndmask_b32_e64 v13, 0, 1, vcc
.LBB79_27:
	s_or_b64 exec, exec, s[8:9]
	v_or_b32_e32 v15, 0x1800, v0
	v_cmp_gt_u32_e32 vcc, s33, v15
                                        ; implicit-def: $vgpr14
	s_and_saveexec_b64 s[8:9], vcc
	s_cbranch_execz .LBB79_29
; %bb.28:
	global_load_ubyte v14, v15, s[4:5]
	s_waitcnt vmcnt(0)
	v_cmp_ne_u16_e32 vcc, 0, v14
	s_nop 1
	v_cndmask_b32_e64 v14, 0, 1, vcc
.LBB79_29:
	s_or_b64 exec, exec, s[8:9]
	v_or_b32_e32 v16, 0x1a00, v0
	v_cmp_gt_u32_e32 vcc, s33, v16
                                        ; implicit-def: $vgpr15
	s_and_saveexec_b64 s[8:9], vcc
	s_cbranch_execz .LBB79_31
; %bb.30:
	global_load_ubyte v15, v16, s[4:5]
	s_waitcnt vmcnt(0)
	v_cmp_ne_u16_e32 vcc, 0, v15
	s_nop 1
	v_cndmask_b32_e64 v15, 0, 1, vcc
.LBB79_31:
	s_or_b64 exec, exec, s[8:9]
	v_or_b32_e32 v17, 0x1c00, v0
	v_cmp_gt_u32_e32 vcc, s33, v17
                                        ; implicit-def: $vgpr16
	s_and_saveexec_b64 s[8:9], vcc
	s_cbranch_execz .LBB79_33
; %bb.32:
	global_load_ubyte v16, v17, s[4:5]
	s_waitcnt vmcnt(0)
	v_cmp_ne_u16_e32 vcc, 0, v16
	s_nop 1
	v_cndmask_b32_e64 v16, 0, 1, vcc
.LBB79_33:
	s_or_b64 exec, exec, s[8:9]
	s_waitcnt lgkmcnt(0)
	ds_write_b8 v0, v1
	ds_write_b8 v0, v3 offset:512
	ds_write_b8 v0, v4 offset:1024
	;; [unrolled: 1-line block ×14, first 2 shown]
	s_waitcnt lgkmcnt(0)
	s_barrier
	ds_read_b96 v[8:10], v2
	ds_read_u8 v21, v2 offset:12
	ds_read_u8 v11, v2 offset:13
	;; [unrolled: 1-line block ×3, first 2 shown]
	v_mad_u32_u24 v2, v0, 15, 14
	s_waitcnt lgkmcnt(3)
	v_lshrrev_b32_e32 v64, 8, v8
	v_lshrrev_b32_e32 v63, 16, v8
	;; [unrolled: 1-line block ×9, first 2 shown]
	v_cmp_gt_u32_e64 s[8:9], s33, v2
.LBB79_34:
	v_mov_b32_e32 v52, s3
                                        ; implicit-def: $vgpr53
	s_and_saveexec_b64 s[12:13], s[8:9]
; %bb.35:
	v_mov_b32_e32 v53, s3
; %bb.36:
	s_or_b64 exec, exec, s[12:13]
	s_load_dwordx2 s[50:51], s[0:1], 0x78
	s_cmp_eq_u64 s[6:7], 0
	s_cselect_b64 s[48:49], -1, 0
	s_cmp_lg_u64 s[6:7], 0
	s_mov_b64 s[8:9], 0
	s_cselect_b64 s[12:13], -1, 0
	s_and_b64 vcc, exec, s[10:11]
	s_waitcnt lgkmcnt(0)
	s_barrier
	s_cbranch_vccz .LBB79_42
; %bb.37:
	s_and_b64 vcc, exec, s[12:13]
	s_cbranch_vccz .LBB79_43
; %bb.38:
	v_mov_b32_e32 v2, 0
	global_load_ubyte v2, v2, s[4:5] offset:-1
	v_cmp_ne_u16_sdwa s[8:9], v11, v1 src0_sel:BYTE_0 src1_sel:BYTE_0
	v_cmp_ne_u16_sdwa s[10:11], v21, v11 src0_sel:BYTE_0 src1_sel:BYTE_0
	;; [unrolled: 1-line block ×14, first 2 shown]
	ds_write_b8 v0, v1
	s_waitcnt lgkmcnt(0)
	s_barrier
	s_waitcnt vmcnt(0)
	v_cmp_ne_u16_e32 vcc, 0, v2
	s_nop 1
	v_cndmask_b32_e64 v2, 0, 1, vcc
	v_cmp_ne_u32_e32 vcc, 0, v0
	s_and_saveexec_b64 s[54:55], vcc
	s_cbranch_execz .LBB79_40
; %bb.39:
	v_add_u32_e32 v2, -1, v0
	ds_read_u8 v2, v2
.LBB79_40:
	s_or_b64 exec, exec, s[54:55]
	s_waitcnt lgkmcnt(0)
	v_and_b32_e32 v2, 0xff, v2
	v_cndmask_b32_e64 v65, 0, 1, s[8:9]
	v_cndmask_b32_e64 v66, 0, 1, s[10:11]
	;; [unrolled: 1-line block ×14, first 2 shown]
	v_cmp_ne_u16_sdwa s[10:11], v2, v8 src0_sel:DWORD src1_sel:BYTE_0
	s_mov_b64 s[8:9], -1
.LBB79_41:
                                        ; implicit-def: $sgpr3
	s_branch .LBB79_55
.LBB79_42:
                                        ; implicit-def: $sgpr10_sgpr11
                                        ; implicit-def: $vgpr65
                                        ; implicit-def: $vgpr66
                                        ; implicit-def: $vgpr67
                                        ; implicit-def: $vgpr68
                                        ; implicit-def: $vgpr69
                                        ; implicit-def: $vgpr70
                                        ; implicit-def: $vgpr71
                                        ; implicit-def: $vgpr72
                                        ; implicit-def: $vgpr73
                                        ; implicit-def: $vgpr74
                                        ; implicit-def: $vgpr75
                                        ; implicit-def: $vgpr76
                                        ; implicit-def: $vgpr77
                                        ; implicit-def: $vgpr78
                                        ; implicit-def: $sgpr3
	s_cbranch_execnz .LBB79_47
	s_branch .LBB79_55
.LBB79_43:
                                        ; implicit-def: $sgpr10_sgpr11
                                        ; implicit-def: $vgpr65
                                        ; implicit-def: $vgpr66
                                        ; implicit-def: $vgpr67
                                        ; implicit-def: $vgpr68
                                        ; implicit-def: $vgpr69
                                        ; implicit-def: $vgpr70
                                        ; implicit-def: $vgpr71
                                        ; implicit-def: $vgpr72
                                        ; implicit-def: $vgpr73
                                        ; implicit-def: $vgpr74
                                        ; implicit-def: $vgpr75
                                        ; implicit-def: $vgpr76
                                        ; implicit-def: $vgpr77
                                        ; implicit-def: $vgpr78
	s_cbranch_execz .LBB79_41
; %bb.44:
	v_cmp_ne_u16_sdwa s[10:11], v11, v1 src0_sel:BYTE_0 src1_sel:BYTE_0
	v_cmp_ne_u32_e32 vcc, 0, v0
	ds_write_b8 v0, v1
	v_cndmask_b32_e64 v65, 0, 1, s[10:11]
	v_cmp_ne_u16_sdwa s[10:11], v21, v11 src0_sel:BYTE_0 src1_sel:BYTE_0
	s_waitcnt lgkmcnt(0)
	s_barrier
	v_cndmask_b32_e64 v66, 0, 1, s[10:11]
	v_cmp_ne_u16_sdwa s[10:11], v56, v21 src0_sel:BYTE_0 src1_sel:BYTE_0
	s_nop 1
	v_cndmask_b32_e64 v67, 0, 1, s[10:11]
	v_cmp_ne_u16_sdwa s[10:11], v57, v56 src0_sel:BYTE_0 src1_sel:BYTE_0
	s_nop 1
	;; [unrolled: 3-line block ×12, first 2 shown]
	v_cndmask_b32_e64 v78, 0, 1, s[10:11]
                                        ; implicit-def: $sgpr10_sgpr11
	s_and_saveexec_b64 s[14:15], vcc
	s_xor_b64 s[14:15], exec, s[14:15]
	s_cbranch_execz .LBB79_46
; %bb.45:
	v_add_u32_e32 v2, -1, v0
	ds_read_u8 v2, v2
	s_or_b64 s[8:9], s[8:9], exec
	s_waitcnt lgkmcnt(0)
	v_cmp_ne_u16_sdwa s[10:11], v2, v8 src0_sel:DWORD src1_sel:BYTE_0
	s_and_b64 s[10:11], s[10:11], exec
.LBB79_46:
	s_or_b64 exec, exec, s[14:15]
	s_mov_b32 s3, 1
	s_branch .LBB79_55
.LBB79_47:
	s_mul_i32 s3, s7, 0xffffe200
	s_mul_hi_u32 s7, s6, 0xffffe200
	s_sub_i32 s7, s7, s6
	s_add_i32 s7, s7, s3
	s_mul_i32 s3, s6, 0xffffe200
	s_add_u32 s6, s3, s44
	s_addc_u32 s7, s7, s45
	s_and_b64 vcc, exec, s[12:13]
	s_cbranch_vccz .LBB79_52
; %bb.48:
	v_mov_b32_e32 v3, 0
	global_load_ubyte v5, v3, s[4:5] offset:-1
	v_mad_u32_u24 v2, v0, 15, 14
	v_cmp_ne_u16_sdwa s[4:5], v11, v1 src0_sel:BYTE_0 src1_sel:BYTE_0
	v_cmp_gt_u64_e32 vcc, s[6:7], v[2:3]
	v_mad_u32_u24 v2, v0, 15, 13
	v_cmp_ne_u16_sdwa s[8:9], v21, v11 src0_sel:BYTE_0 src1_sel:BYTE_0
	s_and_b64 s[4:5], vcc, s[4:5]
	v_cmp_gt_u64_e32 vcc, s[6:7], v[2:3]
	v_mad_u32_u24 v2, v0, 15, 12
	v_cmp_ne_u16_sdwa s[10:11], v56, v21 src0_sel:BYTE_0 src1_sel:BYTE_0
	s_and_b64 s[8:9], vcc, s[8:9]
	;; [unrolled: 4-line block ×13, first 2 shown]
	v_cmp_gt_u64_e32 vcc, s[6:7], v[2:3]
	s_and_b64 s[40:41], vcc, s[40:41]
	v_mul_u32_u24_e32 v4, 15, v0
	ds_write_b8 v0, v1
	s_waitcnt lgkmcnt(0)
	s_barrier
	s_waitcnt vmcnt(0)
	v_cmp_ne_u16_e32 vcc, 0, v5
	s_nop 1
	v_cndmask_b32_e64 v2, 0, 1, vcc
	v_cmp_ne_u32_e32 vcc, 0, v0
	s_and_saveexec_b64 s[42:43], vcc
	s_cbranch_execz .LBB79_50
; %bb.49:
	v_add_u32_e32 v2, -1, v0
	ds_read_u8 v2, v2
.LBB79_50:
	s_or_b64 exec, exec, s[42:43]
	v_mov_b32_e32 v5, v3
	s_waitcnt lgkmcnt(0)
	v_and_b32_e32 v2, 0xff, v2
	v_cndmask_b32_e64 v65, 0, 1, s[4:5]
	v_cmp_gt_u64_e32 vcc, s[6:7], v[4:5]
	v_cmp_ne_u16_sdwa s[4:5], v2, v8 src0_sel:DWORD src1_sel:BYTE_0
	v_cndmask_b32_e64 v66, 0, 1, s[8:9]
	v_cndmask_b32_e64 v67, 0, 1, s[10:11]
	;; [unrolled: 1-line block ×13, first 2 shown]
	s_and_b64 s[10:11], vcc, s[4:5]
	s_mov_b64 s[8:9], -1
.LBB79_51:
                                        ; implicit-def: $sgpr3
	v_mov_b32_e32 v79, s3
	s_and_saveexec_b64 s[4:5], s[8:9]
	s_cbranch_execnz .LBB79_56
	s_branch .LBB79_57
.LBB79_52:
                                        ; implicit-def: $sgpr10_sgpr11
                                        ; implicit-def: $vgpr65
                                        ; implicit-def: $vgpr66
                                        ; implicit-def: $vgpr67
                                        ; implicit-def: $vgpr68
                                        ; implicit-def: $vgpr69
                                        ; implicit-def: $vgpr70
                                        ; implicit-def: $vgpr71
                                        ; implicit-def: $vgpr72
                                        ; implicit-def: $vgpr73
                                        ; implicit-def: $vgpr74
                                        ; implicit-def: $vgpr75
                                        ; implicit-def: $vgpr76
                                        ; implicit-def: $vgpr77
                                        ; implicit-def: $vgpr78
	s_cbranch_execz .LBB79_51
; %bb.53:
	v_mad_u32_u24 v2, v0, 15, 14
	v_mov_b32_e32 v3, 0
	v_cmp_gt_u64_e32 vcc, s[6:7], v[2:3]
	v_cmp_ne_u16_sdwa s[4:5], v11, v1 src0_sel:BYTE_0 src1_sel:BYTE_0
	s_and_b64 s[4:5], vcc, s[4:5]
	v_mad_u32_u24 v2, v0, 15, 13
	v_cndmask_b32_e64 v65, 0, 1, s[4:5]
	v_cmp_gt_u64_e32 vcc, s[6:7], v[2:3]
	v_cmp_ne_u16_sdwa s[4:5], v21, v11 src0_sel:BYTE_0 src1_sel:BYTE_0
	s_and_b64 s[4:5], vcc, s[4:5]
	v_mad_u32_u24 v2, v0, 15, 12
	v_cndmask_b32_e64 v66, 0, 1, s[4:5]
	;; [unrolled: 5-line block ×13, first 2 shown]
	v_cmp_gt_u64_e32 vcc, s[6:7], v[2:3]
	v_cmp_ne_u16_sdwa s[4:5], v8, v64 src0_sel:BYTE_0 src1_sel:BYTE_0
	s_and_b64 s[4:5], vcc, s[4:5]
	s_mov_b32 s3, 1
	v_cndmask_b32_e64 v78, 0, 1, s[4:5]
	v_cmp_ne_u32_e32 vcc, 0, v0
	ds_write_b8 v0, v1
	s_waitcnt lgkmcnt(0)
	s_barrier
	s_waitcnt lgkmcnt(0)
                                        ; implicit-def: $sgpr10_sgpr11
	s_and_saveexec_b64 s[4:5], vcc
	s_cbranch_execz .LBB79_149
; %bb.54:
	v_add_u32_e32 v2, -1, v0
	ds_read_u8 v4, v2
	v_mul_u32_u24_e32 v2, 15, v0
	v_cmp_gt_u64_e32 vcc, s[6:7], v[2:3]
	s_or_b64 s[8:9], s[8:9], exec
	s_waitcnt lgkmcnt(0)
	v_and_b32_e32 v2, 0xff, v4
	v_cmp_ne_u16_sdwa s[6:7], v2, v8 src0_sel:DWORD src1_sel:BYTE_0
	s_and_b64 s[6:7], vcc, s[6:7]
	s_and_b64 s[10:11], s[6:7], exec
	s_or_b64 exec, exec, s[4:5]
.LBB79_55:
	v_mov_b32_e32 v79, s3
	s_and_saveexec_b64 s[4:5], s[8:9]
.LBB79_56:
	v_cndmask_b32_e64 v79, 0, 1, s[10:11]
.LBB79_57:
	s_or_b64 exec, exec, s[4:5]
	s_load_dwordx4 s[40:43], s[0:1], 0x28
	s_load_dwordx2 s[44:45], s[0:1], 0x38
	s_cmp_eq_u64 s[38:39], 0
	v_add3_u32 v2, v78, v79, v77
	s_cselect_b64 s[38:39], -1, 0
	s_cmp_lg_u32 s2, 0
	v_cmp_eq_u32_e64 s[24:25], 0, v78
	v_cmp_eq_u32_e64 s[22:23], 0, v77
	;; [unrolled: 1-line block ×3, first 2 shown]
	v_add3_u32 v81, v2, v76, v75
	v_cmp_eq_u32_e64 s[18:19], 0, v75
	v_cmp_eq_u32_e64 s[16:17], 0, v74
	;; [unrolled: 1-line block ×10, first 2 shown]
	v_cmp_eq_u32_e32 vcc, 0, v65
	v_mbcnt_lo_u32_b32 v80, -1, 0
	v_lshrrev_b32_e32 v54, 6, v0
	v_or_b32_e32 v55, 63, v0
	s_cbranch_scc0 .LBB79_88
; %bb.58:
	v_cndmask_b32_e64 v2, 0, v52, s[24:25]
	v_add_u32_e32 v2, v2, v52
	v_cndmask_b32_e64 v2, 0, v2, s[22:23]
	v_add_u32_e32 v2, v2, v52
	;; [unrolled: 2-line block ×11, first 2 shown]
	v_cndmask_b32_e64 v2, 0, v2, s[28:29]
	v_add3_u32 v3, v81, v74, v73
	v_add_u32_e32 v2, v2, v52
	v_add3_u32 v3, v3, v72, v71
	v_cndmask_b32_e64 v2, 0, v2, s[0:1]
	v_add3_u32 v3, v3, v70, v69
	v_add_u32_e32 v2, v2, v52
	v_add3_u32 v3, v3, v68, v67
	v_cndmask_b32_e32 v2, 0, v2, vcc
	v_add3_u32 v3, v3, v66, v65
	v_add_u32_e32 v2, v2, v53
	v_mbcnt_hi_u32_b32 v15, -1, v80
	v_and_b32_e32 v4, 15, v15
	v_mov_b32_dpp v6, v2 row_shr:1 row_mask:0xf bank_mask:0xf
	v_cmp_eq_u32_e32 vcc, 0, v3
	v_mov_b32_dpp v5, v3 row_shr:1 row_mask:0xf bank_mask:0xf
	v_cmp_lt_u32_e64 s[26:27], 1, v4
	v_cndmask_b32_e32 v6, 0, v6, vcc
	v_cmp_eq_u32_e32 vcc, 0, v4
	s_nop 1
	v_cndmask_b32_e64 v5, v5, 0, vcc
	v_add_u32_e32 v3, v5, v3
	v_cndmask_b32_e64 v5, v6, 0, vcc
	v_add_u32_e32 v2, v5, v2
	v_cmp_eq_u32_e32 vcc, 0, v3
	v_mov_b32_dpp v5, v3 row_shr:2 row_mask:0xf bank_mask:0xf
	v_mov_b32_dpp v6, v2 row_shr:2 row_mask:0xf bank_mask:0xf
	v_cndmask_b32_e64 v5, 0, v5, s[26:27]
	s_and_b64 vcc, s[26:27], vcc
	v_cndmask_b32_e32 v6, 0, v6, vcc
	v_add_u32_e32 v3, v3, v5
	v_add_u32_e32 v2, v6, v2
	v_cmp_eq_u32_e32 vcc, 0, v3
	v_mov_b32_dpp v5, v3 row_shr:4 row_mask:0xf bank_mask:0xf
	v_cmp_lt_u32_e64 s[26:27], 3, v4
	v_mov_b32_dpp v6, v2 row_shr:4 row_mask:0xf bank_mask:0xf
	s_and_b64 vcc, s[26:27], vcc
	v_cndmask_b32_e64 v5, 0, v5, s[26:27]
	v_cndmask_b32_e32 v6, 0, v6, vcc
	v_add_u32_e32 v3, v5, v3
	v_add_u32_e32 v2, v2, v6
	v_cmp_eq_u32_e32 vcc, 0, v3
	v_cmp_lt_u32_e64 s[26:27], 7, v4
	v_mov_b32_dpp v5, v3 row_shr:8 row_mask:0xf bank_mask:0xf
	v_mov_b32_dpp v6, v2 row_shr:8 row_mask:0xf bank_mask:0xf
	s_and_b64 vcc, s[26:27], vcc
	v_cndmask_b32_e64 v4, 0, v5, s[26:27]
	v_cndmask_b32_e32 v5, 0, v6, vcc
	v_add_u32_e32 v2, v5, v2
	v_add_u32_e32 v3, v4, v3
	v_bfe_i32 v6, v15, 4, 1
	v_mov_b32_dpp v5, v2 row_bcast:15 row_mask:0xf bank_mask:0xf
	v_mov_b32_dpp v4, v3 row_bcast:15 row_mask:0xf bank_mask:0xf
	v_cmp_eq_u32_e32 vcc, 0, v3
	v_and_b32_e32 v4, v6, v4
	v_add_u32_e32 v3, v4, v3
	v_cndmask_b32_e32 v5, 0, v5, vcc
	v_and_b32_e32 v4, v6, v5
	v_add_u32_e32 v4, v4, v2
	v_mov_b32_dpp v2, v3 row_bcast:31 row_mask:0xf bank_mask:0xf
	v_cmp_eq_u32_e32 vcc, 0, v3
	v_cmp_lt_u32_e64 s[26:27], 31, v15
	v_mov_b32_dpp v5, v4 row_bcast:31 row_mask:0xf bank_mask:0xf
	s_and_b64 vcc, s[26:27], vcc
	v_cndmask_b32_e64 v2, 0, v2, s[26:27]
	v_add_u32_e32 v2, v2, v3
	v_cndmask_b32_e32 v3, 0, v5, vcc
	v_add_u32_e32 v3, v3, v4
	v_cmp_eq_u32_e32 vcc, v55, v0
	v_lshlrev_b32_e32 v4, 3, v54
	s_and_saveexec_b64 s[26:27], vcc
	s_cbranch_execz .LBB79_60
; %bb.59:
	ds_write_b64 v4, v[2:3] offset:1040
.LBB79_60:
	s_or_b64 exec, exec, s[26:27]
	v_cmp_gt_u32_e32 vcc, 8, v0
	s_waitcnt lgkmcnt(0)
	s_barrier
	s_and_saveexec_b64 s[30:31], vcc
	s_cbranch_execz .LBB79_62
; %bb.61:
	v_lshlrev_b32_e32 v5, 3, v0
	ds_read_b64 v[6:7], v5 offset:1040
	v_and_b32_e32 v12, 7, v15
	v_cmp_lt_u32_e64 s[26:27], 1, v12
	s_waitcnt lgkmcnt(0)
	v_mov_b32_dpp v14, v7 row_shr:1 row_mask:0xf bank_mask:0xf
	v_cmp_eq_u32_e32 vcc, 0, v6
	v_mov_b32_dpp v13, v6 row_shr:1 row_mask:0xf bank_mask:0xf
	s_nop 0
	v_cndmask_b32_e32 v14, 0, v14, vcc
	v_cmp_eq_u32_e32 vcc, 0, v12
	s_nop 1
	v_cndmask_b32_e64 v13, v13, 0, vcc
	v_add_u32_e32 v6, v13, v6
	v_cndmask_b32_e64 v13, v14, 0, vcc
	v_add_u32_e32 v7, v13, v7
	v_cmp_eq_u32_e32 vcc, 0, v6
	v_mov_b32_dpp v13, v6 row_shr:2 row_mask:0xf bank_mask:0xf
	v_mov_b32_dpp v14, v7 row_shr:2 row_mask:0xf bank_mask:0xf
	v_cndmask_b32_e64 v13, 0, v13, s[26:27]
	s_and_b64 vcc, s[26:27], vcc
	v_cndmask_b32_e32 v14, 0, v14, vcc
	v_add_u32_e32 v6, v13, v6
	v_add_u32_e32 v7, v14, v7
	v_cmp_eq_u32_e32 vcc, 0, v6
	v_mov_b32_dpp v13, v6 row_shr:4 row_mask:0xf bank_mask:0xf
	v_cmp_lt_u32_e64 s[26:27], 3, v12
	v_mov_b32_dpp v14, v7 row_shr:4 row_mask:0xf bank_mask:0xf
	s_and_b64 vcc, s[26:27], vcc
	v_cndmask_b32_e64 v12, 0, v13, s[26:27]
	v_add_u32_e32 v6, v12, v6
	v_cndmask_b32_e32 v12, 0, v14, vcc
	v_add_u32_e32 v7, v12, v7
	ds_write_b64 v5, v[6:7] offset:1040
.LBB79_62:
	s_or_b64 exec, exec, s[30:31]
	v_cmp_gt_u32_e32 vcc, 64, v0
	v_cmp_lt_u32_e64 s[26:27], 63, v0
	v_mov_b32_e32 v12, 0
	v_mov_b32_e32 v13, 0
	s_waitcnt lgkmcnt(0)
	s_barrier
	s_and_saveexec_b64 s[30:31], s[26:27]
	s_cbranch_execz .LBB79_64
; %bb.63:
	ds_read_b64 v[12:13], v4 offset:1032
	v_cmp_eq_u32_e64 s[26:27], 0, v2
	s_waitcnt lgkmcnt(0)
	v_add_u32_e32 v4, v12, v2
	v_cndmask_b32_e64 v2, 0, v13, s[26:27]
	v_add_u32_e32 v3, v2, v3
	v_mov_b32_e32 v2, v4
.LBB79_64:
	s_or_b64 exec, exec, s[30:31]
	v_add_u32_e32 v4, -1, v15
	v_and_b32_e32 v5, 64, v15
	v_cmp_lt_i32_e64 s[26:27], v4, v5
	s_nop 1
	v_cndmask_b32_e64 v4, v4, v15, s[26:27]
	v_lshlrev_b32_e32 v4, 2, v4
	ds_bpermute_b32 v20, v4, v2
	ds_bpermute_b32 v22, v4, v3
	v_cmp_eq_u32_e64 s[26:27], 0, v15
	s_and_saveexec_b64 s[52:53], vcc
	s_cbranch_execz .LBB79_87
; %bb.65:
	v_mov_b32_e32 v7, 0
	ds_read_b64 v[2:3], v7 offset:1096
	s_waitcnt lgkmcnt(0)
	v_readfirstlane_b32 s3, v2
	v_readfirstlane_b32 s56, v3
	s_and_saveexec_b64 s[30:31], s[26:27]
	s_cbranch_execz .LBB79_67
; %bb.66:
	s_add_i32 s54, s2, 64
	s_mov_b32 s55, 0
	s_lshl_b64 s[58:59], s[54:55], 4
	s_add_u32 s58, s36, s58
	s_addc_u32 s59, s37, s59
	s_and_b32 s61, s56, 0xff000000
	s_mov_b32 s60, s55
	s_and_b32 s63, s56, 0xff0000
	s_mov_b32 s62, s55
	s_or_b64 s[60:61], s[62:63], s[60:61]
	s_and_b32 s63, s56, 0xff00
	s_or_b64 s[60:61], s[60:61], s[62:63]
	s_and_b32 s63, s56, 0xff
	s_or_b64 s[54:55], s[60:61], s[62:63]
	v_mov_b32_e32 v4, s3
	v_mov_b32_e32 v5, s55
	v_mov_b32_e32 v6, 1
	v_mov_b64_e32 v[2:3], s[58:59]
	;;#ASMSTART
	global_store_dwordx4 v[2:3], v[4:7] off sc1	
s_waitcnt vmcnt(0)
	;;#ASMEND
.LBB79_67:
	s_or_b64 exec, exec, s[30:31]
	v_xad_u32 v14, v15, -1, s2
	v_add_u32_e32 v6, 64, v14
	v_lshl_add_u64 v[16:17], v[6:7], 4, s[36:37]
	;;#ASMSTART
	global_load_dwordx4 v[2:5], v[16:17] off sc1	
s_waitcnt vmcnt(0)
	;;#ASMEND
	s_nop 0
	v_and_b32_e32 v5, 0xff, v3
	v_and_b32_e32 v6, 0xff00, v3
	v_or3_b32 v2, v2, 0, 0
	v_and_b32_e32 v18, 0xff000000, v3
	v_or3_b32 v5, 0, v5, v6
	;; [unrolled: 2-line block ×3, first 2 shown]
	v_or3_b32 v2, v2, 0, 0
	v_cmp_eq_u16_sdwa s[54:55], v4, v7 src0_sel:BYTE_0 src1_sel:DWORD
	s_and_saveexec_b64 s[30:31], s[54:55]
	s_cbranch_execz .LBB79_73
; %bb.68:
	s_mov_b32 s57, 1
	s_mov_b64 s[54:55], 0
	v_mov_b32_e32 v6, 0
.LBB79_69:                              ; =>This Loop Header: Depth=1
                                        ;     Child Loop BB79_70 Depth 2
	s_max_u32 s58, s57, 1
.LBB79_70:                              ;   Parent Loop BB79_69 Depth=1
                                        ; =>  This Inner Loop Header: Depth=2
	s_add_i32 s58, s58, -1
	s_cmp_eq_u32 s58, 0
	s_sleep 1
	s_cbranch_scc0 .LBB79_70
; %bb.71:                               ;   in Loop: Header=BB79_69 Depth=1
	s_cmp_lt_u32 s57, 32
	s_cselect_b64 s[58:59], -1, 0
	s_cmp_lg_u64 s[58:59], 0
	s_addc_u32 s57, s57, 0
	;;#ASMSTART
	global_load_dwordx4 v[2:5], v[16:17] off sc1	
s_waitcnt vmcnt(0)
	;;#ASMEND
	s_nop 0
	v_cmp_ne_u16_sdwa s[58:59], v4, v6 src0_sel:BYTE_0 src1_sel:DWORD
	s_or_b64 s[54:55], s[58:59], s[54:55]
	s_andn2_b64 exec, exec, s[54:55]
	s_cbranch_execnz .LBB79_69
; %bb.72:
	s_or_b64 exec, exec, s[54:55]
.LBB79_73:
	s_or_b64 exec, exec, s[30:31]
	v_mov_b32_e32 v23, 2
	v_cmp_eq_u16_sdwa s[30:31], v4, v23 src0_sel:BYTE_0 src1_sel:DWORD
	v_lshlrev_b64 v[16:17], v15, -1
	v_and_b32_e32 v24, 63, v15
	v_and_b32_e32 v5, s31, v17
	v_or_b32_e32 v5, 0x80000000, v5
	v_cmp_ne_u32_e32 vcc, 63, v24
	v_and_b32_e32 v6, s30, v16
	v_ffbl_b32_e32 v5, v5
	v_addc_co_u32_e32 v7, vcc, 0, v15, vcc
	v_add_u32_e32 v5, 32, v5
	v_ffbl_b32_e32 v6, v6
	v_lshlrev_b32_e32 v25, 2, v7
	v_min_u32_e32 v5, v6, v5
	ds_bpermute_b32 v6, v25, v3
	v_cmp_eq_u32_e32 vcc, 0, v2
	v_cmp_lt_u32_e64 s[30:31], v24, v5
	ds_bpermute_b32 v7, v25, v2
	s_and_b64 vcc, s[30:31], vcc
	s_waitcnt lgkmcnt(1)
	v_cndmask_b32_e32 v6, 0, v6, vcc
	v_cmp_gt_u32_e32 vcc, 62, v24
	v_add_u32_e32 v3, v6, v3
	s_waitcnt lgkmcnt(0)
	v_cndmask_b32_e64 v7, 0, v7, s[30:31]
	v_cndmask_b32_e64 v6, 0, 1, vcc
	v_lshlrev_b32_e32 v6, 1, v6
	v_add_lshl_u32 v26, v6, v15, 2
	ds_bpermute_b32 v6, v26, v3
	v_add_u32_e32 v2, v7, v2
	ds_bpermute_b32 v7, v26, v2
	v_add_u32_e32 v27, 2, v24
	v_cmp_eq_u32_e32 vcc, 0, v2
	v_add_u32_e32 v29, 4, v24
	v_add_u32_e32 v31, 8, v24
	s_waitcnt lgkmcnt(1)
	v_cndmask_b32_e32 v6, 0, v6, vcc
	v_cmp_gt_u32_e32 vcc, v27, v5
	v_add_u32_e32 v33, 16, v24
	v_add_u32_e32 v35, 32, v24
	v_cndmask_b32_e64 v6, v6, 0, vcc
	v_add_u32_e32 v3, v6, v3
	s_waitcnt lgkmcnt(0)
	v_cndmask_b32_e64 v6, v7, 0, vcc
	v_cmp_gt_u32_e32 vcc, 60, v24
	v_add_u32_e32 v2, v2, v6
	s_nop 0
	v_cndmask_b32_e64 v7, 0, 1, vcc
	v_lshlrev_b32_e32 v7, 2, v7
	v_add_lshl_u32 v28, v7, v15, 2
	ds_bpermute_b32 v7, v28, v3
	ds_bpermute_b32 v6, v28, v2
	v_cmp_eq_u32_e32 vcc, 0, v2
	s_waitcnt lgkmcnt(1)
	s_nop 0
	v_cndmask_b32_e32 v7, 0, v7, vcc
	v_cmp_gt_u32_e32 vcc, v29, v5
	s_nop 1
	v_cndmask_b32_e64 v7, v7, 0, vcc
	s_waitcnt lgkmcnt(0)
	v_cndmask_b32_e64 v6, v6, 0, vcc
	v_cmp_gt_u32_e32 vcc, 56, v24
	v_add_u32_e32 v3, v3, v7
	v_add_u32_e32 v2, v2, v6
	v_cndmask_b32_e64 v7, 0, 1, vcc
	v_lshlrev_b32_e32 v7, 3, v7
	v_add_lshl_u32 v30, v7, v15, 2
	ds_bpermute_b32 v7, v30, v3
	ds_bpermute_b32 v6, v30, v2
	v_cmp_eq_u32_e32 vcc, 0, v2
	s_waitcnt lgkmcnt(1)
	s_nop 0
	v_cndmask_b32_e32 v7, 0, v7, vcc
	v_cmp_gt_u32_e32 vcc, v31, v5
	s_nop 1
	v_cndmask_b32_e64 v7, v7, 0, vcc
	s_waitcnt lgkmcnt(0)
	v_cndmask_b32_e64 v6, v6, 0, vcc
	v_cmp_gt_u32_e32 vcc, 48, v24
	v_add_u32_e32 v3, v3, v7
	v_add_u32_e32 v2, v2, v6
	;; [unrolled: 17-line block ×3, first 2 shown]
	v_cndmask_b32_e64 v7, 0, 1, vcc
	v_lshlrev_b32_e32 v7, 5, v7
	v_add_lshl_u32 v34, v7, v15, 2
	ds_bpermute_b32 v7, v34, v3
	ds_bpermute_b32 v6, v34, v2
	v_cmp_eq_u32_e32 vcc, 0, v2
	v_mov_b32_e32 v15, 0
	s_waitcnt lgkmcnt(1)
	v_cndmask_b32_e32 v7, 0, v7, vcc
	v_cmp_gt_u32_e32 vcc, v35, v5
	s_nop 1
	v_cndmask_b32_e64 v5, v7, 0, vcc
	v_add_u32_e32 v3, v5, v3
	s_waitcnt lgkmcnt(0)
	v_cndmask_b32_e64 v5, v6, 0, vcc
	v_add_u32_e32 v2, v5, v2
	s_branch .LBB79_75
.LBB79_74:                              ;   in Loop: Header=BB79_75 Depth=1
	s_or_b64 exec, exec, s[30:31]
	v_cmp_eq_u16_sdwa s[30:31], v4, v23 src0_sel:BYTE_0 src1_sel:DWORD
	v_cmp_eq_u32_e32 vcc, 0, v2
	ds_bpermute_b32 v19, v25, v2
	v_and_b32_e32 v5, s31, v17
	v_or_b32_e32 v5, 0x80000000, v5
	v_and_b32_e32 v18, s30, v16
	v_ffbl_b32_e32 v5, v5
	v_add_u32_e32 v5, 32, v5
	v_ffbl_b32_e32 v18, v18
	v_min_u32_e32 v5, v18, v5
	ds_bpermute_b32 v18, v25, v3
	v_cmp_lt_u32_e64 s[30:31], v24, v5
	s_and_b64 vcc, s[30:31], vcc
	v_subrev_u32_e32 v14, 64, v14
	s_waitcnt lgkmcnt(1)
	v_cndmask_b32_e64 v19, 0, v19, s[30:31]
	s_waitcnt lgkmcnt(0)
	v_cndmask_b32_e32 v18, 0, v18, vcc
	v_add_u32_e32 v3, v18, v3
	ds_bpermute_b32 v18, v26, v3
	v_add_u32_e32 v2, v19, v2
	v_cmp_eq_u32_e32 vcc, 0, v2
	ds_bpermute_b32 v19, v26, v2
	s_waitcnt lgkmcnt(1)
	v_cndmask_b32_e32 v18, 0, v18, vcc
	v_cmp_gt_u32_e32 vcc, v27, v5
	s_nop 1
	v_cndmask_b32_e64 v18, v18, 0, vcc
	v_add_u32_e32 v3, v18, v3
	ds_bpermute_b32 v18, v28, v3
	s_waitcnt lgkmcnt(1)
	v_cndmask_b32_e64 v19, v19, 0, vcc
	v_add_u32_e32 v2, v2, v19
	v_cmp_eq_u32_e32 vcc, 0, v2
	ds_bpermute_b32 v19, v28, v2
	s_waitcnt lgkmcnt(1)
	v_cndmask_b32_e32 v18, 0, v18, vcc
	v_cmp_gt_u32_e32 vcc, v29, v5
	s_nop 1
	v_cndmask_b32_e64 v18, v18, 0, vcc
	v_add_u32_e32 v3, v3, v18
	ds_bpermute_b32 v18, v30, v3
	s_waitcnt lgkmcnt(1)
	v_cndmask_b32_e64 v19, v19, 0, vcc
	v_add_u32_e32 v2, v2, v19
	ds_bpermute_b32 v19, v30, v2
	v_cmp_eq_u32_e32 vcc, 0, v2
	s_waitcnt lgkmcnt(1)
	s_nop 0
	v_cndmask_b32_e32 v18, 0, v18, vcc
	v_cmp_gt_u32_e32 vcc, v31, v5
	s_nop 1
	v_cndmask_b32_e64 v18, v18, 0, vcc
	v_add_u32_e32 v3, v3, v18
	ds_bpermute_b32 v18, v32, v3
	s_waitcnt lgkmcnt(1)
	v_cndmask_b32_e64 v19, v19, 0, vcc
	v_add_u32_e32 v2, v2, v19
	ds_bpermute_b32 v19, v32, v2
	v_cmp_eq_u32_e32 vcc, 0, v2
	s_waitcnt lgkmcnt(1)
	s_nop 0
	;; [unrolled: 13-line block ×3, first 2 shown]
	v_cndmask_b32_e32 v18, 0, v18, vcc
	v_cmp_gt_u32_e32 vcc, v35, v5
	s_nop 1
	v_cndmask_b32_e64 v5, v18, 0, vcc
	v_add_u32_e32 v3, v5, v3
	s_waitcnt lgkmcnt(0)
	v_cndmask_b32_e64 v5, v19, 0, vcc
	v_cmp_eq_u32_e32 vcc, 0, v6
	v_add3_u32 v2, v2, v6, v5
	s_nop 0
	v_cndmask_b32_e32 v3, 0, v3, vcc
	v_add_u32_e32 v3, v3, v7
.LBB79_75:                              ; =>This Loop Header: Depth=1
                                        ;     Child Loop BB79_78 Depth 2
                                        ;       Child Loop BB79_79 Depth 3
	v_cmp_ne_u16_sdwa s[30:31], v4, v23 src0_sel:BYTE_0 src1_sel:DWORD
	v_mov_b32_e32 v7, v3
	v_mov_b32_e32 v6, v2
	v_cndmask_b32_e64 v3, 0, 1, s[30:31]
	;;#ASMSTART
	;;#ASMEND
	s_nop 0
	v_cmp_ne_u32_e32 vcc, 0, v3
	s_cmp_lg_u64 vcc, exec
	s_cbranch_scc1 .LBB79_82
; %bb.76:                               ;   in Loop: Header=BB79_75 Depth=1
	v_lshl_add_u64 v[18:19], v[14:15], 4, s[36:37]
	;;#ASMSTART
	global_load_dwordx4 v[2:5], v[18:19] off sc1	
s_waitcnt vmcnt(0)
	;;#ASMEND
	s_nop 0
	v_and_b32_e32 v5, 0xff, v3
	v_and_b32_e32 v36, 0xff00, v3
	v_or3_b32 v2, v2, 0, 0
	v_and_b32_e32 v37, 0xff000000, v3
	v_or3_b32 v5, 0, v5, v36
	;; [unrolled: 2-line block ×3, first 2 shown]
	v_or3_b32 v2, v2, 0, 0
	v_cmp_eq_u16_sdwa s[54:55], v4, v15 src0_sel:BYTE_0 src1_sel:DWORD
	s_and_saveexec_b64 s[30:31], s[54:55]
	s_cbranch_execz .LBB79_74
; %bb.77:                               ;   in Loop: Header=BB79_75 Depth=1
	s_mov_b32 s57, 1
	s_mov_b64 s[54:55], 0
.LBB79_78:                              ;   Parent Loop BB79_75 Depth=1
                                        ; =>  This Loop Header: Depth=2
                                        ;       Child Loop BB79_79 Depth 3
	s_max_u32 s58, s57, 1
.LBB79_79:                              ;   Parent Loop BB79_75 Depth=1
                                        ;     Parent Loop BB79_78 Depth=2
                                        ; =>    This Inner Loop Header: Depth=3
	s_add_i32 s58, s58, -1
	s_cmp_eq_u32 s58, 0
	s_sleep 1
	s_cbranch_scc0 .LBB79_79
; %bb.80:                               ;   in Loop: Header=BB79_78 Depth=2
	s_cmp_lt_u32 s57, 32
	s_cselect_b64 s[58:59], -1, 0
	s_cmp_lg_u64 s[58:59], 0
	s_addc_u32 s57, s57, 0
	;;#ASMSTART
	global_load_dwordx4 v[2:5], v[18:19] off sc1	
s_waitcnt vmcnt(0)
	;;#ASMEND
	s_nop 0
	v_cmp_ne_u16_sdwa s[58:59], v4, v15 src0_sel:BYTE_0 src1_sel:DWORD
	s_or_b64 s[54:55], s[58:59], s[54:55]
	s_andn2_b64 exec, exec, s[54:55]
	s_cbranch_execnz .LBB79_78
; %bb.81:                               ;   in Loop: Header=BB79_75 Depth=1
	s_or_b64 exec, exec, s[54:55]
	s_branch .LBB79_74
.LBB79_82:                              ;   in Loop: Header=BB79_75 Depth=1
                                        ; implicit-def: $vgpr3
                                        ; implicit-def: $vgpr2
                                        ; implicit-def: $vgpr4
	s_cbranch_execz .LBB79_75
; %bb.83:
	s_and_saveexec_b64 s[30:31], s[26:27]
	s_cbranch_execz .LBB79_85
; %bb.84:
	s_cmp_eq_u32 s3, 0
	s_cselect_b64 vcc, -1, 0
	s_mov_b32 s55, 0
	v_cndmask_b32_e32 v2, 0, v7, vcc
	s_add_i32 s54, s2, 64
	v_add_u32_e32 v2, s56, v2
	s_lshl_b64 s[54:55], s[54:55], 4
	s_add_u32 s54, s36, s54
	v_and_b32_e32 v3, 0xff000000, v2
	v_and_b32_e32 v4, 0xff0000, v2
	s_addc_u32 s55, s37, s55
	v_or_b32_e32 v3, v4, v3
	v_and_b32_e32 v4, 0xff00, v2
	v_and_b32_e32 v2, 0xff, v2
	v_add_u32_e32 v14, s3, v6
	v_mov_b32_e32 v17, 0
	v_or3_b32 v15, v3, v4, v2
	v_mov_b32_e32 v16, 2
	v_mov_b64_e32 v[2:3], s[54:55]
	;;#ASMSTART
	global_store_dwordx4 v[2:3], v[14:17] off sc1	
s_waitcnt vmcnt(0)
	;;#ASMEND
	v_mov_b32_e32 v4, s3
	v_mov_b32_e32 v5, s56
	ds_write_b128 v17, v[4:7] offset:1024
.LBB79_85:
	s_or_b64 exec, exec, s[30:31]
	v_cmp_eq_u32_e32 vcc, 0, v0
	s_and_b64 exec, exec, vcc
	s_cbranch_execz .LBB79_87
; %bb.86:
	v_mov_b32_e32 v2, 0
	ds_write_b64 v2, v[6:7] offset:1096
.LBB79_87:
	s_or_b64 exec, exec, s[52:53]
	v_mov_b32_e32 v4, 0
	s_waitcnt lgkmcnt(0)
	s_barrier
	ds_read_b64 v[2:3], v4 offset:1096
	v_cndmask_b32_e64 v6, v20, v12, s[26:27]
	v_cmp_eq_u32_e32 vcc, 0, v6
	v_cndmask_b32_e64 v5, v22, v13, s[26:27]
	s_waitcnt lgkmcnt(0)
	v_cndmask_b32_e32 v7, 0, v3, vcc
	v_add_u32_e32 v5, v7, v5
	v_cmp_eq_u32_e32 vcc, 0, v0
	s_barrier
	s_nop 0
	v_cndmask_b32_e32 v51, v5, v3, vcc
	v_cndmask_b32_e64 v3, v6, 0, vcc
	v_cmp_eq_u32_e32 vcc, 0, v79
	v_add_u32_e32 v50, v2, v3
	v_add_u32_e32 v48, v50, v79
	v_cndmask_b32_e32 v2, 0, v51, vcc
	v_add_u32_e32 v49, v2, v52
	v_cndmask_b32_e64 v2, 0, v49, s[24:25]
	v_add_u32_e32 v47, v2, v52
	v_cndmask_b32_e64 v2, 0, v47, s[22:23]
	;; [unrolled: 2-line block ×7, first 2 shown]
	v_add_u32_e32 v35, v2, v52
	v_add_u32_e32 v46, v48, v78
	v_cndmask_b32_e64 v2, 0, v35, s[10:11]
	v_add_u32_e32 v44, v46, v77
	v_add_u32_e32 v33, v2, v52
	v_add_u32_e32 v42, v44, v76
	v_cndmask_b32_e64 v2, 0, v33, s[8:9]
	v_add_u32_e32 v40, v42, v75
	;; [unrolled: 4-line block ×3, first 2 shown]
	v_add_u32_e32 v29, v2, v52
	ds_read_b128 v[16:19], v4 offset:1024
	v_add_u32_e32 v34, v36, v72
	v_cndmask_b32_e64 v2, 0, v29, s[4:5]
	v_add_u32_e32 v32, v34, v71
	v_add_u32_e32 v27, v2, v52
	;; [unrolled: 1-line block ×3, first 2 shown]
	v_cndmask_b32_e64 v2, 0, v27, s[28:29]
	v_add_u32_e32 v28, v30, v69
	v_add_u32_e32 v23, v2, v52
	v_add_u32_e32 v26, v28, v68
	v_cndmask_b32_e64 v2, 0, v23, s[0:1]
	s_waitcnt lgkmcnt(0)
	v_cmp_eq_u32_e32 vcc, 0, v16
	v_add_u32_e32 v22, v26, v67
	v_add_u32_e32 v25, v2, v52
	v_cndmask_b32_e32 v2, 0, v19, vcc
	v_add_u32_e32 v24, v22, v66
	v_add_u32_e32 v20, v2, v17
	s_branch .LBB79_100
.LBB79_88:
                                        ; implicit-def: $vgpr16
                                        ; implicit-def: $vgpr20
                                        ; implicit-def: $vgpr24_vgpr25
                                        ; implicit-def: $vgpr22_vgpr23
                                        ; implicit-def: $vgpr26_vgpr27
                                        ; implicit-def: $vgpr28_vgpr29
                                        ; implicit-def: $vgpr50_vgpr51
                                        ; implicit-def: $vgpr48_vgpr49
                                        ; implicit-def: $vgpr46_vgpr47
                                        ; implicit-def: $vgpr44_vgpr45
                                        ; implicit-def: $vgpr42_vgpr43
                                        ; implicit-def: $vgpr40_vgpr41
                                        ; implicit-def: $vgpr38_vgpr39
                                        ; implicit-def: $vgpr36_vgpr37
                                        ; implicit-def: $vgpr34_vgpr35
                                        ; implicit-def: $vgpr32_vgpr33
                                        ; implicit-def: $vgpr30_vgpr31
	s_cbranch_execz .LBB79_100
; %bb.89:
	s_and_b64 s[0:1], s[38:39], exec
	s_cselect_b32 s1, 0, s51
	s_cselect_b32 s0, 0, s50
	s_cmp_eq_u64 s[0:1], 0
	v_mov_b32_e32 v6, v52
	s_cbranch_scc1 .LBB79_91
; %bb.90:
	v_mov_b32_e32 v2, 0
	global_load_dword v6, v2, s[0:1]
.LBB79_91:
	v_cmp_eq_u32_e64 s[0:1], 0, v78
	v_cmp_eq_u32_e64 s[2:3], 0, v77
	v_cmp_eq_u32_e64 s[4:5], 0, v76
	v_cndmask_b32_e64 v2, 0, v52, s[0:1]
	v_add_u32_e32 v2, v2, v52
	v_cndmask_b32_e64 v2, 0, v2, s[2:3]
	v_add_u32_e32 v2, v2, v52
	v_cndmask_b32_e64 v2, 0, v2, s[4:5]
	v_add_u32_e32 v2, v2, v52
	v_cmp_eq_u32_e64 s[6:7], 0, v75
	v_cmp_eq_u32_e64 s[8:9], 0, v74
	v_cmp_eq_u32_e64 s[10:11], 0, v73
	v_cndmask_b32_e64 v2, 0, v2, s[6:7]
	v_add_u32_e32 v2, v2, v52
	v_cndmask_b32_e64 v2, 0, v2, s[8:9]
	v_add_u32_e32 v2, v2, v52
	v_cndmask_b32_e64 v2, 0, v2, s[10:11]
	v_add_u32_e32 v2, v2, v52
	;; [unrolled: 9-line block ×3, first 2 shown]
	v_cmp_eq_u32_e64 s[18:19], 0, v69
	v_cmp_eq_u32_e64 s[20:21], 0, v68
	;; [unrolled: 1-line block ×3, first 2 shown]
	v_cndmask_b32_e64 v2, 0, v2, s[18:19]
	v_add_u32_e32 v2, v2, v52
	v_cndmask_b32_e64 v2, 0, v2, s[20:21]
	v_add_u32_e32 v2, v2, v52
	v_cndmask_b32_e64 v2, 0, v2, s[22:23]
	v_add3_u32 v3, v81, v74, v73
	v_add_u32_e32 v2, v2, v52
	v_cmp_eq_u32_e32 vcc, 0, v66
	v_add3_u32 v3, v3, v72, v71
	v_add3_u32 v3, v3, v70, v69
	v_cndmask_b32_e32 v2, 0, v2, vcc
	v_add_u32_e32 v2, v2, v52
	v_cmp_eq_u32_e64 s[24:25], 0, v65
	v_add3_u32 v3, v3, v68, v67
	v_add3_u32 v3, v3, v66, v65
	v_cndmask_b32_e64 v2, 0, v2, s[24:25]
	v_add_u32_e32 v2, v2, v53
	v_mbcnt_hi_u32_b32 v7, -1, v80
	v_and_b32_e32 v4, 15, v7
	v_mov_b32_dpp v12, v2 row_shr:1 row_mask:0xf bank_mask:0xf
	v_cmp_eq_u32_e64 s[24:25], 0, v3
	v_mov_b32_dpp v5, v3 row_shr:1 row_mask:0xf bank_mask:0xf
	v_cmp_lt_u32_e64 s[26:27], 1, v4
	v_cndmask_b32_e64 v12, 0, v12, s[24:25]
	v_cmp_eq_u32_e64 s[24:25], 0, v4
	s_nop 1
	v_cndmask_b32_e64 v5, v5, 0, s[24:25]
	v_add_u32_e32 v3, v5, v3
	v_cndmask_b32_e64 v5, v12, 0, s[24:25]
	v_add_u32_e32 v2, v5, v2
	v_cmp_eq_u32_e64 s[24:25], 0, v3
	v_mov_b32_dpp v5, v3 row_shr:2 row_mask:0xf bank_mask:0xf
	v_mov_b32_dpp v12, v2 row_shr:2 row_mask:0xf bank_mask:0xf
	v_cndmask_b32_e64 v5, 0, v5, s[26:27]
	s_and_b64 s[24:25], s[26:27], s[24:25]
	v_cndmask_b32_e64 v12, 0, v12, s[24:25]
	v_add_u32_e32 v3, v3, v5
	v_add_u32_e32 v2, v12, v2
	v_cmp_eq_u32_e64 s[24:25], 0, v3
	v_mov_b32_dpp v5, v3 row_shr:4 row_mask:0xf bank_mask:0xf
	v_cmp_lt_u32_e64 s[26:27], 3, v4
	v_mov_b32_dpp v12, v2 row_shr:4 row_mask:0xf bank_mask:0xf
	s_and_b64 s[24:25], s[26:27], s[24:25]
	v_cndmask_b32_e64 v5, 0, v5, s[26:27]
	v_cndmask_b32_e64 v12, 0, v12, s[24:25]
	v_add_u32_e32 v3, v5, v3
	v_add_u32_e32 v2, v2, v12
	v_cmp_eq_u32_e64 s[24:25], 0, v3
	v_cmp_lt_u32_e64 s[26:27], 7, v4
	v_mov_b32_dpp v5, v3 row_shr:8 row_mask:0xf bank_mask:0xf
	v_mov_b32_dpp v12, v2 row_shr:8 row_mask:0xf bank_mask:0xf
	s_and_b64 s[24:25], s[26:27], s[24:25]
	v_cndmask_b32_e64 v4, 0, v5, s[26:27]
	v_cndmask_b32_e64 v5, 0, v12, s[24:25]
	v_add_u32_e32 v2, v5, v2
	v_add_u32_e32 v3, v4, v3
	v_bfe_i32 v12, v7, 4, 1
	v_mov_b32_dpp v5, v2 row_bcast:15 row_mask:0xf bank_mask:0xf
	v_mov_b32_dpp v4, v3 row_bcast:15 row_mask:0xf bank_mask:0xf
	v_cmp_eq_u32_e64 s[24:25], 0, v3
	v_and_b32_e32 v4, v12, v4
	v_add_u32_e32 v3, v4, v3
	v_cndmask_b32_e64 v5, 0, v5, s[24:25]
	v_and_b32_e32 v4, v12, v5
	v_add_u32_e32 v4, v4, v2
	v_mov_b32_dpp v2, v3 row_bcast:31 row_mask:0xf bank_mask:0xf
	v_cmp_eq_u32_e64 s[24:25], 0, v3
	v_cmp_lt_u32_e64 s[26:27], 31, v7
	v_mov_b32_dpp v5, v4 row_bcast:31 row_mask:0xf bank_mask:0xf
	s_and_b64 s[24:25], s[26:27], s[24:25]
	v_cndmask_b32_e64 v2, 0, v2, s[26:27]
	v_add_u32_e32 v2, v2, v3
	v_cndmask_b32_e64 v3, 0, v5, s[24:25]
	v_add_u32_e32 v3, v3, v4
	v_cmp_eq_u32_e64 s[24:25], v55, v0
	s_and_saveexec_b64 s[26:27], s[24:25]
	s_cbranch_execz .LBB79_93
; %bb.92:
	v_lshlrev_b32_e32 v4, 3, v54
	ds_write_b64 v4, v[2:3] offset:1040
.LBB79_93:
	s_or_b64 exec, exec, s[26:27]
	v_cmp_gt_u32_e64 s[24:25], 8, v0
	s_waitcnt lgkmcnt(0)
	s_barrier
	s_and_saveexec_b64 s[28:29], s[24:25]
	s_cbranch_execz .LBB79_95
; %bb.94:
	v_lshlrev_b32_e32 v12, 3, v0
	ds_read_b64 v[4:5], v12 offset:1040
	v_and_b32_e32 v13, 7, v7
	v_cmp_lt_u32_e64 s[26:27], 1, v13
	s_waitcnt lgkmcnt(0)
	v_mov_b32_dpp v15, v5 row_shr:1 row_mask:0xf bank_mask:0xf
	v_cmp_eq_u32_e64 s[24:25], 0, v4
	v_mov_b32_dpp v14, v4 row_shr:1 row_mask:0xf bank_mask:0xf
	s_nop 0
	v_cndmask_b32_e64 v15, 0, v15, s[24:25]
	v_cmp_eq_u32_e64 s[24:25], 0, v13
	s_nop 1
	v_cndmask_b32_e64 v14, v14, 0, s[24:25]
	v_add_u32_e32 v4, v14, v4
	v_cndmask_b32_e64 v14, v15, 0, s[24:25]
	v_add_u32_e32 v5, v14, v5
	v_cmp_eq_u32_e64 s[24:25], 0, v4
	v_mov_b32_dpp v14, v4 row_shr:2 row_mask:0xf bank_mask:0xf
	v_mov_b32_dpp v15, v5 row_shr:2 row_mask:0xf bank_mask:0xf
	v_cndmask_b32_e64 v14, 0, v14, s[26:27]
	s_and_b64 s[24:25], s[26:27], s[24:25]
	v_cndmask_b32_e64 v15, 0, v15, s[24:25]
	v_add_u32_e32 v4, v14, v4
	v_add_u32_e32 v5, v15, v5
	v_cmp_eq_u32_e64 s[24:25], 0, v4
	v_mov_b32_dpp v14, v4 row_shr:4 row_mask:0xf bank_mask:0xf
	v_cmp_lt_u32_e64 s[26:27], 3, v13
	v_mov_b32_dpp v15, v5 row_shr:4 row_mask:0xf bank_mask:0xf
	s_and_b64 s[24:25], s[26:27], s[24:25]
	v_cndmask_b32_e64 v13, 0, v14, s[26:27]
	v_add_u32_e32 v4, v13, v4
	v_cndmask_b32_e64 v13, 0, v15, s[24:25]
	v_add_u32_e32 v5, v13, v5
	ds_write_b64 v12, v[4:5] offset:1040
.LBB79_95:
	s_or_b64 exec, exec, s[28:29]
	v_cmp_lt_u32_e64 s[24:25], 63, v0
	v_mov_b32_e32 v12, 0
	v_mov_b32_e32 v4, 0
	s_waitcnt vmcnt(0)
	v_mov_b32_e32 v5, v6
	s_waitcnt lgkmcnt(0)
	s_barrier
	s_and_saveexec_b64 s[26:27], s[24:25]
	s_cbranch_execz .LBB79_97
; %bb.96:
	v_lshlrev_b32_e32 v4, 3, v54
	ds_read_b64 v[4:5], v4 offset:1032
	s_waitcnt lgkmcnt(0)
	v_cmp_eq_u32_e64 s[24:25], 0, v4
	s_nop 1
	v_cndmask_b32_e64 v13, 0, v6, s[24:25]
	v_add_u32_e32 v5, v13, v5
.LBB79_97:
	s_or_b64 exec, exec, s[26:27]
	v_cmp_eq_u32_e64 s[24:25], 0, v2
	v_add_u32_e32 v13, v4, v2
	v_and_b32_e32 v14, 64, v7
	v_cndmask_b32_e64 v2, 0, v5, s[24:25]
	v_add_u32_e32 v2, v2, v3
	v_add_u32_e32 v3, -1, v7
	v_cmp_lt_i32_e64 s[24:25], v3, v14
	v_cmp_eq_u32_e64 s[26:27], 0, v79
	ds_read_b64 v[16:17], v12 offset:1096
	v_cndmask_b32_e64 v3, v3, v7, s[24:25]
	v_lshlrev_b32_e32 v3, 2, v3
	ds_bpermute_b32 v13, v3, v13
	ds_bpermute_b32 v2, v3, v2
	v_cmp_eq_u32_e64 s[24:25], 0, v7
	s_waitcnt lgkmcnt(1)
	s_nop 0
	v_cndmask_b32_e64 v3, v13, v4, s[24:25]
	s_waitcnt lgkmcnt(0)
	v_cndmask_b32_e64 v2, v2, v5, s[24:25]
	v_cmp_eq_u32_e64 s[24:25], 0, v0
	s_nop 1
	v_cndmask_b32_e64 v51, v2, v6, s[24:25]
	v_cndmask_b32_e64 v2, 0, v51, s[26:27]
	v_add_u32_e32 v49, v2, v52
	v_cndmask_b32_e64 v2, 0, v49, s[0:1]
	v_add_u32_e32 v47, v2, v52
	;; [unrolled: 2-line block ×7, first 2 shown]
	v_cndmask_b32_e64 v50, v3, 0, s[24:25]
	v_cndmask_b32_e64 v2, 0, v37, s[12:13]
	v_add_u32_e32 v48, v50, v79
	v_add_u32_e32 v35, v2, v52
	v_add_u32_e32 v46, v48, v78
	v_cndmask_b32_e64 v2, 0, v35, s[14:15]
	v_add_u32_e32 v44, v46, v77
	v_add_u32_e32 v33, v2, v52
	v_add_u32_e32 v42, v44, v76
	;; [unrolled: 4-line block ×6, first 2 shown]
	v_cndmask_b32_e32 v2, 0, v23, vcc
	v_cmp_eq_u32_e32 vcc, 0, v16
	v_add_u32_e32 v22, v26, v67
	v_add_u32_e32 v25, v2, v52
	v_cndmask_b32_e32 v2, 0, v6, vcc
	v_add_u32_e32 v24, v22, v66
	v_add_u32_e32 v20, v2, v17
	s_and_saveexec_b64 s[0:1], s[24:25]
	s_cbranch_execz .LBB79_99
; %bb.98:
	s_add_u32 s2, s36, 0x400
	v_and_b32_e32 v2, 0xff000000, v20
	v_and_b32_e32 v3, 0xff0000, v20
	s_addc_u32 s3, s37, 0
	v_or_b32_e32 v2, v3, v2
	v_and_b32_e32 v3, 0xff00, v20
	v_and_b32_e32 v4, 0xff, v20
	v_mov_b32_e32 v19, 0
	v_or3_b32 v17, v2, v3, v4
	v_mov_b32_e32 v18, 2
	v_mov_b64_e32 v[2:3], s[2:3]
	;;#ASMSTART
	global_store_dwordx4 v[2:3], v[16:19] off sc1	
s_waitcnt vmcnt(0)
	;;#ASMEND
.LBB79_99:
	s_or_b64 exec, exec, s[0:1]
	v_mov_b32_e32 v18, 0
.LBB79_100:
	s_and_b64 s[0:1], s[38:39], exec
	s_cselect_b32 s1, 0, s47
	s_cselect_b32 s0, 0, s46
	s_cmp_eq_u64 s[0:1], 0
	v_mov_b64_e32 v[52:53], 0
	s_waitcnt lgkmcnt(0)
	s_barrier
	s_cbranch_scc1 .LBB79_102
; %bb.101:
	v_mov_b32_e32 v2, 0
	global_load_dwordx2 v[52:53], v2, s[0:1]
.LBB79_102:
	s_waitcnt vmcnt(0)
	v_lshl_add_u64 v[2:3], s[40:41], 0, v[52:53]
	v_mov_b32_e32 v19, 0
	v_cmp_eq_u32_e32 vcc, 0, v79
	v_lshl_add_u64 v[54:55], v[2:3], 0, v[18:19]
	s_movk_i32 s30, 0x200
	v_cndmask_b32_e64 v2, 1, 2, vcc
	v_cmp_eq_u32_e32 vcc, 0, v78
	v_cmp_ne_u32_e64 s[28:29], 0, v79
	v_cmp_ne_u32_e64 s[26:27], 0, v78
	v_cndmask_b32_e64 v3, 1, 2, vcc
	v_cmp_eq_u32_e32 vcc, 0, v77
	v_and_b32_e32 v2, v3, v2
	v_cmp_ne_u32_e64 s[24:25], 0, v77
	v_cndmask_b32_e64 v3, 1, 2, vcc
	v_cmp_eq_u32_e32 vcc, 0, v76
	v_and_b32_e32 v2, v2, v3
	;; [unrolled: 4-line block ×13, first 2 shown]
	v_cmp_ne_u32_e64 s[0:1], 0, v65
	v_cndmask_b32_e64 v3, 1, 2, vcc
	v_and_b32_e32 v2, v2, v3
	v_cmp_gt_u32_e32 vcc, s30, v16
	s_mov_b64 s[36:37], -1
	v_cmp_gt_i16_e64 s[30:31], 2, v2
	s_cbranch_vccz .LBB79_109
; %bb.103:
	s_and_saveexec_b64 s[36:37], s[30:31]
	s_cbranch_execz .LBB79_108
; %bb.104:
	v_cmp_ne_u16_e32 vcc, 1, v2
	s_mov_b64 s[38:39], 0
	s_and_saveexec_b64 s[30:31], vcc
	s_xor_b64 s[30:31], exec, s[30:31]
	s_cbranch_execnz .LBB79_150
; %bb.105:
	s_andn2_saveexec_b64 s[30:31], s[30:31]
	s_cbranch_execnz .LBB79_166
.LBB79_106:
	s_or_b64 exec, exec, s[30:31]
	s_and_b64 exec, exec, s[38:39]
	s_cbranch_execz .LBB79_108
.LBB79_107:
	v_sub_u32_e32 v3, v24, v18
	v_readfirstlane_b32 s30, v54
	v_readfirstlane_b32 s31, v55
	s_nop 4
	global_store_byte v3, v1, s[30:31]
.LBB79_108:
	s_or_b64 exec, exec, s[36:37]
	s_mov_b64 s[36:37], 0
.LBB79_109:
	s_and_b64 vcc, exec, s[36:37]
	s_cbranch_vccz .LBB79_128
; %bb.110:
	v_cmp_gt_i16_e32 vcc, 2, v2
	s_and_saveexec_b64 s[30:31], vcc
	s_cbranch_execz .LBB79_115
; %bb.111:
	v_cmp_ne_u16_e32 vcc, 1, v2
	s_mov_b64 s[38:39], 0
	s_and_saveexec_b64 s[36:37], vcc
	s_xor_b64 s[36:37], exec, s[36:37]
	s_cbranch_execnz .LBB79_167
; %bb.112:
	s_andn2_saveexec_b64 s[0:1], s[36:37]
	s_cbranch_execnz .LBB79_183
.LBB79_113:
	s_or_b64 exec, exec, s[0:1]
	s_and_b64 exec, exec, s[38:39]
	s_cbranch_execz .LBB79_115
.LBB79_114:
	v_sub_u32_e32 v2, v24, v18
	ds_write_b8 v2, v1
.LBB79_115:
	s_or_b64 exec, exec, s[30:31]
	v_cmp_lt_u32_e32 vcc, v0, v16
	s_waitcnt lgkmcnt(0)
	s_barrier
	s_and_saveexec_b64 s[0:1], vcc
	s_cbranch_execz .LBB79_127
; %bb.116:
	v_xad_u32 v2, v0, -1, v16
	s_movk_i32 s2, 0xdff
	v_cmp_lt_u32_e32 vcc, s2, v2
	s_mov_b64 s[4:5], -1
	v_mov_b32_e32 v1, v0
	s_and_saveexec_b64 s[2:3], vcc
	s_cbranch_execz .LBB79_124
; %bb.117:
	v_lshrrev_b32_e32 v17, 9, v2
	v_or_b32_e32 v7, 0xe00, v0
	v_or_b32_e32 v6, 0xc00, v0
	v_or_b32_e32 v5, 0xa00, v0
	v_or_b32_e32 v4, 0x800, v0
	v_or_b32_e32 v3, 0x600, v0
	v_or_b32_e32 v2, 0x400, v0
	v_or_b32_e32 v1, 0x200, v0
	v_add_u32_e32 v21, -7, v17
	v_mov_b64_e32 v[14:15], v[6:7]
	v_cmp_lt_u32_e32 vcc, 7, v21
	v_mov_b32_e32 v60, 0
	v_mov_b64_e32 v[12:13], v[4:5]
	v_mov_b64_e32 v[10:11], v[2:3]
	;; [unrolled: 1-line block ×3, first 2 shown]
	s_and_saveexec_b64 s[4:5], vcc
	s_cbranch_execz .LBB79_121
; %bb.118:
	v_lshrrev_b32_e32 v8, 3, v21
	v_add_u32_e32 v8, 1, v8
	v_and_b32_e32 v58, 0x3ffffffe, v8
	v_mov_b64_e32 v[14:15], v[6:7]
	s_mov_b32 s8, 0
	s_mov_b64 s[6:7], 0
	v_mov_b32_e32 v57, 0
	v_mov_b32_e32 v59, v0
	v_mov_b64_e32 v[12:13], v[4:5]
	v_mov_b64_e32 v[10:11], v[2:3]
	;; [unrolled: 1-line block ×3, first 2 shown]
.LBB79_119:                             ; =>This Inner Loop Header: Depth=1
	v_mov_b32_e32 v56, v8
	v_lshl_add_u64 v[84:85], v[54:55], 0, v[56:57]
	v_mov_b32_e32 v56, v9
	v_lshl_add_u64 v[88:89], v[54:55], 0, v[56:57]
	;; [unrolled: 2-line block ×3, first 2 shown]
	v_mov_b32_e32 v56, v11
	ds_read_u8 v1, v59
	ds_read_u8 v64, v59 offset:512
	ds_read_u8 v96, v59 offset:1024
	;; [unrolled: 1-line block ×7, first 2 shown]
	v_lshl_add_u64 v[92:93], v[54:55], 0, v[56:57]
	v_mov_b32_e32 v56, v12
	ds_read_u8 v102, v59 offset:4096
	ds_read_u8 v103, v59 offset:4608
	;; [unrolled: 1-line block ×8, first 2 shown]
	v_lshl_add_u64 v[94:95], v[54:55], 0, v[56:57]
	v_mov_b32_e32 v56, v13
	s_waitcnt lgkmcnt(14)
	global_store_byte v[84:85], v1, off
	global_store_byte v[88:89], v64, off
	s_waitcnt lgkmcnt(13)
	global_store_byte v[90:91], v96, off
	s_waitcnt lgkmcnt(12)
	global_store_byte v[92:93], v97, off
	v_lshl_add_u64 v[84:85], v[54:55], 0, v[56:57]
	v_mov_b32_e32 v56, v14
	v_add_u32_e32 v58, -2, v58
	v_lshl_add_u64 v[88:89], v[54:55], 0, v[56:57]
	v_mov_b32_e32 v56, v15
	v_add_u32_e32 v60, 0x1000, v12
	v_mov_b32_e32 v61, v57
	s_add_i32 s8, s8, 16
	v_cmp_eq_u32_e32 vcc, 0, v58
	s_waitcnt lgkmcnt(11)
	global_store_byte v[94:95], v98, off
	s_waitcnt lgkmcnt(10)
	global_store_byte v[84:85], v99, off
	v_lshl_add_u64 v[84:85], v[54:55], 0, v[56:57]
	v_add_u32_e32 v56, 0x1000, v8
	v_add_u32_e32 v2, 0x1000, v15
	;; [unrolled: 1-line block ×7, first 2 shown]
	v_mov_b32_e32 v83, v57
	v_mov_b32_e32 v81, v57
	;; [unrolled: 1-line block ×6, first 2 shown]
	v_add_u32_e32 v59, 0x2000, v59
	v_lshl_add_u64 v[86:87], v[54:55], 0, v[60:61]
	v_add_u32_e32 v9, 0x2000, v9
	v_mov_b32_e32 v60, s8
	v_add_u32_e32 v10, 0x2000, v10
	s_or_b64 s[6:7], vcc, s[6:7]
	v_add_u32_e32 v11, 0x2000, v11
	v_add_u32_e32 v12, 0x2000, v12
	;; [unrolled: 1-line block ×5, first 2 shown]
	s_waitcnt lgkmcnt(9)
	global_store_byte v[88:89], v100, off
	v_add_u32_e32 v8, 0x2000, v8
	s_waitcnt lgkmcnt(8)
	global_store_byte v[84:85], v101, off
	v_lshl_add_u64 v[84:85], v[54:55], 0, v[56:57]
	v_lshl_add_u64 v[82:83], v[54:55], 0, v[82:83]
	;; [unrolled: 1-line block ×7, first 2 shown]
	s_waitcnt lgkmcnt(7)
	global_store_byte v[84:85], v102, off
	s_waitcnt lgkmcnt(6)
	global_store_byte v[82:83], v103, off
	s_waitcnt lgkmcnt(5)
	global_store_byte v[80:81], v104, off
	s_waitcnt lgkmcnt(4)
	global_store_byte v[62:63], v105, off
	s_waitcnt lgkmcnt(3)
	global_store_byte v[86:87], v106, off
	s_waitcnt lgkmcnt(2)
	global_store_byte v[6:7], v107, off
	s_waitcnt lgkmcnt(1)
	global_store_byte v[4:5], v108, off
	s_waitcnt lgkmcnt(0)
	global_store_byte v[2:3], v109, off
	s_andn2_b64 exec, exec, s[6:7]
	s_cbranch_execnz .LBB79_119
; %bb.120:
	s_or_b64 exec, exec, s[6:7]
.LBB79_121:
	s_or_b64 exec, exec, s[4:5]
	v_and_b32_e32 v1, 8, v21
	v_cmp_eq_u32_e32 vcc, 0, v1
	s_and_saveexec_b64 s[4:5], vcc
	s_cbranch_execz .LBB79_123
; %bb.122:
	v_mov_b32_e32 v3, 0
	v_mov_b32_e32 v2, v8
	v_lshl_add_u64 v[4:5], v[54:55], 0, v[2:3]
	v_mov_b32_e32 v2, v9
	v_lshl_or_b32 v1, v60, 9, v0
	v_lshl_add_u64 v[6:7], v[54:55], 0, v[2:3]
	v_mov_b32_e32 v2, v10
	ds_read_u8 v21, v1
	ds_read_u8 v60, v1 offset:512
	ds_read_u8 v61, v1 offset:1024
	;; [unrolled: 1-line block ×7, first 2 shown]
	v_lshl_add_u64 v[8:9], v[54:55], 0, v[2:3]
	v_mov_b32_e32 v2, v11
	v_lshl_add_u64 v[10:11], v[54:55], 0, v[2:3]
	v_mov_b32_e32 v2, v12
	;; [unrolled: 2-line block ×5, first 2 shown]
	v_lshl_add_u64 v[2:3], v[54:55], 0, v[2:3]
	s_waitcnt lgkmcnt(7)
	global_store_byte v[4:5], v21, off
	s_waitcnt lgkmcnt(6)
	global_store_byte v[6:7], v60, off
	;; [unrolled: 2-line block ×8, first 2 shown]
.LBB79_123:
	s_or_b64 exec, exec, s[4:5]
	v_add_u32_e32 v2, 1, v17
	v_and_b32_e32 v3, 0xfffff8, v2
	v_cmp_ne_u32_e32 vcc, v2, v3
	v_lshl_or_b32 v1, v3, 9, v0
	s_orn2_b64 s[4:5], vcc, exec
.LBB79_124:
	s_or_b64 exec, exec, s[2:3]
	s_and_b64 exec, exec, s[4:5]
	s_cbranch_execz .LBB79_127
; %bb.125:
	s_mov_b64 s[2:3], 0
.LBB79_126:                             ; =>This Inner Loop Header: Depth=1
	ds_read_u8 v2, v1
	v_readfirstlane_b32 s4, v54
	v_readfirstlane_b32 s5, v55
	s_waitcnt lgkmcnt(0)
	s_nop 3
	global_store_byte v1, v2, s[4:5]
	v_add_u32_e32 v1, 0x200, v1
	v_cmp_ge_u32_e32 vcc, v1, v16
	s_or_b64 s[2:3], vcc, s[2:3]
	s_andn2_b64 exec, exec, s[2:3]
	s_cbranch_execnz .LBB79_126
.LBB79_127:
	s_or_b64 exec, exec, s[0:1]
.LBB79_128:
	s_cmpk_lg_i32 s33, 0x1e00
	s_cselect_b64 s[0:1], -1, 0
	v_cndmask_b32_e64 v10, 0, 1, s[48:49]
	s_and_b64 s[0:1], s[34:35], s[0:1]
	v_cmp_eq_u32_e32 vcc, 0, v0
	v_sub_u32_e32 v1, v16, v10
	v_cndmask_b32_e64 v2, 0, 1, s[0:1]
	s_and_b64 s[0:1], vcc, s[48:49]
	v_add_u32_e32 v1, v1, v2
	v_cndmask_b32_e64 v2, v79, 0, s[0:1]
	s_mul_hi_u32 s0, s33, 0x88888889
	s_lshr_b32 s0, s0, 3
	v_mad_i32_i24 v3, v0, -15, s33
	v_cmp_eq_u32_e32 vcc, s0, v0
	v_cmp_ne_u32_e64 s[0:1], 0, v3
	s_and_b64 vcc, s[34:35], vcc
	s_mov_b32 s2, 0
	v_cndmask_b32_e64 v4, 1, v2, s[0:1]
	v_cmp_ne_u32_e64 s[0:1], 1, v3
	v_cndmask_b32_e32 v63, v2, v4, vcc
	s_movk_i32 s30, 0x200
	v_cndmask_b32_e64 v5, 1, v78, s[0:1]
	v_cmp_ne_u32_e64 s[0:1], 2, v3
	v_cndmask_b32_e32 v62, v78, v5, vcc
	v_lshlrev_b64 v[4:5], 3, v[52:53]
	v_cndmask_b32_e64 v6, 1, v77, s[0:1]
	v_cmp_ne_u32_e64 s[0:1], 3, v3
	v_cndmask_b32_e32 v61, v77, v6, vcc
	s_mov_b64 s[36:37], -1
	v_cndmask_b32_e64 v7, 1, v76, s[0:1]
	v_cmp_ne_u32_e64 s[0:1], 4, v3
	v_cndmask_b32_e32 v60, v76, v7, vcc
	v_lshlrev_b64 v[6:7], 3, v[18:19]
	v_cndmask_b32_e64 v8, 1, v75, s[0:1]
	v_cmp_ne_u32_e64 s[0:1], 5, v3
	v_cndmask_b32_e32 v59, v75, v8, vcc
	v_cmp_ne_u32_e64 s[28:29], 0, v63
	v_cndmask_b32_e64 v9, 1, v74, s[0:1]
	v_cmp_ne_u32_e64 s[0:1], 6, v3
	v_cndmask_b32_e32 v58, v74, v9, vcc
	v_cmp_ne_u32_e64 s[26:27], 0, v62
	v_cndmask_b32_e64 v11, 1, v73, s[0:1]
	v_cmp_ne_u32_e64 s[0:1], 7, v3
	v_cndmask_b32_e32 v57, v73, v11, vcc
	v_mov_b32_e32 v11, s2
	v_cndmask_b32_e64 v12, 1, v72, s[0:1]
	v_cmp_ne_u32_e64 s[0:1], 8, v3
	v_cndmask_b32_e32 v56, v72, v12, vcc
	v_lshl_add_u64 v[8:9], v[10:11], 0, -1
	v_cndmask_b32_e64 v13, 1, v71, s[0:1]
	v_cmp_ne_u32_e64 s[0:1], 9, v3
	v_cndmask_b32_e32 v13, v71, v13, vcc
	v_add_u32_e32 v12, v18, v10
	v_cndmask_b32_e64 v14, 1, v70, s[0:1]
	v_cmp_ne_u32_e64 s[0:1], 10, v3
	v_cndmask_b32_e32 v14, v70, v14, vcc
	v_cmp_ne_u32_e64 s[12:13], 0, v13
	v_cndmask_b32_e64 v15, 1, v69, s[0:1]
	v_cmp_ne_u32_e64 s[0:1], 11, v3
	v_cndmask_b32_e32 v15, v69, v15, vcc
	v_cmp_ne_u32_e64 s[24:25], 0, v61
	;; [unrolled: 4-line block ×5, first 2 shown]
	v_cndmask_b32_e64 v3, 1, v65, s[0:1]
	v_cndmask_b32_e32 v55, v65, v3, vcc
	v_cmp_eq_u32_e32 vcc, 0, v63
	v_lshl_add_u64 v[2:3], s[42:43], 0, v[4:5]
	v_lshl_add_u64 v[2:3], v[2:3], 0, v[6:7]
	v_cndmask_b32_e64 v10, 1, 2, vcc
	v_cmp_eq_u32_e32 vcc, 0, v62
	v_cmp_ne_u32_e64 s[16:17], 0, v57
	v_cmp_ne_u32_e64 s[14:15], 0, v56
	v_cndmask_b32_e64 v11, 1, 2, vcc
	v_cmp_eq_u32_e32 vcc, 0, v61
	v_and_b32_e32 v10, v11, v10
	v_cmp_ne_u32_e64 s[10:11], 0, v14
	v_cndmask_b32_e64 v11, 1, 2, vcc
	v_cmp_eq_u32_e32 vcc, 0, v60
	v_and_b32_e32 v10, v10, v11
	;; [unrolled: 4-line block ×7, first 2 shown]
	s_nop 0
	v_cndmask_b32_e64 v11, 1, 2, vcc
	v_cmp_eq_u32_e32 vcc, 0, v14
	v_and_b32_e32 v10, v10, v11
	s_barrier
	v_cndmask_b32_e64 v11, 1, 2, vcc
	v_cmp_eq_u32_e32 vcc, 0, v15
	v_and_b32_e32 v10, v10, v11
	s_nop 0
	v_cndmask_b32_e64 v11, 1, 2, vcc
	v_cmp_eq_u32_e32 vcc, 0, v17
	v_and_b32_e32 v10, v10, v11
	s_nop 0
	;; [unrolled: 4-line block ×5, first 2 shown]
	v_cndmask_b32_e64 v11, 1, 2, vcc
	v_and_b32_e32 v13, v10, v11
	v_cmp_gt_u32_e32 vcc, s30, v1
	v_cmp_gt_i16_e64 s[30:31], 2, v13
	s_cbranch_vccz .LBB79_135
; %bb.129:
	s_and_saveexec_b64 s[36:37], s[30:31]
	s_cbranch_execz .LBB79_134
; %bb.130:
	v_lshlrev_b64 v[10:11], 3, v[8:9]
	v_lshl_add_u64 v[10:11], v[2:3], 0, v[10:11]
	v_cmp_ne_u16_e32 vcc, 1, v13
	s_mov_b64 s[38:39], 0
	s_and_saveexec_b64 s[30:31], vcc
	s_xor_b64 s[30:31], exec, s[30:31]
	s_cbranch_execnz .LBB79_184
; %bb.131:
	s_andn2_saveexec_b64 s[30:31], s[30:31]
	s_cbranch_execnz .LBB79_200
.LBB79_132:
	s_or_b64 exec, exec, s[30:31]
	s_and_b64 exec, exec, s[38:39]
	s_cbranch_execz .LBB79_134
.LBB79_133:
	v_mov_b32_e32 v15, 0
	v_sub_u32_e32 v54, v24, v12
	v_mov_b32_e32 v55, v15
	v_mov_b32_e32 v14, v25
	v_lshl_add_u64 v[10:11], v[54:55], 3, v[10:11]
	global_store_dwordx2 v[10:11], v[14:15], off
.LBB79_134:
	s_or_b64 exec, exec, s[36:37]
	s_mov_b64 s[36:37], 0
.LBB79_135:
	s_and_b64 vcc, exec, s[36:37]
	s_cbranch_vccz .LBB79_145
; %bb.136:
	v_cmp_gt_i16_e32 vcc, 2, v13
	s_and_saveexec_b64 s[30:31], vcc
	s_cbranch_execz .LBB79_141
; %bb.137:
	v_cmp_ne_u16_e32 vcc, 1, v13
	s_mov_b64 s[38:39], 0
	s_and_saveexec_b64 s[36:37], vcc
	s_xor_b64 s[36:37], exec, s[36:37]
	s_cbranch_execnz .LBB79_201
; %bb.138:
	s_andn2_saveexec_b64 s[0:1], s[36:37]
	s_cbranch_execnz .LBB79_217
.LBB79_139:
	s_or_b64 exec, exec, s[0:1]
	s_and_b64 exec, exec, s[38:39]
	s_cbranch_execz .LBB79_141
.LBB79_140:
	v_sub_u32_e32 v10, v24, v12
	v_lshlrev_b32_e32 v10, 2, v10
	ds_write_b32 v10, v25
.LBB79_141:
	s_or_b64 exec, exec, s[30:31]
	v_cmp_lt_u32_e32 vcc, v0, v1
	s_waitcnt lgkmcnt(0)
	s_barrier
	s_and_saveexec_b64 s[0:1], vcc
	s_cbranch_execz .LBB79_144
; %bb.142:
	v_lshlrev_b64 v[8:9], 3, v[8:9]
	v_lshl_add_u64 v[4:5], v[4:5], 0, v[8:9]
	v_lshl_add_u64 v[6:7], v[4:5], 0, v[6:7]
	v_lshlrev_b32_e32 v4, 3, v0
	v_mov_b32_e32 v5, 0
	v_lshl_add_u64 v[6:7], s[42:43], 0, v[6:7]
	v_lshlrev_b32_e32 v10, 2, v0
	v_lshl_add_u64 v[6:7], v[6:7], 0, v[4:5]
	s_mov_b64 s[2:3], 0
	s_mov_b64 s[4:5], 0x1000
	v_mov_b32_e32 v8, v0
.LBB79_143:                             ; =>This Inner Loop Header: Depth=1
	ds_read_b32 v4, v10
	v_add_u32_e32 v8, 0x200, v8
	v_cmp_ge_u32_e32 vcc, v8, v1
	v_add_u32_e32 v10, 0x800, v10
	s_or_b64 s[2:3], vcc, s[2:3]
	s_waitcnt lgkmcnt(0)
	global_store_dwordx2 v[6:7], v[4:5], off
	v_lshl_add_u64 v[6:7], v[6:7], 0, s[4:5]
	s_andn2_b64 exec, exec, s[2:3]
	s_cbranch_execnz .LBB79_143
.LBB79_144:
	s_or_b64 exec, exec, s[0:1]
.LBB79_145:
	s_movk_i32 s0, 0x1ff
	v_cmp_eq_u32_e32 vcc, s0, v0
	s_and_b64 s[0:1], vcc, s[34:35]
	s_and_saveexec_b64 s[2:3], s[0:1]
	s_cbranch_execz .LBB79_148
; %bb.146:
	v_mov_b32_e32 v17, 0
	v_lshl_add_u64 v[0:1], v[16:17], 0, v[18:19]
	v_lshl_add_u64 v[0:1], v[0:1], 0, v[52:53]
	s_cmpk_lg_i32 s33, 0x1e00
	global_store_dwordx2 v17, v[0:1], s[44:45]
	s_cbranch_scc1 .LBB79_148
; %bb.147:
	v_lshlrev_b64 v[0:1], 3, v[16:17]
	v_mov_b32_e32 v21, v17
	v_lshl_add_u64 v[0:1], v[2:3], 0, v[0:1]
	global_store_dwordx2 v[0:1], v[20:21], off offset:-8
.LBB79_148:
	s_endpgm
.LBB79_149:
	s_or_b64 exec, exec, s[4:5]
	v_mov_b32_e32 v79, s3
	s_and_saveexec_b64 s[4:5], s[8:9]
	s_cbranch_execnz .LBB79_56
	s_branch .LBB79_57
.LBB79_150:
	s_and_saveexec_b64 s[38:39], s[28:29]
	s_cbranch_execnz .LBB79_218
; %bb.151:
	s_or_b64 exec, exec, s[38:39]
	s_and_saveexec_b64 s[38:39], s[26:27]
	s_cbranch_execnz .LBB79_219
.LBB79_152:
	s_or_b64 exec, exec, s[38:39]
	s_and_saveexec_b64 s[38:39], s[24:25]
	s_cbranch_execnz .LBB79_220
.LBB79_153:
	s_or_b64 exec, exec, s[38:39]
	s_and_saveexec_b64 s[38:39], s[22:23]
	s_cbranch_execnz .LBB79_221
.LBB79_154:
	s_or_b64 exec, exec, s[38:39]
	s_and_saveexec_b64 s[38:39], s[20:21]
	s_cbranch_execnz .LBB79_222
.LBB79_155:
	s_or_b64 exec, exec, s[38:39]
	s_and_saveexec_b64 s[38:39], s[18:19]
	s_cbranch_execnz .LBB79_223
.LBB79_156:
	s_or_b64 exec, exec, s[38:39]
	s_and_saveexec_b64 s[38:39], s[16:17]
	s_cbranch_execnz .LBB79_224
.LBB79_157:
	s_or_b64 exec, exec, s[38:39]
	s_and_saveexec_b64 s[38:39], s[14:15]
	s_cbranch_execnz .LBB79_225
.LBB79_158:
	s_or_b64 exec, exec, s[38:39]
	s_and_saveexec_b64 s[38:39], s[12:13]
	s_cbranch_execnz .LBB79_226
.LBB79_159:
	s_or_b64 exec, exec, s[38:39]
	s_and_saveexec_b64 s[38:39], s[10:11]
	s_cbranch_execnz .LBB79_227
.LBB79_160:
	s_or_b64 exec, exec, s[38:39]
	s_and_saveexec_b64 s[38:39], s[8:9]
	s_cbranch_execnz .LBB79_228
.LBB79_161:
	s_or_b64 exec, exec, s[38:39]
	s_and_saveexec_b64 s[38:39], s[6:7]
	s_cbranch_execnz .LBB79_229
.LBB79_162:
	s_or_b64 exec, exec, s[38:39]
	s_and_saveexec_b64 s[38:39], s[4:5]
	s_cbranch_execnz .LBB79_230
.LBB79_163:
	s_or_b64 exec, exec, s[38:39]
	s_and_saveexec_b64 s[38:39], s[2:3]
	s_cbranch_execz .LBB79_165
.LBB79_164:
	v_sub_u32_e32 v3, v22, v18
	v_readfirstlane_b32 s40, v54
	v_readfirstlane_b32 s41, v55
	s_nop 4
	global_store_byte v3, v11, s[40:41]
.LBB79_165:
	s_or_b64 exec, exec, s[38:39]
	s_and_b64 s[38:39], s[0:1], exec
	s_andn2_saveexec_b64 s[30:31], s[30:31]
	s_cbranch_execz .LBB79_106
.LBB79_166:
	v_sub_u32_e32 v3, v50, v18
	v_readfirstlane_b32 s40, v54
	v_readfirstlane_b32 s41, v55
	s_or_b64 s[38:39], s[38:39], exec
	s_nop 3
	global_store_byte v3, v8, s[40:41]
	v_sub_u32_e32 v3, v48, v18
	global_store_byte v3, v64, s[40:41]
	v_sub_u32_e32 v3, v46, v18
	;; [unrolled: 2-line block ×13, first 2 shown]
	global_store_byte v3, v11, s[40:41]
	s_or_b64 exec, exec, s[30:31]
	s_and_b64 exec, exec, s[38:39]
	s_cbranch_execnz .LBB79_107
	s_branch .LBB79_108
.LBB79_167:
	s_and_saveexec_b64 s[38:39], s[28:29]
	s_cbranch_execnz .LBB79_231
; %bb.168:
	s_or_b64 exec, exec, s[38:39]
	s_and_saveexec_b64 s[28:29], s[26:27]
	s_cbranch_execnz .LBB79_232
.LBB79_169:
	s_or_b64 exec, exec, s[28:29]
	s_and_saveexec_b64 s[26:27], s[24:25]
	s_cbranch_execnz .LBB79_233
.LBB79_170:
	s_or_b64 exec, exec, s[26:27]
	s_and_saveexec_b64 s[24:25], s[22:23]
	s_cbranch_execnz .LBB79_234
.LBB79_171:
	s_or_b64 exec, exec, s[24:25]
	s_and_saveexec_b64 s[22:23], s[20:21]
	s_cbranch_execnz .LBB79_235
.LBB79_172:
	s_or_b64 exec, exec, s[22:23]
	s_and_saveexec_b64 s[20:21], s[18:19]
	s_cbranch_execnz .LBB79_236
.LBB79_173:
	s_or_b64 exec, exec, s[20:21]
	s_and_saveexec_b64 s[18:19], s[16:17]
	s_cbranch_execnz .LBB79_237
.LBB79_174:
	s_or_b64 exec, exec, s[18:19]
	s_and_saveexec_b64 s[16:17], s[14:15]
	s_cbranch_execnz .LBB79_238
.LBB79_175:
	s_or_b64 exec, exec, s[16:17]
	s_and_saveexec_b64 s[14:15], s[12:13]
	s_cbranch_execnz .LBB79_239
.LBB79_176:
	s_or_b64 exec, exec, s[14:15]
	s_and_saveexec_b64 s[12:13], s[10:11]
	s_cbranch_execnz .LBB79_240
.LBB79_177:
	s_or_b64 exec, exec, s[12:13]
	s_and_saveexec_b64 s[10:11], s[8:9]
	s_cbranch_execnz .LBB79_241
.LBB79_178:
	s_or_b64 exec, exec, s[10:11]
	s_and_saveexec_b64 s[8:9], s[6:7]
	s_cbranch_execnz .LBB79_242
.LBB79_179:
	s_or_b64 exec, exec, s[8:9]
	s_and_saveexec_b64 s[6:7], s[4:5]
	s_cbranch_execnz .LBB79_243
.LBB79_180:
	s_or_b64 exec, exec, s[6:7]
	s_and_saveexec_b64 s[4:5], s[2:3]
	s_cbranch_execz .LBB79_182
.LBB79_181:
	v_sub_u32_e32 v2, v22, v18
	ds_write_b8 v2, v11
.LBB79_182:
	s_or_b64 exec, exec, s[4:5]
	s_and_b64 s[38:39], s[0:1], exec
                                        ; implicit-def: $vgpr11
                                        ; implicit-def: $vgpr21
                                        ; implicit-def: $vgpr56
                                        ; implicit-def: $vgpr57
                                        ; implicit-def: $vgpr58
                                        ; implicit-def: $vgpr10
                                        ; implicit-def: $vgpr59
                                        ; implicit-def: $vgpr60
                                        ; implicit-def: $vgpr61
                                        ; implicit-def: $vgpr62
                                        ; implicit-def: $vgpr63
                                        ; implicit-def: $vgpr64
	s_andn2_saveexec_b64 s[0:1], s[36:37]
	s_cbranch_execz .LBB79_113
.LBB79_183:
	v_sub_u32_e32 v2, v50, v18
	ds_write_b8 v2, v8
	v_sub_u32_e32 v2, v48, v18
	ds_write_b8 v2, v64
	;; [unrolled: 2-line block ×13, first 2 shown]
	v_sub_u32_e32 v2, v22, v18
	s_or_b64 s[38:39], s[38:39], exec
	ds_write_b8 v2, v11
	s_or_b64 exec, exec, s[0:1]
	s_and_b64 exec, exec, s[38:39]
	s_cbranch_execnz .LBB79_114
	s_branch .LBB79_115
.LBB79_184:
	s_and_saveexec_b64 s[38:39], s[28:29]
	s_cbranch_execnz .LBB79_244
; %bb.185:
	s_or_b64 exec, exec, s[38:39]
	s_and_saveexec_b64 s[38:39], s[26:27]
	s_cbranch_execnz .LBB79_245
.LBB79_186:
	s_or_b64 exec, exec, s[38:39]
	s_and_saveexec_b64 s[38:39], s[24:25]
	s_cbranch_execnz .LBB79_246
.LBB79_187:
	s_or_b64 exec, exec, s[38:39]
	s_and_saveexec_b64 s[38:39], s[22:23]
	s_cbranch_execnz .LBB79_247
.LBB79_188:
	s_or_b64 exec, exec, s[38:39]
	s_and_saveexec_b64 s[38:39], s[20:21]
	s_cbranch_execnz .LBB79_248
.LBB79_189:
	s_or_b64 exec, exec, s[38:39]
	s_and_saveexec_b64 s[38:39], s[18:19]
	s_cbranch_execnz .LBB79_249
.LBB79_190:
	s_or_b64 exec, exec, s[38:39]
	s_and_saveexec_b64 s[38:39], s[16:17]
	s_cbranch_execnz .LBB79_250
.LBB79_191:
	s_or_b64 exec, exec, s[38:39]
	s_and_saveexec_b64 s[38:39], s[14:15]
	s_cbranch_execnz .LBB79_251
.LBB79_192:
	s_or_b64 exec, exec, s[38:39]
	s_and_saveexec_b64 s[38:39], s[12:13]
	s_cbranch_execnz .LBB79_252
.LBB79_193:
	s_or_b64 exec, exec, s[38:39]
	s_and_saveexec_b64 s[38:39], s[10:11]
	s_cbranch_execnz .LBB79_253
.LBB79_194:
	s_or_b64 exec, exec, s[38:39]
	s_and_saveexec_b64 s[38:39], s[8:9]
	s_cbranch_execnz .LBB79_254
.LBB79_195:
	s_or_b64 exec, exec, s[38:39]
	s_and_saveexec_b64 s[38:39], s[6:7]
	s_cbranch_execnz .LBB79_255
.LBB79_196:
	s_or_b64 exec, exec, s[38:39]
	s_and_saveexec_b64 s[38:39], s[4:5]
	s_cbranch_execnz .LBB79_256
.LBB79_197:
	s_or_b64 exec, exec, s[38:39]
	s_and_saveexec_b64 s[38:39], s[2:3]
	s_cbranch_execz .LBB79_199
.LBB79_198:
	v_sub_u32_e32 v14, v22, v12
	v_mov_b32_e32 v15, 0
	v_lshl_add_u64 v[54:55], v[14:15], 3, v[10:11]
	v_mov_b32_e32 v14, v23
	global_store_dwordx2 v[54:55], v[14:15], off
.LBB79_199:
	s_or_b64 exec, exec, s[38:39]
	s_and_b64 s[38:39], s[0:1], exec
	s_andn2_saveexec_b64 s[30:31], s[30:31]
	s_cbranch_execz .LBB79_132
.LBB79_200:
	v_mov_b32_e32 v15, 0
	v_sub_u32_e32 v54, v50, v12
	v_mov_b32_e32 v55, v15
	v_mov_b32_e32 v14, v51
	v_lshl_add_u64 v[54:55], v[54:55], 3, v[10:11]
	global_store_dwordx2 v[54:55], v[14:15], off
	v_sub_u32_e32 v54, v48, v12
	v_mov_b32_e32 v55, v15
	v_mov_b32_e32 v14, v49
	v_lshl_add_u64 v[54:55], v[54:55], 3, v[10:11]
	global_store_dwordx2 v[54:55], v[14:15], off
	;; [unrolled: 5-line block ×13, first 2 shown]
	v_sub_u32_e32 v54, v22, v12
	v_mov_b32_e32 v55, v15
	v_mov_b32_e32 v14, v23
	v_lshl_add_u64 v[54:55], v[54:55], 3, v[10:11]
	s_or_b64 s[38:39], s[38:39], exec
	global_store_dwordx2 v[54:55], v[14:15], off
	s_or_b64 exec, exec, s[30:31]
	s_and_b64 exec, exec, s[38:39]
	s_cbranch_execnz .LBB79_133
	s_branch .LBB79_134
.LBB79_201:
	s_and_saveexec_b64 s[38:39], s[28:29]
	s_cbranch_execnz .LBB79_257
; %bb.202:
	s_or_b64 exec, exec, s[38:39]
	s_and_saveexec_b64 s[28:29], s[26:27]
	s_cbranch_execnz .LBB79_258
.LBB79_203:
	s_or_b64 exec, exec, s[28:29]
	s_and_saveexec_b64 s[26:27], s[24:25]
	s_cbranch_execnz .LBB79_259
.LBB79_204:
	s_or_b64 exec, exec, s[26:27]
	s_and_saveexec_b64 s[24:25], s[22:23]
	s_cbranch_execnz .LBB79_260
.LBB79_205:
	s_or_b64 exec, exec, s[24:25]
	s_and_saveexec_b64 s[22:23], s[20:21]
	s_cbranch_execnz .LBB79_261
.LBB79_206:
	s_or_b64 exec, exec, s[22:23]
	s_and_saveexec_b64 s[20:21], s[18:19]
	s_cbranch_execnz .LBB79_262
.LBB79_207:
	s_or_b64 exec, exec, s[20:21]
	s_and_saveexec_b64 s[18:19], s[16:17]
	s_cbranch_execnz .LBB79_263
.LBB79_208:
	s_or_b64 exec, exec, s[18:19]
	s_and_saveexec_b64 s[16:17], s[14:15]
	s_cbranch_execnz .LBB79_264
.LBB79_209:
	s_or_b64 exec, exec, s[16:17]
	s_and_saveexec_b64 s[14:15], s[12:13]
	s_cbranch_execnz .LBB79_265
.LBB79_210:
	s_or_b64 exec, exec, s[14:15]
	s_and_saveexec_b64 s[12:13], s[10:11]
	s_cbranch_execnz .LBB79_266
.LBB79_211:
	s_or_b64 exec, exec, s[12:13]
	s_and_saveexec_b64 s[10:11], s[8:9]
	s_cbranch_execnz .LBB79_267
.LBB79_212:
	s_or_b64 exec, exec, s[10:11]
	s_and_saveexec_b64 s[8:9], s[6:7]
	s_cbranch_execnz .LBB79_268
.LBB79_213:
	s_or_b64 exec, exec, s[8:9]
	s_and_saveexec_b64 s[6:7], s[4:5]
	s_cbranch_execnz .LBB79_269
.LBB79_214:
	s_or_b64 exec, exec, s[6:7]
	s_and_saveexec_b64 s[4:5], s[2:3]
	s_cbranch_execz .LBB79_216
.LBB79_215:
	v_sub_u32_e32 v10, v22, v12
	v_lshlrev_b32_e32 v10, 2, v10
	ds_write_b32 v10, v23
.LBB79_216:
	s_or_b64 exec, exec, s[4:5]
	s_and_b64 s[38:39], s[0:1], exec
                                        ; implicit-def: $vgpr22_vgpr23
                                        ; implicit-def: $vgpr26_vgpr27
                                        ; implicit-def: $vgpr28_vgpr29
                                        ; implicit-def: $vgpr50_vgpr51
                                        ; implicit-def: $vgpr48_vgpr49
                                        ; implicit-def: $vgpr46_vgpr47
                                        ; implicit-def: $vgpr44_vgpr45
                                        ; implicit-def: $vgpr42_vgpr43
                                        ; implicit-def: $vgpr40_vgpr41
                                        ; implicit-def: $vgpr38_vgpr39
                                        ; implicit-def: $vgpr36_vgpr37
                                        ; implicit-def: $vgpr34_vgpr35
                                        ; implicit-def: $vgpr32_vgpr33
                                        ; implicit-def: $vgpr30_vgpr31
	s_andn2_saveexec_b64 s[0:1], s[36:37]
	s_cbranch_execz .LBB79_139
.LBB79_217:
	v_sub_u32_e32 v10, v50, v12
	v_lshlrev_b32_e32 v10, 2, v10
	ds_write_b32 v10, v51
	v_sub_u32_e32 v10, v48, v12
	v_lshlrev_b32_e32 v10, 2, v10
	ds_write_b32 v10, v49
	;; [unrolled: 3-line block ×13, first 2 shown]
	v_sub_u32_e32 v10, v22, v12
	v_lshlrev_b32_e32 v10, 2, v10
	s_or_b64 s[38:39], s[38:39], exec
	ds_write_b32 v10, v23
	s_or_b64 exec, exec, s[0:1]
	s_and_b64 exec, exec, s[38:39]
	s_cbranch_execnz .LBB79_140
	s_branch .LBB79_141
.LBB79_218:
	v_sub_u32_e32 v3, v50, v18
	v_readfirstlane_b32 s40, v54
	v_readfirstlane_b32 s41, v55
	s_nop 4
	global_store_byte v3, v8, s[40:41]
	s_or_b64 exec, exec, s[38:39]
	s_and_saveexec_b64 s[38:39], s[26:27]
	s_cbranch_execz .LBB79_152
.LBB79_219:
	v_sub_u32_e32 v3, v48, v18
	v_readfirstlane_b32 s40, v54
	v_readfirstlane_b32 s41, v55
	s_nop 4
	global_store_byte v3, v64, s[40:41]
	s_or_b64 exec, exec, s[38:39]
	s_and_saveexec_b64 s[38:39], s[24:25]
	s_cbranch_execz .LBB79_153
.LBB79_220:
	v_sub_u32_e32 v3, v46, v18
	v_readfirstlane_b32 s40, v54
	v_readfirstlane_b32 s41, v55
	s_nop 4
	global_store_byte v3, v63, s[40:41]
	s_or_b64 exec, exec, s[38:39]
	s_and_saveexec_b64 s[38:39], s[22:23]
	s_cbranch_execz .LBB79_154
.LBB79_221:
	v_sub_u32_e32 v3, v44, v18
	v_readfirstlane_b32 s40, v54
	v_readfirstlane_b32 s41, v55
	s_nop 4
	global_store_byte v3, v62, s[40:41]
	s_or_b64 exec, exec, s[38:39]
	s_and_saveexec_b64 s[38:39], s[20:21]
	s_cbranch_execz .LBB79_155
.LBB79_222:
	v_sub_u32_e32 v3, v42, v18
	v_readfirstlane_b32 s40, v54
	v_readfirstlane_b32 s41, v55
	s_nop 4
	global_store_byte v3, v9, s[40:41]
	s_or_b64 exec, exec, s[38:39]
	s_and_saveexec_b64 s[38:39], s[18:19]
	s_cbranch_execz .LBB79_156
.LBB79_223:
	v_sub_u32_e32 v3, v40, v18
	v_readfirstlane_b32 s40, v54
	v_readfirstlane_b32 s41, v55
	s_nop 4
	global_store_byte v3, v61, s[40:41]
	s_or_b64 exec, exec, s[38:39]
	s_and_saveexec_b64 s[38:39], s[16:17]
	s_cbranch_execz .LBB79_157
.LBB79_224:
	v_sub_u32_e32 v3, v38, v18
	v_readfirstlane_b32 s40, v54
	v_readfirstlane_b32 s41, v55
	s_nop 4
	global_store_byte v3, v60, s[40:41]
	s_or_b64 exec, exec, s[38:39]
	s_and_saveexec_b64 s[38:39], s[14:15]
	s_cbranch_execz .LBB79_158
.LBB79_225:
	v_sub_u32_e32 v3, v36, v18
	v_readfirstlane_b32 s40, v54
	v_readfirstlane_b32 s41, v55
	s_nop 4
	global_store_byte v3, v59, s[40:41]
	s_or_b64 exec, exec, s[38:39]
	s_and_saveexec_b64 s[38:39], s[12:13]
	s_cbranch_execz .LBB79_159
.LBB79_226:
	v_sub_u32_e32 v3, v34, v18
	v_readfirstlane_b32 s40, v54
	v_readfirstlane_b32 s41, v55
	s_nop 4
	global_store_byte v3, v10, s[40:41]
	s_or_b64 exec, exec, s[38:39]
	s_and_saveexec_b64 s[38:39], s[10:11]
	s_cbranch_execz .LBB79_160
.LBB79_227:
	v_sub_u32_e32 v3, v32, v18
	v_readfirstlane_b32 s40, v54
	v_readfirstlane_b32 s41, v55
	s_nop 4
	global_store_byte v3, v58, s[40:41]
	s_or_b64 exec, exec, s[38:39]
	s_and_saveexec_b64 s[38:39], s[8:9]
	s_cbranch_execz .LBB79_161
.LBB79_228:
	v_sub_u32_e32 v3, v30, v18
	v_readfirstlane_b32 s40, v54
	v_readfirstlane_b32 s41, v55
	s_nop 4
	global_store_byte v3, v57, s[40:41]
	s_or_b64 exec, exec, s[38:39]
	s_and_saveexec_b64 s[38:39], s[6:7]
	s_cbranch_execz .LBB79_162
.LBB79_229:
	v_sub_u32_e32 v3, v28, v18
	v_readfirstlane_b32 s40, v54
	v_readfirstlane_b32 s41, v55
	s_nop 4
	global_store_byte v3, v56, s[40:41]
	s_or_b64 exec, exec, s[38:39]
	s_and_saveexec_b64 s[38:39], s[4:5]
	s_cbranch_execz .LBB79_163
.LBB79_230:
	v_sub_u32_e32 v3, v26, v18
	v_readfirstlane_b32 s40, v54
	v_readfirstlane_b32 s41, v55
	s_nop 4
	global_store_byte v3, v21, s[40:41]
	s_or_b64 exec, exec, s[38:39]
	s_and_saveexec_b64 s[38:39], s[2:3]
	s_cbranch_execnz .LBB79_164
	s_branch .LBB79_165
.LBB79_231:
	v_sub_u32_e32 v2, v50, v18
	ds_write_b8 v2, v8
	s_or_b64 exec, exec, s[38:39]
	s_and_saveexec_b64 s[28:29], s[26:27]
	s_cbranch_execz .LBB79_169
.LBB79_232:
	v_sub_u32_e32 v2, v48, v18
	ds_write_b8 v2, v64
	s_or_b64 exec, exec, s[28:29]
	s_and_saveexec_b64 s[26:27], s[24:25]
	s_cbranch_execz .LBB79_170
.LBB79_233:
	v_sub_u32_e32 v2, v46, v18
	ds_write_b8 v2, v63
	s_or_b64 exec, exec, s[26:27]
	s_and_saveexec_b64 s[24:25], s[22:23]
	s_cbranch_execz .LBB79_171
.LBB79_234:
	v_sub_u32_e32 v2, v44, v18
	ds_write_b8 v2, v62
	s_or_b64 exec, exec, s[24:25]
	s_and_saveexec_b64 s[22:23], s[20:21]
	s_cbranch_execz .LBB79_172
.LBB79_235:
	v_sub_u32_e32 v2, v42, v18
	ds_write_b8 v2, v9
	s_or_b64 exec, exec, s[22:23]
	s_and_saveexec_b64 s[20:21], s[18:19]
	s_cbranch_execz .LBB79_173
.LBB79_236:
	v_sub_u32_e32 v2, v40, v18
	ds_write_b8 v2, v61
	s_or_b64 exec, exec, s[20:21]
	s_and_saveexec_b64 s[18:19], s[16:17]
	s_cbranch_execz .LBB79_174
.LBB79_237:
	v_sub_u32_e32 v2, v38, v18
	ds_write_b8 v2, v60
	s_or_b64 exec, exec, s[18:19]
	s_and_saveexec_b64 s[16:17], s[14:15]
	s_cbranch_execz .LBB79_175
.LBB79_238:
	v_sub_u32_e32 v2, v36, v18
	ds_write_b8 v2, v59
	s_or_b64 exec, exec, s[16:17]
	s_and_saveexec_b64 s[14:15], s[12:13]
	s_cbranch_execz .LBB79_176
.LBB79_239:
	v_sub_u32_e32 v2, v34, v18
	ds_write_b8 v2, v10
	s_or_b64 exec, exec, s[14:15]
	s_and_saveexec_b64 s[12:13], s[10:11]
	s_cbranch_execz .LBB79_177
.LBB79_240:
	v_sub_u32_e32 v2, v32, v18
	ds_write_b8 v2, v58
	s_or_b64 exec, exec, s[12:13]
	s_and_saveexec_b64 s[10:11], s[8:9]
	s_cbranch_execz .LBB79_178
.LBB79_241:
	v_sub_u32_e32 v2, v30, v18
	ds_write_b8 v2, v57
	s_or_b64 exec, exec, s[10:11]
	s_and_saveexec_b64 s[8:9], s[6:7]
	s_cbranch_execz .LBB79_179
.LBB79_242:
	v_sub_u32_e32 v2, v28, v18
	ds_write_b8 v2, v56
	s_or_b64 exec, exec, s[8:9]
	s_and_saveexec_b64 s[6:7], s[4:5]
	s_cbranch_execz .LBB79_180
.LBB79_243:
	v_sub_u32_e32 v2, v26, v18
	ds_write_b8 v2, v21
	s_or_b64 exec, exec, s[6:7]
	s_and_saveexec_b64 s[4:5], s[2:3]
	s_cbranch_execnz .LBB79_181
	s_branch .LBB79_182
.LBB79_244:
	v_sub_u32_e32 v14, v50, v12
	v_mov_b32_e32 v15, 0
	v_lshl_add_u64 v[54:55], v[14:15], 3, v[10:11]
	v_mov_b32_e32 v14, v51
	global_store_dwordx2 v[54:55], v[14:15], off
	s_or_b64 exec, exec, s[38:39]
	s_and_saveexec_b64 s[38:39], s[26:27]
	s_cbranch_execz .LBB79_186
.LBB79_245:
	v_sub_u32_e32 v14, v48, v12
	v_mov_b32_e32 v15, 0
	v_lshl_add_u64 v[54:55], v[14:15], 3, v[10:11]
	v_mov_b32_e32 v14, v49
	global_store_dwordx2 v[54:55], v[14:15], off
	s_or_b64 exec, exec, s[38:39]
	s_and_saveexec_b64 s[38:39], s[24:25]
	s_cbranch_execz .LBB79_187
.LBB79_246:
	v_sub_u32_e32 v14, v46, v12
	v_mov_b32_e32 v15, 0
	v_lshl_add_u64 v[54:55], v[14:15], 3, v[10:11]
	v_mov_b32_e32 v14, v47
	global_store_dwordx2 v[54:55], v[14:15], off
	s_or_b64 exec, exec, s[38:39]
	s_and_saveexec_b64 s[38:39], s[22:23]
	s_cbranch_execz .LBB79_188
.LBB79_247:
	v_sub_u32_e32 v14, v44, v12
	v_mov_b32_e32 v15, 0
	v_lshl_add_u64 v[54:55], v[14:15], 3, v[10:11]
	v_mov_b32_e32 v14, v45
	global_store_dwordx2 v[54:55], v[14:15], off
	s_or_b64 exec, exec, s[38:39]
	s_and_saveexec_b64 s[38:39], s[20:21]
	s_cbranch_execz .LBB79_189
.LBB79_248:
	v_sub_u32_e32 v14, v42, v12
	v_mov_b32_e32 v15, 0
	v_lshl_add_u64 v[54:55], v[14:15], 3, v[10:11]
	v_mov_b32_e32 v14, v43
	global_store_dwordx2 v[54:55], v[14:15], off
	s_or_b64 exec, exec, s[38:39]
	s_and_saveexec_b64 s[38:39], s[18:19]
	s_cbranch_execz .LBB79_190
.LBB79_249:
	v_sub_u32_e32 v14, v40, v12
	v_mov_b32_e32 v15, 0
	v_lshl_add_u64 v[54:55], v[14:15], 3, v[10:11]
	v_mov_b32_e32 v14, v41
	global_store_dwordx2 v[54:55], v[14:15], off
	s_or_b64 exec, exec, s[38:39]
	s_and_saveexec_b64 s[38:39], s[16:17]
	s_cbranch_execz .LBB79_191
.LBB79_250:
	v_sub_u32_e32 v14, v38, v12
	v_mov_b32_e32 v15, 0
	v_lshl_add_u64 v[54:55], v[14:15], 3, v[10:11]
	v_mov_b32_e32 v14, v39
	global_store_dwordx2 v[54:55], v[14:15], off
	s_or_b64 exec, exec, s[38:39]
	s_and_saveexec_b64 s[38:39], s[14:15]
	s_cbranch_execz .LBB79_192
.LBB79_251:
	v_sub_u32_e32 v14, v36, v12
	v_mov_b32_e32 v15, 0
	v_lshl_add_u64 v[54:55], v[14:15], 3, v[10:11]
	v_mov_b32_e32 v14, v37
	global_store_dwordx2 v[54:55], v[14:15], off
	s_or_b64 exec, exec, s[38:39]
	s_and_saveexec_b64 s[38:39], s[12:13]
	s_cbranch_execz .LBB79_193
.LBB79_252:
	v_sub_u32_e32 v14, v34, v12
	v_mov_b32_e32 v15, 0
	v_lshl_add_u64 v[54:55], v[14:15], 3, v[10:11]
	v_mov_b32_e32 v14, v35
	global_store_dwordx2 v[54:55], v[14:15], off
	s_or_b64 exec, exec, s[38:39]
	s_and_saveexec_b64 s[38:39], s[10:11]
	s_cbranch_execz .LBB79_194
.LBB79_253:
	v_sub_u32_e32 v14, v32, v12
	v_mov_b32_e32 v15, 0
	v_lshl_add_u64 v[54:55], v[14:15], 3, v[10:11]
	v_mov_b32_e32 v14, v33
	global_store_dwordx2 v[54:55], v[14:15], off
	s_or_b64 exec, exec, s[38:39]
	s_and_saveexec_b64 s[38:39], s[8:9]
	s_cbranch_execz .LBB79_195
.LBB79_254:
	v_sub_u32_e32 v14, v30, v12
	v_mov_b32_e32 v15, 0
	v_lshl_add_u64 v[54:55], v[14:15], 3, v[10:11]
	v_mov_b32_e32 v14, v31
	global_store_dwordx2 v[54:55], v[14:15], off
	s_or_b64 exec, exec, s[38:39]
	s_and_saveexec_b64 s[38:39], s[6:7]
	s_cbranch_execz .LBB79_196
.LBB79_255:
	v_sub_u32_e32 v14, v28, v12
	v_mov_b32_e32 v15, 0
	v_lshl_add_u64 v[54:55], v[14:15], 3, v[10:11]
	v_mov_b32_e32 v14, v29
	global_store_dwordx2 v[54:55], v[14:15], off
	s_or_b64 exec, exec, s[38:39]
	s_and_saveexec_b64 s[38:39], s[4:5]
	s_cbranch_execz .LBB79_197
.LBB79_256:
	v_sub_u32_e32 v14, v26, v12
	v_mov_b32_e32 v15, 0
	v_lshl_add_u64 v[54:55], v[14:15], 3, v[10:11]
	v_mov_b32_e32 v14, v27
	global_store_dwordx2 v[54:55], v[14:15], off
	s_or_b64 exec, exec, s[38:39]
	s_and_saveexec_b64 s[38:39], s[2:3]
	s_cbranch_execnz .LBB79_198
	s_branch .LBB79_199
.LBB79_257:
	v_sub_u32_e32 v10, v50, v12
	v_lshlrev_b32_e32 v10, 2, v10
	ds_write_b32 v10, v51
	s_or_b64 exec, exec, s[38:39]
	s_and_saveexec_b64 s[28:29], s[26:27]
	s_cbranch_execz .LBB79_203
.LBB79_258:
	v_sub_u32_e32 v10, v48, v12
	v_lshlrev_b32_e32 v10, 2, v10
	ds_write_b32 v10, v49
	s_or_b64 exec, exec, s[28:29]
	s_and_saveexec_b64 s[26:27], s[24:25]
	s_cbranch_execz .LBB79_204
.LBB79_259:
	v_sub_u32_e32 v10, v46, v12
	v_lshlrev_b32_e32 v10, 2, v10
	ds_write_b32 v10, v47
	s_or_b64 exec, exec, s[26:27]
	s_and_saveexec_b64 s[24:25], s[22:23]
	s_cbranch_execz .LBB79_205
.LBB79_260:
	v_sub_u32_e32 v10, v44, v12
	v_lshlrev_b32_e32 v10, 2, v10
	ds_write_b32 v10, v45
	s_or_b64 exec, exec, s[24:25]
	s_and_saveexec_b64 s[22:23], s[20:21]
	s_cbranch_execz .LBB79_206
.LBB79_261:
	v_sub_u32_e32 v10, v42, v12
	v_lshlrev_b32_e32 v10, 2, v10
	ds_write_b32 v10, v43
	s_or_b64 exec, exec, s[22:23]
	s_and_saveexec_b64 s[20:21], s[18:19]
	s_cbranch_execz .LBB79_207
.LBB79_262:
	v_sub_u32_e32 v10, v40, v12
	v_lshlrev_b32_e32 v10, 2, v10
	ds_write_b32 v10, v41
	s_or_b64 exec, exec, s[20:21]
	s_and_saveexec_b64 s[18:19], s[16:17]
	s_cbranch_execz .LBB79_208
.LBB79_263:
	v_sub_u32_e32 v10, v38, v12
	v_lshlrev_b32_e32 v10, 2, v10
	ds_write_b32 v10, v39
	s_or_b64 exec, exec, s[18:19]
	s_and_saveexec_b64 s[16:17], s[14:15]
	s_cbranch_execz .LBB79_209
.LBB79_264:
	v_sub_u32_e32 v10, v36, v12
	v_lshlrev_b32_e32 v10, 2, v10
	ds_write_b32 v10, v37
	s_or_b64 exec, exec, s[16:17]
	s_and_saveexec_b64 s[14:15], s[12:13]
	s_cbranch_execz .LBB79_210
.LBB79_265:
	v_sub_u32_e32 v10, v34, v12
	v_lshlrev_b32_e32 v10, 2, v10
	ds_write_b32 v10, v35
	s_or_b64 exec, exec, s[14:15]
	s_and_saveexec_b64 s[12:13], s[10:11]
	s_cbranch_execz .LBB79_211
.LBB79_266:
	v_sub_u32_e32 v10, v32, v12
	v_lshlrev_b32_e32 v10, 2, v10
	ds_write_b32 v10, v33
	s_or_b64 exec, exec, s[12:13]
	s_and_saveexec_b64 s[10:11], s[8:9]
	s_cbranch_execz .LBB79_212
.LBB79_267:
	v_sub_u32_e32 v10, v30, v12
	v_lshlrev_b32_e32 v10, 2, v10
	ds_write_b32 v10, v31
	s_or_b64 exec, exec, s[10:11]
	s_and_saveexec_b64 s[8:9], s[6:7]
	s_cbranch_execz .LBB79_213
.LBB79_268:
	v_sub_u32_e32 v10, v28, v12
	v_lshlrev_b32_e32 v10, 2, v10
	ds_write_b32 v10, v29
	s_or_b64 exec, exec, s[8:9]
	s_and_saveexec_b64 s[6:7], s[4:5]
	s_cbranch_execz .LBB79_214
.LBB79_269:
	v_sub_u32_e32 v10, v26, v12
	v_lshlrev_b32_e32 v10, 2, v10
	ds_write_b32 v10, v27
	s_or_b64 exec, exec, s[6:7]
	s_and_saveexec_b64 s[4:5], s[2:3]
	s_cbranch_execnz .LBB79_215
	s_branch .LBB79_216
	.section	.rodata,"a",@progbits
	.p2align	6, 0x0
	.amdhsa_kernel _ZN7rocprim17ROCPRIM_400000_NS6detail17trampoline_kernelINS0_14default_configENS1_33run_length_encode_config_selectorIbjNS0_4plusIjEEEEZZNS1_33reduce_by_key_impl_wrapped_configILNS1_25lookback_scan_determinismE0ES3_S7_N6hipcub16HIPCUB_304000_NS22TransformInputIteratorIbN2at6native8internal12_GLOBAL__N_110LoadBoolOpEPKhlEENS0_17constant_iteratorIjlEEPbPlSO_S6_NS0_8equal_toIbEEEE10hipError_tPvRmT2_T3_mT4_T5_T6_T7_T8_P12ihipStream_tbENKUlT_T0_E_clISt17integral_constantIbLb1EES17_IbLb0EEEEDaS13_S14_EUlS13_E_NS1_11comp_targetILNS1_3genE5ELNS1_11target_archE942ELNS1_3gpuE9ELNS1_3repE0EEENS1_30default_config_static_selectorELNS0_4arch9wavefront6targetE1EEEvT1_
		.amdhsa_group_segment_fixed_size 30720
		.amdhsa_private_segment_fixed_size 0
		.amdhsa_kernarg_size 136
		.amdhsa_user_sgpr_count 2
		.amdhsa_user_sgpr_dispatch_ptr 0
		.amdhsa_user_sgpr_queue_ptr 0
		.amdhsa_user_sgpr_kernarg_segment_ptr 1
		.amdhsa_user_sgpr_dispatch_id 0
		.amdhsa_user_sgpr_kernarg_preload_length 0
		.amdhsa_user_sgpr_kernarg_preload_offset 0
		.amdhsa_user_sgpr_private_segment_size 0
		.amdhsa_uses_dynamic_stack 0
		.amdhsa_enable_private_segment 0
		.amdhsa_system_sgpr_workgroup_id_x 1
		.amdhsa_system_sgpr_workgroup_id_y 0
		.amdhsa_system_sgpr_workgroup_id_z 0
		.amdhsa_system_sgpr_workgroup_info 0
		.amdhsa_system_vgpr_workitem_id 0
		.amdhsa_next_free_vgpr 110
		.amdhsa_next_free_sgpr 64
		.amdhsa_accum_offset 112
		.amdhsa_reserve_vcc 1
		.amdhsa_float_round_mode_32 0
		.amdhsa_float_round_mode_16_64 0
		.amdhsa_float_denorm_mode_32 3
		.amdhsa_float_denorm_mode_16_64 3
		.amdhsa_dx10_clamp 1
		.amdhsa_ieee_mode 1
		.amdhsa_fp16_overflow 0
		.amdhsa_tg_split 0
		.amdhsa_exception_fp_ieee_invalid_op 0
		.amdhsa_exception_fp_denorm_src 0
		.amdhsa_exception_fp_ieee_div_zero 0
		.amdhsa_exception_fp_ieee_overflow 0
		.amdhsa_exception_fp_ieee_underflow 0
		.amdhsa_exception_fp_ieee_inexact 0
		.amdhsa_exception_int_div_zero 0
	.end_amdhsa_kernel
	.section	.text._ZN7rocprim17ROCPRIM_400000_NS6detail17trampoline_kernelINS0_14default_configENS1_33run_length_encode_config_selectorIbjNS0_4plusIjEEEEZZNS1_33reduce_by_key_impl_wrapped_configILNS1_25lookback_scan_determinismE0ES3_S7_N6hipcub16HIPCUB_304000_NS22TransformInputIteratorIbN2at6native8internal12_GLOBAL__N_110LoadBoolOpEPKhlEENS0_17constant_iteratorIjlEEPbPlSO_S6_NS0_8equal_toIbEEEE10hipError_tPvRmT2_T3_mT4_T5_T6_T7_T8_P12ihipStream_tbENKUlT_T0_E_clISt17integral_constantIbLb1EES17_IbLb0EEEEDaS13_S14_EUlS13_E_NS1_11comp_targetILNS1_3genE5ELNS1_11target_archE942ELNS1_3gpuE9ELNS1_3repE0EEENS1_30default_config_static_selectorELNS0_4arch9wavefront6targetE1EEEvT1_,"axG",@progbits,_ZN7rocprim17ROCPRIM_400000_NS6detail17trampoline_kernelINS0_14default_configENS1_33run_length_encode_config_selectorIbjNS0_4plusIjEEEEZZNS1_33reduce_by_key_impl_wrapped_configILNS1_25lookback_scan_determinismE0ES3_S7_N6hipcub16HIPCUB_304000_NS22TransformInputIteratorIbN2at6native8internal12_GLOBAL__N_110LoadBoolOpEPKhlEENS0_17constant_iteratorIjlEEPbPlSO_S6_NS0_8equal_toIbEEEE10hipError_tPvRmT2_T3_mT4_T5_T6_T7_T8_P12ihipStream_tbENKUlT_T0_E_clISt17integral_constantIbLb1EES17_IbLb0EEEEDaS13_S14_EUlS13_E_NS1_11comp_targetILNS1_3genE5ELNS1_11target_archE942ELNS1_3gpuE9ELNS1_3repE0EEENS1_30default_config_static_selectorELNS0_4arch9wavefront6targetE1EEEvT1_,comdat
.Lfunc_end79:
	.size	_ZN7rocprim17ROCPRIM_400000_NS6detail17trampoline_kernelINS0_14default_configENS1_33run_length_encode_config_selectorIbjNS0_4plusIjEEEEZZNS1_33reduce_by_key_impl_wrapped_configILNS1_25lookback_scan_determinismE0ES3_S7_N6hipcub16HIPCUB_304000_NS22TransformInputIteratorIbN2at6native8internal12_GLOBAL__N_110LoadBoolOpEPKhlEENS0_17constant_iteratorIjlEEPbPlSO_S6_NS0_8equal_toIbEEEE10hipError_tPvRmT2_T3_mT4_T5_T6_T7_T8_P12ihipStream_tbENKUlT_T0_E_clISt17integral_constantIbLb1EES17_IbLb0EEEEDaS13_S14_EUlS13_E_NS1_11comp_targetILNS1_3genE5ELNS1_11target_archE942ELNS1_3gpuE9ELNS1_3repE0EEENS1_30default_config_static_selectorELNS0_4arch9wavefront6targetE1EEEvT1_, .Lfunc_end79-_ZN7rocprim17ROCPRIM_400000_NS6detail17trampoline_kernelINS0_14default_configENS1_33run_length_encode_config_selectorIbjNS0_4plusIjEEEEZZNS1_33reduce_by_key_impl_wrapped_configILNS1_25lookback_scan_determinismE0ES3_S7_N6hipcub16HIPCUB_304000_NS22TransformInputIteratorIbN2at6native8internal12_GLOBAL__N_110LoadBoolOpEPKhlEENS0_17constant_iteratorIjlEEPbPlSO_S6_NS0_8equal_toIbEEEE10hipError_tPvRmT2_T3_mT4_T5_T6_T7_T8_P12ihipStream_tbENKUlT_T0_E_clISt17integral_constantIbLb1EES17_IbLb0EEEEDaS13_S14_EUlS13_E_NS1_11comp_targetILNS1_3genE5ELNS1_11target_archE942ELNS1_3gpuE9ELNS1_3repE0EEENS1_30default_config_static_selectorELNS0_4arch9wavefront6targetE1EEEvT1_
                                        ; -- End function
	.section	.AMDGPU.csdata,"",@progbits
; Kernel info:
; codeLenInByte = 15288
; NumSgprs: 70
; NumVgprs: 110
; NumAgprs: 0
; TotalNumVgprs: 110
; ScratchSize: 0
; MemoryBound: 0
; FloatMode: 240
; IeeeMode: 1
; LDSByteSize: 30720 bytes/workgroup (compile time only)
; SGPRBlocks: 8
; VGPRBlocks: 13
; NumSGPRsForWavesPerEU: 70
; NumVGPRsForWavesPerEU: 110
; AccumOffset: 112
; Occupancy: 4
; WaveLimiterHint : 1
; COMPUTE_PGM_RSRC2:SCRATCH_EN: 0
; COMPUTE_PGM_RSRC2:USER_SGPR: 2
; COMPUTE_PGM_RSRC2:TRAP_HANDLER: 0
; COMPUTE_PGM_RSRC2:TGID_X_EN: 1
; COMPUTE_PGM_RSRC2:TGID_Y_EN: 0
; COMPUTE_PGM_RSRC2:TGID_Z_EN: 0
; COMPUTE_PGM_RSRC2:TIDIG_COMP_CNT: 0
; COMPUTE_PGM_RSRC3_GFX90A:ACCUM_OFFSET: 27
; COMPUTE_PGM_RSRC3_GFX90A:TG_SPLIT: 0
	.section	.text._ZN7rocprim17ROCPRIM_400000_NS6detail17trampoline_kernelINS0_14default_configENS1_33run_length_encode_config_selectorIbjNS0_4plusIjEEEEZZNS1_33reduce_by_key_impl_wrapped_configILNS1_25lookback_scan_determinismE0ES3_S7_N6hipcub16HIPCUB_304000_NS22TransformInputIteratorIbN2at6native8internal12_GLOBAL__N_110LoadBoolOpEPKhlEENS0_17constant_iteratorIjlEEPbPlSO_S6_NS0_8equal_toIbEEEE10hipError_tPvRmT2_T3_mT4_T5_T6_T7_T8_P12ihipStream_tbENKUlT_T0_E_clISt17integral_constantIbLb1EES17_IbLb0EEEEDaS13_S14_EUlS13_E_NS1_11comp_targetILNS1_3genE4ELNS1_11target_archE910ELNS1_3gpuE8ELNS1_3repE0EEENS1_30default_config_static_selectorELNS0_4arch9wavefront6targetE1EEEvT1_,"axG",@progbits,_ZN7rocprim17ROCPRIM_400000_NS6detail17trampoline_kernelINS0_14default_configENS1_33run_length_encode_config_selectorIbjNS0_4plusIjEEEEZZNS1_33reduce_by_key_impl_wrapped_configILNS1_25lookback_scan_determinismE0ES3_S7_N6hipcub16HIPCUB_304000_NS22TransformInputIteratorIbN2at6native8internal12_GLOBAL__N_110LoadBoolOpEPKhlEENS0_17constant_iteratorIjlEEPbPlSO_S6_NS0_8equal_toIbEEEE10hipError_tPvRmT2_T3_mT4_T5_T6_T7_T8_P12ihipStream_tbENKUlT_T0_E_clISt17integral_constantIbLb1EES17_IbLb0EEEEDaS13_S14_EUlS13_E_NS1_11comp_targetILNS1_3genE4ELNS1_11target_archE910ELNS1_3gpuE8ELNS1_3repE0EEENS1_30default_config_static_selectorELNS0_4arch9wavefront6targetE1EEEvT1_,comdat
	.globl	_ZN7rocprim17ROCPRIM_400000_NS6detail17trampoline_kernelINS0_14default_configENS1_33run_length_encode_config_selectorIbjNS0_4plusIjEEEEZZNS1_33reduce_by_key_impl_wrapped_configILNS1_25lookback_scan_determinismE0ES3_S7_N6hipcub16HIPCUB_304000_NS22TransformInputIteratorIbN2at6native8internal12_GLOBAL__N_110LoadBoolOpEPKhlEENS0_17constant_iteratorIjlEEPbPlSO_S6_NS0_8equal_toIbEEEE10hipError_tPvRmT2_T3_mT4_T5_T6_T7_T8_P12ihipStream_tbENKUlT_T0_E_clISt17integral_constantIbLb1EES17_IbLb0EEEEDaS13_S14_EUlS13_E_NS1_11comp_targetILNS1_3genE4ELNS1_11target_archE910ELNS1_3gpuE8ELNS1_3repE0EEENS1_30default_config_static_selectorELNS0_4arch9wavefront6targetE1EEEvT1_ ; -- Begin function _ZN7rocprim17ROCPRIM_400000_NS6detail17trampoline_kernelINS0_14default_configENS1_33run_length_encode_config_selectorIbjNS0_4plusIjEEEEZZNS1_33reduce_by_key_impl_wrapped_configILNS1_25lookback_scan_determinismE0ES3_S7_N6hipcub16HIPCUB_304000_NS22TransformInputIteratorIbN2at6native8internal12_GLOBAL__N_110LoadBoolOpEPKhlEENS0_17constant_iteratorIjlEEPbPlSO_S6_NS0_8equal_toIbEEEE10hipError_tPvRmT2_T3_mT4_T5_T6_T7_T8_P12ihipStream_tbENKUlT_T0_E_clISt17integral_constantIbLb1EES17_IbLb0EEEEDaS13_S14_EUlS13_E_NS1_11comp_targetILNS1_3genE4ELNS1_11target_archE910ELNS1_3gpuE8ELNS1_3repE0EEENS1_30default_config_static_selectorELNS0_4arch9wavefront6targetE1EEEvT1_
	.p2align	8
	.type	_ZN7rocprim17ROCPRIM_400000_NS6detail17trampoline_kernelINS0_14default_configENS1_33run_length_encode_config_selectorIbjNS0_4plusIjEEEEZZNS1_33reduce_by_key_impl_wrapped_configILNS1_25lookback_scan_determinismE0ES3_S7_N6hipcub16HIPCUB_304000_NS22TransformInputIteratorIbN2at6native8internal12_GLOBAL__N_110LoadBoolOpEPKhlEENS0_17constant_iteratorIjlEEPbPlSO_S6_NS0_8equal_toIbEEEE10hipError_tPvRmT2_T3_mT4_T5_T6_T7_T8_P12ihipStream_tbENKUlT_T0_E_clISt17integral_constantIbLb1EES17_IbLb0EEEEDaS13_S14_EUlS13_E_NS1_11comp_targetILNS1_3genE4ELNS1_11target_archE910ELNS1_3gpuE8ELNS1_3repE0EEENS1_30default_config_static_selectorELNS0_4arch9wavefront6targetE1EEEvT1_,@function
_ZN7rocprim17ROCPRIM_400000_NS6detail17trampoline_kernelINS0_14default_configENS1_33run_length_encode_config_selectorIbjNS0_4plusIjEEEEZZNS1_33reduce_by_key_impl_wrapped_configILNS1_25lookback_scan_determinismE0ES3_S7_N6hipcub16HIPCUB_304000_NS22TransformInputIteratorIbN2at6native8internal12_GLOBAL__N_110LoadBoolOpEPKhlEENS0_17constant_iteratorIjlEEPbPlSO_S6_NS0_8equal_toIbEEEE10hipError_tPvRmT2_T3_mT4_T5_T6_T7_T8_P12ihipStream_tbENKUlT_T0_E_clISt17integral_constantIbLb1EES17_IbLb0EEEEDaS13_S14_EUlS13_E_NS1_11comp_targetILNS1_3genE4ELNS1_11target_archE910ELNS1_3gpuE8ELNS1_3repE0EEENS1_30default_config_static_selectorELNS0_4arch9wavefront6targetE1EEEvT1_: ; @_ZN7rocprim17ROCPRIM_400000_NS6detail17trampoline_kernelINS0_14default_configENS1_33run_length_encode_config_selectorIbjNS0_4plusIjEEEEZZNS1_33reduce_by_key_impl_wrapped_configILNS1_25lookback_scan_determinismE0ES3_S7_N6hipcub16HIPCUB_304000_NS22TransformInputIteratorIbN2at6native8internal12_GLOBAL__N_110LoadBoolOpEPKhlEENS0_17constant_iteratorIjlEEPbPlSO_S6_NS0_8equal_toIbEEEE10hipError_tPvRmT2_T3_mT4_T5_T6_T7_T8_P12ihipStream_tbENKUlT_T0_E_clISt17integral_constantIbLb1EES17_IbLb0EEEEDaS13_S14_EUlS13_E_NS1_11comp_targetILNS1_3genE4ELNS1_11target_archE910ELNS1_3gpuE8ELNS1_3repE0EEENS1_30default_config_static_selectorELNS0_4arch9wavefront6targetE1EEEvT1_
; %bb.0:
	.section	.rodata,"a",@progbits
	.p2align	6, 0x0
	.amdhsa_kernel _ZN7rocprim17ROCPRIM_400000_NS6detail17trampoline_kernelINS0_14default_configENS1_33run_length_encode_config_selectorIbjNS0_4plusIjEEEEZZNS1_33reduce_by_key_impl_wrapped_configILNS1_25lookback_scan_determinismE0ES3_S7_N6hipcub16HIPCUB_304000_NS22TransformInputIteratorIbN2at6native8internal12_GLOBAL__N_110LoadBoolOpEPKhlEENS0_17constant_iteratorIjlEEPbPlSO_S6_NS0_8equal_toIbEEEE10hipError_tPvRmT2_T3_mT4_T5_T6_T7_T8_P12ihipStream_tbENKUlT_T0_E_clISt17integral_constantIbLb1EES17_IbLb0EEEEDaS13_S14_EUlS13_E_NS1_11comp_targetILNS1_3genE4ELNS1_11target_archE910ELNS1_3gpuE8ELNS1_3repE0EEENS1_30default_config_static_selectorELNS0_4arch9wavefront6targetE1EEEvT1_
		.amdhsa_group_segment_fixed_size 0
		.amdhsa_private_segment_fixed_size 0
		.amdhsa_kernarg_size 136
		.amdhsa_user_sgpr_count 2
		.amdhsa_user_sgpr_dispatch_ptr 0
		.amdhsa_user_sgpr_queue_ptr 0
		.amdhsa_user_sgpr_kernarg_segment_ptr 1
		.amdhsa_user_sgpr_dispatch_id 0
		.amdhsa_user_sgpr_kernarg_preload_length 0
		.amdhsa_user_sgpr_kernarg_preload_offset 0
		.amdhsa_user_sgpr_private_segment_size 0
		.amdhsa_uses_dynamic_stack 0
		.amdhsa_enable_private_segment 0
		.amdhsa_system_sgpr_workgroup_id_x 1
		.amdhsa_system_sgpr_workgroup_id_y 0
		.amdhsa_system_sgpr_workgroup_id_z 0
		.amdhsa_system_sgpr_workgroup_info 0
		.amdhsa_system_vgpr_workitem_id 0
		.amdhsa_next_free_vgpr 1
		.amdhsa_next_free_sgpr 0
		.amdhsa_accum_offset 4
		.amdhsa_reserve_vcc 0
		.amdhsa_float_round_mode_32 0
		.amdhsa_float_round_mode_16_64 0
		.amdhsa_float_denorm_mode_32 3
		.amdhsa_float_denorm_mode_16_64 3
		.amdhsa_dx10_clamp 1
		.amdhsa_ieee_mode 1
		.amdhsa_fp16_overflow 0
		.amdhsa_tg_split 0
		.amdhsa_exception_fp_ieee_invalid_op 0
		.amdhsa_exception_fp_denorm_src 0
		.amdhsa_exception_fp_ieee_div_zero 0
		.amdhsa_exception_fp_ieee_overflow 0
		.amdhsa_exception_fp_ieee_underflow 0
		.amdhsa_exception_fp_ieee_inexact 0
		.amdhsa_exception_int_div_zero 0
	.end_amdhsa_kernel
	.section	.text._ZN7rocprim17ROCPRIM_400000_NS6detail17trampoline_kernelINS0_14default_configENS1_33run_length_encode_config_selectorIbjNS0_4plusIjEEEEZZNS1_33reduce_by_key_impl_wrapped_configILNS1_25lookback_scan_determinismE0ES3_S7_N6hipcub16HIPCUB_304000_NS22TransformInputIteratorIbN2at6native8internal12_GLOBAL__N_110LoadBoolOpEPKhlEENS0_17constant_iteratorIjlEEPbPlSO_S6_NS0_8equal_toIbEEEE10hipError_tPvRmT2_T3_mT4_T5_T6_T7_T8_P12ihipStream_tbENKUlT_T0_E_clISt17integral_constantIbLb1EES17_IbLb0EEEEDaS13_S14_EUlS13_E_NS1_11comp_targetILNS1_3genE4ELNS1_11target_archE910ELNS1_3gpuE8ELNS1_3repE0EEENS1_30default_config_static_selectorELNS0_4arch9wavefront6targetE1EEEvT1_,"axG",@progbits,_ZN7rocprim17ROCPRIM_400000_NS6detail17trampoline_kernelINS0_14default_configENS1_33run_length_encode_config_selectorIbjNS0_4plusIjEEEEZZNS1_33reduce_by_key_impl_wrapped_configILNS1_25lookback_scan_determinismE0ES3_S7_N6hipcub16HIPCUB_304000_NS22TransformInputIteratorIbN2at6native8internal12_GLOBAL__N_110LoadBoolOpEPKhlEENS0_17constant_iteratorIjlEEPbPlSO_S6_NS0_8equal_toIbEEEE10hipError_tPvRmT2_T3_mT4_T5_T6_T7_T8_P12ihipStream_tbENKUlT_T0_E_clISt17integral_constantIbLb1EES17_IbLb0EEEEDaS13_S14_EUlS13_E_NS1_11comp_targetILNS1_3genE4ELNS1_11target_archE910ELNS1_3gpuE8ELNS1_3repE0EEENS1_30default_config_static_selectorELNS0_4arch9wavefront6targetE1EEEvT1_,comdat
.Lfunc_end80:
	.size	_ZN7rocprim17ROCPRIM_400000_NS6detail17trampoline_kernelINS0_14default_configENS1_33run_length_encode_config_selectorIbjNS0_4plusIjEEEEZZNS1_33reduce_by_key_impl_wrapped_configILNS1_25lookback_scan_determinismE0ES3_S7_N6hipcub16HIPCUB_304000_NS22TransformInputIteratorIbN2at6native8internal12_GLOBAL__N_110LoadBoolOpEPKhlEENS0_17constant_iteratorIjlEEPbPlSO_S6_NS0_8equal_toIbEEEE10hipError_tPvRmT2_T3_mT4_T5_T6_T7_T8_P12ihipStream_tbENKUlT_T0_E_clISt17integral_constantIbLb1EES17_IbLb0EEEEDaS13_S14_EUlS13_E_NS1_11comp_targetILNS1_3genE4ELNS1_11target_archE910ELNS1_3gpuE8ELNS1_3repE0EEENS1_30default_config_static_selectorELNS0_4arch9wavefront6targetE1EEEvT1_, .Lfunc_end80-_ZN7rocprim17ROCPRIM_400000_NS6detail17trampoline_kernelINS0_14default_configENS1_33run_length_encode_config_selectorIbjNS0_4plusIjEEEEZZNS1_33reduce_by_key_impl_wrapped_configILNS1_25lookback_scan_determinismE0ES3_S7_N6hipcub16HIPCUB_304000_NS22TransformInputIteratorIbN2at6native8internal12_GLOBAL__N_110LoadBoolOpEPKhlEENS0_17constant_iteratorIjlEEPbPlSO_S6_NS0_8equal_toIbEEEE10hipError_tPvRmT2_T3_mT4_T5_T6_T7_T8_P12ihipStream_tbENKUlT_T0_E_clISt17integral_constantIbLb1EES17_IbLb0EEEEDaS13_S14_EUlS13_E_NS1_11comp_targetILNS1_3genE4ELNS1_11target_archE910ELNS1_3gpuE8ELNS1_3repE0EEENS1_30default_config_static_selectorELNS0_4arch9wavefront6targetE1EEEvT1_
                                        ; -- End function
	.section	.AMDGPU.csdata,"",@progbits
; Kernel info:
; codeLenInByte = 0
; NumSgprs: 6
; NumVgprs: 0
; NumAgprs: 0
; TotalNumVgprs: 0
; ScratchSize: 0
; MemoryBound: 0
; FloatMode: 240
; IeeeMode: 1
; LDSByteSize: 0 bytes/workgroup (compile time only)
; SGPRBlocks: 0
; VGPRBlocks: 0
; NumSGPRsForWavesPerEU: 6
; NumVGPRsForWavesPerEU: 1
; AccumOffset: 4
; Occupancy: 8
; WaveLimiterHint : 0
; COMPUTE_PGM_RSRC2:SCRATCH_EN: 0
; COMPUTE_PGM_RSRC2:USER_SGPR: 2
; COMPUTE_PGM_RSRC2:TRAP_HANDLER: 0
; COMPUTE_PGM_RSRC2:TGID_X_EN: 1
; COMPUTE_PGM_RSRC2:TGID_Y_EN: 0
; COMPUTE_PGM_RSRC2:TGID_Z_EN: 0
; COMPUTE_PGM_RSRC2:TIDIG_COMP_CNT: 0
; COMPUTE_PGM_RSRC3_GFX90A:ACCUM_OFFSET: 0
; COMPUTE_PGM_RSRC3_GFX90A:TG_SPLIT: 0
	.section	.text._ZN7rocprim17ROCPRIM_400000_NS6detail17trampoline_kernelINS0_14default_configENS1_33run_length_encode_config_selectorIbjNS0_4plusIjEEEEZZNS1_33reduce_by_key_impl_wrapped_configILNS1_25lookback_scan_determinismE0ES3_S7_N6hipcub16HIPCUB_304000_NS22TransformInputIteratorIbN2at6native8internal12_GLOBAL__N_110LoadBoolOpEPKhlEENS0_17constant_iteratorIjlEEPbPlSO_S6_NS0_8equal_toIbEEEE10hipError_tPvRmT2_T3_mT4_T5_T6_T7_T8_P12ihipStream_tbENKUlT_T0_E_clISt17integral_constantIbLb1EES17_IbLb0EEEEDaS13_S14_EUlS13_E_NS1_11comp_targetILNS1_3genE3ELNS1_11target_archE908ELNS1_3gpuE7ELNS1_3repE0EEENS1_30default_config_static_selectorELNS0_4arch9wavefront6targetE1EEEvT1_,"axG",@progbits,_ZN7rocprim17ROCPRIM_400000_NS6detail17trampoline_kernelINS0_14default_configENS1_33run_length_encode_config_selectorIbjNS0_4plusIjEEEEZZNS1_33reduce_by_key_impl_wrapped_configILNS1_25lookback_scan_determinismE0ES3_S7_N6hipcub16HIPCUB_304000_NS22TransformInputIteratorIbN2at6native8internal12_GLOBAL__N_110LoadBoolOpEPKhlEENS0_17constant_iteratorIjlEEPbPlSO_S6_NS0_8equal_toIbEEEE10hipError_tPvRmT2_T3_mT4_T5_T6_T7_T8_P12ihipStream_tbENKUlT_T0_E_clISt17integral_constantIbLb1EES17_IbLb0EEEEDaS13_S14_EUlS13_E_NS1_11comp_targetILNS1_3genE3ELNS1_11target_archE908ELNS1_3gpuE7ELNS1_3repE0EEENS1_30default_config_static_selectorELNS0_4arch9wavefront6targetE1EEEvT1_,comdat
	.globl	_ZN7rocprim17ROCPRIM_400000_NS6detail17trampoline_kernelINS0_14default_configENS1_33run_length_encode_config_selectorIbjNS0_4plusIjEEEEZZNS1_33reduce_by_key_impl_wrapped_configILNS1_25lookback_scan_determinismE0ES3_S7_N6hipcub16HIPCUB_304000_NS22TransformInputIteratorIbN2at6native8internal12_GLOBAL__N_110LoadBoolOpEPKhlEENS0_17constant_iteratorIjlEEPbPlSO_S6_NS0_8equal_toIbEEEE10hipError_tPvRmT2_T3_mT4_T5_T6_T7_T8_P12ihipStream_tbENKUlT_T0_E_clISt17integral_constantIbLb1EES17_IbLb0EEEEDaS13_S14_EUlS13_E_NS1_11comp_targetILNS1_3genE3ELNS1_11target_archE908ELNS1_3gpuE7ELNS1_3repE0EEENS1_30default_config_static_selectorELNS0_4arch9wavefront6targetE1EEEvT1_ ; -- Begin function _ZN7rocprim17ROCPRIM_400000_NS6detail17trampoline_kernelINS0_14default_configENS1_33run_length_encode_config_selectorIbjNS0_4plusIjEEEEZZNS1_33reduce_by_key_impl_wrapped_configILNS1_25lookback_scan_determinismE0ES3_S7_N6hipcub16HIPCUB_304000_NS22TransformInputIteratorIbN2at6native8internal12_GLOBAL__N_110LoadBoolOpEPKhlEENS0_17constant_iteratorIjlEEPbPlSO_S6_NS0_8equal_toIbEEEE10hipError_tPvRmT2_T3_mT4_T5_T6_T7_T8_P12ihipStream_tbENKUlT_T0_E_clISt17integral_constantIbLb1EES17_IbLb0EEEEDaS13_S14_EUlS13_E_NS1_11comp_targetILNS1_3genE3ELNS1_11target_archE908ELNS1_3gpuE7ELNS1_3repE0EEENS1_30default_config_static_selectorELNS0_4arch9wavefront6targetE1EEEvT1_
	.p2align	8
	.type	_ZN7rocprim17ROCPRIM_400000_NS6detail17trampoline_kernelINS0_14default_configENS1_33run_length_encode_config_selectorIbjNS0_4plusIjEEEEZZNS1_33reduce_by_key_impl_wrapped_configILNS1_25lookback_scan_determinismE0ES3_S7_N6hipcub16HIPCUB_304000_NS22TransformInputIteratorIbN2at6native8internal12_GLOBAL__N_110LoadBoolOpEPKhlEENS0_17constant_iteratorIjlEEPbPlSO_S6_NS0_8equal_toIbEEEE10hipError_tPvRmT2_T3_mT4_T5_T6_T7_T8_P12ihipStream_tbENKUlT_T0_E_clISt17integral_constantIbLb1EES17_IbLb0EEEEDaS13_S14_EUlS13_E_NS1_11comp_targetILNS1_3genE3ELNS1_11target_archE908ELNS1_3gpuE7ELNS1_3repE0EEENS1_30default_config_static_selectorELNS0_4arch9wavefront6targetE1EEEvT1_,@function
_ZN7rocprim17ROCPRIM_400000_NS6detail17trampoline_kernelINS0_14default_configENS1_33run_length_encode_config_selectorIbjNS0_4plusIjEEEEZZNS1_33reduce_by_key_impl_wrapped_configILNS1_25lookback_scan_determinismE0ES3_S7_N6hipcub16HIPCUB_304000_NS22TransformInputIteratorIbN2at6native8internal12_GLOBAL__N_110LoadBoolOpEPKhlEENS0_17constant_iteratorIjlEEPbPlSO_S6_NS0_8equal_toIbEEEE10hipError_tPvRmT2_T3_mT4_T5_T6_T7_T8_P12ihipStream_tbENKUlT_T0_E_clISt17integral_constantIbLb1EES17_IbLb0EEEEDaS13_S14_EUlS13_E_NS1_11comp_targetILNS1_3genE3ELNS1_11target_archE908ELNS1_3gpuE7ELNS1_3repE0EEENS1_30default_config_static_selectorELNS0_4arch9wavefront6targetE1EEEvT1_: ; @_ZN7rocprim17ROCPRIM_400000_NS6detail17trampoline_kernelINS0_14default_configENS1_33run_length_encode_config_selectorIbjNS0_4plusIjEEEEZZNS1_33reduce_by_key_impl_wrapped_configILNS1_25lookback_scan_determinismE0ES3_S7_N6hipcub16HIPCUB_304000_NS22TransformInputIteratorIbN2at6native8internal12_GLOBAL__N_110LoadBoolOpEPKhlEENS0_17constant_iteratorIjlEEPbPlSO_S6_NS0_8equal_toIbEEEE10hipError_tPvRmT2_T3_mT4_T5_T6_T7_T8_P12ihipStream_tbENKUlT_T0_E_clISt17integral_constantIbLb1EES17_IbLb0EEEEDaS13_S14_EUlS13_E_NS1_11comp_targetILNS1_3genE3ELNS1_11target_archE908ELNS1_3gpuE7ELNS1_3repE0EEENS1_30default_config_static_selectorELNS0_4arch9wavefront6targetE1EEEvT1_
; %bb.0:
	.section	.rodata,"a",@progbits
	.p2align	6, 0x0
	.amdhsa_kernel _ZN7rocprim17ROCPRIM_400000_NS6detail17trampoline_kernelINS0_14default_configENS1_33run_length_encode_config_selectorIbjNS0_4plusIjEEEEZZNS1_33reduce_by_key_impl_wrapped_configILNS1_25lookback_scan_determinismE0ES3_S7_N6hipcub16HIPCUB_304000_NS22TransformInputIteratorIbN2at6native8internal12_GLOBAL__N_110LoadBoolOpEPKhlEENS0_17constant_iteratorIjlEEPbPlSO_S6_NS0_8equal_toIbEEEE10hipError_tPvRmT2_T3_mT4_T5_T6_T7_T8_P12ihipStream_tbENKUlT_T0_E_clISt17integral_constantIbLb1EES17_IbLb0EEEEDaS13_S14_EUlS13_E_NS1_11comp_targetILNS1_3genE3ELNS1_11target_archE908ELNS1_3gpuE7ELNS1_3repE0EEENS1_30default_config_static_selectorELNS0_4arch9wavefront6targetE1EEEvT1_
		.amdhsa_group_segment_fixed_size 0
		.amdhsa_private_segment_fixed_size 0
		.amdhsa_kernarg_size 136
		.amdhsa_user_sgpr_count 2
		.amdhsa_user_sgpr_dispatch_ptr 0
		.amdhsa_user_sgpr_queue_ptr 0
		.amdhsa_user_sgpr_kernarg_segment_ptr 1
		.amdhsa_user_sgpr_dispatch_id 0
		.amdhsa_user_sgpr_kernarg_preload_length 0
		.amdhsa_user_sgpr_kernarg_preload_offset 0
		.amdhsa_user_sgpr_private_segment_size 0
		.amdhsa_uses_dynamic_stack 0
		.amdhsa_enable_private_segment 0
		.amdhsa_system_sgpr_workgroup_id_x 1
		.amdhsa_system_sgpr_workgroup_id_y 0
		.amdhsa_system_sgpr_workgroup_id_z 0
		.amdhsa_system_sgpr_workgroup_info 0
		.amdhsa_system_vgpr_workitem_id 0
		.amdhsa_next_free_vgpr 1
		.amdhsa_next_free_sgpr 0
		.amdhsa_accum_offset 4
		.amdhsa_reserve_vcc 0
		.amdhsa_float_round_mode_32 0
		.amdhsa_float_round_mode_16_64 0
		.amdhsa_float_denorm_mode_32 3
		.amdhsa_float_denorm_mode_16_64 3
		.amdhsa_dx10_clamp 1
		.amdhsa_ieee_mode 1
		.amdhsa_fp16_overflow 0
		.amdhsa_tg_split 0
		.amdhsa_exception_fp_ieee_invalid_op 0
		.amdhsa_exception_fp_denorm_src 0
		.amdhsa_exception_fp_ieee_div_zero 0
		.amdhsa_exception_fp_ieee_overflow 0
		.amdhsa_exception_fp_ieee_underflow 0
		.amdhsa_exception_fp_ieee_inexact 0
		.amdhsa_exception_int_div_zero 0
	.end_amdhsa_kernel
	.section	.text._ZN7rocprim17ROCPRIM_400000_NS6detail17trampoline_kernelINS0_14default_configENS1_33run_length_encode_config_selectorIbjNS0_4plusIjEEEEZZNS1_33reduce_by_key_impl_wrapped_configILNS1_25lookback_scan_determinismE0ES3_S7_N6hipcub16HIPCUB_304000_NS22TransformInputIteratorIbN2at6native8internal12_GLOBAL__N_110LoadBoolOpEPKhlEENS0_17constant_iteratorIjlEEPbPlSO_S6_NS0_8equal_toIbEEEE10hipError_tPvRmT2_T3_mT4_T5_T6_T7_T8_P12ihipStream_tbENKUlT_T0_E_clISt17integral_constantIbLb1EES17_IbLb0EEEEDaS13_S14_EUlS13_E_NS1_11comp_targetILNS1_3genE3ELNS1_11target_archE908ELNS1_3gpuE7ELNS1_3repE0EEENS1_30default_config_static_selectorELNS0_4arch9wavefront6targetE1EEEvT1_,"axG",@progbits,_ZN7rocprim17ROCPRIM_400000_NS6detail17trampoline_kernelINS0_14default_configENS1_33run_length_encode_config_selectorIbjNS0_4plusIjEEEEZZNS1_33reduce_by_key_impl_wrapped_configILNS1_25lookback_scan_determinismE0ES3_S7_N6hipcub16HIPCUB_304000_NS22TransformInputIteratorIbN2at6native8internal12_GLOBAL__N_110LoadBoolOpEPKhlEENS0_17constant_iteratorIjlEEPbPlSO_S6_NS0_8equal_toIbEEEE10hipError_tPvRmT2_T3_mT4_T5_T6_T7_T8_P12ihipStream_tbENKUlT_T0_E_clISt17integral_constantIbLb1EES17_IbLb0EEEEDaS13_S14_EUlS13_E_NS1_11comp_targetILNS1_3genE3ELNS1_11target_archE908ELNS1_3gpuE7ELNS1_3repE0EEENS1_30default_config_static_selectorELNS0_4arch9wavefront6targetE1EEEvT1_,comdat
.Lfunc_end81:
	.size	_ZN7rocprim17ROCPRIM_400000_NS6detail17trampoline_kernelINS0_14default_configENS1_33run_length_encode_config_selectorIbjNS0_4plusIjEEEEZZNS1_33reduce_by_key_impl_wrapped_configILNS1_25lookback_scan_determinismE0ES3_S7_N6hipcub16HIPCUB_304000_NS22TransformInputIteratorIbN2at6native8internal12_GLOBAL__N_110LoadBoolOpEPKhlEENS0_17constant_iteratorIjlEEPbPlSO_S6_NS0_8equal_toIbEEEE10hipError_tPvRmT2_T3_mT4_T5_T6_T7_T8_P12ihipStream_tbENKUlT_T0_E_clISt17integral_constantIbLb1EES17_IbLb0EEEEDaS13_S14_EUlS13_E_NS1_11comp_targetILNS1_3genE3ELNS1_11target_archE908ELNS1_3gpuE7ELNS1_3repE0EEENS1_30default_config_static_selectorELNS0_4arch9wavefront6targetE1EEEvT1_, .Lfunc_end81-_ZN7rocprim17ROCPRIM_400000_NS6detail17trampoline_kernelINS0_14default_configENS1_33run_length_encode_config_selectorIbjNS0_4plusIjEEEEZZNS1_33reduce_by_key_impl_wrapped_configILNS1_25lookback_scan_determinismE0ES3_S7_N6hipcub16HIPCUB_304000_NS22TransformInputIteratorIbN2at6native8internal12_GLOBAL__N_110LoadBoolOpEPKhlEENS0_17constant_iteratorIjlEEPbPlSO_S6_NS0_8equal_toIbEEEE10hipError_tPvRmT2_T3_mT4_T5_T6_T7_T8_P12ihipStream_tbENKUlT_T0_E_clISt17integral_constantIbLb1EES17_IbLb0EEEEDaS13_S14_EUlS13_E_NS1_11comp_targetILNS1_3genE3ELNS1_11target_archE908ELNS1_3gpuE7ELNS1_3repE0EEENS1_30default_config_static_selectorELNS0_4arch9wavefront6targetE1EEEvT1_
                                        ; -- End function
	.section	.AMDGPU.csdata,"",@progbits
; Kernel info:
; codeLenInByte = 0
; NumSgprs: 6
; NumVgprs: 0
; NumAgprs: 0
; TotalNumVgprs: 0
; ScratchSize: 0
; MemoryBound: 0
; FloatMode: 240
; IeeeMode: 1
; LDSByteSize: 0 bytes/workgroup (compile time only)
; SGPRBlocks: 0
; VGPRBlocks: 0
; NumSGPRsForWavesPerEU: 6
; NumVGPRsForWavesPerEU: 1
; AccumOffset: 4
; Occupancy: 8
; WaveLimiterHint : 0
; COMPUTE_PGM_RSRC2:SCRATCH_EN: 0
; COMPUTE_PGM_RSRC2:USER_SGPR: 2
; COMPUTE_PGM_RSRC2:TRAP_HANDLER: 0
; COMPUTE_PGM_RSRC2:TGID_X_EN: 1
; COMPUTE_PGM_RSRC2:TGID_Y_EN: 0
; COMPUTE_PGM_RSRC2:TGID_Z_EN: 0
; COMPUTE_PGM_RSRC2:TIDIG_COMP_CNT: 0
; COMPUTE_PGM_RSRC3_GFX90A:ACCUM_OFFSET: 0
; COMPUTE_PGM_RSRC3_GFX90A:TG_SPLIT: 0
	.section	.text._ZN7rocprim17ROCPRIM_400000_NS6detail17trampoline_kernelINS0_14default_configENS1_33run_length_encode_config_selectorIbjNS0_4plusIjEEEEZZNS1_33reduce_by_key_impl_wrapped_configILNS1_25lookback_scan_determinismE0ES3_S7_N6hipcub16HIPCUB_304000_NS22TransformInputIteratorIbN2at6native8internal12_GLOBAL__N_110LoadBoolOpEPKhlEENS0_17constant_iteratorIjlEEPbPlSO_S6_NS0_8equal_toIbEEEE10hipError_tPvRmT2_T3_mT4_T5_T6_T7_T8_P12ihipStream_tbENKUlT_T0_E_clISt17integral_constantIbLb1EES17_IbLb0EEEEDaS13_S14_EUlS13_E_NS1_11comp_targetILNS1_3genE2ELNS1_11target_archE906ELNS1_3gpuE6ELNS1_3repE0EEENS1_30default_config_static_selectorELNS0_4arch9wavefront6targetE1EEEvT1_,"axG",@progbits,_ZN7rocprim17ROCPRIM_400000_NS6detail17trampoline_kernelINS0_14default_configENS1_33run_length_encode_config_selectorIbjNS0_4plusIjEEEEZZNS1_33reduce_by_key_impl_wrapped_configILNS1_25lookback_scan_determinismE0ES3_S7_N6hipcub16HIPCUB_304000_NS22TransformInputIteratorIbN2at6native8internal12_GLOBAL__N_110LoadBoolOpEPKhlEENS0_17constant_iteratorIjlEEPbPlSO_S6_NS0_8equal_toIbEEEE10hipError_tPvRmT2_T3_mT4_T5_T6_T7_T8_P12ihipStream_tbENKUlT_T0_E_clISt17integral_constantIbLb1EES17_IbLb0EEEEDaS13_S14_EUlS13_E_NS1_11comp_targetILNS1_3genE2ELNS1_11target_archE906ELNS1_3gpuE6ELNS1_3repE0EEENS1_30default_config_static_selectorELNS0_4arch9wavefront6targetE1EEEvT1_,comdat
	.globl	_ZN7rocprim17ROCPRIM_400000_NS6detail17trampoline_kernelINS0_14default_configENS1_33run_length_encode_config_selectorIbjNS0_4plusIjEEEEZZNS1_33reduce_by_key_impl_wrapped_configILNS1_25lookback_scan_determinismE0ES3_S7_N6hipcub16HIPCUB_304000_NS22TransformInputIteratorIbN2at6native8internal12_GLOBAL__N_110LoadBoolOpEPKhlEENS0_17constant_iteratorIjlEEPbPlSO_S6_NS0_8equal_toIbEEEE10hipError_tPvRmT2_T3_mT4_T5_T6_T7_T8_P12ihipStream_tbENKUlT_T0_E_clISt17integral_constantIbLb1EES17_IbLb0EEEEDaS13_S14_EUlS13_E_NS1_11comp_targetILNS1_3genE2ELNS1_11target_archE906ELNS1_3gpuE6ELNS1_3repE0EEENS1_30default_config_static_selectorELNS0_4arch9wavefront6targetE1EEEvT1_ ; -- Begin function _ZN7rocprim17ROCPRIM_400000_NS6detail17trampoline_kernelINS0_14default_configENS1_33run_length_encode_config_selectorIbjNS0_4plusIjEEEEZZNS1_33reduce_by_key_impl_wrapped_configILNS1_25lookback_scan_determinismE0ES3_S7_N6hipcub16HIPCUB_304000_NS22TransformInputIteratorIbN2at6native8internal12_GLOBAL__N_110LoadBoolOpEPKhlEENS0_17constant_iteratorIjlEEPbPlSO_S6_NS0_8equal_toIbEEEE10hipError_tPvRmT2_T3_mT4_T5_T6_T7_T8_P12ihipStream_tbENKUlT_T0_E_clISt17integral_constantIbLb1EES17_IbLb0EEEEDaS13_S14_EUlS13_E_NS1_11comp_targetILNS1_3genE2ELNS1_11target_archE906ELNS1_3gpuE6ELNS1_3repE0EEENS1_30default_config_static_selectorELNS0_4arch9wavefront6targetE1EEEvT1_
	.p2align	8
	.type	_ZN7rocprim17ROCPRIM_400000_NS6detail17trampoline_kernelINS0_14default_configENS1_33run_length_encode_config_selectorIbjNS0_4plusIjEEEEZZNS1_33reduce_by_key_impl_wrapped_configILNS1_25lookback_scan_determinismE0ES3_S7_N6hipcub16HIPCUB_304000_NS22TransformInputIteratorIbN2at6native8internal12_GLOBAL__N_110LoadBoolOpEPKhlEENS0_17constant_iteratorIjlEEPbPlSO_S6_NS0_8equal_toIbEEEE10hipError_tPvRmT2_T3_mT4_T5_T6_T7_T8_P12ihipStream_tbENKUlT_T0_E_clISt17integral_constantIbLb1EES17_IbLb0EEEEDaS13_S14_EUlS13_E_NS1_11comp_targetILNS1_3genE2ELNS1_11target_archE906ELNS1_3gpuE6ELNS1_3repE0EEENS1_30default_config_static_selectorELNS0_4arch9wavefront6targetE1EEEvT1_,@function
_ZN7rocprim17ROCPRIM_400000_NS6detail17trampoline_kernelINS0_14default_configENS1_33run_length_encode_config_selectorIbjNS0_4plusIjEEEEZZNS1_33reduce_by_key_impl_wrapped_configILNS1_25lookback_scan_determinismE0ES3_S7_N6hipcub16HIPCUB_304000_NS22TransformInputIteratorIbN2at6native8internal12_GLOBAL__N_110LoadBoolOpEPKhlEENS0_17constant_iteratorIjlEEPbPlSO_S6_NS0_8equal_toIbEEEE10hipError_tPvRmT2_T3_mT4_T5_T6_T7_T8_P12ihipStream_tbENKUlT_T0_E_clISt17integral_constantIbLb1EES17_IbLb0EEEEDaS13_S14_EUlS13_E_NS1_11comp_targetILNS1_3genE2ELNS1_11target_archE906ELNS1_3gpuE6ELNS1_3repE0EEENS1_30default_config_static_selectorELNS0_4arch9wavefront6targetE1EEEvT1_: ; @_ZN7rocprim17ROCPRIM_400000_NS6detail17trampoline_kernelINS0_14default_configENS1_33run_length_encode_config_selectorIbjNS0_4plusIjEEEEZZNS1_33reduce_by_key_impl_wrapped_configILNS1_25lookback_scan_determinismE0ES3_S7_N6hipcub16HIPCUB_304000_NS22TransformInputIteratorIbN2at6native8internal12_GLOBAL__N_110LoadBoolOpEPKhlEENS0_17constant_iteratorIjlEEPbPlSO_S6_NS0_8equal_toIbEEEE10hipError_tPvRmT2_T3_mT4_T5_T6_T7_T8_P12ihipStream_tbENKUlT_T0_E_clISt17integral_constantIbLb1EES17_IbLb0EEEEDaS13_S14_EUlS13_E_NS1_11comp_targetILNS1_3genE2ELNS1_11target_archE906ELNS1_3gpuE6ELNS1_3repE0EEENS1_30default_config_static_selectorELNS0_4arch9wavefront6targetE1EEEvT1_
; %bb.0:
	.section	.rodata,"a",@progbits
	.p2align	6, 0x0
	.amdhsa_kernel _ZN7rocprim17ROCPRIM_400000_NS6detail17trampoline_kernelINS0_14default_configENS1_33run_length_encode_config_selectorIbjNS0_4plusIjEEEEZZNS1_33reduce_by_key_impl_wrapped_configILNS1_25lookback_scan_determinismE0ES3_S7_N6hipcub16HIPCUB_304000_NS22TransformInputIteratorIbN2at6native8internal12_GLOBAL__N_110LoadBoolOpEPKhlEENS0_17constant_iteratorIjlEEPbPlSO_S6_NS0_8equal_toIbEEEE10hipError_tPvRmT2_T3_mT4_T5_T6_T7_T8_P12ihipStream_tbENKUlT_T0_E_clISt17integral_constantIbLb1EES17_IbLb0EEEEDaS13_S14_EUlS13_E_NS1_11comp_targetILNS1_3genE2ELNS1_11target_archE906ELNS1_3gpuE6ELNS1_3repE0EEENS1_30default_config_static_selectorELNS0_4arch9wavefront6targetE1EEEvT1_
		.amdhsa_group_segment_fixed_size 0
		.amdhsa_private_segment_fixed_size 0
		.amdhsa_kernarg_size 136
		.amdhsa_user_sgpr_count 2
		.amdhsa_user_sgpr_dispatch_ptr 0
		.amdhsa_user_sgpr_queue_ptr 0
		.amdhsa_user_sgpr_kernarg_segment_ptr 1
		.amdhsa_user_sgpr_dispatch_id 0
		.amdhsa_user_sgpr_kernarg_preload_length 0
		.amdhsa_user_sgpr_kernarg_preload_offset 0
		.amdhsa_user_sgpr_private_segment_size 0
		.amdhsa_uses_dynamic_stack 0
		.amdhsa_enable_private_segment 0
		.amdhsa_system_sgpr_workgroup_id_x 1
		.amdhsa_system_sgpr_workgroup_id_y 0
		.amdhsa_system_sgpr_workgroup_id_z 0
		.amdhsa_system_sgpr_workgroup_info 0
		.amdhsa_system_vgpr_workitem_id 0
		.amdhsa_next_free_vgpr 1
		.amdhsa_next_free_sgpr 0
		.amdhsa_accum_offset 4
		.amdhsa_reserve_vcc 0
		.amdhsa_float_round_mode_32 0
		.amdhsa_float_round_mode_16_64 0
		.amdhsa_float_denorm_mode_32 3
		.amdhsa_float_denorm_mode_16_64 3
		.amdhsa_dx10_clamp 1
		.amdhsa_ieee_mode 1
		.amdhsa_fp16_overflow 0
		.amdhsa_tg_split 0
		.amdhsa_exception_fp_ieee_invalid_op 0
		.amdhsa_exception_fp_denorm_src 0
		.amdhsa_exception_fp_ieee_div_zero 0
		.amdhsa_exception_fp_ieee_overflow 0
		.amdhsa_exception_fp_ieee_underflow 0
		.amdhsa_exception_fp_ieee_inexact 0
		.amdhsa_exception_int_div_zero 0
	.end_amdhsa_kernel
	.section	.text._ZN7rocprim17ROCPRIM_400000_NS6detail17trampoline_kernelINS0_14default_configENS1_33run_length_encode_config_selectorIbjNS0_4plusIjEEEEZZNS1_33reduce_by_key_impl_wrapped_configILNS1_25lookback_scan_determinismE0ES3_S7_N6hipcub16HIPCUB_304000_NS22TransformInputIteratorIbN2at6native8internal12_GLOBAL__N_110LoadBoolOpEPKhlEENS0_17constant_iteratorIjlEEPbPlSO_S6_NS0_8equal_toIbEEEE10hipError_tPvRmT2_T3_mT4_T5_T6_T7_T8_P12ihipStream_tbENKUlT_T0_E_clISt17integral_constantIbLb1EES17_IbLb0EEEEDaS13_S14_EUlS13_E_NS1_11comp_targetILNS1_3genE2ELNS1_11target_archE906ELNS1_3gpuE6ELNS1_3repE0EEENS1_30default_config_static_selectorELNS0_4arch9wavefront6targetE1EEEvT1_,"axG",@progbits,_ZN7rocprim17ROCPRIM_400000_NS6detail17trampoline_kernelINS0_14default_configENS1_33run_length_encode_config_selectorIbjNS0_4plusIjEEEEZZNS1_33reduce_by_key_impl_wrapped_configILNS1_25lookback_scan_determinismE0ES3_S7_N6hipcub16HIPCUB_304000_NS22TransformInputIteratorIbN2at6native8internal12_GLOBAL__N_110LoadBoolOpEPKhlEENS0_17constant_iteratorIjlEEPbPlSO_S6_NS0_8equal_toIbEEEE10hipError_tPvRmT2_T3_mT4_T5_T6_T7_T8_P12ihipStream_tbENKUlT_T0_E_clISt17integral_constantIbLb1EES17_IbLb0EEEEDaS13_S14_EUlS13_E_NS1_11comp_targetILNS1_3genE2ELNS1_11target_archE906ELNS1_3gpuE6ELNS1_3repE0EEENS1_30default_config_static_selectorELNS0_4arch9wavefront6targetE1EEEvT1_,comdat
.Lfunc_end82:
	.size	_ZN7rocprim17ROCPRIM_400000_NS6detail17trampoline_kernelINS0_14default_configENS1_33run_length_encode_config_selectorIbjNS0_4plusIjEEEEZZNS1_33reduce_by_key_impl_wrapped_configILNS1_25lookback_scan_determinismE0ES3_S7_N6hipcub16HIPCUB_304000_NS22TransformInputIteratorIbN2at6native8internal12_GLOBAL__N_110LoadBoolOpEPKhlEENS0_17constant_iteratorIjlEEPbPlSO_S6_NS0_8equal_toIbEEEE10hipError_tPvRmT2_T3_mT4_T5_T6_T7_T8_P12ihipStream_tbENKUlT_T0_E_clISt17integral_constantIbLb1EES17_IbLb0EEEEDaS13_S14_EUlS13_E_NS1_11comp_targetILNS1_3genE2ELNS1_11target_archE906ELNS1_3gpuE6ELNS1_3repE0EEENS1_30default_config_static_selectorELNS0_4arch9wavefront6targetE1EEEvT1_, .Lfunc_end82-_ZN7rocprim17ROCPRIM_400000_NS6detail17trampoline_kernelINS0_14default_configENS1_33run_length_encode_config_selectorIbjNS0_4plusIjEEEEZZNS1_33reduce_by_key_impl_wrapped_configILNS1_25lookback_scan_determinismE0ES3_S7_N6hipcub16HIPCUB_304000_NS22TransformInputIteratorIbN2at6native8internal12_GLOBAL__N_110LoadBoolOpEPKhlEENS0_17constant_iteratorIjlEEPbPlSO_S6_NS0_8equal_toIbEEEE10hipError_tPvRmT2_T3_mT4_T5_T6_T7_T8_P12ihipStream_tbENKUlT_T0_E_clISt17integral_constantIbLb1EES17_IbLb0EEEEDaS13_S14_EUlS13_E_NS1_11comp_targetILNS1_3genE2ELNS1_11target_archE906ELNS1_3gpuE6ELNS1_3repE0EEENS1_30default_config_static_selectorELNS0_4arch9wavefront6targetE1EEEvT1_
                                        ; -- End function
	.section	.AMDGPU.csdata,"",@progbits
; Kernel info:
; codeLenInByte = 0
; NumSgprs: 6
; NumVgprs: 0
; NumAgprs: 0
; TotalNumVgprs: 0
; ScratchSize: 0
; MemoryBound: 0
; FloatMode: 240
; IeeeMode: 1
; LDSByteSize: 0 bytes/workgroup (compile time only)
; SGPRBlocks: 0
; VGPRBlocks: 0
; NumSGPRsForWavesPerEU: 6
; NumVGPRsForWavesPerEU: 1
; AccumOffset: 4
; Occupancy: 8
; WaveLimiterHint : 0
; COMPUTE_PGM_RSRC2:SCRATCH_EN: 0
; COMPUTE_PGM_RSRC2:USER_SGPR: 2
; COMPUTE_PGM_RSRC2:TRAP_HANDLER: 0
; COMPUTE_PGM_RSRC2:TGID_X_EN: 1
; COMPUTE_PGM_RSRC2:TGID_Y_EN: 0
; COMPUTE_PGM_RSRC2:TGID_Z_EN: 0
; COMPUTE_PGM_RSRC2:TIDIG_COMP_CNT: 0
; COMPUTE_PGM_RSRC3_GFX90A:ACCUM_OFFSET: 0
; COMPUTE_PGM_RSRC3_GFX90A:TG_SPLIT: 0
	.section	.text._ZN7rocprim17ROCPRIM_400000_NS6detail17trampoline_kernelINS0_14default_configENS1_33run_length_encode_config_selectorIbjNS0_4plusIjEEEEZZNS1_33reduce_by_key_impl_wrapped_configILNS1_25lookback_scan_determinismE0ES3_S7_N6hipcub16HIPCUB_304000_NS22TransformInputIteratorIbN2at6native8internal12_GLOBAL__N_110LoadBoolOpEPKhlEENS0_17constant_iteratorIjlEEPbPlSO_S6_NS0_8equal_toIbEEEE10hipError_tPvRmT2_T3_mT4_T5_T6_T7_T8_P12ihipStream_tbENKUlT_T0_E_clISt17integral_constantIbLb1EES17_IbLb0EEEEDaS13_S14_EUlS13_E_NS1_11comp_targetILNS1_3genE10ELNS1_11target_archE1201ELNS1_3gpuE5ELNS1_3repE0EEENS1_30default_config_static_selectorELNS0_4arch9wavefront6targetE1EEEvT1_,"axG",@progbits,_ZN7rocprim17ROCPRIM_400000_NS6detail17trampoline_kernelINS0_14default_configENS1_33run_length_encode_config_selectorIbjNS0_4plusIjEEEEZZNS1_33reduce_by_key_impl_wrapped_configILNS1_25lookback_scan_determinismE0ES3_S7_N6hipcub16HIPCUB_304000_NS22TransformInputIteratorIbN2at6native8internal12_GLOBAL__N_110LoadBoolOpEPKhlEENS0_17constant_iteratorIjlEEPbPlSO_S6_NS0_8equal_toIbEEEE10hipError_tPvRmT2_T3_mT4_T5_T6_T7_T8_P12ihipStream_tbENKUlT_T0_E_clISt17integral_constantIbLb1EES17_IbLb0EEEEDaS13_S14_EUlS13_E_NS1_11comp_targetILNS1_3genE10ELNS1_11target_archE1201ELNS1_3gpuE5ELNS1_3repE0EEENS1_30default_config_static_selectorELNS0_4arch9wavefront6targetE1EEEvT1_,comdat
	.globl	_ZN7rocprim17ROCPRIM_400000_NS6detail17trampoline_kernelINS0_14default_configENS1_33run_length_encode_config_selectorIbjNS0_4plusIjEEEEZZNS1_33reduce_by_key_impl_wrapped_configILNS1_25lookback_scan_determinismE0ES3_S7_N6hipcub16HIPCUB_304000_NS22TransformInputIteratorIbN2at6native8internal12_GLOBAL__N_110LoadBoolOpEPKhlEENS0_17constant_iteratorIjlEEPbPlSO_S6_NS0_8equal_toIbEEEE10hipError_tPvRmT2_T3_mT4_T5_T6_T7_T8_P12ihipStream_tbENKUlT_T0_E_clISt17integral_constantIbLb1EES17_IbLb0EEEEDaS13_S14_EUlS13_E_NS1_11comp_targetILNS1_3genE10ELNS1_11target_archE1201ELNS1_3gpuE5ELNS1_3repE0EEENS1_30default_config_static_selectorELNS0_4arch9wavefront6targetE1EEEvT1_ ; -- Begin function _ZN7rocprim17ROCPRIM_400000_NS6detail17trampoline_kernelINS0_14default_configENS1_33run_length_encode_config_selectorIbjNS0_4plusIjEEEEZZNS1_33reduce_by_key_impl_wrapped_configILNS1_25lookback_scan_determinismE0ES3_S7_N6hipcub16HIPCUB_304000_NS22TransformInputIteratorIbN2at6native8internal12_GLOBAL__N_110LoadBoolOpEPKhlEENS0_17constant_iteratorIjlEEPbPlSO_S6_NS0_8equal_toIbEEEE10hipError_tPvRmT2_T3_mT4_T5_T6_T7_T8_P12ihipStream_tbENKUlT_T0_E_clISt17integral_constantIbLb1EES17_IbLb0EEEEDaS13_S14_EUlS13_E_NS1_11comp_targetILNS1_3genE10ELNS1_11target_archE1201ELNS1_3gpuE5ELNS1_3repE0EEENS1_30default_config_static_selectorELNS0_4arch9wavefront6targetE1EEEvT1_
	.p2align	8
	.type	_ZN7rocprim17ROCPRIM_400000_NS6detail17trampoline_kernelINS0_14default_configENS1_33run_length_encode_config_selectorIbjNS0_4plusIjEEEEZZNS1_33reduce_by_key_impl_wrapped_configILNS1_25lookback_scan_determinismE0ES3_S7_N6hipcub16HIPCUB_304000_NS22TransformInputIteratorIbN2at6native8internal12_GLOBAL__N_110LoadBoolOpEPKhlEENS0_17constant_iteratorIjlEEPbPlSO_S6_NS0_8equal_toIbEEEE10hipError_tPvRmT2_T3_mT4_T5_T6_T7_T8_P12ihipStream_tbENKUlT_T0_E_clISt17integral_constantIbLb1EES17_IbLb0EEEEDaS13_S14_EUlS13_E_NS1_11comp_targetILNS1_3genE10ELNS1_11target_archE1201ELNS1_3gpuE5ELNS1_3repE0EEENS1_30default_config_static_selectorELNS0_4arch9wavefront6targetE1EEEvT1_,@function
_ZN7rocprim17ROCPRIM_400000_NS6detail17trampoline_kernelINS0_14default_configENS1_33run_length_encode_config_selectorIbjNS0_4plusIjEEEEZZNS1_33reduce_by_key_impl_wrapped_configILNS1_25lookback_scan_determinismE0ES3_S7_N6hipcub16HIPCUB_304000_NS22TransformInputIteratorIbN2at6native8internal12_GLOBAL__N_110LoadBoolOpEPKhlEENS0_17constant_iteratorIjlEEPbPlSO_S6_NS0_8equal_toIbEEEE10hipError_tPvRmT2_T3_mT4_T5_T6_T7_T8_P12ihipStream_tbENKUlT_T0_E_clISt17integral_constantIbLb1EES17_IbLb0EEEEDaS13_S14_EUlS13_E_NS1_11comp_targetILNS1_3genE10ELNS1_11target_archE1201ELNS1_3gpuE5ELNS1_3repE0EEENS1_30default_config_static_selectorELNS0_4arch9wavefront6targetE1EEEvT1_: ; @_ZN7rocprim17ROCPRIM_400000_NS6detail17trampoline_kernelINS0_14default_configENS1_33run_length_encode_config_selectorIbjNS0_4plusIjEEEEZZNS1_33reduce_by_key_impl_wrapped_configILNS1_25lookback_scan_determinismE0ES3_S7_N6hipcub16HIPCUB_304000_NS22TransformInputIteratorIbN2at6native8internal12_GLOBAL__N_110LoadBoolOpEPKhlEENS0_17constant_iteratorIjlEEPbPlSO_S6_NS0_8equal_toIbEEEE10hipError_tPvRmT2_T3_mT4_T5_T6_T7_T8_P12ihipStream_tbENKUlT_T0_E_clISt17integral_constantIbLb1EES17_IbLb0EEEEDaS13_S14_EUlS13_E_NS1_11comp_targetILNS1_3genE10ELNS1_11target_archE1201ELNS1_3gpuE5ELNS1_3repE0EEENS1_30default_config_static_selectorELNS0_4arch9wavefront6targetE1EEEvT1_
; %bb.0:
	.section	.rodata,"a",@progbits
	.p2align	6, 0x0
	.amdhsa_kernel _ZN7rocprim17ROCPRIM_400000_NS6detail17trampoline_kernelINS0_14default_configENS1_33run_length_encode_config_selectorIbjNS0_4plusIjEEEEZZNS1_33reduce_by_key_impl_wrapped_configILNS1_25lookback_scan_determinismE0ES3_S7_N6hipcub16HIPCUB_304000_NS22TransformInputIteratorIbN2at6native8internal12_GLOBAL__N_110LoadBoolOpEPKhlEENS0_17constant_iteratorIjlEEPbPlSO_S6_NS0_8equal_toIbEEEE10hipError_tPvRmT2_T3_mT4_T5_T6_T7_T8_P12ihipStream_tbENKUlT_T0_E_clISt17integral_constantIbLb1EES17_IbLb0EEEEDaS13_S14_EUlS13_E_NS1_11comp_targetILNS1_3genE10ELNS1_11target_archE1201ELNS1_3gpuE5ELNS1_3repE0EEENS1_30default_config_static_selectorELNS0_4arch9wavefront6targetE1EEEvT1_
		.amdhsa_group_segment_fixed_size 0
		.amdhsa_private_segment_fixed_size 0
		.amdhsa_kernarg_size 136
		.amdhsa_user_sgpr_count 2
		.amdhsa_user_sgpr_dispatch_ptr 0
		.amdhsa_user_sgpr_queue_ptr 0
		.amdhsa_user_sgpr_kernarg_segment_ptr 1
		.amdhsa_user_sgpr_dispatch_id 0
		.amdhsa_user_sgpr_kernarg_preload_length 0
		.amdhsa_user_sgpr_kernarg_preload_offset 0
		.amdhsa_user_sgpr_private_segment_size 0
		.amdhsa_uses_dynamic_stack 0
		.amdhsa_enable_private_segment 0
		.amdhsa_system_sgpr_workgroup_id_x 1
		.amdhsa_system_sgpr_workgroup_id_y 0
		.amdhsa_system_sgpr_workgroup_id_z 0
		.amdhsa_system_sgpr_workgroup_info 0
		.amdhsa_system_vgpr_workitem_id 0
		.amdhsa_next_free_vgpr 1
		.amdhsa_next_free_sgpr 0
		.amdhsa_accum_offset 4
		.amdhsa_reserve_vcc 0
		.amdhsa_float_round_mode_32 0
		.amdhsa_float_round_mode_16_64 0
		.amdhsa_float_denorm_mode_32 3
		.amdhsa_float_denorm_mode_16_64 3
		.amdhsa_dx10_clamp 1
		.amdhsa_ieee_mode 1
		.amdhsa_fp16_overflow 0
		.amdhsa_tg_split 0
		.amdhsa_exception_fp_ieee_invalid_op 0
		.amdhsa_exception_fp_denorm_src 0
		.amdhsa_exception_fp_ieee_div_zero 0
		.amdhsa_exception_fp_ieee_overflow 0
		.amdhsa_exception_fp_ieee_underflow 0
		.amdhsa_exception_fp_ieee_inexact 0
		.amdhsa_exception_int_div_zero 0
	.end_amdhsa_kernel
	.section	.text._ZN7rocprim17ROCPRIM_400000_NS6detail17trampoline_kernelINS0_14default_configENS1_33run_length_encode_config_selectorIbjNS0_4plusIjEEEEZZNS1_33reduce_by_key_impl_wrapped_configILNS1_25lookback_scan_determinismE0ES3_S7_N6hipcub16HIPCUB_304000_NS22TransformInputIteratorIbN2at6native8internal12_GLOBAL__N_110LoadBoolOpEPKhlEENS0_17constant_iteratorIjlEEPbPlSO_S6_NS0_8equal_toIbEEEE10hipError_tPvRmT2_T3_mT4_T5_T6_T7_T8_P12ihipStream_tbENKUlT_T0_E_clISt17integral_constantIbLb1EES17_IbLb0EEEEDaS13_S14_EUlS13_E_NS1_11comp_targetILNS1_3genE10ELNS1_11target_archE1201ELNS1_3gpuE5ELNS1_3repE0EEENS1_30default_config_static_selectorELNS0_4arch9wavefront6targetE1EEEvT1_,"axG",@progbits,_ZN7rocprim17ROCPRIM_400000_NS6detail17trampoline_kernelINS0_14default_configENS1_33run_length_encode_config_selectorIbjNS0_4plusIjEEEEZZNS1_33reduce_by_key_impl_wrapped_configILNS1_25lookback_scan_determinismE0ES3_S7_N6hipcub16HIPCUB_304000_NS22TransformInputIteratorIbN2at6native8internal12_GLOBAL__N_110LoadBoolOpEPKhlEENS0_17constant_iteratorIjlEEPbPlSO_S6_NS0_8equal_toIbEEEE10hipError_tPvRmT2_T3_mT4_T5_T6_T7_T8_P12ihipStream_tbENKUlT_T0_E_clISt17integral_constantIbLb1EES17_IbLb0EEEEDaS13_S14_EUlS13_E_NS1_11comp_targetILNS1_3genE10ELNS1_11target_archE1201ELNS1_3gpuE5ELNS1_3repE0EEENS1_30default_config_static_selectorELNS0_4arch9wavefront6targetE1EEEvT1_,comdat
.Lfunc_end83:
	.size	_ZN7rocprim17ROCPRIM_400000_NS6detail17trampoline_kernelINS0_14default_configENS1_33run_length_encode_config_selectorIbjNS0_4plusIjEEEEZZNS1_33reduce_by_key_impl_wrapped_configILNS1_25lookback_scan_determinismE0ES3_S7_N6hipcub16HIPCUB_304000_NS22TransformInputIteratorIbN2at6native8internal12_GLOBAL__N_110LoadBoolOpEPKhlEENS0_17constant_iteratorIjlEEPbPlSO_S6_NS0_8equal_toIbEEEE10hipError_tPvRmT2_T3_mT4_T5_T6_T7_T8_P12ihipStream_tbENKUlT_T0_E_clISt17integral_constantIbLb1EES17_IbLb0EEEEDaS13_S14_EUlS13_E_NS1_11comp_targetILNS1_3genE10ELNS1_11target_archE1201ELNS1_3gpuE5ELNS1_3repE0EEENS1_30default_config_static_selectorELNS0_4arch9wavefront6targetE1EEEvT1_, .Lfunc_end83-_ZN7rocprim17ROCPRIM_400000_NS6detail17trampoline_kernelINS0_14default_configENS1_33run_length_encode_config_selectorIbjNS0_4plusIjEEEEZZNS1_33reduce_by_key_impl_wrapped_configILNS1_25lookback_scan_determinismE0ES3_S7_N6hipcub16HIPCUB_304000_NS22TransformInputIteratorIbN2at6native8internal12_GLOBAL__N_110LoadBoolOpEPKhlEENS0_17constant_iteratorIjlEEPbPlSO_S6_NS0_8equal_toIbEEEE10hipError_tPvRmT2_T3_mT4_T5_T6_T7_T8_P12ihipStream_tbENKUlT_T0_E_clISt17integral_constantIbLb1EES17_IbLb0EEEEDaS13_S14_EUlS13_E_NS1_11comp_targetILNS1_3genE10ELNS1_11target_archE1201ELNS1_3gpuE5ELNS1_3repE0EEENS1_30default_config_static_selectorELNS0_4arch9wavefront6targetE1EEEvT1_
                                        ; -- End function
	.section	.AMDGPU.csdata,"",@progbits
; Kernel info:
; codeLenInByte = 0
; NumSgprs: 6
; NumVgprs: 0
; NumAgprs: 0
; TotalNumVgprs: 0
; ScratchSize: 0
; MemoryBound: 0
; FloatMode: 240
; IeeeMode: 1
; LDSByteSize: 0 bytes/workgroup (compile time only)
; SGPRBlocks: 0
; VGPRBlocks: 0
; NumSGPRsForWavesPerEU: 6
; NumVGPRsForWavesPerEU: 1
; AccumOffset: 4
; Occupancy: 8
; WaveLimiterHint : 0
; COMPUTE_PGM_RSRC2:SCRATCH_EN: 0
; COMPUTE_PGM_RSRC2:USER_SGPR: 2
; COMPUTE_PGM_RSRC2:TRAP_HANDLER: 0
; COMPUTE_PGM_RSRC2:TGID_X_EN: 1
; COMPUTE_PGM_RSRC2:TGID_Y_EN: 0
; COMPUTE_PGM_RSRC2:TGID_Z_EN: 0
; COMPUTE_PGM_RSRC2:TIDIG_COMP_CNT: 0
; COMPUTE_PGM_RSRC3_GFX90A:ACCUM_OFFSET: 0
; COMPUTE_PGM_RSRC3_GFX90A:TG_SPLIT: 0
	.section	.text._ZN7rocprim17ROCPRIM_400000_NS6detail17trampoline_kernelINS0_14default_configENS1_33run_length_encode_config_selectorIbjNS0_4plusIjEEEEZZNS1_33reduce_by_key_impl_wrapped_configILNS1_25lookback_scan_determinismE0ES3_S7_N6hipcub16HIPCUB_304000_NS22TransformInputIteratorIbN2at6native8internal12_GLOBAL__N_110LoadBoolOpEPKhlEENS0_17constant_iteratorIjlEEPbPlSO_S6_NS0_8equal_toIbEEEE10hipError_tPvRmT2_T3_mT4_T5_T6_T7_T8_P12ihipStream_tbENKUlT_T0_E_clISt17integral_constantIbLb1EES17_IbLb0EEEEDaS13_S14_EUlS13_E_NS1_11comp_targetILNS1_3genE10ELNS1_11target_archE1200ELNS1_3gpuE4ELNS1_3repE0EEENS1_30default_config_static_selectorELNS0_4arch9wavefront6targetE1EEEvT1_,"axG",@progbits,_ZN7rocprim17ROCPRIM_400000_NS6detail17trampoline_kernelINS0_14default_configENS1_33run_length_encode_config_selectorIbjNS0_4plusIjEEEEZZNS1_33reduce_by_key_impl_wrapped_configILNS1_25lookback_scan_determinismE0ES3_S7_N6hipcub16HIPCUB_304000_NS22TransformInputIteratorIbN2at6native8internal12_GLOBAL__N_110LoadBoolOpEPKhlEENS0_17constant_iteratorIjlEEPbPlSO_S6_NS0_8equal_toIbEEEE10hipError_tPvRmT2_T3_mT4_T5_T6_T7_T8_P12ihipStream_tbENKUlT_T0_E_clISt17integral_constantIbLb1EES17_IbLb0EEEEDaS13_S14_EUlS13_E_NS1_11comp_targetILNS1_3genE10ELNS1_11target_archE1200ELNS1_3gpuE4ELNS1_3repE0EEENS1_30default_config_static_selectorELNS0_4arch9wavefront6targetE1EEEvT1_,comdat
	.globl	_ZN7rocprim17ROCPRIM_400000_NS6detail17trampoline_kernelINS0_14default_configENS1_33run_length_encode_config_selectorIbjNS0_4plusIjEEEEZZNS1_33reduce_by_key_impl_wrapped_configILNS1_25lookback_scan_determinismE0ES3_S7_N6hipcub16HIPCUB_304000_NS22TransformInputIteratorIbN2at6native8internal12_GLOBAL__N_110LoadBoolOpEPKhlEENS0_17constant_iteratorIjlEEPbPlSO_S6_NS0_8equal_toIbEEEE10hipError_tPvRmT2_T3_mT4_T5_T6_T7_T8_P12ihipStream_tbENKUlT_T0_E_clISt17integral_constantIbLb1EES17_IbLb0EEEEDaS13_S14_EUlS13_E_NS1_11comp_targetILNS1_3genE10ELNS1_11target_archE1200ELNS1_3gpuE4ELNS1_3repE0EEENS1_30default_config_static_selectorELNS0_4arch9wavefront6targetE1EEEvT1_ ; -- Begin function _ZN7rocprim17ROCPRIM_400000_NS6detail17trampoline_kernelINS0_14default_configENS1_33run_length_encode_config_selectorIbjNS0_4plusIjEEEEZZNS1_33reduce_by_key_impl_wrapped_configILNS1_25lookback_scan_determinismE0ES3_S7_N6hipcub16HIPCUB_304000_NS22TransformInputIteratorIbN2at6native8internal12_GLOBAL__N_110LoadBoolOpEPKhlEENS0_17constant_iteratorIjlEEPbPlSO_S6_NS0_8equal_toIbEEEE10hipError_tPvRmT2_T3_mT4_T5_T6_T7_T8_P12ihipStream_tbENKUlT_T0_E_clISt17integral_constantIbLb1EES17_IbLb0EEEEDaS13_S14_EUlS13_E_NS1_11comp_targetILNS1_3genE10ELNS1_11target_archE1200ELNS1_3gpuE4ELNS1_3repE0EEENS1_30default_config_static_selectorELNS0_4arch9wavefront6targetE1EEEvT1_
	.p2align	8
	.type	_ZN7rocprim17ROCPRIM_400000_NS6detail17trampoline_kernelINS0_14default_configENS1_33run_length_encode_config_selectorIbjNS0_4plusIjEEEEZZNS1_33reduce_by_key_impl_wrapped_configILNS1_25lookback_scan_determinismE0ES3_S7_N6hipcub16HIPCUB_304000_NS22TransformInputIteratorIbN2at6native8internal12_GLOBAL__N_110LoadBoolOpEPKhlEENS0_17constant_iteratorIjlEEPbPlSO_S6_NS0_8equal_toIbEEEE10hipError_tPvRmT2_T3_mT4_T5_T6_T7_T8_P12ihipStream_tbENKUlT_T0_E_clISt17integral_constantIbLb1EES17_IbLb0EEEEDaS13_S14_EUlS13_E_NS1_11comp_targetILNS1_3genE10ELNS1_11target_archE1200ELNS1_3gpuE4ELNS1_3repE0EEENS1_30default_config_static_selectorELNS0_4arch9wavefront6targetE1EEEvT1_,@function
_ZN7rocprim17ROCPRIM_400000_NS6detail17trampoline_kernelINS0_14default_configENS1_33run_length_encode_config_selectorIbjNS0_4plusIjEEEEZZNS1_33reduce_by_key_impl_wrapped_configILNS1_25lookback_scan_determinismE0ES3_S7_N6hipcub16HIPCUB_304000_NS22TransformInputIteratorIbN2at6native8internal12_GLOBAL__N_110LoadBoolOpEPKhlEENS0_17constant_iteratorIjlEEPbPlSO_S6_NS0_8equal_toIbEEEE10hipError_tPvRmT2_T3_mT4_T5_T6_T7_T8_P12ihipStream_tbENKUlT_T0_E_clISt17integral_constantIbLb1EES17_IbLb0EEEEDaS13_S14_EUlS13_E_NS1_11comp_targetILNS1_3genE10ELNS1_11target_archE1200ELNS1_3gpuE4ELNS1_3repE0EEENS1_30default_config_static_selectorELNS0_4arch9wavefront6targetE1EEEvT1_: ; @_ZN7rocprim17ROCPRIM_400000_NS6detail17trampoline_kernelINS0_14default_configENS1_33run_length_encode_config_selectorIbjNS0_4plusIjEEEEZZNS1_33reduce_by_key_impl_wrapped_configILNS1_25lookback_scan_determinismE0ES3_S7_N6hipcub16HIPCUB_304000_NS22TransformInputIteratorIbN2at6native8internal12_GLOBAL__N_110LoadBoolOpEPKhlEENS0_17constant_iteratorIjlEEPbPlSO_S6_NS0_8equal_toIbEEEE10hipError_tPvRmT2_T3_mT4_T5_T6_T7_T8_P12ihipStream_tbENKUlT_T0_E_clISt17integral_constantIbLb1EES17_IbLb0EEEEDaS13_S14_EUlS13_E_NS1_11comp_targetILNS1_3genE10ELNS1_11target_archE1200ELNS1_3gpuE4ELNS1_3repE0EEENS1_30default_config_static_selectorELNS0_4arch9wavefront6targetE1EEEvT1_
; %bb.0:
	.section	.rodata,"a",@progbits
	.p2align	6, 0x0
	.amdhsa_kernel _ZN7rocprim17ROCPRIM_400000_NS6detail17trampoline_kernelINS0_14default_configENS1_33run_length_encode_config_selectorIbjNS0_4plusIjEEEEZZNS1_33reduce_by_key_impl_wrapped_configILNS1_25lookback_scan_determinismE0ES3_S7_N6hipcub16HIPCUB_304000_NS22TransformInputIteratorIbN2at6native8internal12_GLOBAL__N_110LoadBoolOpEPKhlEENS0_17constant_iteratorIjlEEPbPlSO_S6_NS0_8equal_toIbEEEE10hipError_tPvRmT2_T3_mT4_T5_T6_T7_T8_P12ihipStream_tbENKUlT_T0_E_clISt17integral_constantIbLb1EES17_IbLb0EEEEDaS13_S14_EUlS13_E_NS1_11comp_targetILNS1_3genE10ELNS1_11target_archE1200ELNS1_3gpuE4ELNS1_3repE0EEENS1_30default_config_static_selectorELNS0_4arch9wavefront6targetE1EEEvT1_
		.amdhsa_group_segment_fixed_size 0
		.amdhsa_private_segment_fixed_size 0
		.amdhsa_kernarg_size 136
		.amdhsa_user_sgpr_count 2
		.amdhsa_user_sgpr_dispatch_ptr 0
		.amdhsa_user_sgpr_queue_ptr 0
		.amdhsa_user_sgpr_kernarg_segment_ptr 1
		.amdhsa_user_sgpr_dispatch_id 0
		.amdhsa_user_sgpr_kernarg_preload_length 0
		.amdhsa_user_sgpr_kernarg_preload_offset 0
		.amdhsa_user_sgpr_private_segment_size 0
		.amdhsa_uses_dynamic_stack 0
		.amdhsa_enable_private_segment 0
		.amdhsa_system_sgpr_workgroup_id_x 1
		.amdhsa_system_sgpr_workgroup_id_y 0
		.amdhsa_system_sgpr_workgroup_id_z 0
		.amdhsa_system_sgpr_workgroup_info 0
		.amdhsa_system_vgpr_workitem_id 0
		.amdhsa_next_free_vgpr 1
		.amdhsa_next_free_sgpr 0
		.amdhsa_accum_offset 4
		.amdhsa_reserve_vcc 0
		.amdhsa_float_round_mode_32 0
		.amdhsa_float_round_mode_16_64 0
		.amdhsa_float_denorm_mode_32 3
		.amdhsa_float_denorm_mode_16_64 3
		.amdhsa_dx10_clamp 1
		.amdhsa_ieee_mode 1
		.amdhsa_fp16_overflow 0
		.amdhsa_tg_split 0
		.amdhsa_exception_fp_ieee_invalid_op 0
		.amdhsa_exception_fp_denorm_src 0
		.amdhsa_exception_fp_ieee_div_zero 0
		.amdhsa_exception_fp_ieee_overflow 0
		.amdhsa_exception_fp_ieee_underflow 0
		.amdhsa_exception_fp_ieee_inexact 0
		.amdhsa_exception_int_div_zero 0
	.end_amdhsa_kernel
	.section	.text._ZN7rocprim17ROCPRIM_400000_NS6detail17trampoline_kernelINS0_14default_configENS1_33run_length_encode_config_selectorIbjNS0_4plusIjEEEEZZNS1_33reduce_by_key_impl_wrapped_configILNS1_25lookback_scan_determinismE0ES3_S7_N6hipcub16HIPCUB_304000_NS22TransformInputIteratorIbN2at6native8internal12_GLOBAL__N_110LoadBoolOpEPKhlEENS0_17constant_iteratorIjlEEPbPlSO_S6_NS0_8equal_toIbEEEE10hipError_tPvRmT2_T3_mT4_T5_T6_T7_T8_P12ihipStream_tbENKUlT_T0_E_clISt17integral_constantIbLb1EES17_IbLb0EEEEDaS13_S14_EUlS13_E_NS1_11comp_targetILNS1_3genE10ELNS1_11target_archE1200ELNS1_3gpuE4ELNS1_3repE0EEENS1_30default_config_static_selectorELNS0_4arch9wavefront6targetE1EEEvT1_,"axG",@progbits,_ZN7rocprim17ROCPRIM_400000_NS6detail17trampoline_kernelINS0_14default_configENS1_33run_length_encode_config_selectorIbjNS0_4plusIjEEEEZZNS1_33reduce_by_key_impl_wrapped_configILNS1_25lookback_scan_determinismE0ES3_S7_N6hipcub16HIPCUB_304000_NS22TransformInputIteratorIbN2at6native8internal12_GLOBAL__N_110LoadBoolOpEPKhlEENS0_17constant_iteratorIjlEEPbPlSO_S6_NS0_8equal_toIbEEEE10hipError_tPvRmT2_T3_mT4_T5_T6_T7_T8_P12ihipStream_tbENKUlT_T0_E_clISt17integral_constantIbLb1EES17_IbLb0EEEEDaS13_S14_EUlS13_E_NS1_11comp_targetILNS1_3genE10ELNS1_11target_archE1200ELNS1_3gpuE4ELNS1_3repE0EEENS1_30default_config_static_selectorELNS0_4arch9wavefront6targetE1EEEvT1_,comdat
.Lfunc_end84:
	.size	_ZN7rocprim17ROCPRIM_400000_NS6detail17trampoline_kernelINS0_14default_configENS1_33run_length_encode_config_selectorIbjNS0_4plusIjEEEEZZNS1_33reduce_by_key_impl_wrapped_configILNS1_25lookback_scan_determinismE0ES3_S7_N6hipcub16HIPCUB_304000_NS22TransformInputIteratorIbN2at6native8internal12_GLOBAL__N_110LoadBoolOpEPKhlEENS0_17constant_iteratorIjlEEPbPlSO_S6_NS0_8equal_toIbEEEE10hipError_tPvRmT2_T3_mT4_T5_T6_T7_T8_P12ihipStream_tbENKUlT_T0_E_clISt17integral_constantIbLb1EES17_IbLb0EEEEDaS13_S14_EUlS13_E_NS1_11comp_targetILNS1_3genE10ELNS1_11target_archE1200ELNS1_3gpuE4ELNS1_3repE0EEENS1_30default_config_static_selectorELNS0_4arch9wavefront6targetE1EEEvT1_, .Lfunc_end84-_ZN7rocprim17ROCPRIM_400000_NS6detail17trampoline_kernelINS0_14default_configENS1_33run_length_encode_config_selectorIbjNS0_4plusIjEEEEZZNS1_33reduce_by_key_impl_wrapped_configILNS1_25lookback_scan_determinismE0ES3_S7_N6hipcub16HIPCUB_304000_NS22TransformInputIteratorIbN2at6native8internal12_GLOBAL__N_110LoadBoolOpEPKhlEENS0_17constant_iteratorIjlEEPbPlSO_S6_NS0_8equal_toIbEEEE10hipError_tPvRmT2_T3_mT4_T5_T6_T7_T8_P12ihipStream_tbENKUlT_T0_E_clISt17integral_constantIbLb1EES17_IbLb0EEEEDaS13_S14_EUlS13_E_NS1_11comp_targetILNS1_3genE10ELNS1_11target_archE1200ELNS1_3gpuE4ELNS1_3repE0EEENS1_30default_config_static_selectorELNS0_4arch9wavefront6targetE1EEEvT1_
                                        ; -- End function
	.section	.AMDGPU.csdata,"",@progbits
; Kernel info:
; codeLenInByte = 0
; NumSgprs: 6
; NumVgprs: 0
; NumAgprs: 0
; TotalNumVgprs: 0
; ScratchSize: 0
; MemoryBound: 0
; FloatMode: 240
; IeeeMode: 1
; LDSByteSize: 0 bytes/workgroup (compile time only)
; SGPRBlocks: 0
; VGPRBlocks: 0
; NumSGPRsForWavesPerEU: 6
; NumVGPRsForWavesPerEU: 1
; AccumOffset: 4
; Occupancy: 8
; WaveLimiterHint : 0
; COMPUTE_PGM_RSRC2:SCRATCH_EN: 0
; COMPUTE_PGM_RSRC2:USER_SGPR: 2
; COMPUTE_PGM_RSRC2:TRAP_HANDLER: 0
; COMPUTE_PGM_RSRC2:TGID_X_EN: 1
; COMPUTE_PGM_RSRC2:TGID_Y_EN: 0
; COMPUTE_PGM_RSRC2:TGID_Z_EN: 0
; COMPUTE_PGM_RSRC2:TIDIG_COMP_CNT: 0
; COMPUTE_PGM_RSRC3_GFX90A:ACCUM_OFFSET: 0
; COMPUTE_PGM_RSRC3_GFX90A:TG_SPLIT: 0
	.section	.text._ZN7rocprim17ROCPRIM_400000_NS6detail17trampoline_kernelINS0_14default_configENS1_33run_length_encode_config_selectorIbjNS0_4plusIjEEEEZZNS1_33reduce_by_key_impl_wrapped_configILNS1_25lookback_scan_determinismE0ES3_S7_N6hipcub16HIPCUB_304000_NS22TransformInputIteratorIbN2at6native8internal12_GLOBAL__N_110LoadBoolOpEPKhlEENS0_17constant_iteratorIjlEEPbPlSO_S6_NS0_8equal_toIbEEEE10hipError_tPvRmT2_T3_mT4_T5_T6_T7_T8_P12ihipStream_tbENKUlT_T0_E_clISt17integral_constantIbLb1EES17_IbLb0EEEEDaS13_S14_EUlS13_E_NS1_11comp_targetILNS1_3genE9ELNS1_11target_archE1100ELNS1_3gpuE3ELNS1_3repE0EEENS1_30default_config_static_selectorELNS0_4arch9wavefront6targetE1EEEvT1_,"axG",@progbits,_ZN7rocprim17ROCPRIM_400000_NS6detail17trampoline_kernelINS0_14default_configENS1_33run_length_encode_config_selectorIbjNS0_4plusIjEEEEZZNS1_33reduce_by_key_impl_wrapped_configILNS1_25lookback_scan_determinismE0ES3_S7_N6hipcub16HIPCUB_304000_NS22TransformInputIteratorIbN2at6native8internal12_GLOBAL__N_110LoadBoolOpEPKhlEENS0_17constant_iteratorIjlEEPbPlSO_S6_NS0_8equal_toIbEEEE10hipError_tPvRmT2_T3_mT4_T5_T6_T7_T8_P12ihipStream_tbENKUlT_T0_E_clISt17integral_constantIbLb1EES17_IbLb0EEEEDaS13_S14_EUlS13_E_NS1_11comp_targetILNS1_3genE9ELNS1_11target_archE1100ELNS1_3gpuE3ELNS1_3repE0EEENS1_30default_config_static_selectorELNS0_4arch9wavefront6targetE1EEEvT1_,comdat
	.globl	_ZN7rocprim17ROCPRIM_400000_NS6detail17trampoline_kernelINS0_14default_configENS1_33run_length_encode_config_selectorIbjNS0_4plusIjEEEEZZNS1_33reduce_by_key_impl_wrapped_configILNS1_25lookback_scan_determinismE0ES3_S7_N6hipcub16HIPCUB_304000_NS22TransformInputIteratorIbN2at6native8internal12_GLOBAL__N_110LoadBoolOpEPKhlEENS0_17constant_iteratorIjlEEPbPlSO_S6_NS0_8equal_toIbEEEE10hipError_tPvRmT2_T3_mT4_T5_T6_T7_T8_P12ihipStream_tbENKUlT_T0_E_clISt17integral_constantIbLb1EES17_IbLb0EEEEDaS13_S14_EUlS13_E_NS1_11comp_targetILNS1_3genE9ELNS1_11target_archE1100ELNS1_3gpuE3ELNS1_3repE0EEENS1_30default_config_static_selectorELNS0_4arch9wavefront6targetE1EEEvT1_ ; -- Begin function _ZN7rocprim17ROCPRIM_400000_NS6detail17trampoline_kernelINS0_14default_configENS1_33run_length_encode_config_selectorIbjNS0_4plusIjEEEEZZNS1_33reduce_by_key_impl_wrapped_configILNS1_25lookback_scan_determinismE0ES3_S7_N6hipcub16HIPCUB_304000_NS22TransformInputIteratorIbN2at6native8internal12_GLOBAL__N_110LoadBoolOpEPKhlEENS0_17constant_iteratorIjlEEPbPlSO_S6_NS0_8equal_toIbEEEE10hipError_tPvRmT2_T3_mT4_T5_T6_T7_T8_P12ihipStream_tbENKUlT_T0_E_clISt17integral_constantIbLb1EES17_IbLb0EEEEDaS13_S14_EUlS13_E_NS1_11comp_targetILNS1_3genE9ELNS1_11target_archE1100ELNS1_3gpuE3ELNS1_3repE0EEENS1_30default_config_static_selectorELNS0_4arch9wavefront6targetE1EEEvT1_
	.p2align	8
	.type	_ZN7rocprim17ROCPRIM_400000_NS6detail17trampoline_kernelINS0_14default_configENS1_33run_length_encode_config_selectorIbjNS0_4plusIjEEEEZZNS1_33reduce_by_key_impl_wrapped_configILNS1_25lookback_scan_determinismE0ES3_S7_N6hipcub16HIPCUB_304000_NS22TransformInputIteratorIbN2at6native8internal12_GLOBAL__N_110LoadBoolOpEPKhlEENS0_17constant_iteratorIjlEEPbPlSO_S6_NS0_8equal_toIbEEEE10hipError_tPvRmT2_T3_mT4_T5_T6_T7_T8_P12ihipStream_tbENKUlT_T0_E_clISt17integral_constantIbLb1EES17_IbLb0EEEEDaS13_S14_EUlS13_E_NS1_11comp_targetILNS1_3genE9ELNS1_11target_archE1100ELNS1_3gpuE3ELNS1_3repE0EEENS1_30default_config_static_selectorELNS0_4arch9wavefront6targetE1EEEvT1_,@function
_ZN7rocprim17ROCPRIM_400000_NS6detail17trampoline_kernelINS0_14default_configENS1_33run_length_encode_config_selectorIbjNS0_4plusIjEEEEZZNS1_33reduce_by_key_impl_wrapped_configILNS1_25lookback_scan_determinismE0ES3_S7_N6hipcub16HIPCUB_304000_NS22TransformInputIteratorIbN2at6native8internal12_GLOBAL__N_110LoadBoolOpEPKhlEENS0_17constant_iteratorIjlEEPbPlSO_S6_NS0_8equal_toIbEEEE10hipError_tPvRmT2_T3_mT4_T5_T6_T7_T8_P12ihipStream_tbENKUlT_T0_E_clISt17integral_constantIbLb1EES17_IbLb0EEEEDaS13_S14_EUlS13_E_NS1_11comp_targetILNS1_3genE9ELNS1_11target_archE1100ELNS1_3gpuE3ELNS1_3repE0EEENS1_30default_config_static_selectorELNS0_4arch9wavefront6targetE1EEEvT1_: ; @_ZN7rocprim17ROCPRIM_400000_NS6detail17trampoline_kernelINS0_14default_configENS1_33run_length_encode_config_selectorIbjNS0_4plusIjEEEEZZNS1_33reduce_by_key_impl_wrapped_configILNS1_25lookback_scan_determinismE0ES3_S7_N6hipcub16HIPCUB_304000_NS22TransformInputIteratorIbN2at6native8internal12_GLOBAL__N_110LoadBoolOpEPKhlEENS0_17constant_iteratorIjlEEPbPlSO_S6_NS0_8equal_toIbEEEE10hipError_tPvRmT2_T3_mT4_T5_T6_T7_T8_P12ihipStream_tbENKUlT_T0_E_clISt17integral_constantIbLb1EES17_IbLb0EEEEDaS13_S14_EUlS13_E_NS1_11comp_targetILNS1_3genE9ELNS1_11target_archE1100ELNS1_3gpuE3ELNS1_3repE0EEENS1_30default_config_static_selectorELNS0_4arch9wavefront6targetE1EEEvT1_
; %bb.0:
	.section	.rodata,"a",@progbits
	.p2align	6, 0x0
	.amdhsa_kernel _ZN7rocprim17ROCPRIM_400000_NS6detail17trampoline_kernelINS0_14default_configENS1_33run_length_encode_config_selectorIbjNS0_4plusIjEEEEZZNS1_33reduce_by_key_impl_wrapped_configILNS1_25lookback_scan_determinismE0ES3_S7_N6hipcub16HIPCUB_304000_NS22TransformInputIteratorIbN2at6native8internal12_GLOBAL__N_110LoadBoolOpEPKhlEENS0_17constant_iteratorIjlEEPbPlSO_S6_NS0_8equal_toIbEEEE10hipError_tPvRmT2_T3_mT4_T5_T6_T7_T8_P12ihipStream_tbENKUlT_T0_E_clISt17integral_constantIbLb1EES17_IbLb0EEEEDaS13_S14_EUlS13_E_NS1_11comp_targetILNS1_3genE9ELNS1_11target_archE1100ELNS1_3gpuE3ELNS1_3repE0EEENS1_30default_config_static_selectorELNS0_4arch9wavefront6targetE1EEEvT1_
		.amdhsa_group_segment_fixed_size 0
		.amdhsa_private_segment_fixed_size 0
		.amdhsa_kernarg_size 136
		.amdhsa_user_sgpr_count 2
		.amdhsa_user_sgpr_dispatch_ptr 0
		.amdhsa_user_sgpr_queue_ptr 0
		.amdhsa_user_sgpr_kernarg_segment_ptr 1
		.amdhsa_user_sgpr_dispatch_id 0
		.amdhsa_user_sgpr_kernarg_preload_length 0
		.amdhsa_user_sgpr_kernarg_preload_offset 0
		.amdhsa_user_sgpr_private_segment_size 0
		.amdhsa_uses_dynamic_stack 0
		.amdhsa_enable_private_segment 0
		.amdhsa_system_sgpr_workgroup_id_x 1
		.amdhsa_system_sgpr_workgroup_id_y 0
		.amdhsa_system_sgpr_workgroup_id_z 0
		.amdhsa_system_sgpr_workgroup_info 0
		.amdhsa_system_vgpr_workitem_id 0
		.amdhsa_next_free_vgpr 1
		.amdhsa_next_free_sgpr 0
		.amdhsa_accum_offset 4
		.amdhsa_reserve_vcc 0
		.amdhsa_float_round_mode_32 0
		.amdhsa_float_round_mode_16_64 0
		.amdhsa_float_denorm_mode_32 3
		.amdhsa_float_denorm_mode_16_64 3
		.amdhsa_dx10_clamp 1
		.amdhsa_ieee_mode 1
		.amdhsa_fp16_overflow 0
		.amdhsa_tg_split 0
		.amdhsa_exception_fp_ieee_invalid_op 0
		.amdhsa_exception_fp_denorm_src 0
		.amdhsa_exception_fp_ieee_div_zero 0
		.amdhsa_exception_fp_ieee_overflow 0
		.amdhsa_exception_fp_ieee_underflow 0
		.amdhsa_exception_fp_ieee_inexact 0
		.amdhsa_exception_int_div_zero 0
	.end_amdhsa_kernel
	.section	.text._ZN7rocprim17ROCPRIM_400000_NS6detail17trampoline_kernelINS0_14default_configENS1_33run_length_encode_config_selectorIbjNS0_4plusIjEEEEZZNS1_33reduce_by_key_impl_wrapped_configILNS1_25lookback_scan_determinismE0ES3_S7_N6hipcub16HIPCUB_304000_NS22TransformInputIteratorIbN2at6native8internal12_GLOBAL__N_110LoadBoolOpEPKhlEENS0_17constant_iteratorIjlEEPbPlSO_S6_NS0_8equal_toIbEEEE10hipError_tPvRmT2_T3_mT4_T5_T6_T7_T8_P12ihipStream_tbENKUlT_T0_E_clISt17integral_constantIbLb1EES17_IbLb0EEEEDaS13_S14_EUlS13_E_NS1_11comp_targetILNS1_3genE9ELNS1_11target_archE1100ELNS1_3gpuE3ELNS1_3repE0EEENS1_30default_config_static_selectorELNS0_4arch9wavefront6targetE1EEEvT1_,"axG",@progbits,_ZN7rocprim17ROCPRIM_400000_NS6detail17trampoline_kernelINS0_14default_configENS1_33run_length_encode_config_selectorIbjNS0_4plusIjEEEEZZNS1_33reduce_by_key_impl_wrapped_configILNS1_25lookback_scan_determinismE0ES3_S7_N6hipcub16HIPCUB_304000_NS22TransformInputIteratorIbN2at6native8internal12_GLOBAL__N_110LoadBoolOpEPKhlEENS0_17constant_iteratorIjlEEPbPlSO_S6_NS0_8equal_toIbEEEE10hipError_tPvRmT2_T3_mT4_T5_T6_T7_T8_P12ihipStream_tbENKUlT_T0_E_clISt17integral_constantIbLb1EES17_IbLb0EEEEDaS13_S14_EUlS13_E_NS1_11comp_targetILNS1_3genE9ELNS1_11target_archE1100ELNS1_3gpuE3ELNS1_3repE0EEENS1_30default_config_static_selectorELNS0_4arch9wavefront6targetE1EEEvT1_,comdat
.Lfunc_end85:
	.size	_ZN7rocprim17ROCPRIM_400000_NS6detail17trampoline_kernelINS0_14default_configENS1_33run_length_encode_config_selectorIbjNS0_4plusIjEEEEZZNS1_33reduce_by_key_impl_wrapped_configILNS1_25lookback_scan_determinismE0ES3_S7_N6hipcub16HIPCUB_304000_NS22TransformInputIteratorIbN2at6native8internal12_GLOBAL__N_110LoadBoolOpEPKhlEENS0_17constant_iteratorIjlEEPbPlSO_S6_NS0_8equal_toIbEEEE10hipError_tPvRmT2_T3_mT4_T5_T6_T7_T8_P12ihipStream_tbENKUlT_T0_E_clISt17integral_constantIbLb1EES17_IbLb0EEEEDaS13_S14_EUlS13_E_NS1_11comp_targetILNS1_3genE9ELNS1_11target_archE1100ELNS1_3gpuE3ELNS1_3repE0EEENS1_30default_config_static_selectorELNS0_4arch9wavefront6targetE1EEEvT1_, .Lfunc_end85-_ZN7rocprim17ROCPRIM_400000_NS6detail17trampoline_kernelINS0_14default_configENS1_33run_length_encode_config_selectorIbjNS0_4plusIjEEEEZZNS1_33reduce_by_key_impl_wrapped_configILNS1_25lookback_scan_determinismE0ES3_S7_N6hipcub16HIPCUB_304000_NS22TransformInputIteratorIbN2at6native8internal12_GLOBAL__N_110LoadBoolOpEPKhlEENS0_17constant_iteratorIjlEEPbPlSO_S6_NS0_8equal_toIbEEEE10hipError_tPvRmT2_T3_mT4_T5_T6_T7_T8_P12ihipStream_tbENKUlT_T0_E_clISt17integral_constantIbLb1EES17_IbLb0EEEEDaS13_S14_EUlS13_E_NS1_11comp_targetILNS1_3genE9ELNS1_11target_archE1100ELNS1_3gpuE3ELNS1_3repE0EEENS1_30default_config_static_selectorELNS0_4arch9wavefront6targetE1EEEvT1_
                                        ; -- End function
	.section	.AMDGPU.csdata,"",@progbits
; Kernel info:
; codeLenInByte = 0
; NumSgprs: 6
; NumVgprs: 0
; NumAgprs: 0
; TotalNumVgprs: 0
; ScratchSize: 0
; MemoryBound: 0
; FloatMode: 240
; IeeeMode: 1
; LDSByteSize: 0 bytes/workgroup (compile time only)
; SGPRBlocks: 0
; VGPRBlocks: 0
; NumSGPRsForWavesPerEU: 6
; NumVGPRsForWavesPerEU: 1
; AccumOffset: 4
; Occupancy: 8
; WaveLimiterHint : 0
; COMPUTE_PGM_RSRC2:SCRATCH_EN: 0
; COMPUTE_PGM_RSRC2:USER_SGPR: 2
; COMPUTE_PGM_RSRC2:TRAP_HANDLER: 0
; COMPUTE_PGM_RSRC2:TGID_X_EN: 1
; COMPUTE_PGM_RSRC2:TGID_Y_EN: 0
; COMPUTE_PGM_RSRC2:TGID_Z_EN: 0
; COMPUTE_PGM_RSRC2:TIDIG_COMP_CNT: 0
; COMPUTE_PGM_RSRC3_GFX90A:ACCUM_OFFSET: 0
; COMPUTE_PGM_RSRC3_GFX90A:TG_SPLIT: 0
	.section	.text._ZN7rocprim17ROCPRIM_400000_NS6detail17trampoline_kernelINS0_14default_configENS1_33run_length_encode_config_selectorIbjNS0_4plusIjEEEEZZNS1_33reduce_by_key_impl_wrapped_configILNS1_25lookback_scan_determinismE0ES3_S7_N6hipcub16HIPCUB_304000_NS22TransformInputIteratorIbN2at6native8internal12_GLOBAL__N_110LoadBoolOpEPKhlEENS0_17constant_iteratorIjlEEPbPlSO_S6_NS0_8equal_toIbEEEE10hipError_tPvRmT2_T3_mT4_T5_T6_T7_T8_P12ihipStream_tbENKUlT_T0_E_clISt17integral_constantIbLb1EES17_IbLb0EEEEDaS13_S14_EUlS13_E_NS1_11comp_targetILNS1_3genE8ELNS1_11target_archE1030ELNS1_3gpuE2ELNS1_3repE0EEENS1_30default_config_static_selectorELNS0_4arch9wavefront6targetE1EEEvT1_,"axG",@progbits,_ZN7rocprim17ROCPRIM_400000_NS6detail17trampoline_kernelINS0_14default_configENS1_33run_length_encode_config_selectorIbjNS0_4plusIjEEEEZZNS1_33reduce_by_key_impl_wrapped_configILNS1_25lookback_scan_determinismE0ES3_S7_N6hipcub16HIPCUB_304000_NS22TransformInputIteratorIbN2at6native8internal12_GLOBAL__N_110LoadBoolOpEPKhlEENS0_17constant_iteratorIjlEEPbPlSO_S6_NS0_8equal_toIbEEEE10hipError_tPvRmT2_T3_mT4_T5_T6_T7_T8_P12ihipStream_tbENKUlT_T0_E_clISt17integral_constantIbLb1EES17_IbLb0EEEEDaS13_S14_EUlS13_E_NS1_11comp_targetILNS1_3genE8ELNS1_11target_archE1030ELNS1_3gpuE2ELNS1_3repE0EEENS1_30default_config_static_selectorELNS0_4arch9wavefront6targetE1EEEvT1_,comdat
	.globl	_ZN7rocprim17ROCPRIM_400000_NS6detail17trampoline_kernelINS0_14default_configENS1_33run_length_encode_config_selectorIbjNS0_4plusIjEEEEZZNS1_33reduce_by_key_impl_wrapped_configILNS1_25lookback_scan_determinismE0ES3_S7_N6hipcub16HIPCUB_304000_NS22TransformInputIteratorIbN2at6native8internal12_GLOBAL__N_110LoadBoolOpEPKhlEENS0_17constant_iteratorIjlEEPbPlSO_S6_NS0_8equal_toIbEEEE10hipError_tPvRmT2_T3_mT4_T5_T6_T7_T8_P12ihipStream_tbENKUlT_T0_E_clISt17integral_constantIbLb1EES17_IbLb0EEEEDaS13_S14_EUlS13_E_NS1_11comp_targetILNS1_3genE8ELNS1_11target_archE1030ELNS1_3gpuE2ELNS1_3repE0EEENS1_30default_config_static_selectorELNS0_4arch9wavefront6targetE1EEEvT1_ ; -- Begin function _ZN7rocprim17ROCPRIM_400000_NS6detail17trampoline_kernelINS0_14default_configENS1_33run_length_encode_config_selectorIbjNS0_4plusIjEEEEZZNS1_33reduce_by_key_impl_wrapped_configILNS1_25lookback_scan_determinismE0ES3_S7_N6hipcub16HIPCUB_304000_NS22TransformInputIteratorIbN2at6native8internal12_GLOBAL__N_110LoadBoolOpEPKhlEENS0_17constant_iteratorIjlEEPbPlSO_S6_NS0_8equal_toIbEEEE10hipError_tPvRmT2_T3_mT4_T5_T6_T7_T8_P12ihipStream_tbENKUlT_T0_E_clISt17integral_constantIbLb1EES17_IbLb0EEEEDaS13_S14_EUlS13_E_NS1_11comp_targetILNS1_3genE8ELNS1_11target_archE1030ELNS1_3gpuE2ELNS1_3repE0EEENS1_30default_config_static_selectorELNS0_4arch9wavefront6targetE1EEEvT1_
	.p2align	8
	.type	_ZN7rocprim17ROCPRIM_400000_NS6detail17trampoline_kernelINS0_14default_configENS1_33run_length_encode_config_selectorIbjNS0_4plusIjEEEEZZNS1_33reduce_by_key_impl_wrapped_configILNS1_25lookback_scan_determinismE0ES3_S7_N6hipcub16HIPCUB_304000_NS22TransformInputIteratorIbN2at6native8internal12_GLOBAL__N_110LoadBoolOpEPKhlEENS0_17constant_iteratorIjlEEPbPlSO_S6_NS0_8equal_toIbEEEE10hipError_tPvRmT2_T3_mT4_T5_T6_T7_T8_P12ihipStream_tbENKUlT_T0_E_clISt17integral_constantIbLb1EES17_IbLb0EEEEDaS13_S14_EUlS13_E_NS1_11comp_targetILNS1_3genE8ELNS1_11target_archE1030ELNS1_3gpuE2ELNS1_3repE0EEENS1_30default_config_static_selectorELNS0_4arch9wavefront6targetE1EEEvT1_,@function
_ZN7rocprim17ROCPRIM_400000_NS6detail17trampoline_kernelINS0_14default_configENS1_33run_length_encode_config_selectorIbjNS0_4plusIjEEEEZZNS1_33reduce_by_key_impl_wrapped_configILNS1_25lookback_scan_determinismE0ES3_S7_N6hipcub16HIPCUB_304000_NS22TransformInputIteratorIbN2at6native8internal12_GLOBAL__N_110LoadBoolOpEPKhlEENS0_17constant_iteratorIjlEEPbPlSO_S6_NS0_8equal_toIbEEEE10hipError_tPvRmT2_T3_mT4_T5_T6_T7_T8_P12ihipStream_tbENKUlT_T0_E_clISt17integral_constantIbLb1EES17_IbLb0EEEEDaS13_S14_EUlS13_E_NS1_11comp_targetILNS1_3genE8ELNS1_11target_archE1030ELNS1_3gpuE2ELNS1_3repE0EEENS1_30default_config_static_selectorELNS0_4arch9wavefront6targetE1EEEvT1_: ; @_ZN7rocprim17ROCPRIM_400000_NS6detail17trampoline_kernelINS0_14default_configENS1_33run_length_encode_config_selectorIbjNS0_4plusIjEEEEZZNS1_33reduce_by_key_impl_wrapped_configILNS1_25lookback_scan_determinismE0ES3_S7_N6hipcub16HIPCUB_304000_NS22TransformInputIteratorIbN2at6native8internal12_GLOBAL__N_110LoadBoolOpEPKhlEENS0_17constant_iteratorIjlEEPbPlSO_S6_NS0_8equal_toIbEEEE10hipError_tPvRmT2_T3_mT4_T5_T6_T7_T8_P12ihipStream_tbENKUlT_T0_E_clISt17integral_constantIbLb1EES17_IbLb0EEEEDaS13_S14_EUlS13_E_NS1_11comp_targetILNS1_3genE8ELNS1_11target_archE1030ELNS1_3gpuE2ELNS1_3repE0EEENS1_30default_config_static_selectorELNS0_4arch9wavefront6targetE1EEEvT1_
; %bb.0:
	.section	.rodata,"a",@progbits
	.p2align	6, 0x0
	.amdhsa_kernel _ZN7rocprim17ROCPRIM_400000_NS6detail17trampoline_kernelINS0_14default_configENS1_33run_length_encode_config_selectorIbjNS0_4plusIjEEEEZZNS1_33reduce_by_key_impl_wrapped_configILNS1_25lookback_scan_determinismE0ES3_S7_N6hipcub16HIPCUB_304000_NS22TransformInputIteratorIbN2at6native8internal12_GLOBAL__N_110LoadBoolOpEPKhlEENS0_17constant_iteratorIjlEEPbPlSO_S6_NS0_8equal_toIbEEEE10hipError_tPvRmT2_T3_mT4_T5_T6_T7_T8_P12ihipStream_tbENKUlT_T0_E_clISt17integral_constantIbLb1EES17_IbLb0EEEEDaS13_S14_EUlS13_E_NS1_11comp_targetILNS1_3genE8ELNS1_11target_archE1030ELNS1_3gpuE2ELNS1_3repE0EEENS1_30default_config_static_selectorELNS0_4arch9wavefront6targetE1EEEvT1_
		.amdhsa_group_segment_fixed_size 0
		.amdhsa_private_segment_fixed_size 0
		.amdhsa_kernarg_size 136
		.amdhsa_user_sgpr_count 2
		.amdhsa_user_sgpr_dispatch_ptr 0
		.amdhsa_user_sgpr_queue_ptr 0
		.amdhsa_user_sgpr_kernarg_segment_ptr 1
		.amdhsa_user_sgpr_dispatch_id 0
		.amdhsa_user_sgpr_kernarg_preload_length 0
		.amdhsa_user_sgpr_kernarg_preload_offset 0
		.amdhsa_user_sgpr_private_segment_size 0
		.amdhsa_uses_dynamic_stack 0
		.amdhsa_enable_private_segment 0
		.amdhsa_system_sgpr_workgroup_id_x 1
		.amdhsa_system_sgpr_workgroup_id_y 0
		.amdhsa_system_sgpr_workgroup_id_z 0
		.amdhsa_system_sgpr_workgroup_info 0
		.amdhsa_system_vgpr_workitem_id 0
		.amdhsa_next_free_vgpr 1
		.amdhsa_next_free_sgpr 0
		.amdhsa_accum_offset 4
		.amdhsa_reserve_vcc 0
		.amdhsa_float_round_mode_32 0
		.amdhsa_float_round_mode_16_64 0
		.amdhsa_float_denorm_mode_32 3
		.amdhsa_float_denorm_mode_16_64 3
		.amdhsa_dx10_clamp 1
		.amdhsa_ieee_mode 1
		.amdhsa_fp16_overflow 0
		.amdhsa_tg_split 0
		.amdhsa_exception_fp_ieee_invalid_op 0
		.amdhsa_exception_fp_denorm_src 0
		.amdhsa_exception_fp_ieee_div_zero 0
		.amdhsa_exception_fp_ieee_overflow 0
		.amdhsa_exception_fp_ieee_underflow 0
		.amdhsa_exception_fp_ieee_inexact 0
		.amdhsa_exception_int_div_zero 0
	.end_amdhsa_kernel
	.section	.text._ZN7rocprim17ROCPRIM_400000_NS6detail17trampoline_kernelINS0_14default_configENS1_33run_length_encode_config_selectorIbjNS0_4plusIjEEEEZZNS1_33reduce_by_key_impl_wrapped_configILNS1_25lookback_scan_determinismE0ES3_S7_N6hipcub16HIPCUB_304000_NS22TransformInputIteratorIbN2at6native8internal12_GLOBAL__N_110LoadBoolOpEPKhlEENS0_17constant_iteratorIjlEEPbPlSO_S6_NS0_8equal_toIbEEEE10hipError_tPvRmT2_T3_mT4_T5_T6_T7_T8_P12ihipStream_tbENKUlT_T0_E_clISt17integral_constantIbLb1EES17_IbLb0EEEEDaS13_S14_EUlS13_E_NS1_11comp_targetILNS1_3genE8ELNS1_11target_archE1030ELNS1_3gpuE2ELNS1_3repE0EEENS1_30default_config_static_selectorELNS0_4arch9wavefront6targetE1EEEvT1_,"axG",@progbits,_ZN7rocprim17ROCPRIM_400000_NS6detail17trampoline_kernelINS0_14default_configENS1_33run_length_encode_config_selectorIbjNS0_4plusIjEEEEZZNS1_33reduce_by_key_impl_wrapped_configILNS1_25lookback_scan_determinismE0ES3_S7_N6hipcub16HIPCUB_304000_NS22TransformInputIteratorIbN2at6native8internal12_GLOBAL__N_110LoadBoolOpEPKhlEENS0_17constant_iteratorIjlEEPbPlSO_S6_NS0_8equal_toIbEEEE10hipError_tPvRmT2_T3_mT4_T5_T6_T7_T8_P12ihipStream_tbENKUlT_T0_E_clISt17integral_constantIbLb1EES17_IbLb0EEEEDaS13_S14_EUlS13_E_NS1_11comp_targetILNS1_3genE8ELNS1_11target_archE1030ELNS1_3gpuE2ELNS1_3repE0EEENS1_30default_config_static_selectorELNS0_4arch9wavefront6targetE1EEEvT1_,comdat
.Lfunc_end86:
	.size	_ZN7rocprim17ROCPRIM_400000_NS6detail17trampoline_kernelINS0_14default_configENS1_33run_length_encode_config_selectorIbjNS0_4plusIjEEEEZZNS1_33reduce_by_key_impl_wrapped_configILNS1_25lookback_scan_determinismE0ES3_S7_N6hipcub16HIPCUB_304000_NS22TransformInputIteratorIbN2at6native8internal12_GLOBAL__N_110LoadBoolOpEPKhlEENS0_17constant_iteratorIjlEEPbPlSO_S6_NS0_8equal_toIbEEEE10hipError_tPvRmT2_T3_mT4_T5_T6_T7_T8_P12ihipStream_tbENKUlT_T0_E_clISt17integral_constantIbLb1EES17_IbLb0EEEEDaS13_S14_EUlS13_E_NS1_11comp_targetILNS1_3genE8ELNS1_11target_archE1030ELNS1_3gpuE2ELNS1_3repE0EEENS1_30default_config_static_selectorELNS0_4arch9wavefront6targetE1EEEvT1_, .Lfunc_end86-_ZN7rocprim17ROCPRIM_400000_NS6detail17trampoline_kernelINS0_14default_configENS1_33run_length_encode_config_selectorIbjNS0_4plusIjEEEEZZNS1_33reduce_by_key_impl_wrapped_configILNS1_25lookback_scan_determinismE0ES3_S7_N6hipcub16HIPCUB_304000_NS22TransformInputIteratorIbN2at6native8internal12_GLOBAL__N_110LoadBoolOpEPKhlEENS0_17constant_iteratorIjlEEPbPlSO_S6_NS0_8equal_toIbEEEE10hipError_tPvRmT2_T3_mT4_T5_T6_T7_T8_P12ihipStream_tbENKUlT_T0_E_clISt17integral_constantIbLb1EES17_IbLb0EEEEDaS13_S14_EUlS13_E_NS1_11comp_targetILNS1_3genE8ELNS1_11target_archE1030ELNS1_3gpuE2ELNS1_3repE0EEENS1_30default_config_static_selectorELNS0_4arch9wavefront6targetE1EEEvT1_
                                        ; -- End function
	.section	.AMDGPU.csdata,"",@progbits
; Kernel info:
; codeLenInByte = 0
; NumSgprs: 6
; NumVgprs: 0
; NumAgprs: 0
; TotalNumVgprs: 0
; ScratchSize: 0
; MemoryBound: 0
; FloatMode: 240
; IeeeMode: 1
; LDSByteSize: 0 bytes/workgroup (compile time only)
; SGPRBlocks: 0
; VGPRBlocks: 0
; NumSGPRsForWavesPerEU: 6
; NumVGPRsForWavesPerEU: 1
; AccumOffset: 4
; Occupancy: 8
; WaveLimiterHint : 0
; COMPUTE_PGM_RSRC2:SCRATCH_EN: 0
; COMPUTE_PGM_RSRC2:USER_SGPR: 2
; COMPUTE_PGM_RSRC2:TRAP_HANDLER: 0
; COMPUTE_PGM_RSRC2:TGID_X_EN: 1
; COMPUTE_PGM_RSRC2:TGID_Y_EN: 0
; COMPUTE_PGM_RSRC2:TGID_Z_EN: 0
; COMPUTE_PGM_RSRC2:TIDIG_COMP_CNT: 0
; COMPUTE_PGM_RSRC3_GFX90A:ACCUM_OFFSET: 0
; COMPUTE_PGM_RSRC3_GFX90A:TG_SPLIT: 0
	.section	.text._ZN7rocprim17ROCPRIM_400000_NS6detail25reduce_by_key_init_kernelINS1_19lookback_scan_stateINS0_5tupleIJjjEEELb0ELb1EEEjNS1_16block_id_wrapperIjLb1EEEEEvT_jbjPmPT0_T1_,"axG",@progbits,_ZN7rocprim17ROCPRIM_400000_NS6detail25reduce_by_key_init_kernelINS1_19lookback_scan_stateINS0_5tupleIJjjEEELb0ELb1EEEjNS1_16block_id_wrapperIjLb1EEEEEvT_jbjPmPT0_T1_,comdat
	.protected	_ZN7rocprim17ROCPRIM_400000_NS6detail25reduce_by_key_init_kernelINS1_19lookback_scan_stateINS0_5tupleIJjjEEELb0ELb1EEEjNS1_16block_id_wrapperIjLb1EEEEEvT_jbjPmPT0_T1_ ; -- Begin function _ZN7rocprim17ROCPRIM_400000_NS6detail25reduce_by_key_init_kernelINS1_19lookback_scan_stateINS0_5tupleIJjjEEELb0ELb1EEEjNS1_16block_id_wrapperIjLb1EEEEEvT_jbjPmPT0_T1_
	.globl	_ZN7rocprim17ROCPRIM_400000_NS6detail25reduce_by_key_init_kernelINS1_19lookback_scan_stateINS0_5tupleIJjjEEELb0ELb1EEEjNS1_16block_id_wrapperIjLb1EEEEEvT_jbjPmPT0_T1_
	.p2align	8
	.type	_ZN7rocprim17ROCPRIM_400000_NS6detail25reduce_by_key_init_kernelINS1_19lookback_scan_stateINS0_5tupleIJjjEEELb0ELb1EEEjNS1_16block_id_wrapperIjLb1EEEEEvT_jbjPmPT0_T1_,@function
_ZN7rocprim17ROCPRIM_400000_NS6detail25reduce_by_key_init_kernelINS1_19lookback_scan_stateINS0_5tupleIJjjEEELb0ELb1EEEjNS1_16block_id_wrapperIjLb1EEEEEvT_jbjPmPT0_T1_: ; @_ZN7rocprim17ROCPRIM_400000_NS6detail25reduce_by_key_init_kernelINS1_19lookback_scan_stateINS0_5tupleIJjjEEELb0ELb1EEEjNS1_16block_id_wrapperIjLb1EEEEEvT_jbjPmPT0_T1_
; %bb.0:
	s_load_dwordx8 s[4:11], s[0:1], 0x8
	s_load_dword s3, s[0:1], 0x3c
	s_load_dwordx2 s[14:15], s[0:1], 0x28
	s_load_dwordx2 s[12:13], s[0:1], 0x0
	s_waitcnt lgkmcnt(0)
	s_and_b32 s0, s5, 1
	s_and_b32 s1, s3, 0xffff
	s_mul_i32 s2, s2, s1
	s_cmp_eq_u32 s0, 0
	v_add_u32_e32 v0, s2, v0
	s_mov_b64 s[0:1], -1
	s_cbranch_scc1 .LBB87_6
; %bb.1:
	s_andn2_b64 vcc, exec, s[0:1]
	v_cmp_eq_u32_e64 s[0:1], 0, v0
	s_cbranch_vccz .LBB87_13
.LBB87_2:
	v_cmp_eq_u32_e32 vcc, 0, v0
	s_and_saveexec_b64 s[0:1], vcc
	s_cbranch_execnz .LBB87_16
.LBB87_3:
	s_or_b64 exec, exec, s[0:1]
	v_cmp_gt_u32_e32 vcc, s4, v0
	s_and_saveexec_b64 s[0:1], vcc
	s_cbranch_execnz .LBB87_17
.LBB87_4:
	s_or_b64 exec, exec, s[0:1]
	v_cmp_gt_u32_e32 vcc, 64, v0
	s_and_saveexec_b64 s[0:1], vcc
	s_cbranch_execnz .LBB87_18
.LBB87_5:
	s_endpgm
.LBB87_6:
	s_cmp_lt_u32 s6, s4
	s_cselect_b32 s0, s6, 0
	v_cmp_eq_u32_e32 vcc, s0, v0
	s_and_saveexec_b64 s[0:1], vcc
	s_cbranch_execz .LBB87_12
; %bb.7:
	s_add_i32 s2, s6, 64
	s_mov_b32 s3, 0
	s_lshl_b64 s[2:3], s[2:3], 4
	s_add_u32 s16, s12, s2
	s_addc_u32 s17, s13, s3
	v_mov_b64_e32 v[2:3], s[16:17]
	;;#ASMSTART
	global_load_dwordx4 v[2:5], v[2:3] off sc1	
s_waitcnt vmcnt(0)
	;;#ASMEND
	v_mov_b32_e32 v7, 0
	v_and_b32_e32 v6, 0xff, v4
	s_mov_b64 s[6:7], 0
	v_cmp_eq_u64_e32 vcc, 0, v[6:7]
	s_and_saveexec_b64 s[2:3], vcc
	s_cbranch_execz .LBB87_11
; %bb.8:
	v_mov_b64_e32 v[8:9], s[16:17]
.LBB87_9:                               ; =>This Inner Loop Header: Depth=1
	;;#ASMSTART
	global_load_dwordx4 v[2:5], v[8:9] off sc1	
s_waitcnt vmcnt(0)
	;;#ASMEND
	s_nop 0
	v_and_b32_e32 v6, 0xff, v4
	v_cmp_ne_u64_e32 vcc, 0, v[6:7]
	s_or_b64 s[6:7], vcc, s[6:7]
	s_andn2_b64 exec, exec, s[6:7]
	s_cbranch_execnz .LBB87_9
; %bb.10:
	s_or_b64 exec, exec, s[6:7]
.LBB87_11:
	s_or_b64 exec, exec, s[2:3]
	v_mov_b32_e32 v5, 0
	global_load_dwordx2 v[6:7], v5, s[8:9]
	v_mov_b32_e32 v4, v2
	s_waitcnt vmcnt(0)
	v_lshl_add_u64 v[6:7], v[6:7], 0, v[4:5]
	global_store_dwordx2 v5, v[6:7], s[8:9]
	global_store_dword v5, v3, s[10:11]
.LBB87_12:
	s_or_b64 exec, exec, s[0:1]
	v_cmp_eq_u32_e64 s[0:1], 0, v0
	s_cbranch_execnz .LBB87_2
.LBB87_13:
	s_cmp_lg_u64 s[8:9], 0
	s_cselect_b64 s[2:3], -1, 0
	s_and_b64 s[2:3], s[2:3], s[0:1]
	s_and_saveexec_b64 s[0:1], s[2:3]
	s_cbranch_execz .LBB87_15
; %bb.14:
	v_mov_b32_e32 v2, 0
	v_mov_b32_e32 v3, v2
	global_store_dwordx2 v2, v[2:3], s[8:9]
.LBB87_15:
	s_or_b64 exec, exec, s[0:1]
	v_cmp_eq_u32_e32 vcc, 0, v0
	s_and_saveexec_b64 s[0:1], vcc
	s_cbranch_execz .LBB87_3
.LBB87_16:
	v_mov_b32_e32 v1, 0
	global_store_dword v1, v1, s[14:15]
	s_or_b64 exec, exec, s[0:1]
	v_cmp_gt_u32_e32 vcc, s4, v0
	s_and_saveexec_b64 s[0:1], vcc
	s_cbranch_execz .LBB87_4
.LBB87_17:
	v_add_u32_e32 v2, 64, v0
	v_mov_b32_e32 v3, 0
	v_lshl_add_u64 v[6:7], v[2:3], 4, s[12:13]
	v_mov_b32_e32 v2, v3
	v_mov_b32_e32 v4, v3
	;; [unrolled: 1-line block ×3, first 2 shown]
	global_store_dwordx4 v[6:7], v[2:5], off
	s_or_b64 exec, exec, s[0:1]
	v_cmp_gt_u32_e32 vcc, 64, v0
	s_and_saveexec_b64 s[0:1], vcc
	s_cbranch_execz .LBB87_5
.LBB87_18:
	v_mov_b32_e32 v1, 0
	v_lshl_add_u64 v[4:5], v[0:1], 4, s[12:13]
	v_mov_b32_e32 v2, 0xff
	v_mov_b32_e32 v0, v1
	;; [unrolled: 1-line block ×3, first 2 shown]
	global_store_dwordx4 v[4:5], v[0:3], off
	s_endpgm
	.section	.rodata,"a",@progbits
	.p2align	6, 0x0
	.amdhsa_kernel _ZN7rocprim17ROCPRIM_400000_NS6detail25reduce_by_key_init_kernelINS1_19lookback_scan_stateINS0_5tupleIJjjEEELb0ELb1EEEjNS1_16block_id_wrapperIjLb1EEEEEvT_jbjPmPT0_T1_
		.amdhsa_group_segment_fixed_size 0
		.amdhsa_private_segment_fixed_size 0
		.amdhsa_kernarg_size 304
		.amdhsa_user_sgpr_count 2
		.amdhsa_user_sgpr_dispatch_ptr 0
		.amdhsa_user_sgpr_queue_ptr 0
		.amdhsa_user_sgpr_kernarg_segment_ptr 1
		.amdhsa_user_sgpr_dispatch_id 0
		.amdhsa_user_sgpr_kernarg_preload_length 0
		.amdhsa_user_sgpr_kernarg_preload_offset 0
		.amdhsa_user_sgpr_private_segment_size 0
		.amdhsa_uses_dynamic_stack 0
		.amdhsa_enable_private_segment 0
		.amdhsa_system_sgpr_workgroup_id_x 1
		.amdhsa_system_sgpr_workgroup_id_y 0
		.amdhsa_system_sgpr_workgroup_id_z 0
		.amdhsa_system_sgpr_workgroup_info 0
		.amdhsa_system_vgpr_workitem_id 0
		.amdhsa_next_free_vgpr 10
		.amdhsa_next_free_sgpr 18
		.amdhsa_accum_offset 12
		.amdhsa_reserve_vcc 1
		.amdhsa_float_round_mode_32 0
		.amdhsa_float_round_mode_16_64 0
		.amdhsa_float_denorm_mode_32 3
		.amdhsa_float_denorm_mode_16_64 3
		.amdhsa_dx10_clamp 1
		.amdhsa_ieee_mode 1
		.amdhsa_fp16_overflow 0
		.amdhsa_tg_split 0
		.amdhsa_exception_fp_ieee_invalid_op 0
		.amdhsa_exception_fp_denorm_src 0
		.amdhsa_exception_fp_ieee_div_zero 0
		.amdhsa_exception_fp_ieee_overflow 0
		.amdhsa_exception_fp_ieee_underflow 0
		.amdhsa_exception_fp_ieee_inexact 0
		.amdhsa_exception_int_div_zero 0
	.end_amdhsa_kernel
	.section	.text._ZN7rocprim17ROCPRIM_400000_NS6detail25reduce_by_key_init_kernelINS1_19lookback_scan_stateINS0_5tupleIJjjEEELb0ELb1EEEjNS1_16block_id_wrapperIjLb1EEEEEvT_jbjPmPT0_T1_,"axG",@progbits,_ZN7rocprim17ROCPRIM_400000_NS6detail25reduce_by_key_init_kernelINS1_19lookback_scan_stateINS0_5tupleIJjjEEELb0ELb1EEEjNS1_16block_id_wrapperIjLb1EEEEEvT_jbjPmPT0_T1_,comdat
.Lfunc_end87:
	.size	_ZN7rocprim17ROCPRIM_400000_NS6detail25reduce_by_key_init_kernelINS1_19lookback_scan_stateINS0_5tupleIJjjEEELb0ELb1EEEjNS1_16block_id_wrapperIjLb1EEEEEvT_jbjPmPT0_T1_, .Lfunc_end87-_ZN7rocprim17ROCPRIM_400000_NS6detail25reduce_by_key_init_kernelINS1_19lookback_scan_stateINS0_5tupleIJjjEEELb0ELb1EEEjNS1_16block_id_wrapperIjLb1EEEEEvT_jbjPmPT0_T1_
                                        ; -- End function
	.section	.AMDGPU.csdata,"",@progbits
; Kernel info:
; codeLenInByte = 508
; NumSgprs: 24
; NumVgprs: 10
; NumAgprs: 0
; TotalNumVgprs: 10
; ScratchSize: 0
; MemoryBound: 0
; FloatMode: 240
; IeeeMode: 1
; LDSByteSize: 0 bytes/workgroup (compile time only)
; SGPRBlocks: 2
; VGPRBlocks: 1
; NumSGPRsForWavesPerEU: 24
; NumVGPRsForWavesPerEU: 10
; AccumOffset: 12
; Occupancy: 8
; WaveLimiterHint : 0
; COMPUTE_PGM_RSRC2:SCRATCH_EN: 0
; COMPUTE_PGM_RSRC2:USER_SGPR: 2
; COMPUTE_PGM_RSRC2:TRAP_HANDLER: 0
; COMPUTE_PGM_RSRC2:TGID_X_EN: 1
; COMPUTE_PGM_RSRC2:TGID_Y_EN: 0
; COMPUTE_PGM_RSRC2:TGID_Z_EN: 0
; COMPUTE_PGM_RSRC2:TIDIG_COMP_CNT: 0
; COMPUTE_PGM_RSRC3_GFX90A:ACCUM_OFFSET: 2
; COMPUTE_PGM_RSRC3_GFX90A:TG_SPLIT: 0
	.section	.text._ZN7rocprim17ROCPRIM_400000_NS6detail17trampoline_kernelINS0_14default_configENS1_33run_length_encode_config_selectorIbjNS0_4plusIjEEEEZZNS1_33reduce_by_key_impl_wrapped_configILNS1_25lookback_scan_determinismE0ES3_S7_N6hipcub16HIPCUB_304000_NS22TransformInputIteratorIbN2at6native8internal12_GLOBAL__N_110LoadBoolOpEPKhlEENS0_17constant_iteratorIjlEEPbPlSO_S6_NS0_8equal_toIbEEEE10hipError_tPvRmT2_T3_mT4_T5_T6_T7_T8_P12ihipStream_tbENKUlT_T0_E_clISt17integral_constantIbLb0EES17_IbLb1EEEEDaS13_S14_EUlS13_E_NS1_11comp_targetILNS1_3genE0ELNS1_11target_archE4294967295ELNS1_3gpuE0ELNS1_3repE0EEENS1_30default_config_static_selectorELNS0_4arch9wavefront6targetE1EEEvT1_,"axG",@progbits,_ZN7rocprim17ROCPRIM_400000_NS6detail17trampoline_kernelINS0_14default_configENS1_33run_length_encode_config_selectorIbjNS0_4plusIjEEEEZZNS1_33reduce_by_key_impl_wrapped_configILNS1_25lookback_scan_determinismE0ES3_S7_N6hipcub16HIPCUB_304000_NS22TransformInputIteratorIbN2at6native8internal12_GLOBAL__N_110LoadBoolOpEPKhlEENS0_17constant_iteratorIjlEEPbPlSO_S6_NS0_8equal_toIbEEEE10hipError_tPvRmT2_T3_mT4_T5_T6_T7_T8_P12ihipStream_tbENKUlT_T0_E_clISt17integral_constantIbLb0EES17_IbLb1EEEEDaS13_S14_EUlS13_E_NS1_11comp_targetILNS1_3genE0ELNS1_11target_archE4294967295ELNS1_3gpuE0ELNS1_3repE0EEENS1_30default_config_static_selectorELNS0_4arch9wavefront6targetE1EEEvT1_,comdat
	.globl	_ZN7rocprim17ROCPRIM_400000_NS6detail17trampoline_kernelINS0_14default_configENS1_33run_length_encode_config_selectorIbjNS0_4plusIjEEEEZZNS1_33reduce_by_key_impl_wrapped_configILNS1_25lookback_scan_determinismE0ES3_S7_N6hipcub16HIPCUB_304000_NS22TransformInputIteratorIbN2at6native8internal12_GLOBAL__N_110LoadBoolOpEPKhlEENS0_17constant_iteratorIjlEEPbPlSO_S6_NS0_8equal_toIbEEEE10hipError_tPvRmT2_T3_mT4_T5_T6_T7_T8_P12ihipStream_tbENKUlT_T0_E_clISt17integral_constantIbLb0EES17_IbLb1EEEEDaS13_S14_EUlS13_E_NS1_11comp_targetILNS1_3genE0ELNS1_11target_archE4294967295ELNS1_3gpuE0ELNS1_3repE0EEENS1_30default_config_static_selectorELNS0_4arch9wavefront6targetE1EEEvT1_ ; -- Begin function _ZN7rocprim17ROCPRIM_400000_NS6detail17trampoline_kernelINS0_14default_configENS1_33run_length_encode_config_selectorIbjNS0_4plusIjEEEEZZNS1_33reduce_by_key_impl_wrapped_configILNS1_25lookback_scan_determinismE0ES3_S7_N6hipcub16HIPCUB_304000_NS22TransformInputIteratorIbN2at6native8internal12_GLOBAL__N_110LoadBoolOpEPKhlEENS0_17constant_iteratorIjlEEPbPlSO_S6_NS0_8equal_toIbEEEE10hipError_tPvRmT2_T3_mT4_T5_T6_T7_T8_P12ihipStream_tbENKUlT_T0_E_clISt17integral_constantIbLb0EES17_IbLb1EEEEDaS13_S14_EUlS13_E_NS1_11comp_targetILNS1_3genE0ELNS1_11target_archE4294967295ELNS1_3gpuE0ELNS1_3repE0EEENS1_30default_config_static_selectorELNS0_4arch9wavefront6targetE1EEEvT1_
	.p2align	8
	.type	_ZN7rocprim17ROCPRIM_400000_NS6detail17trampoline_kernelINS0_14default_configENS1_33run_length_encode_config_selectorIbjNS0_4plusIjEEEEZZNS1_33reduce_by_key_impl_wrapped_configILNS1_25lookback_scan_determinismE0ES3_S7_N6hipcub16HIPCUB_304000_NS22TransformInputIteratorIbN2at6native8internal12_GLOBAL__N_110LoadBoolOpEPKhlEENS0_17constant_iteratorIjlEEPbPlSO_S6_NS0_8equal_toIbEEEE10hipError_tPvRmT2_T3_mT4_T5_T6_T7_T8_P12ihipStream_tbENKUlT_T0_E_clISt17integral_constantIbLb0EES17_IbLb1EEEEDaS13_S14_EUlS13_E_NS1_11comp_targetILNS1_3genE0ELNS1_11target_archE4294967295ELNS1_3gpuE0ELNS1_3repE0EEENS1_30default_config_static_selectorELNS0_4arch9wavefront6targetE1EEEvT1_,@function
_ZN7rocprim17ROCPRIM_400000_NS6detail17trampoline_kernelINS0_14default_configENS1_33run_length_encode_config_selectorIbjNS0_4plusIjEEEEZZNS1_33reduce_by_key_impl_wrapped_configILNS1_25lookback_scan_determinismE0ES3_S7_N6hipcub16HIPCUB_304000_NS22TransformInputIteratorIbN2at6native8internal12_GLOBAL__N_110LoadBoolOpEPKhlEENS0_17constant_iteratorIjlEEPbPlSO_S6_NS0_8equal_toIbEEEE10hipError_tPvRmT2_T3_mT4_T5_T6_T7_T8_P12ihipStream_tbENKUlT_T0_E_clISt17integral_constantIbLb0EES17_IbLb1EEEEDaS13_S14_EUlS13_E_NS1_11comp_targetILNS1_3genE0ELNS1_11target_archE4294967295ELNS1_3gpuE0ELNS1_3repE0EEENS1_30default_config_static_selectorELNS0_4arch9wavefront6targetE1EEEvT1_: ; @_ZN7rocprim17ROCPRIM_400000_NS6detail17trampoline_kernelINS0_14default_configENS1_33run_length_encode_config_selectorIbjNS0_4plusIjEEEEZZNS1_33reduce_by_key_impl_wrapped_configILNS1_25lookback_scan_determinismE0ES3_S7_N6hipcub16HIPCUB_304000_NS22TransformInputIteratorIbN2at6native8internal12_GLOBAL__N_110LoadBoolOpEPKhlEENS0_17constant_iteratorIjlEEPbPlSO_S6_NS0_8equal_toIbEEEE10hipError_tPvRmT2_T3_mT4_T5_T6_T7_T8_P12ihipStream_tbENKUlT_T0_E_clISt17integral_constantIbLb0EES17_IbLb1EEEEDaS13_S14_EUlS13_E_NS1_11comp_targetILNS1_3genE0ELNS1_11target_archE4294967295ELNS1_3gpuE0ELNS1_3repE0EEENS1_30default_config_static_selectorELNS0_4arch9wavefront6targetE1EEEvT1_
; %bb.0:
	.section	.rodata,"a",@progbits
	.p2align	6, 0x0
	.amdhsa_kernel _ZN7rocprim17ROCPRIM_400000_NS6detail17trampoline_kernelINS0_14default_configENS1_33run_length_encode_config_selectorIbjNS0_4plusIjEEEEZZNS1_33reduce_by_key_impl_wrapped_configILNS1_25lookback_scan_determinismE0ES3_S7_N6hipcub16HIPCUB_304000_NS22TransformInputIteratorIbN2at6native8internal12_GLOBAL__N_110LoadBoolOpEPKhlEENS0_17constant_iteratorIjlEEPbPlSO_S6_NS0_8equal_toIbEEEE10hipError_tPvRmT2_T3_mT4_T5_T6_T7_T8_P12ihipStream_tbENKUlT_T0_E_clISt17integral_constantIbLb0EES17_IbLb1EEEEDaS13_S14_EUlS13_E_NS1_11comp_targetILNS1_3genE0ELNS1_11target_archE4294967295ELNS1_3gpuE0ELNS1_3repE0EEENS1_30default_config_static_selectorELNS0_4arch9wavefront6targetE1EEEvT1_
		.amdhsa_group_segment_fixed_size 0
		.amdhsa_private_segment_fixed_size 0
		.amdhsa_kernarg_size 136
		.amdhsa_user_sgpr_count 2
		.amdhsa_user_sgpr_dispatch_ptr 0
		.amdhsa_user_sgpr_queue_ptr 0
		.amdhsa_user_sgpr_kernarg_segment_ptr 1
		.amdhsa_user_sgpr_dispatch_id 0
		.amdhsa_user_sgpr_kernarg_preload_length 0
		.amdhsa_user_sgpr_kernarg_preload_offset 0
		.amdhsa_user_sgpr_private_segment_size 0
		.amdhsa_uses_dynamic_stack 0
		.amdhsa_enable_private_segment 0
		.amdhsa_system_sgpr_workgroup_id_x 1
		.amdhsa_system_sgpr_workgroup_id_y 0
		.amdhsa_system_sgpr_workgroup_id_z 0
		.amdhsa_system_sgpr_workgroup_info 0
		.amdhsa_system_vgpr_workitem_id 0
		.amdhsa_next_free_vgpr 1
		.amdhsa_next_free_sgpr 0
		.amdhsa_accum_offset 4
		.amdhsa_reserve_vcc 0
		.amdhsa_float_round_mode_32 0
		.amdhsa_float_round_mode_16_64 0
		.amdhsa_float_denorm_mode_32 3
		.amdhsa_float_denorm_mode_16_64 3
		.amdhsa_dx10_clamp 1
		.amdhsa_ieee_mode 1
		.amdhsa_fp16_overflow 0
		.amdhsa_tg_split 0
		.amdhsa_exception_fp_ieee_invalid_op 0
		.amdhsa_exception_fp_denorm_src 0
		.amdhsa_exception_fp_ieee_div_zero 0
		.amdhsa_exception_fp_ieee_overflow 0
		.amdhsa_exception_fp_ieee_underflow 0
		.amdhsa_exception_fp_ieee_inexact 0
		.amdhsa_exception_int_div_zero 0
	.end_amdhsa_kernel
	.section	.text._ZN7rocprim17ROCPRIM_400000_NS6detail17trampoline_kernelINS0_14default_configENS1_33run_length_encode_config_selectorIbjNS0_4plusIjEEEEZZNS1_33reduce_by_key_impl_wrapped_configILNS1_25lookback_scan_determinismE0ES3_S7_N6hipcub16HIPCUB_304000_NS22TransformInputIteratorIbN2at6native8internal12_GLOBAL__N_110LoadBoolOpEPKhlEENS0_17constant_iteratorIjlEEPbPlSO_S6_NS0_8equal_toIbEEEE10hipError_tPvRmT2_T3_mT4_T5_T6_T7_T8_P12ihipStream_tbENKUlT_T0_E_clISt17integral_constantIbLb0EES17_IbLb1EEEEDaS13_S14_EUlS13_E_NS1_11comp_targetILNS1_3genE0ELNS1_11target_archE4294967295ELNS1_3gpuE0ELNS1_3repE0EEENS1_30default_config_static_selectorELNS0_4arch9wavefront6targetE1EEEvT1_,"axG",@progbits,_ZN7rocprim17ROCPRIM_400000_NS6detail17trampoline_kernelINS0_14default_configENS1_33run_length_encode_config_selectorIbjNS0_4plusIjEEEEZZNS1_33reduce_by_key_impl_wrapped_configILNS1_25lookback_scan_determinismE0ES3_S7_N6hipcub16HIPCUB_304000_NS22TransformInputIteratorIbN2at6native8internal12_GLOBAL__N_110LoadBoolOpEPKhlEENS0_17constant_iteratorIjlEEPbPlSO_S6_NS0_8equal_toIbEEEE10hipError_tPvRmT2_T3_mT4_T5_T6_T7_T8_P12ihipStream_tbENKUlT_T0_E_clISt17integral_constantIbLb0EES17_IbLb1EEEEDaS13_S14_EUlS13_E_NS1_11comp_targetILNS1_3genE0ELNS1_11target_archE4294967295ELNS1_3gpuE0ELNS1_3repE0EEENS1_30default_config_static_selectorELNS0_4arch9wavefront6targetE1EEEvT1_,comdat
.Lfunc_end88:
	.size	_ZN7rocprim17ROCPRIM_400000_NS6detail17trampoline_kernelINS0_14default_configENS1_33run_length_encode_config_selectorIbjNS0_4plusIjEEEEZZNS1_33reduce_by_key_impl_wrapped_configILNS1_25lookback_scan_determinismE0ES3_S7_N6hipcub16HIPCUB_304000_NS22TransformInputIteratorIbN2at6native8internal12_GLOBAL__N_110LoadBoolOpEPKhlEENS0_17constant_iteratorIjlEEPbPlSO_S6_NS0_8equal_toIbEEEE10hipError_tPvRmT2_T3_mT4_T5_T6_T7_T8_P12ihipStream_tbENKUlT_T0_E_clISt17integral_constantIbLb0EES17_IbLb1EEEEDaS13_S14_EUlS13_E_NS1_11comp_targetILNS1_3genE0ELNS1_11target_archE4294967295ELNS1_3gpuE0ELNS1_3repE0EEENS1_30default_config_static_selectorELNS0_4arch9wavefront6targetE1EEEvT1_, .Lfunc_end88-_ZN7rocprim17ROCPRIM_400000_NS6detail17trampoline_kernelINS0_14default_configENS1_33run_length_encode_config_selectorIbjNS0_4plusIjEEEEZZNS1_33reduce_by_key_impl_wrapped_configILNS1_25lookback_scan_determinismE0ES3_S7_N6hipcub16HIPCUB_304000_NS22TransformInputIteratorIbN2at6native8internal12_GLOBAL__N_110LoadBoolOpEPKhlEENS0_17constant_iteratorIjlEEPbPlSO_S6_NS0_8equal_toIbEEEE10hipError_tPvRmT2_T3_mT4_T5_T6_T7_T8_P12ihipStream_tbENKUlT_T0_E_clISt17integral_constantIbLb0EES17_IbLb1EEEEDaS13_S14_EUlS13_E_NS1_11comp_targetILNS1_3genE0ELNS1_11target_archE4294967295ELNS1_3gpuE0ELNS1_3repE0EEENS1_30default_config_static_selectorELNS0_4arch9wavefront6targetE1EEEvT1_
                                        ; -- End function
	.section	.AMDGPU.csdata,"",@progbits
; Kernel info:
; codeLenInByte = 0
; NumSgprs: 6
; NumVgprs: 0
; NumAgprs: 0
; TotalNumVgprs: 0
; ScratchSize: 0
; MemoryBound: 0
; FloatMode: 240
; IeeeMode: 1
; LDSByteSize: 0 bytes/workgroup (compile time only)
; SGPRBlocks: 0
; VGPRBlocks: 0
; NumSGPRsForWavesPerEU: 6
; NumVGPRsForWavesPerEU: 1
; AccumOffset: 4
; Occupancy: 8
; WaveLimiterHint : 0
; COMPUTE_PGM_RSRC2:SCRATCH_EN: 0
; COMPUTE_PGM_RSRC2:USER_SGPR: 2
; COMPUTE_PGM_RSRC2:TRAP_HANDLER: 0
; COMPUTE_PGM_RSRC2:TGID_X_EN: 1
; COMPUTE_PGM_RSRC2:TGID_Y_EN: 0
; COMPUTE_PGM_RSRC2:TGID_Z_EN: 0
; COMPUTE_PGM_RSRC2:TIDIG_COMP_CNT: 0
; COMPUTE_PGM_RSRC3_GFX90A:ACCUM_OFFSET: 0
; COMPUTE_PGM_RSRC3_GFX90A:TG_SPLIT: 0
	.section	.text._ZN7rocprim17ROCPRIM_400000_NS6detail17trampoline_kernelINS0_14default_configENS1_33run_length_encode_config_selectorIbjNS0_4plusIjEEEEZZNS1_33reduce_by_key_impl_wrapped_configILNS1_25lookback_scan_determinismE0ES3_S7_N6hipcub16HIPCUB_304000_NS22TransformInputIteratorIbN2at6native8internal12_GLOBAL__N_110LoadBoolOpEPKhlEENS0_17constant_iteratorIjlEEPbPlSO_S6_NS0_8equal_toIbEEEE10hipError_tPvRmT2_T3_mT4_T5_T6_T7_T8_P12ihipStream_tbENKUlT_T0_E_clISt17integral_constantIbLb0EES17_IbLb1EEEEDaS13_S14_EUlS13_E_NS1_11comp_targetILNS1_3genE5ELNS1_11target_archE942ELNS1_3gpuE9ELNS1_3repE0EEENS1_30default_config_static_selectorELNS0_4arch9wavefront6targetE1EEEvT1_,"axG",@progbits,_ZN7rocprim17ROCPRIM_400000_NS6detail17trampoline_kernelINS0_14default_configENS1_33run_length_encode_config_selectorIbjNS0_4plusIjEEEEZZNS1_33reduce_by_key_impl_wrapped_configILNS1_25lookback_scan_determinismE0ES3_S7_N6hipcub16HIPCUB_304000_NS22TransformInputIteratorIbN2at6native8internal12_GLOBAL__N_110LoadBoolOpEPKhlEENS0_17constant_iteratorIjlEEPbPlSO_S6_NS0_8equal_toIbEEEE10hipError_tPvRmT2_T3_mT4_T5_T6_T7_T8_P12ihipStream_tbENKUlT_T0_E_clISt17integral_constantIbLb0EES17_IbLb1EEEEDaS13_S14_EUlS13_E_NS1_11comp_targetILNS1_3genE5ELNS1_11target_archE942ELNS1_3gpuE9ELNS1_3repE0EEENS1_30default_config_static_selectorELNS0_4arch9wavefront6targetE1EEEvT1_,comdat
	.globl	_ZN7rocprim17ROCPRIM_400000_NS6detail17trampoline_kernelINS0_14default_configENS1_33run_length_encode_config_selectorIbjNS0_4plusIjEEEEZZNS1_33reduce_by_key_impl_wrapped_configILNS1_25lookback_scan_determinismE0ES3_S7_N6hipcub16HIPCUB_304000_NS22TransformInputIteratorIbN2at6native8internal12_GLOBAL__N_110LoadBoolOpEPKhlEENS0_17constant_iteratorIjlEEPbPlSO_S6_NS0_8equal_toIbEEEE10hipError_tPvRmT2_T3_mT4_T5_T6_T7_T8_P12ihipStream_tbENKUlT_T0_E_clISt17integral_constantIbLb0EES17_IbLb1EEEEDaS13_S14_EUlS13_E_NS1_11comp_targetILNS1_3genE5ELNS1_11target_archE942ELNS1_3gpuE9ELNS1_3repE0EEENS1_30default_config_static_selectorELNS0_4arch9wavefront6targetE1EEEvT1_ ; -- Begin function _ZN7rocprim17ROCPRIM_400000_NS6detail17trampoline_kernelINS0_14default_configENS1_33run_length_encode_config_selectorIbjNS0_4plusIjEEEEZZNS1_33reduce_by_key_impl_wrapped_configILNS1_25lookback_scan_determinismE0ES3_S7_N6hipcub16HIPCUB_304000_NS22TransformInputIteratorIbN2at6native8internal12_GLOBAL__N_110LoadBoolOpEPKhlEENS0_17constant_iteratorIjlEEPbPlSO_S6_NS0_8equal_toIbEEEE10hipError_tPvRmT2_T3_mT4_T5_T6_T7_T8_P12ihipStream_tbENKUlT_T0_E_clISt17integral_constantIbLb0EES17_IbLb1EEEEDaS13_S14_EUlS13_E_NS1_11comp_targetILNS1_3genE5ELNS1_11target_archE942ELNS1_3gpuE9ELNS1_3repE0EEENS1_30default_config_static_selectorELNS0_4arch9wavefront6targetE1EEEvT1_
	.p2align	8
	.type	_ZN7rocprim17ROCPRIM_400000_NS6detail17trampoline_kernelINS0_14default_configENS1_33run_length_encode_config_selectorIbjNS0_4plusIjEEEEZZNS1_33reduce_by_key_impl_wrapped_configILNS1_25lookback_scan_determinismE0ES3_S7_N6hipcub16HIPCUB_304000_NS22TransformInputIteratorIbN2at6native8internal12_GLOBAL__N_110LoadBoolOpEPKhlEENS0_17constant_iteratorIjlEEPbPlSO_S6_NS0_8equal_toIbEEEE10hipError_tPvRmT2_T3_mT4_T5_T6_T7_T8_P12ihipStream_tbENKUlT_T0_E_clISt17integral_constantIbLb0EES17_IbLb1EEEEDaS13_S14_EUlS13_E_NS1_11comp_targetILNS1_3genE5ELNS1_11target_archE942ELNS1_3gpuE9ELNS1_3repE0EEENS1_30default_config_static_selectorELNS0_4arch9wavefront6targetE1EEEvT1_,@function
_ZN7rocprim17ROCPRIM_400000_NS6detail17trampoline_kernelINS0_14default_configENS1_33run_length_encode_config_selectorIbjNS0_4plusIjEEEEZZNS1_33reduce_by_key_impl_wrapped_configILNS1_25lookback_scan_determinismE0ES3_S7_N6hipcub16HIPCUB_304000_NS22TransformInputIteratorIbN2at6native8internal12_GLOBAL__N_110LoadBoolOpEPKhlEENS0_17constant_iteratorIjlEEPbPlSO_S6_NS0_8equal_toIbEEEE10hipError_tPvRmT2_T3_mT4_T5_T6_T7_T8_P12ihipStream_tbENKUlT_T0_E_clISt17integral_constantIbLb0EES17_IbLb1EEEEDaS13_S14_EUlS13_E_NS1_11comp_targetILNS1_3genE5ELNS1_11target_archE942ELNS1_3gpuE9ELNS1_3repE0EEENS1_30default_config_static_selectorELNS0_4arch9wavefront6targetE1EEEvT1_: ; @_ZN7rocprim17ROCPRIM_400000_NS6detail17trampoline_kernelINS0_14default_configENS1_33run_length_encode_config_selectorIbjNS0_4plusIjEEEEZZNS1_33reduce_by_key_impl_wrapped_configILNS1_25lookback_scan_determinismE0ES3_S7_N6hipcub16HIPCUB_304000_NS22TransformInputIteratorIbN2at6native8internal12_GLOBAL__N_110LoadBoolOpEPKhlEENS0_17constant_iteratorIjlEEPbPlSO_S6_NS0_8equal_toIbEEEE10hipError_tPvRmT2_T3_mT4_T5_T6_T7_T8_P12ihipStream_tbENKUlT_T0_E_clISt17integral_constantIbLb0EES17_IbLb1EEEEDaS13_S14_EUlS13_E_NS1_11comp_targetILNS1_3genE5ELNS1_11target_archE942ELNS1_3gpuE9ELNS1_3repE0EEENS1_30default_config_static_selectorELNS0_4arch9wavefront6targetE1EEEvT1_
; %bb.0:
	s_load_dwordx2 s[4:5], s[0:1], 0x0
	s_load_dwordx2 s[6:7], s[0:1], 0x10
	s_load_dword s14, s[0:1], 0x18
	s_load_dwordx4 s[44:47], s[0:1], 0x28
	s_load_dwordx2 s[48:49], s[0:1], 0x38
	s_load_dwordx2 s[50:51], s[0:1], 0x78
	s_load_dwordx4 s[28:31], s[0:1], 0x68
	s_load_dwordx8 s[36:43], s[0:1], 0x48
	v_cmp_ne_u32_e64 s[2:3], 0, v0
	v_cmp_eq_u32_e64 s[34:35], 0, v0
	s_and_saveexec_b64 s[8:9], s[34:35]
	s_cbranch_execz .LBB89_4
; %bb.1:
	s_mov_b64 s[12:13], exec
	v_mbcnt_lo_u32_b32 v1, s12, 0
	v_mbcnt_hi_u32_b32 v1, s13, v1
	v_cmp_eq_u32_e32 vcc, 0, v1
                                        ; implicit-def: $vgpr2
	s_and_saveexec_b64 s[10:11], vcc
	s_cbranch_execz .LBB89_3
; %bb.2:
	s_load_dwordx2 s[0:1], s[0:1], 0x80
	s_bcnt1_i32_b64 s12, s[12:13]
	v_mov_b32_e32 v2, 0
	v_mov_b32_e32 v3, s12
	s_waitcnt lgkmcnt(0)
	global_atomic_add v2, v2, v3, s[0:1] sc0
.LBB89_3:
	s_or_b64 exec, exec, s[10:11]
	s_waitcnt vmcnt(0)
	v_readfirstlane_b32 s0, v2
	v_mov_b32_e32 v2, 0
	s_nop 0
	v_add_u32_e32 v1, s0, v1
	ds_write_b32 v2, v1
.LBB89_4:
	s_or_b64 exec, exec, s[8:9]
	v_mov_b32_e32 v5, 0
	s_waitcnt lgkmcnt(0)
	s_barrier
	ds_read_b32 v1, v5
	s_add_u32 s0, s4, s6
	s_addc_u32 s1, s5, s7
	s_mul_i32 s4, s40, s39
	s_mul_hi_u32 s5, s40, s38
	s_add_i32 s4, s5, s4
	s_mul_i32 s5, s41, s38
	s_movk_i32 s6, 0x1e00
	s_add_i32 s4, s4, s5
	s_mul_i32 s5, s40, s38
	s_waitcnt lgkmcnt(0)
	v_readfirstlane_b32 s78, v1
	v_mul_lo_u32 v4, v1, s6
	v_lshl_add_u64 v[2:3], s[0:1], 0, v[4:5]
	s_add_u32 s0, s5, s78
	s_addc_u32 s1, s4, 0
	s_add_u32 s4, s42, -1
	s_addc_u32 s5, s43, -1
	s_cmp_eq_u64 s[0:1], s[4:5]
	s_cselect_b64 s[40:41], -1, 0
	s_cmp_lg_u64 s[0:1], s[4:5]
	s_mov_b64 s[8:9], -1
	s_cselect_b64 s[6:7], -1, 0
	s_mul_i32 s33, s4, 0xffffe200
	s_and_b64 vcc, exec, s[40:41]
	v_mad_u32_u24 v4, v0, 14, v0
	s_barrier
	s_cbranch_vccnz .LBB89_6
; %bb.5:
	v_readfirstlane_b32 s4, v2
	v_readfirstlane_b32 s5, v3
	s_nop 4
	global_load_ubyte v8, v0, s[4:5]
	global_load_ubyte v9, v0, s[4:5] offset:512
	global_load_ubyte v10, v0, s[4:5] offset:1024
	;; [unrolled: 1-line block ×7, first 2 shown]
	v_mov_b32_e32 v1, v5
	s_movk_i32 s4, 0x1000
	v_lshl_add_u64 v[6:7], v[2:3], 0, v[0:1]
	v_add_co_u32_e32 v6, vcc, s4, v6
	s_nop 1
	v_addc_co_u32_e32 v7, vcc, 0, v7, vcc
	global_load_ubyte v1, v[6:7], off
	global_load_ubyte v5, v[6:7], off offset:512
	global_load_ubyte v16, v[6:7], off offset:1024
	;; [unrolled: 1-line block ×6, first 2 shown]
	s_mov_b64 s[4:5], -1
	s_waitcnt vmcnt(14)
	v_cmp_ne_u16_e32 vcc, 0, v8
	s_nop 1
	v_cndmask_b32_e64 v6, 0, 1, vcc
	s_waitcnt vmcnt(13)
	v_cmp_ne_u16_e32 vcc, 0, v9
	s_nop 1
	v_cndmask_b32_e64 v7, 0, 1, vcc
	;; [unrolled: 4-line block ×8, first 2 shown]
	s_waitcnt vmcnt(6)
	v_cmp_ne_u16_e32 vcc, 0, v1
	ds_write_b8 v0, v6
	ds_write_b8 v0, v7 offset:512
	ds_write_b8 v0, v8 offset:1024
	;; [unrolled: 1-line block ×7, first 2 shown]
	v_cndmask_b32_e64 v1, 0, 1, vcc
	s_waitcnt vmcnt(5)
	v_cmp_ne_u16_e32 vcc, 0, v5
	s_nop 1
	v_cndmask_b32_e64 v5, 0, 1, vcc
	s_waitcnt vmcnt(4)
	v_cmp_ne_u16_e32 vcc, 0, v16
	s_nop 1
	;; [unrolled: 4-line block ×6, first 2 shown]
	v_cndmask_b32_e64 v10, 0, 1, vcc
	ds_write_b8 v0, v1 offset:4096
	ds_write_b8 v0, v5 offset:4608
	;; [unrolled: 1-line block ×7, first 2 shown]
	s_waitcnt lgkmcnt(0)
	s_barrier
	ds_read_b96 v[8:10], v4
	ds_read_u8 v56, v4 offset:12
	ds_read_u8 v11, v4 offset:13
	;; [unrolled: 1-line block ×3, first 2 shown]
	s_waitcnt lgkmcnt(3)
	v_lshrrev_b32_e32 v65, 8, v8
	v_lshrrev_b32_e32 v64, 16, v8
	;; [unrolled: 1-line block ×9, first 2 shown]
	s_add_i32 s33, s33, s28
	s_cbranch_execz .LBB89_7
	s_branch .LBB89_38
.LBB89_6:
	s_mov_b64 s[4:5], 0
                                        ; implicit-def: $vgpr8
                                        ; implicit-def: $vgpr65
                                        ; implicit-def: $vgpr64
                                        ; implicit-def: $vgpr63
                                        ; implicit-def: $vgpr62
                                        ; implicit-def: $vgpr61
                                        ; implicit-def: $vgpr60
                                        ; implicit-def: $vgpr59
                                        ; implicit-def: $vgpr58
                                        ; implicit-def: $vgpr57
                                        ; implicit-def: $vgpr56
                                        ; implicit-def: $vgpr11
                                        ; implicit-def: $vgpr1
	s_add_i32 s33, s33, s28
	s_andn2_b64 vcc, exec, s[8:9]
	s_cbranch_vccnz .LBB89_38
.LBB89_7:
	v_cmp_gt_u32_e32 vcc, s33, v0
                                        ; implicit-def: $vgpr1
	s_and_saveexec_b64 s[4:5], vcc
	s_cbranch_execz .LBB89_9
; %bb.8:
	v_readfirstlane_b32 s8, v2
	v_readfirstlane_b32 s9, v3
	s_waitcnt lgkmcnt(0)
	s_nop 3
	global_load_ubyte v1, v0, s[8:9]
	s_waitcnt vmcnt(0)
	v_cmp_ne_u16_e32 vcc, 0, v1
	s_nop 1
	v_cndmask_b32_e64 v1, 0, 1, vcc
.LBB89_9:
	s_or_b64 exec, exec, s[4:5]
	v_or_b32_e32 v5, 0x200, v0
	v_cmp_gt_u32_e32 vcc, s33, v5
                                        ; implicit-def: $vgpr5
	s_and_saveexec_b64 s[4:5], vcc
	s_cbranch_execz .LBB89_11
; %bb.10:
	v_readfirstlane_b32 s8, v2
	v_readfirstlane_b32 s9, v3
	s_nop 4
	global_load_ubyte v5, v0, s[8:9] offset:512
	s_waitcnt vmcnt(0)
	v_cmp_ne_u16_e32 vcc, 0, v5
	s_nop 1
	v_cndmask_b32_e64 v5, 0, 1, vcc
.LBB89_11:
	s_or_b64 exec, exec, s[4:5]
	v_or_b32_e32 v6, 0x400, v0
	v_cmp_gt_u32_e32 vcc, s33, v6
                                        ; implicit-def: $vgpr6
	s_and_saveexec_b64 s[4:5], vcc
	s_cbranch_execz .LBB89_13
; %bb.12:
	v_readfirstlane_b32 s8, v2
	v_readfirstlane_b32 s9, v3
	s_nop 4
	global_load_ubyte v6, v0, s[8:9] offset:1024
	s_waitcnt vmcnt(0)
	v_cmp_ne_u16_e32 vcc, 0, v6
	s_nop 1
	v_cndmask_b32_e64 v6, 0, 1, vcc
.LBB89_13:
	s_or_b64 exec, exec, s[4:5]
	v_or_b32_e32 v7, 0x600, v0
	v_cmp_gt_u32_e32 vcc, s33, v7
                                        ; implicit-def: $vgpr7
	s_and_saveexec_b64 s[4:5], vcc
	s_cbranch_execz .LBB89_15
; %bb.14:
	v_readfirstlane_b32 s8, v2
	v_readfirstlane_b32 s9, v3
	s_nop 4
	global_load_ubyte v7, v0, s[8:9] offset:1536
	s_waitcnt vmcnt(0)
	v_cmp_ne_u16_e32 vcc, 0, v7
	s_nop 1
	v_cndmask_b32_e64 v7, 0, 1, vcc
.LBB89_15:
	s_or_b64 exec, exec, s[4:5]
	v_or_b32_e32 v8, 0x800, v0
	v_cmp_gt_u32_e32 vcc, s33, v8
                                        ; implicit-def: $vgpr8
	s_and_saveexec_b64 s[4:5], vcc
	s_cbranch_execz .LBB89_17
; %bb.16:
	v_readfirstlane_b32 s8, v2
	v_readfirstlane_b32 s9, v3
	s_nop 4
	global_load_ubyte v8, v0, s[8:9] offset:2048
	s_waitcnt vmcnt(0)
	v_cmp_ne_u16_e32 vcc, 0, v8
	s_nop 1
	v_cndmask_b32_e64 v8, 0, 1, vcc
.LBB89_17:
	s_or_b64 exec, exec, s[4:5]
	v_or_b32_e32 v9, 0xa00, v0
	v_cmp_gt_u32_e32 vcc, s33, v9
                                        ; implicit-def: $vgpr9
	s_and_saveexec_b64 s[4:5], vcc
	s_cbranch_execz .LBB89_19
; %bb.18:
	v_readfirstlane_b32 s8, v2
	v_readfirstlane_b32 s9, v3
	s_nop 4
	global_load_ubyte v9, v0, s[8:9] offset:2560
	s_waitcnt vmcnt(0)
	v_cmp_ne_u16_e32 vcc, 0, v9
	s_nop 1
	v_cndmask_b32_e64 v9, 0, 1, vcc
.LBB89_19:
	s_or_b64 exec, exec, s[4:5]
	v_or_b32_e32 v10, 0xc00, v0
	v_cmp_gt_u32_e32 vcc, s33, v10
                                        ; implicit-def: $vgpr10
	s_and_saveexec_b64 s[4:5], vcc
	s_cbranch_execz .LBB89_21
; %bb.20:
	v_readfirstlane_b32 s8, v2
	v_readfirstlane_b32 s9, v3
	s_nop 4
	global_load_ubyte v10, v0, s[8:9] offset:3072
	s_waitcnt vmcnt(0)
	v_cmp_ne_u16_e32 vcc, 0, v10
	s_nop 1
	v_cndmask_b32_e64 v10, 0, 1, vcc
.LBB89_21:
	s_or_b64 exec, exec, s[4:5]
	s_waitcnt lgkmcnt(1)
	v_or_b32_e32 v11, 0xe00, v0
	v_cmp_gt_u32_e32 vcc, s33, v11
                                        ; implicit-def: $vgpr11
	s_and_saveexec_b64 s[4:5], vcc
	s_cbranch_execz .LBB89_23
; %bb.22:
	v_readfirstlane_b32 s8, v2
	v_readfirstlane_b32 s9, v3
	s_nop 4
	global_load_ubyte v11, v0, s[8:9] offset:3584
	s_waitcnt vmcnt(0)
	v_cmp_ne_u16_e32 vcc, 0, v11
	s_nop 1
	v_cndmask_b32_e64 v11, 0, 1, vcc
.LBB89_23:
	s_or_b64 exec, exec, s[4:5]
	v_or_b32_e32 v13, 0x1000, v0
	v_cmp_gt_u32_e32 vcc, s33, v13
                                        ; implicit-def: $vgpr12
	s_and_saveexec_b64 s[4:5], vcc
	s_cbranch_execz .LBB89_25
; %bb.24:
	v_readfirstlane_b32 s8, v2
	v_readfirstlane_b32 s9, v3
	s_nop 4
	global_load_ubyte v12, v13, s[8:9]
	s_waitcnt vmcnt(0)
	v_cmp_ne_u16_e32 vcc, 0, v12
	s_nop 1
	v_cndmask_b32_e64 v12, 0, 1, vcc
.LBB89_25:
	s_or_b64 exec, exec, s[4:5]
	v_or_b32_e32 v14, 0x1200, v0
	v_cmp_gt_u32_e32 vcc, s33, v14
                                        ; implicit-def: $vgpr13
	s_and_saveexec_b64 s[4:5], vcc
	s_cbranch_execz .LBB89_27
; %bb.26:
	v_readfirstlane_b32 s8, v2
	v_readfirstlane_b32 s9, v3
	s_nop 4
	global_load_ubyte v13, v14, s[8:9]
	s_waitcnt vmcnt(0)
	v_cmp_ne_u16_e32 vcc, 0, v13
	s_nop 1
	v_cndmask_b32_e64 v13, 0, 1, vcc
.LBB89_27:
	s_or_b64 exec, exec, s[4:5]
	v_or_b32_e32 v15, 0x1400, v0
	v_cmp_gt_u32_e32 vcc, s33, v15
                                        ; implicit-def: $vgpr14
	s_and_saveexec_b64 s[4:5], vcc
	s_cbranch_execz .LBB89_29
; %bb.28:
	v_readfirstlane_b32 s8, v2
	v_readfirstlane_b32 s9, v3
	s_nop 4
	global_load_ubyte v14, v15, s[8:9]
	s_waitcnt vmcnt(0)
	v_cmp_ne_u16_e32 vcc, 0, v14
	s_nop 1
	v_cndmask_b32_e64 v14, 0, 1, vcc
.LBB89_29:
	s_or_b64 exec, exec, s[4:5]
	v_or_b32_e32 v16, 0x1600, v0
	v_cmp_gt_u32_e32 vcc, s33, v16
                                        ; implicit-def: $vgpr15
	s_and_saveexec_b64 s[4:5], vcc
	s_cbranch_execz .LBB89_31
; %bb.30:
	v_readfirstlane_b32 s8, v2
	v_readfirstlane_b32 s9, v3
	s_nop 4
	global_load_ubyte v15, v16, s[8:9]
	s_waitcnt vmcnt(0)
	v_cmp_ne_u16_e32 vcc, 0, v15
	s_nop 1
	v_cndmask_b32_e64 v15, 0, 1, vcc
.LBB89_31:
	s_or_b64 exec, exec, s[4:5]
	v_or_b32_e32 v17, 0x1800, v0
	v_cmp_gt_u32_e32 vcc, s33, v17
                                        ; implicit-def: $vgpr16
	s_and_saveexec_b64 s[4:5], vcc
	s_cbranch_execz .LBB89_33
; %bb.32:
	v_readfirstlane_b32 s8, v2
	v_readfirstlane_b32 s9, v3
	s_nop 4
	global_load_ubyte v16, v17, s[8:9]
	s_waitcnt vmcnt(0)
	v_cmp_ne_u16_e32 vcc, 0, v16
	s_nop 1
	v_cndmask_b32_e64 v16, 0, 1, vcc
.LBB89_33:
	s_or_b64 exec, exec, s[4:5]
	v_or_b32_e32 v18, 0x1a00, v0
	v_cmp_gt_u32_e32 vcc, s33, v18
                                        ; implicit-def: $vgpr17
	s_and_saveexec_b64 s[4:5], vcc
	s_cbranch_execz .LBB89_35
; %bb.34:
	v_readfirstlane_b32 s8, v2
	v_readfirstlane_b32 s9, v3
	s_nop 4
	global_load_ubyte v17, v18, s[8:9]
	s_waitcnt vmcnt(0)
	v_cmp_ne_u16_e32 vcc, 0, v17
	s_nop 1
	v_cndmask_b32_e64 v17, 0, 1, vcc
.LBB89_35:
	s_or_b64 exec, exec, s[4:5]
	v_or_b32_e32 v19, 0x1c00, v0
	v_cmp_gt_u32_e32 vcc, s33, v19
                                        ; implicit-def: $vgpr18
	s_and_saveexec_b64 s[4:5], vcc
	s_cbranch_execz .LBB89_37
; %bb.36:
	v_readfirstlane_b32 s8, v2
	v_readfirstlane_b32 s9, v3
	s_nop 4
	global_load_ubyte v18, v19, s[8:9]
	s_waitcnt vmcnt(0)
	v_cmp_ne_u16_e32 vcc, 0, v18
	s_nop 1
	v_cndmask_b32_e64 v18, 0, 1, vcc
.LBB89_37:
	s_or_b64 exec, exec, s[4:5]
	s_waitcnt lgkmcnt(0)
	ds_write_b8 v0, v1
	ds_write_b8 v0, v5 offset:512
	ds_write_b8 v0, v6 offset:1024
	;; [unrolled: 1-line block ×14, first 2 shown]
	s_waitcnt lgkmcnt(0)
	s_barrier
	ds_read_b96 v[8:10], v4
	ds_read_u8 v56, v4 offset:12
	ds_read_u8 v11, v4 offset:13
	ds_read_u8 v1, v4 offset:14
	v_mad_u32_u24 v4, v0, 15, 14
	s_waitcnt lgkmcnt(3)
	v_lshrrev_b32_e32 v65, 8, v8
	v_lshrrev_b32_e32 v64, 16, v8
	;; [unrolled: 1-line block ×9, first 2 shown]
	v_cmp_gt_u32_e64 s[4:5], s33, v4
.LBB89_38:
	v_mov_b32_e32 v52, s14
                                        ; implicit-def: $vgpr53
	s_and_saveexec_b64 s[8:9], s[4:5]
; %bb.39:
	v_mov_b32_e32 v53, s14
; %bb.40:
	s_or_b64 exec, exec, s[8:9]
	s_cmp_eq_u64 s[0:1], 0
	s_cselect_b64 s[42:43], -1, 0
	s_cmp_lg_u64 s[0:1], 0
	s_mov_b64 s[4:5], 0
	s_cselect_b64 s[8:9], -1, 0
	s_and_b64 vcc, exec, s[6:7]
	s_waitcnt lgkmcnt(0)
	s_barrier
	s_cbranch_vccz .LBB89_46
; %bb.41:
	s_and_b64 vcc, exec, s[8:9]
	s_cbranch_vccz .LBB89_47
; %bb.42:
	global_load_ubyte v4, v[2:3], off offset:-1
	v_cmp_ne_u16_sdwa s[4:5], v11, v1 src0_sel:BYTE_0 src1_sel:BYTE_0
	v_cmp_ne_u16_sdwa s[6:7], v56, v11 src0_sel:BYTE_0 src1_sel:BYTE_0
	;; [unrolled: 1-line block ×14, first 2 shown]
	ds_write_b8 v0, v1
	s_waitcnt lgkmcnt(0)
	s_barrier
	s_waitcnt vmcnt(0)
	v_cmp_ne_u16_e32 vcc, 0, v4
	s_nop 1
	v_cndmask_b32_e64 v4, 0, 1, vcc
	s_and_saveexec_b64 s[58:59], s[2:3]
	s_cbranch_execz .LBB89_44
; %bb.43:
	v_add_u32_e32 v4, -1, v0
	ds_read_u8 v4, v4
.LBB89_44:
	s_or_b64 exec, exec, s[58:59]
	s_waitcnt lgkmcnt(0)
	v_and_b32_e32 v4, 0xff, v4
	v_cndmask_b32_e64 v66, 0, 1, s[4:5]
	v_cndmask_b32_e64 v67, 0, 1, s[6:7]
	;; [unrolled: 1-line block ×14, first 2 shown]
	v_cmp_ne_u16_sdwa s[6:7], v4, v8 src0_sel:DWORD src1_sel:BYTE_0
	s_mov_b64 s[4:5], -1
.LBB89_45:
                                        ; implicit-def: $sgpr12
	s_branch .LBB89_59
.LBB89_46:
                                        ; implicit-def: $sgpr6_sgpr7
                                        ; implicit-def: $vgpr66
                                        ; implicit-def: $vgpr67
                                        ; implicit-def: $vgpr68
                                        ; implicit-def: $vgpr69
                                        ; implicit-def: $vgpr70
                                        ; implicit-def: $vgpr71
                                        ; implicit-def: $vgpr72
                                        ; implicit-def: $vgpr73
                                        ; implicit-def: $vgpr21
                                        ; implicit-def: $vgpr74
                                        ; implicit-def: $vgpr75
                                        ; implicit-def: $vgpr76
                                        ; implicit-def: $vgpr77
                                        ; implicit-def: $vgpr78
                                        ; implicit-def: $sgpr12
	s_cbranch_execnz .LBB89_51
	s_branch .LBB89_59
.LBB89_47:
                                        ; implicit-def: $sgpr6_sgpr7
                                        ; implicit-def: $vgpr66
                                        ; implicit-def: $vgpr67
                                        ; implicit-def: $vgpr68
                                        ; implicit-def: $vgpr69
                                        ; implicit-def: $vgpr70
                                        ; implicit-def: $vgpr71
                                        ; implicit-def: $vgpr72
                                        ; implicit-def: $vgpr73
                                        ; implicit-def: $vgpr21
                                        ; implicit-def: $vgpr74
                                        ; implicit-def: $vgpr75
                                        ; implicit-def: $vgpr76
                                        ; implicit-def: $vgpr77
                                        ; implicit-def: $vgpr78
	s_cbranch_execz .LBB89_45
; %bb.48:
	v_cmp_ne_u16_sdwa s[6:7], v11, v1 src0_sel:BYTE_0 src1_sel:BYTE_0
	ds_write_b8 v0, v1
	s_waitcnt lgkmcnt(0)
	v_cndmask_b32_e64 v66, 0, 1, s[6:7]
	v_cmp_ne_u16_sdwa s[6:7], v56, v11 src0_sel:BYTE_0 src1_sel:BYTE_0
	s_barrier
	s_nop 0
	v_cndmask_b32_e64 v67, 0, 1, s[6:7]
	v_cmp_ne_u16_sdwa s[6:7], v57, v56 src0_sel:BYTE_0 src1_sel:BYTE_0
	s_nop 1
	v_cndmask_b32_e64 v68, 0, 1, s[6:7]
	v_cmp_ne_u16_sdwa s[6:7], v58, v57 src0_sel:BYTE_0 src1_sel:BYTE_0
	s_nop 1
	v_cndmask_b32_e64 v69, 0, 1, s[6:7]
	v_cmp_ne_u16_sdwa s[6:7], v59, v58 src0_sel:BYTE_0 src1_sel:BYTE_0
	s_nop 1
	v_cndmask_b32_e64 v70, 0, 1, s[6:7]
	v_cmp_ne_u16_sdwa s[6:7], v10, v59 src0_sel:BYTE_0 src1_sel:BYTE_0
	s_nop 1
	v_cndmask_b32_e64 v71, 0, 1, s[6:7]
	v_cmp_ne_u16_sdwa s[6:7], v60, v10 src0_sel:BYTE_0 src1_sel:BYTE_0
	s_nop 1
	v_cndmask_b32_e64 v72, 0, 1, s[6:7]
	v_cmp_ne_u16_sdwa s[6:7], v61, v60 src0_sel:BYTE_0 src1_sel:BYTE_0
	s_nop 1
	v_cndmask_b32_e64 v73, 0, 1, s[6:7]
	v_cmp_ne_u16_sdwa s[6:7], v62, v61 src0_sel:BYTE_0 src1_sel:BYTE_0
	s_nop 1
	v_cndmask_b32_e64 v21, 0, 1, s[6:7]
	v_cmp_ne_u16_sdwa s[6:7], v9, v62 src0_sel:BYTE_0 src1_sel:BYTE_0
	s_nop 1
	v_cndmask_b32_e64 v74, 0, 1, s[6:7]
	v_cmp_ne_u16_sdwa s[6:7], v63, v9 src0_sel:BYTE_0 src1_sel:BYTE_0
	s_nop 1
	v_cndmask_b32_e64 v75, 0, 1, s[6:7]
	v_cmp_ne_u16_sdwa s[6:7], v64, v63 src0_sel:BYTE_0 src1_sel:BYTE_0
	s_nop 1
	v_cndmask_b32_e64 v76, 0, 1, s[6:7]
	v_cmp_ne_u16_sdwa s[6:7], v65, v64 src0_sel:BYTE_0 src1_sel:BYTE_0
	s_nop 1
	v_cndmask_b32_e64 v77, 0, 1, s[6:7]
	v_cmp_ne_u16_sdwa s[6:7], v8, v65 src0_sel:BYTE_0 src1_sel:BYTE_0
	s_nop 1
	v_cndmask_b32_e64 v78, 0, 1, s[6:7]
                                        ; implicit-def: $sgpr6_sgpr7
	s_and_saveexec_b64 s[10:11], s[2:3]
	s_xor_b64 s[10:11], exec, s[10:11]
	s_cbranch_execz .LBB89_50
; %bb.49:
	v_add_u32_e32 v4, -1, v0
	ds_read_u8 v4, v4
	s_or_b64 s[4:5], s[4:5], exec
	s_waitcnt lgkmcnt(0)
	v_cmp_ne_u16_sdwa s[6:7], v4, v8 src0_sel:DWORD src1_sel:BYTE_0
	s_and_b64 s[6:7], s[6:7], exec
.LBB89_50:
	s_or_b64 exec, exec, s[10:11]
	s_mov_b32 s12, 1
	s_branch .LBB89_59
.LBB89_51:
	s_mul_hi_u32 s6, s0, 0xffffe200
	s_mulk_i32 s1, 0xe200
	s_sub_i32 s6, s6, s0
	s_add_i32 s6, s6, s1
	s_mulk_i32 s0, 0xe200
	s_add_u32 s26, s0, s28
	s_addc_u32 s27, s6, s29
	s_and_b64 vcc, exec, s[8:9]
	v_mad_u32_u24 v4, v0, 15, 14
	v_cmp_ne_u16_sdwa s[0:1], v11, v1 src0_sel:BYTE_0 src1_sel:BYTE_0
	v_mad_u32_u24 v34, v0, 15, 13
	v_cmp_ne_u16_sdwa s[28:29], v56, v11 src0_sel:BYTE_0 src1_sel:BYTE_0
	;; [unrolled: 2-line block ×14, first 2 shown]
	s_cbranch_vccz .LBB89_56
; %bb.52:
	global_load_ubyte v3, v[2:3], off offset:-1
	v_mov_b32_e32 v5, 0
	v_cmp_gt_u64_e32 vcc, s[26:27], v[4:5]
	v_mov_b32_e32 v35, v5
	v_mov_b32_e32 v33, v5
	;; [unrolled: 1-line block ×13, first 2 shown]
	s_and_b64 s[76:77], vcc, s[0:1]
	v_cmp_gt_u64_e32 vcc, s[26:27], v[34:35]
	v_cmp_gt_u64_e64 s[0:1], s[26:27], v[32:33]
	v_cmp_gt_u64_e64 s[4:5], s[26:27], v[30:31]
	;; [unrolled: 1-line block ×12, first 2 shown]
	s_and_b64 s[28:29], vcc, s[28:29]
	v_mul_u32_u24_e32 v2, 15, v0
	s_and_b64 s[0:1], s[0:1], s[52:53]
	s_and_b64 s[4:5], s[4:5], s[54:55]
	;; [unrolled: 1-line block ×12, first 2 shown]
	ds_write_b8 v0, v1
	s_waitcnt lgkmcnt(0)
	s_barrier
	s_waitcnt vmcnt(0)
	v_cmp_ne_u16_e32 vcc, 0, v3
	s_nop 1
	v_cndmask_b32_e64 v7, 0, 1, vcc
	s_and_saveexec_b64 s[52:53], s[2:3]
	s_cbranch_execz .LBB89_54
; %bb.53:
	v_add_u32_e32 v3, -1, v0
	ds_read_u8 v7, v3
.LBB89_54:
	s_or_b64 exec, exec, s[52:53]
	v_mov_b32_e32 v3, v5
	v_cmp_gt_u64_e32 vcc, s[26:27], v[2:3]
	s_waitcnt lgkmcnt(0)
	v_and_b32_e32 v2, 0xff, v7
	v_cndmask_b32_e64 v68, 0, 1, s[0:1]
	v_cmp_ne_u16_sdwa s[0:1], v2, v8 src0_sel:DWORD src1_sel:BYTE_0
	v_cndmask_b32_e64 v66, 0, 1, s[76:77]
	v_cndmask_b32_e64 v67, 0, 1, s[28:29]
	;; [unrolled: 1-line block ×13, first 2 shown]
	s_and_b64 s[6:7], vcc, s[0:1]
	s_mov_b64 s[4:5], -1
.LBB89_55:
                                        ; implicit-def: $sgpr12
	v_mov_b32_e32 v79, s12
	s_and_saveexec_b64 s[0:1], s[4:5]
	s_cbranch_execnz .LBB89_60
	s_branch .LBB89_61
.LBB89_56:
                                        ; implicit-def: $sgpr6_sgpr7
                                        ; implicit-def: $vgpr66
                                        ; implicit-def: $vgpr67
                                        ; implicit-def: $vgpr68
                                        ; implicit-def: $vgpr69
                                        ; implicit-def: $vgpr70
                                        ; implicit-def: $vgpr71
                                        ; implicit-def: $vgpr72
                                        ; implicit-def: $vgpr73
                                        ; implicit-def: $vgpr21
                                        ; implicit-def: $vgpr74
                                        ; implicit-def: $vgpr75
                                        ; implicit-def: $vgpr76
                                        ; implicit-def: $vgpr77
                                        ; implicit-def: $vgpr78
	s_cbranch_execz .LBB89_55
; %bb.57:
	v_mov_b32_e32 v5, 0
	v_cmp_gt_u64_e32 vcc, s[26:27], v[4:5]
	v_cmp_ne_u16_sdwa s[0:1], v11, v1 src0_sel:BYTE_0 src1_sel:BYTE_0
	s_and_b64 s[0:1], vcc, s[0:1]
	v_mov_b32_e32 v35, v5
	v_cndmask_b32_e64 v66, 0, 1, s[0:1]
	v_cmp_gt_u64_e32 vcc, s[26:27], v[34:35]
	v_cmp_ne_u16_sdwa s[0:1], v56, v11 src0_sel:BYTE_0 src1_sel:BYTE_0
	s_and_b64 s[0:1], vcc, s[0:1]
	v_mov_b32_e32 v33, v5
	v_cndmask_b32_e64 v67, 0, 1, s[0:1]
	;; [unrolled: 5-line block ×13, first 2 shown]
	v_cmp_gt_u64_e32 vcc, s[26:27], v[6:7]
	v_cmp_ne_u16_sdwa s[0:1], v8, v65 src0_sel:BYTE_0 src1_sel:BYTE_0
	s_and_b64 s[0:1], vcc, s[0:1]
	s_mov_b32 s12, 1
	v_cndmask_b32_e64 v78, 0, 1, s[0:1]
	ds_write_b8 v0, v1
	s_waitcnt lgkmcnt(0)
	s_barrier
	s_waitcnt lgkmcnt(0)
                                        ; implicit-def: $sgpr6_sgpr7
	s_and_saveexec_b64 s[0:1], s[2:3]
	s_cbranch_execz .LBB89_149
; %bb.58:
	v_add_u32_e32 v2, -1, v0
	ds_read_u8 v2, v2
	v_mul_u32_u24_e32 v4, 15, v0
	v_cmp_gt_u64_e32 vcc, s[26:27], v[4:5]
	s_or_b64 s[4:5], s[4:5], exec
	s_waitcnt lgkmcnt(0)
	v_and_b32_e32 v2, 0xff, v2
	v_cmp_ne_u16_sdwa s[2:3], v2, v8 src0_sel:DWORD src1_sel:BYTE_0
	s_and_b64 s[2:3], vcc, s[2:3]
	s_and_b64 s[6:7], s[2:3], exec
	s_or_b64 exec, exec, s[0:1]
.LBB89_59:
	v_mov_b32_e32 v79, s12
	s_and_saveexec_b64 s[0:1], s[4:5]
.LBB89_60:
	v_cndmask_b32_e64 v79, 0, 1, s[6:7]
.LBB89_61:
	s_or_b64 exec, exec, s[0:1]
	s_cmp_eq_u64 s[38:39], 0
	v_add3_u32 v2, v78, v79, v77
	s_cselect_b64 s[38:39], -1, 0
	s_cmp_lg_u32 s78, 0
	v_cmp_eq_u32_e64 s[26:27], 0, v78
	v_cmp_eq_u32_e64 s[24:25], 0, v77
	;; [unrolled: 1-line block ×3, first 2 shown]
	v_add3_u32 v81, v2, v76, v75
	v_cmp_eq_u32_e64 s[20:21], 0, v75
	v_cmp_eq_u32_e64 s[18:19], 0, v74
	;; [unrolled: 1-line block ×10, first 2 shown]
	v_cmp_eq_u32_e32 vcc, 0, v66
	v_mbcnt_lo_u32_b32 v80, -1, 0
	v_lshrrev_b32_e32 v54, 6, v0
	v_or_b32_e32 v55, 63, v0
	s_cbranch_scc0 .LBB89_88
; %bb.62:
	v_cndmask_b32_e64 v2, 0, v52, s[26:27]
	v_add_u32_e32 v2, v2, v52
	v_cndmask_b32_e64 v2, 0, v2, s[24:25]
	v_add_u32_e32 v2, v2, v52
	;; [unrolled: 2-line block ×11, first 2 shown]
	v_cndmask_b32_e64 v2, 0, v2, s[4:5]
	v_add3_u32 v3, v81, v74, v21
	v_add_u32_e32 v2, v2, v52
	v_add3_u32 v3, v3, v73, v72
	v_cndmask_b32_e64 v2, 0, v2, s[2:3]
	v_add3_u32 v3, v3, v71, v70
	v_add_u32_e32 v2, v2, v52
	v_add3_u32 v3, v3, v69, v68
	v_cndmask_b32_e32 v2, 0, v2, vcc
	v_add3_u32 v3, v3, v67, v66
	v_add_u32_e32 v2, v2, v53
	v_mbcnt_hi_u32_b32 v15, -1, v80
	v_and_b32_e32 v4, 15, v15
	v_mov_b32_dpp v6, v2 row_shr:1 row_mask:0xf bank_mask:0xf
	v_cmp_eq_u32_e32 vcc, 0, v3
	v_mov_b32_dpp v5, v3 row_shr:1 row_mask:0xf bank_mask:0xf
	v_cmp_lt_u32_e64 s[0:1], 1, v4
	v_cndmask_b32_e32 v6, 0, v6, vcc
	v_cmp_eq_u32_e32 vcc, 0, v4
	s_nop 1
	v_cndmask_b32_e64 v5, v5, 0, vcc
	v_add_u32_e32 v3, v5, v3
	v_cndmask_b32_e64 v5, v6, 0, vcc
	v_add_u32_e32 v2, v5, v2
	v_cmp_eq_u32_e32 vcc, 0, v3
	v_mov_b32_dpp v5, v3 row_shr:2 row_mask:0xf bank_mask:0xf
	v_mov_b32_dpp v6, v2 row_shr:2 row_mask:0xf bank_mask:0xf
	v_cndmask_b32_e64 v5, 0, v5, s[0:1]
	s_and_b64 vcc, s[0:1], vcc
	v_cndmask_b32_e32 v6, 0, v6, vcc
	v_add_u32_e32 v3, v3, v5
	v_add_u32_e32 v2, v6, v2
	v_cmp_eq_u32_e32 vcc, 0, v3
	v_mov_b32_dpp v5, v3 row_shr:4 row_mask:0xf bank_mask:0xf
	v_cmp_lt_u32_e64 s[0:1], 3, v4
	v_mov_b32_dpp v6, v2 row_shr:4 row_mask:0xf bank_mask:0xf
	s_and_b64 vcc, s[0:1], vcc
	v_cndmask_b32_e64 v5, 0, v5, s[0:1]
	v_cndmask_b32_e32 v6, 0, v6, vcc
	v_add_u32_e32 v3, v5, v3
	v_add_u32_e32 v2, v2, v6
	v_cmp_eq_u32_e32 vcc, 0, v3
	v_cmp_lt_u32_e64 s[0:1], 7, v4
	v_mov_b32_dpp v5, v3 row_shr:8 row_mask:0xf bank_mask:0xf
	v_mov_b32_dpp v6, v2 row_shr:8 row_mask:0xf bank_mask:0xf
	s_and_b64 vcc, s[0:1], vcc
	v_cndmask_b32_e64 v4, 0, v5, s[0:1]
	v_cndmask_b32_e32 v5, 0, v6, vcc
	v_add_u32_e32 v2, v5, v2
	v_add_u32_e32 v3, v4, v3
	v_bfe_i32 v6, v15, 4, 1
	v_mov_b32_dpp v5, v2 row_bcast:15 row_mask:0xf bank_mask:0xf
	v_mov_b32_dpp v4, v3 row_bcast:15 row_mask:0xf bank_mask:0xf
	v_cmp_eq_u32_e32 vcc, 0, v3
	v_and_b32_e32 v4, v6, v4
	v_add_u32_e32 v3, v4, v3
	v_cndmask_b32_e32 v5, 0, v5, vcc
	v_and_b32_e32 v4, v6, v5
	v_add_u32_e32 v4, v4, v2
	v_mov_b32_dpp v2, v3 row_bcast:31 row_mask:0xf bank_mask:0xf
	v_cmp_eq_u32_e32 vcc, 0, v3
	v_cmp_lt_u32_e64 s[0:1], 31, v15
	v_mov_b32_dpp v5, v4 row_bcast:31 row_mask:0xf bank_mask:0xf
	s_and_b64 vcc, s[0:1], vcc
	v_cndmask_b32_e64 v2, 0, v2, s[0:1]
	v_add_u32_e32 v2, v2, v3
	v_cndmask_b32_e32 v3, 0, v5, vcc
	v_add_u32_e32 v3, v3, v4
	v_cmp_eq_u32_e32 vcc, v55, v0
	v_lshlrev_b32_e32 v4, 3, v54
	s_and_saveexec_b64 s[0:1], vcc
	s_cbranch_execz .LBB89_64
; %bb.63:
	ds_write_b64 v4, v[2:3] offset:1040
.LBB89_64:
	s_or_b64 exec, exec, s[0:1]
	v_cmp_gt_u32_e32 vcc, 8, v0
	s_waitcnt lgkmcnt(0)
	s_barrier
	s_and_saveexec_b64 s[28:29], vcc
	s_cbranch_execz .LBB89_66
; %bb.65:
	v_lshlrev_b32_e32 v5, 3, v0
	ds_read_b64 v[6:7], v5 offset:1040
	v_and_b32_e32 v12, 7, v15
	v_cmp_lt_u32_e64 s[0:1], 1, v12
	s_waitcnt lgkmcnt(0)
	v_mov_b32_dpp v14, v7 row_shr:1 row_mask:0xf bank_mask:0xf
	v_cmp_eq_u32_e32 vcc, 0, v6
	v_mov_b32_dpp v13, v6 row_shr:1 row_mask:0xf bank_mask:0xf
	s_nop 0
	v_cndmask_b32_e32 v14, 0, v14, vcc
	v_cmp_eq_u32_e32 vcc, 0, v12
	s_nop 1
	v_cndmask_b32_e64 v13, v13, 0, vcc
	v_add_u32_e32 v6, v13, v6
	v_cndmask_b32_e64 v13, v14, 0, vcc
	v_add_u32_e32 v7, v13, v7
	v_cmp_eq_u32_e32 vcc, 0, v6
	v_mov_b32_dpp v13, v6 row_shr:2 row_mask:0xf bank_mask:0xf
	v_mov_b32_dpp v14, v7 row_shr:2 row_mask:0xf bank_mask:0xf
	v_cndmask_b32_e64 v13, 0, v13, s[0:1]
	s_and_b64 vcc, s[0:1], vcc
	v_cndmask_b32_e32 v14, 0, v14, vcc
	v_add_u32_e32 v6, v13, v6
	v_add_u32_e32 v7, v14, v7
	v_cmp_eq_u32_e32 vcc, 0, v6
	v_mov_b32_dpp v13, v6 row_shr:4 row_mask:0xf bank_mask:0xf
	v_cmp_lt_u32_e64 s[0:1], 3, v12
	v_mov_b32_dpp v14, v7 row_shr:4 row_mask:0xf bank_mask:0xf
	s_and_b64 vcc, s[0:1], vcc
	v_cndmask_b32_e64 v12, 0, v13, s[0:1]
	v_add_u32_e32 v6, v12, v6
	v_cndmask_b32_e32 v12, 0, v14, vcc
	v_add_u32_e32 v7, v12, v7
	ds_write_b64 v5, v[6:7] offset:1040
.LBB89_66:
	s_or_b64 exec, exec, s[28:29]
	v_cmp_gt_u32_e32 vcc, 64, v0
	v_cmp_lt_u32_e64 s[0:1], 63, v0
	v_mov_b32_e32 v12, 0
	v_mov_b32_e32 v13, 0
	s_waitcnt lgkmcnt(0)
	s_barrier
	s_and_saveexec_b64 s[28:29], s[0:1]
	s_cbranch_execz .LBB89_68
; %bb.67:
	ds_read_b64 v[12:13], v4 offset:1032
	v_cmp_eq_u32_e64 s[0:1], 0, v2
	s_waitcnt lgkmcnt(0)
	v_add_u32_e32 v4, v12, v2
	v_cndmask_b32_e64 v2, 0, v13, s[0:1]
	v_add_u32_e32 v3, v2, v3
	v_mov_b32_e32 v2, v4
.LBB89_68:
	s_or_b64 exec, exec, s[28:29]
	v_add_u32_e32 v4, -1, v15
	v_and_b32_e32 v5, 64, v15
	v_cmp_lt_i32_e64 s[0:1], v4, v5
	v_cmp_eq_u32_e64 s[28:29], 0, v15
	s_nop 0
	v_cndmask_b32_e64 v4, v4, v15, s[0:1]
	v_lshlrev_b32_e32 v4, 2, v4
	ds_bpermute_b32 v20, v4, v2
	ds_bpermute_b32 v22, v4, v3
	s_and_saveexec_b64 s[52:53], vcc
	s_cbranch_execz .LBB89_87
; %bb.69:
	v_mov_b32_e32 v7, 0
	ds_read_b64 v[2:3], v7 offset:1096
	s_waitcnt lgkmcnt(0)
	v_readfirstlane_b32 s56, v2
	v_readfirstlane_b32 s57, v3
	s_and_saveexec_b64 s[0:1], s[28:29]
	s_cbranch_execz .LBB89_71
; %bb.70:
	s_add_i32 s54, s78, 64
	s_mov_b32 s55, 0
	s_lshl_b64 s[58:59], s[54:55], 4
	s_add_u32 s58, s36, s58
	s_addc_u32 s59, s37, s59
	s_and_b32 s61, s57, 0xff000000
	s_mov_b32 s60, s55
	s_and_b32 s63, s57, 0xff0000
	s_mov_b32 s62, s55
	s_or_b64 s[60:61], s[62:63], s[60:61]
	s_and_b32 s63, s57, 0xff00
	s_or_b64 s[60:61], s[60:61], s[62:63]
	s_and_b32 s63, s57, 0xff
	s_or_b64 s[54:55], s[60:61], s[62:63]
	v_mov_b32_e32 v4, s56
	v_mov_b32_e32 v5, s55
	;; [unrolled: 1-line block ×3, first 2 shown]
	v_mov_b64_e32 v[2:3], s[58:59]
	;;#ASMSTART
	global_store_dwordx4 v[2:3], v[4:7] off sc1	
s_waitcnt vmcnt(0)
	;;#ASMEND
.LBB89_71:
	s_or_b64 exec, exec, s[0:1]
	v_xad_u32 v14, v15, -1, s78
	v_add_u32_e32 v6, 64, v14
	v_lshl_add_u64 v[16:17], v[6:7], 4, s[36:37]
	;;#ASMSTART
	global_load_dwordx4 v[2:5], v[16:17] off sc1	
s_waitcnt vmcnt(0)
	;;#ASMEND
	s_nop 0
	v_and_b32_e32 v5, 0xff, v3
	v_and_b32_e32 v6, 0xff00, v3
	v_or3_b32 v2, v2, 0, 0
	v_and_b32_e32 v18, 0xff000000, v3
	v_or3_b32 v5, 0, v5, v6
	v_and_b32_e32 v3, 0xff0000, v3
	v_or3_b32 v3, v5, v3, v18
	v_or3_b32 v2, v2, 0, 0
	v_cmp_eq_u16_sdwa s[54:55], v4, v7 src0_sel:BYTE_0 src1_sel:DWORD
	s_and_saveexec_b64 s[0:1], s[54:55]
	s_cbranch_execz .LBB89_75
; %bb.72:
	s_mov_b64 s[54:55], 0
	v_mov_b32_e32 v6, 0
.LBB89_73:                              ; =>This Inner Loop Header: Depth=1
	;;#ASMSTART
	global_load_dwordx4 v[2:5], v[16:17] off sc1	
s_waitcnt vmcnt(0)
	;;#ASMEND
	s_nop 0
	v_cmp_ne_u16_sdwa s[58:59], v4, v6 src0_sel:BYTE_0 src1_sel:DWORD
	s_or_b64 s[54:55], s[58:59], s[54:55]
	s_andn2_b64 exec, exec, s[54:55]
	s_cbranch_execnz .LBB89_73
; %bb.74:
	s_or_b64 exec, exec, s[54:55]
.LBB89_75:
	s_or_b64 exec, exec, s[0:1]
	v_mov_b32_e32 v23, 2
	v_cmp_eq_u16_sdwa s[0:1], v4, v23 src0_sel:BYTE_0 src1_sel:DWORD
	v_lshlrev_b64 v[16:17], v15, -1
	v_and_b32_e32 v24, 63, v15
	v_and_b32_e32 v5, s1, v17
	v_or_b32_e32 v5, 0x80000000, v5
	v_cmp_ne_u32_e32 vcc, 63, v24
	v_and_b32_e32 v6, s0, v16
	v_ffbl_b32_e32 v5, v5
	v_addc_co_u32_e32 v7, vcc, 0, v15, vcc
	v_add_u32_e32 v5, 32, v5
	v_ffbl_b32_e32 v6, v6
	v_lshlrev_b32_e32 v25, 2, v7
	v_min_u32_e32 v5, v6, v5
	ds_bpermute_b32 v6, v25, v3
	v_cmp_eq_u32_e32 vcc, 0, v2
	v_cmp_lt_u32_e64 s[0:1], v24, v5
	ds_bpermute_b32 v7, v25, v2
	s_and_b64 vcc, s[0:1], vcc
	s_waitcnt lgkmcnt(1)
	v_cndmask_b32_e32 v6, 0, v6, vcc
	v_cmp_gt_u32_e32 vcc, 62, v24
	v_add_u32_e32 v3, v6, v3
	s_waitcnt lgkmcnt(0)
	v_cndmask_b32_e64 v7, 0, v7, s[0:1]
	v_cndmask_b32_e64 v6, 0, 1, vcc
	v_lshlrev_b32_e32 v6, 1, v6
	v_add_lshl_u32 v26, v6, v15, 2
	ds_bpermute_b32 v6, v26, v3
	v_add_u32_e32 v2, v7, v2
	ds_bpermute_b32 v7, v26, v2
	v_add_u32_e32 v27, 2, v24
	v_cmp_eq_u32_e32 vcc, 0, v2
	v_add_u32_e32 v29, 4, v24
	v_add_u32_e32 v31, 8, v24
	s_waitcnt lgkmcnt(1)
	v_cndmask_b32_e32 v6, 0, v6, vcc
	v_cmp_gt_u32_e32 vcc, v27, v5
	v_add_u32_e32 v33, 16, v24
	v_add_u32_e32 v35, 32, v24
	v_cndmask_b32_e64 v6, v6, 0, vcc
	v_add_u32_e32 v3, v6, v3
	s_waitcnt lgkmcnt(0)
	v_cndmask_b32_e64 v6, v7, 0, vcc
	v_cmp_gt_u32_e32 vcc, 60, v24
	v_add_u32_e32 v2, v2, v6
	s_nop 0
	v_cndmask_b32_e64 v7, 0, 1, vcc
	v_lshlrev_b32_e32 v7, 2, v7
	v_add_lshl_u32 v28, v7, v15, 2
	ds_bpermute_b32 v7, v28, v3
	ds_bpermute_b32 v6, v28, v2
	v_cmp_eq_u32_e32 vcc, 0, v2
	s_waitcnt lgkmcnt(1)
	s_nop 0
	v_cndmask_b32_e32 v7, 0, v7, vcc
	v_cmp_gt_u32_e32 vcc, v29, v5
	s_nop 1
	v_cndmask_b32_e64 v7, v7, 0, vcc
	s_waitcnt lgkmcnt(0)
	v_cndmask_b32_e64 v6, v6, 0, vcc
	v_cmp_gt_u32_e32 vcc, 56, v24
	v_add_u32_e32 v3, v3, v7
	v_add_u32_e32 v2, v2, v6
	v_cndmask_b32_e64 v7, 0, 1, vcc
	v_lshlrev_b32_e32 v7, 3, v7
	v_add_lshl_u32 v30, v7, v15, 2
	ds_bpermute_b32 v7, v30, v3
	ds_bpermute_b32 v6, v30, v2
	v_cmp_eq_u32_e32 vcc, 0, v2
	s_waitcnt lgkmcnt(1)
	s_nop 0
	v_cndmask_b32_e32 v7, 0, v7, vcc
	v_cmp_gt_u32_e32 vcc, v31, v5
	s_nop 1
	v_cndmask_b32_e64 v7, v7, 0, vcc
	s_waitcnt lgkmcnt(0)
	v_cndmask_b32_e64 v6, v6, 0, vcc
	v_cmp_gt_u32_e32 vcc, 48, v24
	v_add_u32_e32 v3, v3, v7
	v_add_u32_e32 v2, v2, v6
	;; [unrolled: 17-line block ×3, first 2 shown]
	v_cndmask_b32_e64 v7, 0, 1, vcc
	v_lshlrev_b32_e32 v7, 5, v7
	v_add_lshl_u32 v34, v7, v15, 2
	ds_bpermute_b32 v7, v34, v3
	ds_bpermute_b32 v6, v34, v2
	v_cmp_eq_u32_e32 vcc, 0, v2
	v_mov_b32_e32 v15, 0
	s_waitcnt lgkmcnt(1)
	v_cndmask_b32_e32 v7, 0, v7, vcc
	v_cmp_gt_u32_e32 vcc, v35, v5
	s_nop 1
	v_cndmask_b32_e64 v5, v7, 0, vcc
	v_add_u32_e32 v3, v5, v3
	s_waitcnt lgkmcnt(0)
	v_cndmask_b32_e64 v5, v6, 0, vcc
	v_add_u32_e32 v2, v5, v2
	s_branch .LBB89_77
.LBB89_76:                              ;   in Loop: Header=BB89_77 Depth=1
	s_or_b64 exec, exec, s[0:1]
	v_cmp_eq_u16_sdwa s[0:1], v4, v23 src0_sel:BYTE_0 src1_sel:DWORD
	v_cmp_eq_u32_e32 vcc, 0, v2
	ds_bpermute_b32 v19, v25, v2
	v_and_b32_e32 v5, s1, v17
	v_or_b32_e32 v5, 0x80000000, v5
	v_and_b32_e32 v18, s0, v16
	v_ffbl_b32_e32 v5, v5
	v_add_u32_e32 v5, 32, v5
	v_ffbl_b32_e32 v18, v18
	v_min_u32_e32 v5, v18, v5
	ds_bpermute_b32 v18, v25, v3
	v_cmp_lt_u32_e64 s[0:1], v24, v5
	s_and_b64 vcc, s[0:1], vcc
	v_subrev_u32_e32 v14, 64, v14
	s_waitcnt lgkmcnt(1)
	v_cndmask_b32_e64 v19, 0, v19, s[0:1]
	s_waitcnt lgkmcnt(0)
	v_cndmask_b32_e32 v18, 0, v18, vcc
	v_add_u32_e32 v3, v18, v3
	ds_bpermute_b32 v18, v26, v3
	v_add_u32_e32 v2, v19, v2
	v_cmp_eq_u32_e32 vcc, 0, v2
	ds_bpermute_b32 v19, v26, v2
	s_waitcnt lgkmcnt(1)
	v_cndmask_b32_e32 v18, 0, v18, vcc
	v_cmp_gt_u32_e32 vcc, v27, v5
	s_nop 1
	v_cndmask_b32_e64 v18, v18, 0, vcc
	v_add_u32_e32 v3, v18, v3
	ds_bpermute_b32 v18, v28, v3
	s_waitcnt lgkmcnt(1)
	v_cndmask_b32_e64 v19, v19, 0, vcc
	v_add_u32_e32 v2, v2, v19
	v_cmp_eq_u32_e32 vcc, 0, v2
	ds_bpermute_b32 v19, v28, v2
	s_waitcnt lgkmcnt(1)
	v_cndmask_b32_e32 v18, 0, v18, vcc
	v_cmp_gt_u32_e32 vcc, v29, v5
	s_nop 1
	v_cndmask_b32_e64 v18, v18, 0, vcc
	v_add_u32_e32 v3, v3, v18
	ds_bpermute_b32 v18, v30, v3
	s_waitcnt lgkmcnt(1)
	v_cndmask_b32_e64 v19, v19, 0, vcc
	v_add_u32_e32 v2, v2, v19
	ds_bpermute_b32 v19, v30, v2
	v_cmp_eq_u32_e32 vcc, 0, v2
	s_waitcnt lgkmcnt(1)
	s_nop 0
	v_cndmask_b32_e32 v18, 0, v18, vcc
	v_cmp_gt_u32_e32 vcc, v31, v5
	s_nop 1
	v_cndmask_b32_e64 v18, v18, 0, vcc
	v_add_u32_e32 v3, v3, v18
	ds_bpermute_b32 v18, v32, v3
	s_waitcnt lgkmcnt(1)
	v_cndmask_b32_e64 v19, v19, 0, vcc
	v_add_u32_e32 v2, v2, v19
	ds_bpermute_b32 v19, v32, v2
	v_cmp_eq_u32_e32 vcc, 0, v2
	s_waitcnt lgkmcnt(1)
	s_nop 0
	;; [unrolled: 13-line block ×3, first 2 shown]
	v_cndmask_b32_e32 v18, 0, v18, vcc
	v_cmp_gt_u32_e32 vcc, v35, v5
	s_nop 1
	v_cndmask_b32_e64 v5, v18, 0, vcc
	v_add_u32_e32 v3, v5, v3
	s_waitcnt lgkmcnt(0)
	v_cndmask_b32_e64 v5, v19, 0, vcc
	v_cmp_eq_u32_e32 vcc, 0, v6
	v_add3_u32 v2, v2, v6, v5
	s_nop 0
	v_cndmask_b32_e32 v3, 0, v3, vcc
	v_add_u32_e32 v3, v3, v7
.LBB89_77:                              ; =>This Loop Header: Depth=1
                                        ;     Child Loop BB89_80 Depth 2
	v_cmp_ne_u16_sdwa s[0:1], v4, v23 src0_sel:BYTE_0 src1_sel:DWORD
	v_mov_b32_e32 v7, v3
	v_mov_b32_e32 v6, v2
	v_cndmask_b32_e64 v3, 0, 1, s[0:1]
	;;#ASMSTART
	;;#ASMEND
	s_nop 0
	v_cmp_ne_u32_e32 vcc, 0, v3
	s_cmp_lg_u64 vcc, exec
	s_cbranch_scc1 .LBB89_82
; %bb.78:                               ;   in Loop: Header=BB89_77 Depth=1
	v_lshl_add_u64 v[18:19], v[14:15], 4, s[36:37]
	;;#ASMSTART
	global_load_dwordx4 v[2:5], v[18:19] off sc1	
s_waitcnt vmcnt(0)
	;;#ASMEND
	s_nop 0
	v_and_b32_e32 v5, 0xff, v3
	v_and_b32_e32 v36, 0xff00, v3
	v_or3_b32 v2, v2, 0, 0
	v_and_b32_e32 v37, 0xff000000, v3
	v_or3_b32 v5, 0, v5, v36
	;; [unrolled: 2-line block ×3, first 2 shown]
	v_or3_b32 v2, v2, 0, 0
	v_cmp_eq_u16_sdwa s[54:55], v4, v15 src0_sel:BYTE_0 src1_sel:DWORD
	s_and_saveexec_b64 s[0:1], s[54:55]
	s_cbranch_execz .LBB89_76
; %bb.79:                               ;   in Loop: Header=BB89_77 Depth=1
	s_mov_b64 s[54:55], 0
.LBB89_80:                              ;   Parent Loop BB89_77 Depth=1
                                        ; =>  This Inner Loop Header: Depth=2
	;;#ASMSTART
	global_load_dwordx4 v[2:5], v[18:19] off sc1	
s_waitcnt vmcnt(0)
	;;#ASMEND
	s_nop 0
	v_cmp_ne_u16_sdwa s[58:59], v4, v15 src0_sel:BYTE_0 src1_sel:DWORD
	s_or_b64 s[54:55], s[58:59], s[54:55]
	s_andn2_b64 exec, exec, s[54:55]
	s_cbranch_execnz .LBB89_80
; %bb.81:                               ;   in Loop: Header=BB89_77 Depth=1
	s_or_b64 exec, exec, s[54:55]
	s_branch .LBB89_76
.LBB89_82:                              ;   in Loop: Header=BB89_77 Depth=1
                                        ; implicit-def: $vgpr3
                                        ; implicit-def: $vgpr2
                                        ; implicit-def: $vgpr4
	s_cbranch_execz .LBB89_77
; %bb.83:
	s_and_saveexec_b64 s[0:1], s[28:29]
	s_cbranch_execz .LBB89_85
; %bb.84:
	s_cmp_eq_u32 s56, 0
	s_cselect_b64 vcc, -1, 0
	s_mov_b32 s55, 0
	v_cndmask_b32_e32 v2, 0, v7, vcc
	s_add_i32 s54, s78, 64
	v_add_u32_e32 v2, s57, v2
	s_lshl_b64 s[54:55], s[54:55], 4
	s_add_u32 s54, s36, s54
	v_and_b32_e32 v3, 0xff000000, v2
	v_and_b32_e32 v4, 0xff0000, v2
	s_addc_u32 s55, s37, s55
	v_or_b32_e32 v3, v4, v3
	v_and_b32_e32 v4, 0xff00, v2
	v_and_b32_e32 v2, 0xff, v2
	v_add_u32_e32 v14, s56, v6
	v_mov_b32_e32 v17, 0
	v_or3_b32 v15, v3, v4, v2
	v_mov_b32_e32 v16, 2
	v_mov_b64_e32 v[2:3], s[54:55]
	;;#ASMSTART
	global_store_dwordx4 v[2:3], v[14:17] off sc1	
s_waitcnt vmcnt(0)
	;;#ASMEND
	v_mov_b32_e32 v4, s56
	v_mov_b32_e32 v5, s57
	ds_write_b128 v17, v[4:7] offset:1024
.LBB89_85:
	s_or_b64 exec, exec, s[0:1]
	s_and_b64 exec, exec, s[34:35]
	s_cbranch_execz .LBB89_87
; %bb.86:
	v_mov_b32_e32 v2, 0
	ds_write_b64 v2, v[6:7] offset:1096
.LBB89_87:
	s_or_b64 exec, exec, s[52:53]
	v_mov_b32_e32 v4, 0
	s_waitcnt lgkmcnt(0)
	s_barrier
	ds_read_b64 v[2:3], v4 offset:1096
	v_cndmask_b32_e64 v6, v20, v12, s[28:29]
	v_cmp_eq_u32_e32 vcc, 0, v6
	v_cndmask_b32_e64 v5, v22, v13, s[28:29]
	s_waitcnt lgkmcnt(0)
	v_cndmask_b32_e32 v7, 0, v3, vcc
	v_add_u32_e32 v5, v7, v5
	v_cndmask_b32_e64 v51, v5, v3, s[34:35]
	v_cndmask_b32_e64 v3, v6, 0, s[34:35]
	v_cmp_eq_u32_e32 vcc, 0, v79
	v_add_u32_e32 v50, v2, v3
	v_add_u32_e32 v48, v50, v79
	v_cndmask_b32_e32 v2, 0, v51, vcc
	v_add_u32_e32 v49, v2, v52
	v_cndmask_b32_e64 v2, 0, v49, s[26:27]
	v_add_u32_e32 v47, v2, v52
	v_cndmask_b32_e64 v2, 0, v47, s[24:25]
	;; [unrolled: 2-line block ×7, first 2 shown]
	v_add_u32_e32 v35, v2, v52
	v_add_u32_e32 v46, v48, v78
	v_cndmask_b32_e64 v2, 0, v35, s[12:13]
	v_add_u32_e32 v44, v46, v77
	v_add_u32_e32 v33, v2, v52
	v_add_u32_e32 v42, v44, v76
	v_cndmask_b32_e64 v2, 0, v33, s[10:11]
	v_add_u32_e32 v40, v42, v75
	;; [unrolled: 4-line block ×3, first 2 shown]
	v_add_u32_e32 v29, v2, v52
	s_barrier
	ds_read_b128 v[16:19], v4 offset:1024
	v_add_u32_e32 v34, v36, v73
	v_cndmask_b32_e64 v2, 0, v29, s[6:7]
	v_add_u32_e32 v32, v34, v72
	v_add_u32_e32 v27, v2, v52
	;; [unrolled: 1-line block ×3, first 2 shown]
	v_cndmask_b32_e64 v2, 0, v27, s[4:5]
	v_add_u32_e32 v28, v30, v70
	v_add_u32_e32 v23, v2, v52
	;; [unrolled: 1-line block ×3, first 2 shown]
	v_cndmask_b32_e64 v2, 0, v23, s[2:3]
	s_waitcnt lgkmcnt(0)
	v_cmp_eq_u32_e32 vcc, 0, v16
	v_add_u32_e32 v22, v26, v68
	v_add_u32_e32 v25, v2, v52
	v_cndmask_b32_e32 v2, 0, v19, vcc
	v_add_u32_e32 v24, v22, v67
	v_add_u32_e32 v20, v2, v17
	s_branch .LBB89_100
.LBB89_88:
                                        ; implicit-def: $vgpr16
                                        ; implicit-def: $vgpr20
                                        ; implicit-def: $vgpr24_vgpr25
                                        ; implicit-def: $vgpr22_vgpr23
                                        ; implicit-def: $vgpr26_vgpr27
                                        ; implicit-def: $vgpr28_vgpr29
                                        ; implicit-def: $vgpr50_vgpr51
                                        ; implicit-def: $vgpr48_vgpr49
                                        ; implicit-def: $vgpr46_vgpr47
                                        ; implicit-def: $vgpr44_vgpr45
                                        ; implicit-def: $vgpr42_vgpr43
                                        ; implicit-def: $vgpr40_vgpr41
                                        ; implicit-def: $vgpr38_vgpr39
                                        ; implicit-def: $vgpr36_vgpr37
                                        ; implicit-def: $vgpr34_vgpr35
                                        ; implicit-def: $vgpr32_vgpr33
                                        ; implicit-def: $vgpr30_vgpr31
	s_cbranch_execz .LBB89_100
; %bb.89:
	s_and_b64 s[0:1], s[38:39], exec
	s_cselect_b32 s1, 0, s51
	s_cselect_b32 s0, 0, s50
	s_cmp_eq_u64 s[0:1], 0
	v_mov_b32_e32 v6, v52
	s_cbranch_scc1 .LBB89_91
; %bb.90:
	v_mov_b32_e32 v2, 0
	global_load_dword v6, v2, s[0:1]
.LBB89_91:
	v_cmp_eq_u32_e64 s[2:3], 0, v78
	v_cmp_eq_u32_e64 s[4:5], 0, v77
	v_cmp_eq_u32_e64 s[6:7], 0, v76
	v_cndmask_b32_e64 v2, 0, v52, s[2:3]
	v_add_u32_e32 v2, v2, v52
	v_cndmask_b32_e64 v2, 0, v2, s[4:5]
	v_add_u32_e32 v2, v2, v52
	v_cndmask_b32_e64 v2, 0, v2, s[6:7]
	v_add_u32_e32 v2, v2, v52
	v_cmp_eq_u32_e64 s[8:9], 0, v75
	v_cmp_eq_u32_e64 s[10:11], 0, v74
	v_cmp_eq_u32_e64 s[12:13], 0, v21
	v_cndmask_b32_e64 v2, 0, v2, s[8:9]
	v_add_u32_e32 v2, v2, v52
	v_cndmask_b32_e64 v2, 0, v2, s[10:11]
	v_add_u32_e32 v2, v2, v52
	v_cndmask_b32_e64 v2, 0, v2, s[12:13]
	v_add_u32_e32 v2, v2, v52
	;; [unrolled: 9-line block ×3, first 2 shown]
	v_cmp_eq_u32_e64 s[20:21], 0, v70
	v_cmp_eq_u32_e64 s[22:23], 0, v69
	;; [unrolled: 1-line block ×3, first 2 shown]
	v_cndmask_b32_e64 v2, 0, v2, s[20:21]
	v_add_u32_e32 v2, v2, v52
	v_cndmask_b32_e64 v2, 0, v2, s[22:23]
	v_add_u32_e32 v2, v2, v52
	v_cndmask_b32_e64 v2, 0, v2, s[24:25]
	v_add3_u32 v3, v81, v74, v21
	v_add_u32_e32 v2, v2, v52
	v_cmp_eq_u32_e32 vcc, 0, v67
	v_add3_u32 v3, v3, v73, v72
	v_add3_u32 v3, v3, v71, v70
	v_cndmask_b32_e32 v2, 0, v2, vcc
	v_add_u32_e32 v2, v2, v52
	v_cmp_eq_u32_e64 s[0:1], 0, v66
	v_add3_u32 v3, v3, v69, v68
	v_add3_u32 v3, v3, v67, v66
	v_cndmask_b32_e64 v2, 0, v2, s[0:1]
	v_add_u32_e32 v2, v2, v53
	v_mbcnt_hi_u32_b32 v7, -1, v80
	v_and_b32_e32 v4, 15, v7
	v_mov_b32_dpp v12, v2 row_shr:1 row_mask:0xf bank_mask:0xf
	v_cmp_eq_u32_e64 s[0:1], 0, v3
	v_mov_b32_dpp v5, v3 row_shr:1 row_mask:0xf bank_mask:0xf
	v_cmp_lt_u32_e64 s[26:27], 1, v4
	v_cndmask_b32_e64 v12, 0, v12, s[0:1]
	v_cmp_eq_u32_e64 s[0:1], 0, v4
	s_nop 1
	v_cndmask_b32_e64 v5, v5, 0, s[0:1]
	v_add_u32_e32 v3, v5, v3
	v_cndmask_b32_e64 v5, v12, 0, s[0:1]
	v_add_u32_e32 v2, v5, v2
	v_cmp_eq_u32_e64 s[0:1], 0, v3
	v_mov_b32_dpp v5, v3 row_shr:2 row_mask:0xf bank_mask:0xf
	v_mov_b32_dpp v12, v2 row_shr:2 row_mask:0xf bank_mask:0xf
	v_cndmask_b32_e64 v5, 0, v5, s[26:27]
	s_and_b64 s[0:1], s[26:27], s[0:1]
	v_cndmask_b32_e64 v12, 0, v12, s[0:1]
	v_add_u32_e32 v3, v3, v5
	v_add_u32_e32 v2, v12, v2
	v_cmp_eq_u32_e64 s[0:1], 0, v3
	v_mov_b32_dpp v5, v3 row_shr:4 row_mask:0xf bank_mask:0xf
	v_cmp_lt_u32_e64 s[26:27], 3, v4
	v_mov_b32_dpp v12, v2 row_shr:4 row_mask:0xf bank_mask:0xf
	s_and_b64 s[0:1], s[26:27], s[0:1]
	v_cndmask_b32_e64 v5, 0, v5, s[26:27]
	v_cndmask_b32_e64 v12, 0, v12, s[0:1]
	v_add_u32_e32 v3, v5, v3
	v_add_u32_e32 v2, v2, v12
	v_cmp_eq_u32_e64 s[0:1], 0, v3
	v_cmp_lt_u32_e64 s[26:27], 7, v4
	v_mov_b32_dpp v5, v3 row_shr:8 row_mask:0xf bank_mask:0xf
	v_mov_b32_dpp v12, v2 row_shr:8 row_mask:0xf bank_mask:0xf
	s_and_b64 s[0:1], s[26:27], s[0:1]
	v_cndmask_b32_e64 v4, 0, v5, s[26:27]
	v_cndmask_b32_e64 v5, 0, v12, s[0:1]
	v_add_u32_e32 v2, v5, v2
	v_add_u32_e32 v3, v4, v3
	v_bfe_i32 v12, v7, 4, 1
	v_mov_b32_dpp v5, v2 row_bcast:15 row_mask:0xf bank_mask:0xf
	v_mov_b32_dpp v4, v3 row_bcast:15 row_mask:0xf bank_mask:0xf
	v_cmp_eq_u32_e64 s[0:1], 0, v3
	v_and_b32_e32 v4, v12, v4
	v_add_u32_e32 v3, v4, v3
	v_cndmask_b32_e64 v5, 0, v5, s[0:1]
	v_and_b32_e32 v4, v12, v5
	v_add_u32_e32 v4, v4, v2
	v_mov_b32_dpp v2, v3 row_bcast:31 row_mask:0xf bank_mask:0xf
	v_cmp_eq_u32_e64 s[0:1], 0, v3
	v_cmp_lt_u32_e64 s[26:27], 31, v7
	v_mov_b32_dpp v5, v4 row_bcast:31 row_mask:0xf bank_mask:0xf
	s_and_b64 s[0:1], s[26:27], s[0:1]
	v_cndmask_b32_e64 v2, 0, v2, s[26:27]
	v_add_u32_e32 v2, v2, v3
	v_cndmask_b32_e64 v3, 0, v5, s[0:1]
	v_add_u32_e32 v3, v3, v4
	v_cmp_eq_u32_e64 s[0:1], v55, v0
	v_lshlrev_b32_e32 v5, 3, v54
	s_and_saveexec_b64 s[26:27], s[0:1]
	s_cbranch_execz .LBB89_93
; %bb.92:
	ds_write_b64 v5, v[2:3] offset:1040
.LBB89_93:
	s_or_b64 exec, exec, s[26:27]
	v_cmp_gt_u32_e64 s[0:1], 8, v0
	s_waitcnt lgkmcnt(0)
	s_barrier
	s_and_saveexec_b64 s[28:29], s[0:1]
	s_cbranch_execz .LBB89_95
; %bb.94:
	v_lshlrev_b32_e32 v4, 3, v0
	ds_read_b64 v[12:13], v4 offset:1040
	v_and_b32_e32 v14, 7, v7
	v_cmp_lt_u32_e64 s[26:27], 1, v14
	s_waitcnt lgkmcnt(0)
	v_mov_b32_dpp v16, v13 row_shr:1 row_mask:0xf bank_mask:0xf
	v_cmp_eq_u32_e64 s[0:1], 0, v12
	v_mov_b32_dpp v15, v12 row_shr:1 row_mask:0xf bank_mask:0xf
	s_nop 0
	v_cndmask_b32_e64 v16, 0, v16, s[0:1]
	v_cmp_eq_u32_e64 s[0:1], 0, v14
	s_nop 1
	v_cndmask_b32_e64 v15, v15, 0, s[0:1]
	v_add_u32_e32 v12, v15, v12
	v_cndmask_b32_e64 v15, v16, 0, s[0:1]
	v_add_u32_e32 v13, v15, v13
	v_cmp_eq_u32_e64 s[0:1], 0, v12
	v_mov_b32_dpp v15, v12 row_shr:2 row_mask:0xf bank_mask:0xf
	v_mov_b32_dpp v16, v13 row_shr:2 row_mask:0xf bank_mask:0xf
	v_cndmask_b32_e64 v15, 0, v15, s[26:27]
	s_and_b64 s[0:1], s[26:27], s[0:1]
	v_cndmask_b32_e64 v16, 0, v16, s[0:1]
	v_add_u32_e32 v12, v15, v12
	v_add_u32_e32 v13, v16, v13
	v_cmp_eq_u32_e64 s[0:1], 0, v12
	v_mov_b32_dpp v15, v12 row_shr:4 row_mask:0xf bank_mask:0xf
	v_cmp_lt_u32_e64 s[26:27], 3, v14
	v_mov_b32_dpp v16, v13 row_shr:4 row_mask:0xf bank_mask:0xf
	s_and_b64 s[0:1], s[26:27], s[0:1]
	v_cndmask_b32_e64 v14, 0, v15, s[26:27]
	v_add_u32_e32 v12, v14, v12
	v_cndmask_b32_e64 v14, 0, v16, s[0:1]
	v_add_u32_e32 v13, v14, v13
	ds_write_b64 v4, v[12:13] offset:1040
.LBB89_95:
	s_or_b64 exec, exec, s[28:29]
	v_cmp_lt_u32_e64 s[0:1], 63, v0
	v_mov_b32_e32 v12, 0
	v_mov_b32_e32 v4, 0
	s_waitcnt vmcnt(0)
	v_mov_b32_e32 v13, v6
	s_waitcnt lgkmcnt(0)
	s_barrier
	s_and_saveexec_b64 s[26:27], s[0:1]
	s_cbranch_execz .LBB89_97
; %bb.96:
	ds_read_b64 v[4:5], v5 offset:1032
	s_waitcnt lgkmcnt(0)
	v_cmp_eq_u32_e64 s[0:1], 0, v4
	s_nop 1
	v_cndmask_b32_e64 v13, 0, v6, s[0:1]
	v_add_u32_e32 v13, v13, v5
.LBB89_97:
	s_or_b64 exec, exec, s[26:27]
	v_cmp_eq_u32_e64 s[0:1], 0, v2
	v_add_u32_e32 v5, v4, v2
	v_and_b32_e32 v14, 64, v7
	v_cndmask_b32_e64 v2, 0, v13, s[0:1]
	v_add_u32_e32 v2, v2, v3
	v_add_u32_e32 v3, -1, v7
	v_cmp_lt_i32_e64 s[0:1], v3, v14
	ds_read_b64 v[16:17], v12 offset:1096
	s_nop 0
	v_cndmask_b32_e64 v3, v3, v7, s[0:1]
	v_lshlrev_b32_e32 v3, 2, v3
	ds_bpermute_b32 v2, v3, v2
	ds_bpermute_b32 v5, v3, v5
	v_cmp_eq_u32_e64 s[0:1], 0, v7
	s_waitcnt lgkmcnt(1)
	s_nop 0
	v_cndmask_b32_e64 v2, v2, v13, s[0:1]
	s_waitcnt lgkmcnt(0)
	v_cndmask_b32_e64 v3, v5, v4, s[0:1]
	v_cndmask_b32_e64 v51, v2, v6, s[34:35]
	v_cmp_eq_u32_e64 s[0:1], 0, v79
	v_cndmask_b32_e64 v50, v3, 0, s[34:35]
	v_add_u32_e32 v48, v50, v79
	v_cndmask_b32_e64 v2, 0, v51, s[0:1]
	v_add_u32_e32 v49, v2, v52
	;; [unrolled: 2-line block ×9, first 2 shown]
	v_add_u32_e32 v46, v48, v78
	v_cndmask_b32_e64 v2, 0, v35, s[16:17]
	v_add_u32_e32 v44, v46, v77
	v_add_u32_e32 v33, v2, v52
	v_add_u32_e32 v42, v44, v76
	v_cndmask_b32_e64 v2, 0, v33, s[18:19]
	v_add_u32_e32 v40, v42, v75
	v_add_u32_e32 v31, v2, v52
	;; [unrolled: 4-line block ×5, first 2 shown]
	v_add_u32_e32 v26, v28, v69
	v_cndmask_b32_e32 v2, 0, v23, vcc
	v_cmp_eq_u32_e32 vcc, 0, v16
	v_add_u32_e32 v22, v26, v68
	v_add_u32_e32 v25, v2, v52
	v_cndmask_b32_e32 v2, 0, v6, vcc
	v_add_u32_e32 v24, v22, v67
	v_add_u32_e32 v20, v2, v17
	s_and_saveexec_b64 s[0:1], s[34:35]
	s_cbranch_execz .LBB89_99
; %bb.98:
	s_add_u32 s2, s36, 0x400
	v_and_b32_e32 v2, 0xff000000, v20
	v_and_b32_e32 v3, 0xff0000, v20
	s_addc_u32 s3, s37, 0
	v_or_b32_e32 v2, v3, v2
	v_and_b32_e32 v3, 0xff00, v20
	v_and_b32_e32 v4, 0xff, v20
	v_mov_b32_e32 v19, 0
	v_or3_b32 v17, v2, v3, v4
	v_mov_b32_e32 v18, 2
	v_mov_b64_e32 v[2:3], s[2:3]
	;;#ASMSTART
	global_store_dwordx4 v[2:3], v[16:19] off sc1	
s_waitcnt vmcnt(0)
	;;#ASMEND
.LBB89_99:
	s_or_b64 exec, exec, s[0:1]
	v_mov_b32_e32 v18, 0
.LBB89_100:
	s_and_b64 s[0:1], s[38:39], exec
	s_cselect_b32 s1, 0, s31
	s_cselect_b32 s0, 0, s30
	s_cmp_eq_u64 s[0:1], 0
	v_mov_b64_e32 v[52:53], 0
	s_barrier
	s_cbranch_scc1 .LBB89_102
; %bb.101:
	v_mov_b32_e32 v2, 0
	global_load_dwordx2 v[52:53], v2, s[0:1]
.LBB89_102:
	s_waitcnt vmcnt(0)
	v_lshl_add_u64 v[2:3], s[44:45], 0, v[52:53]
	v_mov_b32_e32 v19, 0
	v_cmp_eq_u32_e32 vcc, 0, v79
	v_lshl_add_u64 v[54:55], v[2:3], 0, v[18:19]
	s_movk_i32 s0, 0x200
	v_cndmask_b32_e64 v2, 1, 2, vcc
	v_cmp_eq_u32_e32 vcc, 0, v78
	v_cmp_ne_u32_e64 s[30:31], 0, v79
	v_cmp_ne_u32_e64 s[28:29], 0, v78
	v_cndmask_b32_e64 v3, 1, 2, vcc
	v_cmp_eq_u32_e32 vcc, 0, v77
	v_and_b32_e32 v2, v3, v2
	v_cmp_ne_u32_e64 s[26:27], 0, v77
	v_cndmask_b32_e64 v3, 1, 2, vcc
	v_cmp_eq_u32_e32 vcc, 0, v76
	v_and_b32_e32 v2, v2, v3
	;; [unrolled: 4-line block ×13, first 2 shown]
	v_cmp_ne_u32_e64 s[2:3], 0, v66
	v_cndmask_b32_e64 v3, 1, 2, vcc
	v_and_b32_e32 v2, v2, v3
	v_cmp_gt_u32_e32 vcc, s0, v16
	s_mov_b64 s[36:37], -1
	v_cmp_gt_i16_e64 s[0:1], 2, v2
	s_cbranch_vccz .LBB89_109
; %bb.103:
	s_and_saveexec_b64 s[36:37], s[0:1]
	s_cbranch_execz .LBB89_108
; %bb.104:
	v_cmp_ne_u16_e32 vcc, 1, v2
	s_mov_b64 s[38:39], 0
	s_and_saveexec_b64 s[0:1], vcc
	s_xor_b64 s[0:1], exec, s[0:1]
	s_cbranch_execnz .LBB89_150
; %bb.105:
	s_andn2_saveexec_b64 s[0:1], s[0:1]
	s_cbranch_execnz .LBB89_166
.LBB89_106:
	s_or_b64 exec, exec, s[0:1]
	s_and_b64 exec, exec, s[38:39]
	s_cbranch_execz .LBB89_108
.LBB89_107:
	v_sub_u32_e32 v3, v24, v18
	v_readfirstlane_b32 s0, v54
	v_readfirstlane_b32 s1, v55
	s_nop 4
	global_store_byte v3, v1, s[0:1]
.LBB89_108:
	s_or_b64 exec, exec, s[36:37]
	s_mov_b64 s[36:37], 0
.LBB89_109:
	s_and_b64 vcc, exec, s[36:37]
	s_cbranch_vccz .LBB89_128
; %bb.110:
	v_cmp_gt_i16_e32 vcc, 2, v2
	s_and_saveexec_b64 s[0:1], vcc
	s_cbranch_execz .LBB89_115
; %bb.111:
	v_cmp_ne_u16_e32 vcc, 1, v2
	s_mov_b64 s[38:39], 0
	s_and_saveexec_b64 s[36:37], vcc
	s_xor_b64 s[36:37], exec, s[36:37]
	s_cbranch_execnz .LBB89_167
; %bb.112:
	s_andn2_saveexec_b64 s[2:3], s[36:37]
	s_cbranch_execnz .LBB89_183
.LBB89_113:
	s_or_b64 exec, exec, s[2:3]
	s_and_b64 exec, exec, s[38:39]
	s_cbranch_execz .LBB89_115
.LBB89_114:
	v_sub_u32_e32 v2, v24, v18
	ds_write_b8 v2, v1
.LBB89_115:
	s_or_b64 exec, exec, s[0:1]
	v_cmp_lt_u32_e32 vcc, v0, v16
	s_waitcnt lgkmcnt(0)
	s_barrier
	s_and_saveexec_b64 s[0:1], vcc
	s_cbranch_execz .LBB89_127
; %bb.116:
	v_xad_u32 v2, v0, -1, v16
	s_movk_i32 s2, 0xdff
	v_cmp_lt_u32_e32 vcc, s2, v2
	s_mov_b64 s[4:5], -1
	v_mov_b32_e32 v1, v0
	s_and_saveexec_b64 s[2:3], vcc
	s_cbranch_execz .LBB89_124
; %bb.117:
	v_lshrrev_b32_e32 v17, 9, v2
	v_or_b32_e32 v7, 0xe00, v0
	v_or_b32_e32 v6, 0xc00, v0
	v_or_b32_e32 v5, 0xa00, v0
	v_or_b32_e32 v4, 0x800, v0
	v_or_b32_e32 v3, 0x600, v0
	v_or_b32_e32 v2, 0x400, v0
	v_or_b32_e32 v1, 0x200, v0
	v_add_u32_e32 v58, -7, v17
	v_mov_b64_e32 v[14:15], v[6:7]
	v_cmp_lt_u32_e32 vcc, 7, v58
	v_mov_b32_e32 v61, 0
	v_mov_b64_e32 v[12:13], v[4:5]
	v_mov_b64_e32 v[10:11], v[2:3]
	;; [unrolled: 1-line block ×3, first 2 shown]
	s_and_saveexec_b64 s[4:5], vcc
	s_cbranch_execz .LBB89_121
; %bb.118:
	v_lshrrev_b32_e32 v8, 3, v58
	v_add_u32_e32 v8, 1, v8
	v_and_b32_e32 v59, 0x3ffffffe, v8
	v_mov_b64_e32 v[14:15], v[6:7]
	s_mov_b32 s8, 0
	s_mov_b64 s[6:7], 0
	v_mov_b32_e32 v57, 0
	v_mov_b32_e32 v60, v0
	v_mov_b64_e32 v[12:13], v[4:5]
	v_mov_b64_e32 v[10:11], v[2:3]
	;; [unrolled: 1-line block ×3, first 2 shown]
.LBB89_119:                             ; =>This Inner Loop Header: Depth=1
	v_mov_b32_e32 v56, v8
	v_lshl_add_u64 v[84:85], v[54:55], 0, v[56:57]
	v_mov_b32_e32 v56, v9
	v_lshl_add_u64 v[86:87], v[54:55], 0, v[56:57]
	;; [unrolled: 2-line block ×3, first 2 shown]
	v_mov_b32_e32 v56, v11
	ds_read_u8 v1, v60
	ds_read_u8 v94, v60 offset:512
	ds_read_u8 v95, v60 offset:1024
	;; [unrolled: 1-line block ×7, first 2 shown]
	v_lshl_add_u64 v[90:91], v[54:55], 0, v[56:57]
	v_mov_b32_e32 v56, v12
	ds_read_u8 v101, v60 offset:4096
	ds_read_u8 v102, v60 offset:4608
	;; [unrolled: 1-line block ×8, first 2 shown]
	v_lshl_add_u64 v[92:93], v[54:55], 0, v[56:57]
	v_mov_b32_e32 v56, v13
	s_waitcnt lgkmcnt(14)
	global_store_byte v[84:85], v1, off
	global_store_byte v[86:87], v94, off
	s_waitcnt lgkmcnt(13)
	global_store_byte v[88:89], v95, off
	s_waitcnt lgkmcnt(12)
	global_store_byte v[90:91], v96, off
	v_lshl_add_u64 v[84:85], v[54:55], 0, v[56:57]
	v_mov_b32_e32 v56, v14
	v_add_u32_e32 v59, -2, v59
	v_lshl_add_u64 v[86:87], v[54:55], 0, v[56:57]
	v_mov_b32_e32 v56, v15
	s_add_i32 s8, s8, 16
	v_cmp_eq_u32_e32 vcc, 0, v59
	s_waitcnt lgkmcnt(11)
	global_store_byte v[92:93], v97, off
	s_waitcnt lgkmcnt(10)
	global_store_byte v[84:85], v98, off
	v_lshl_add_u64 v[84:85], v[54:55], 0, v[56:57]
	v_add_u32_e32 v56, 0x1000, v8
	v_add_u32_e32 v2, 0x1000, v15
	;; [unrolled: 1-line block ×8, first 2 shown]
	v_mov_b32_e32 v83, v57
	v_mov_b32_e32 v81, v57
	;; [unrolled: 1-line block ×7, first 2 shown]
	v_add_u32_e32 v60, 0x2000, v60
	v_add_u32_e32 v9, 0x2000, v9
	v_mov_b32_e32 v61, s8
	v_add_u32_e32 v10, 0x2000, v10
	s_or_b64 s[6:7], vcc, s[6:7]
	v_add_u32_e32 v11, 0x2000, v11
	v_add_u32_e32 v12, 0x2000, v12
	;; [unrolled: 1-line block ×5, first 2 shown]
	s_waitcnt lgkmcnt(9)
	global_store_byte v[86:87], v99, off
	v_add_u32_e32 v8, 0x2000, v8
	s_waitcnt lgkmcnt(8)
	global_store_byte v[84:85], v100, off
	v_lshl_add_u64 v[84:85], v[54:55], 0, v[56:57]
	v_lshl_add_u64 v[82:83], v[54:55], 0, v[82:83]
	;; [unrolled: 1-line block ×8, first 2 shown]
	s_waitcnt lgkmcnt(7)
	global_store_byte v[84:85], v101, off
	s_waitcnt lgkmcnt(6)
	global_store_byte v[82:83], v102, off
	;; [unrolled: 2-line block ×8, first 2 shown]
	s_andn2_b64 exec, exec, s[6:7]
	s_cbranch_execnz .LBB89_119
; %bb.120:
	s_or_b64 exec, exec, s[6:7]
.LBB89_121:
	s_or_b64 exec, exec, s[4:5]
	v_and_b32_e32 v1, 8, v58
	v_cmp_eq_u32_e32 vcc, 0, v1
	s_and_saveexec_b64 s[4:5], vcc
	s_cbranch_execz .LBB89_123
; %bb.122:
	v_mov_b32_e32 v3, 0
	v_mov_b32_e32 v2, v8
	v_lshl_add_u64 v[4:5], v[54:55], 0, v[2:3]
	v_mov_b32_e32 v2, v9
	v_lshl_or_b32 v1, v61, 9, v0
	v_lshl_add_u64 v[6:7], v[54:55], 0, v[2:3]
	v_mov_b32_e32 v2, v10
	ds_read_u8 v60, v1
	ds_read_u8 v61, v1 offset:512
	ds_read_u8 v62, v1 offset:1024
	;; [unrolled: 1-line block ×7, first 2 shown]
	v_lshl_add_u64 v[8:9], v[54:55], 0, v[2:3]
	v_mov_b32_e32 v2, v11
	v_lshl_add_u64 v[10:11], v[54:55], 0, v[2:3]
	v_mov_b32_e32 v2, v12
	v_lshl_add_u64 v[56:57], v[54:55], 0, v[2:3]
	v_mov_b32_e32 v2, v13
	v_lshl_add_u64 v[12:13], v[54:55], 0, v[2:3]
	v_mov_b32_e32 v2, v14
	v_lshl_add_u64 v[58:59], v[54:55], 0, v[2:3]
	v_mov_b32_e32 v2, v15
	v_lshl_add_u64 v[2:3], v[54:55], 0, v[2:3]
	s_waitcnt lgkmcnt(7)
	global_store_byte v[4:5], v60, off
	s_waitcnt lgkmcnt(6)
	global_store_byte v[6:7], v61, off
	;; [unrolled: 2-line block ×8, first 2 shown]
.LBB89_123:
	s_or_b64 exec, exec, s[4:5]
	v_add_u32_e32 v2, 1, v17
	v_and_b32_e32 v3, 0xfffff8, v2
	v_cmp_ne_u32_e32 vcc, v2, v3
	v_lshl_or_b32 v1, v3, 9, v0
	s_orn2_b64 s[4:5], vcc, exec
.LBB89_124:
	s_or_b64 exec, exec, s[2:3]
	s_and_b64 exec, exec, s[4:5]
	s_cbranch_execz .LBB89_127
; %bb.125:
	s_mov_b64 s[2:3], 0
.LBB89_126:                             ; =>This Inner Loop Header: Depth=1
	ds_read_u8 v2, v1
	v_readfirstlane_b32 s4, v54
	v_readfirstlane_b32 s5, v55
	s_waitcnt lgkmcnt(0)
	s_nop 3
	global_store_byte v1, v2, s[4:5]
	v_add_u32_e32 v1, 0x200, v1
	v_cmp_ge_u32_e32 vcc, v1, v16
	s_or_b64 s[2:3], vcc, s[2:3]
	s_andn2_b64 exec, exec, s[2:3]
	s_cbranch_execnz .LBB89_126
.LBB89_127:
	s_or_b64 exec, exec, s[0:1]
.LBB89_128:
	s_cmpk_lg_i32 s33, 0x1e00
	s_cselect_b64 s[0:1], -1, 0
	v_cndmask_b32_e64 v10, 0, 1, s[42:43]
	s_and_b64 s[0:1], s[0:1], s[40:41]
	v_sub_u32_e32 v1, v16, v10
	v_cndmask_b32_e64 v2, 0, 1, s[0:1]
	s_and_b64 s[0:1], s[34:35], s[42:43]
	v_add_u32_e32 v1, v1, v2
	v_cndmask_b32_e64 v2, v79, 0, s[0:1]
	s_mul_hi_u32 s0, s33, 0x88888889
	s_lshr_b32 s0, s0, 3
	v_mad_i32_i24 v3, v0, -15, s33
	v_cmp_eq_u32_e32 vcc, s0, v0
	v_cmp_ne_u32_e64 s[0:1], 0, v3
	s_and_b64 vcc, vcc, s[40:41]
	s_mov_b32 s2, 0
	v_cndmask_b32_e64 v4, 1, v2, s[0:1]
	v_cmp_ne_u32_e64 s[0:1], 1, v3
	v_cndmask_b32_e32 v63, v2, v4, vcc
	s_movk_i32 s30, 0x200
	v_cndmask_b32_e64 v5, 1, v78, s[0:1]
	v_cmp_ne_u32_e64 s[0:1], 2, v3
	v_cndmask_b32_e32 v62, v78, v5, vcc
	v_lshlrev_b64 v[4:5], 3, v[52:53]
	v_cndmask_b32_e64 v6, 1, v77, s[0:1]
	v_cmp_ne_u32_e64 s[0:1], 3, v3
	v_cndmask_b32_e32 v61, v77, v6, vcc
	s_mov_b64 s[34:35], -1
	v_cndmask_b32_e64 v7, 1, v76, s[0:1]
	v_cmp_ne_u32_e64 s[0:1], 4, v3
	v_cndmask_b32_e32 v60, v76, v7, vcc
	v_lshlrev_b64 v[6:7], 3, v[18:19]
	v_cndmask_b32_e64 v8, 1, v75, s[0:1]
	v_cmp_ne_u32_e64 s[0:1], 5, v3
	v_cndmask_b32_e32 v59, v75, v8, vcc
	v_cmp_ne_u32_e64 s[28:29], 0, v63
	v_cndmask_b32_e64 v9, 1, v74, s[0:1]
	v_cmp_ne_u32_e64 s[0:1], 6, v3
	v_cndmask_b32_e32 v58, v74, v9, vcc
	v_cmp_ne_u32_e64 s[26:27], 0, v62
	v_cndmask_b32_e64 v11, 1, v21, s[0:1]
	v_cmp_ne_u32_e64 s[0:1], 7, v3
	v_cndmask_b32_e32 v21, v21, v11, vcc
	v_mov_b32_e32 v11, s2
	v_cndmask_b32_e64 v12, 1, v73, s[0:1]
	v_cmp_ne_u32_e64 s[0:1], 8, v3
	v_cndmask_b32_e32 v57, v73, v12, vcc
	v_lshl_add_u64 v[8:9], v[10:11], 0, -1
	v_cndmask_b32_e64 v13, 1, v72, s[0:1]
	v_cmp_ne_u32_e64 s[0:1], 9, v3
	v_cndmask_b32_e32 v13, v72, v13, vcc
	v_add_u32_e32 v12, v18, v10
	v_cndmask_b32_e64 v14, 1, v71, s[0:1]
	v_cmp_ne_u32_e64 s[0:1], 10, v3
	v_cndmask_b32_e32 v14, v71, v14, vcc
	v_cmp_ne_u32_e64 s[12:13], 0, v13
	v_cndmask_b32_e64 v15, 1, v70, s[0:1]
	v_cmp_ne_u32_e64 s[0:1], 11, v3
	v_cndmask_b32_e32 v15, v70, v15, vcc
	v_cmp_ne_u32_e64 s[24:25], 0, v61
	;; [unrolled: 4-line block ×5, first 2 shown]
	v_cndmask_b32_e64 v3, 1, v66, s[0:1]
	v_cndmask_b32_e32 v56, v66, v3, vcc
	v_cmp_eq_u32_e32 vcc, 0, v63
	v_lshl_add_u64 v[2:3], s[46:47], 0, v[4:5]
	v_lshl_add_u64 v[2:3], v[2:3], 0, v[6:7]
	v_cndmask_b32_e64 v10, 1, 2, vcc
	v_cmp_eq_u32_e32 vcc, 0, v62
	v_cmp_ne_u32_e64 s[16:17], 0, v21
	v_cmp_ne_u32_e64 s[14:15], 0, v57
	v_cndmask_b32_e64 v11, 1, 2, vcc
	v_cmp_eq_u32_e32 vcc, 0, v61
	v_and_b32_e32 v10, v11, v10
	v_cmp_ne_u32_e64 s[10:11], 0, v14
	v_cndmask_b32_e64 v11, 1, 2, vcc
	v_cmp_eq_u32_e32 vcc, 0, v60
	v_and_b32_e32 v10, v10, v11
	;; [unrolled: 4-line block ×7, first 2 shown]
	s_nop 0
	v_cndmask_b32_e64 v11, 1, 2, vcc
	v_cmp_eq_u32_e32 vcc, 0, v14
	v_and_b32_e32 v10, v10, v11
	s_barrier
	v_cndmask_b32_e64 v11, 1, 2, vcc
	v_cmp_eq_u32_e32 vcc, 0, v15
	v_and_b32_e32 v10, v10, v11
	s_nop 0
	v_cndmask_b32_e64 v11, 1, 2, vcc
	v_cmp_eq_u32_e32 vcc, 0, v17
	v_and_b32_e32 v10, v10, v11
	s_nop 0
	;; [unrolled: 4-line block ×5, first 2 shown]
	v_cndmask_b32_e64 v11, 1, 2, vcc
	v_and_b32_e32 v13, v10, v11
	v_cmp_gt_u32_e32 vcc, s30, v1
	v_cmp_gt_i16_e64 s[30:31], 2, v13
	s_cbranch_vccz .LBB89_135
; %bb.129:
	s_and_saveexec_b64 s[34:35], s[30:31]
	s_cbranch_execz .LBB89_134
; %bb.130:
	v_lshlrev_b64 v[10:11], 3, v[8:9]
	v_lshl_add_u64 v[10:11], v[2:3], 0, v[10:11]
	v_cmp_ne_u16_e32 vcc, 1, v13
	s_mov_b64 s[36:37], 0
	s_and_saveexec_b64 s[30:31], vcc
	s_xor_b64 s[30:31], exec, s[30:31]
	s_cbranch_execnz .LBB89_184
; %bb.131:
	s_andn2_saveexec_b64 s[30:31], s[30:31]
	s_cbranch_execnz .LBB89_200
.LBB89_132:
	s_or_b64 exec, exec, s[30:31]
	s_and_b64 exec, exec, s[36:37]
	s_cbranch_execz .LBB89_134
.LBB89_133:
	v_mov_b32_e32 v15, 0
	v_sub_u32_e32 v54, v24, v12
	v_mov_b32_e32 v55, v15
	v_mov_b32_e32 v14, v25
	v_lshl_add_u64 v[10:11], v[54:55], 3, v[10:11]
	global_store_dwordx2 v[10:11], v[14:15], off
.LBB89_134:
	s_or_b64 exec, exec, s[34:35]
	s_mov_b64 s[34:35], 0
.LBB89_135:
	s_and_b64 vcc, exec, s[34:35]
	s_cbranch_vccz .LBB89_145
; %bb.136:
	v_cmp_gt_i16_e32 vcc, 2, v13
	s_and_saveexec_b64 s[30:31], vcc
	s_cbranch_execz .LBB89_141
; %bb.137:
	v_cmp_ne_u16_e32 vcc, 1, v13
	s_mov_b64 s[36:37], 0
	s_and_saveexec_b64 s[34:35], vcc
	s_xor_b64 s[34:35], exec, s[34:35]
	s_cbranch_execnz .LBB89_201
; %bb.138:
	s_andn2_saveexec_b64 s[0:1], s[34:35]
	s_cbranch_execnz .LBB89_217
.LBB89_139:
	s_or_b64 exec, exec, s[0:1]
	s_and_b64 exec, exec, s[36:37]
	s_cbranch_execz .LBB89_141
.LBB89_140:
	v_sub_u32_e32 v10, v24, v12
	v_lshlrev_b32_e32 v10, 2, v10
	ds_write_b32 v10, v25
.LBB89_141:
	s_or_b64 exec, exec, s[30:31]
	v_cmp_lt_u32_e32 vcc, v0, v1
	s_waitcnt lgkmcnt(0)
	s_barrier
	s_and_saveexec_b64 s[0:1], vcc
	s_cbranch_execz .LBB89_144
; %bb.142:
	v_lshlrev_b64 v[8:9], 3, v[8:9]
	v_lshl_add_u64 v[4:5], v[4:5], 0, v[8:9]
	v_lshl_add_u64 v[6:7], v[4:5], 0, v[6:7]
	v_lshlrev_b32_e32 v4, 3, v0
	v_mov_b32_e32 v5, 0
	v_lshl_add_u64 v[6:7], s[46:47], 0, v[6:7]
	v_lshlrev_b32_e32 v10, 2, v0
	v_lshl_add_u64 v[6:7], v[6:7], 0, v[4:5]
	s_mov_b64 s[2:3], 0
	s_mov_b64 s[4:5], 0x1000
	v_mov_b32_e32 v8, v0
.LBB89_143:                             ; =>This Inner Loop Header: Depth=1
	ds_read_b32 v4, v10
	v_add_u32_e32 v8, 0x200, v8
	v_cmp_ge_u32_e32 vcc, v8, v1
	v_add_u32_e32 v10, 0x800, v10
	s_or_b64 s[2:3], vcc, s[2:3]
	s_waitcnt lgkmcnt(0)
	global_store_dwordx2 v[6:7], v[4:5], off
	v_lshl_add_u64 v[6:7], v[6:7], 0, s[4:5]
	s_andn2_b64 exec, exec, s[2:3]
	s_cbranch_execnz .LBB89_143
.LBB89_144:
	s_or_b64 exec, exec, s[0:1]
.LBB89_145:
	s_movk_i32 s0, 0x1ff
	v_cmp_eq_u32_e32 vcc, s0, v0
	s_and_b64 s[0:1], vcc, s[40:41]
	s_and_saveexec_b64 s[2:3], s[0:1]
	s_cbranch_execz .LBB89_148
; %bb.146:
	v_mov_b32_e32 v17, 0
	v_lshl_add_u64 v[0:1], v[16:17], 0, v[18:19]
	v_lshl_add_u64 v[0:1], v[0:1], 0, v[52:53]
	s_cmpk_lg_i32 s33, 0x1e00
	global_store_dwordx2 v17, v[0:1], s[48:49]
	s_cbranch_scc1 .LBB89_148
; %bb.147:
	v_lshlrev_b64 v[0:1], 3, v[16:17]
	v_mov_b32_e32 v21, v17
	v_lshl_add_u64 v[0:1], v[2:3], 0, v[0:1]
	global_store_dwordx2 v[0:1], v[20:21], off offset:-8
.LBB89_148:
	s_endpgm
.LBB89_149:
	s_or_b64 exec, exec, s[0:1]
	v_mov_b32_e32 v79, s12
	s_and_saveexec_b64 s[0:1], s[4:5]
	s_cbranch_execnz .LBB89_60
	s_branch .LBB89_61
.LBB89_150:
	s_and_saveexec_b64 s[38:39], s[30:31]
	s_cbranch_execnz .LBB89_218
; %bb.151:
	s_or_b64 exec, exec, s[38:39]
	s_and_saveexec_b64 s[38:39], s[28:29]
	s_cbranch_execnz .LBB89_219
.LBB89_152:
	s_or_b64 exec, exec, s[38:39]
	s_and_saveexec_b64 s[38:39], s[26:27]
	s_cbranch_execnz .LBB89_220
.LBB89_153:
	s_or_b64 exec, exec, s[38:39]
	s_and_saveexec_b64 s[38:39], s[24:25]
	s_cbranch_execnz .LBB89_221
.LBB89_154:
	s_or_b64 exec, exec, s[38:39]
	s_and_saveexec_b64 s[38:39], s[22:23]
	s_cbranch_execnz .LBB89_222
.LBB89_155:
	s_or_b64 exec, exec, s[38:39]
	s_and_saveexec_b64 s[38:39], s[20:21]
	s_cbranch_execnz .LBB89_223
.LBB89_156:
	s_or_b64 exec, exec, s[38:39]
	s_and_saveexec_b64 s[38:39], s[18:19]
	s_cbranch_execnz .LBB89_224
.LBB89_157:
	s_or_b64 exec, exec, s[38:39]
	s_and_saveexec_b64 s[38:39], s[16:17]
	s_cbranch_execnz .LBB89_225
.LBB89_158:
	s_or_b64 exec, exec, s[38:39]
	s_and_saveexec_b64 s[38:39], s[14:15]
	s_cbranch_execnz .LBB89_226
.LBB89_159:
	s_or_b64 exec, exec, s[38:39]
	s_and_saveexec_b64 s[38:39], s[12:13]
	s_cbranch_execnz .LBB89_227
.LBB89_160:
	s_or_b64 exec, exec, s[38:39]
	s_and_saveexec_b64 s[38:39], s[10:11]
	s_cbranch_execnz .LBB89_228
.LBB89_161:
	s_or_b64 exec, exec, s[38:39]
	s_and_saveexec_b64 s[38:39], s[8:9]
	s_cbranch_execnz .LBB89_229
.LBB89_162:
	s_or_b64 exec, exec, s[38:39]
	s_and_saveexec_b64 s[38:39], s[6:7]
	s_cbranch_execnz .LBB89_230
.LBB89_163:
	s_or_b64 exec, exec, s[38:39]
	s_and_saveexec_b64 s[38:39], s[4:5]
	s_cbranch_execz .LBB89_165
.LBB89_164:
	v_sub_u32_e32 v3, v22, v18
	v_readfirstlane_b32 s44, v54
	v_readfirstlane_b32 s45, v55
	s_nop 4
	global_store_byte v3, v11, s[44:45]
.LBB89_165:
	s_or_b64 exec, exec, s[38:39]
	s_and_b64 s[38:39], s[2:3], exec
	s_andn2_saveexec_b64 s[0:1], s[0:1]
	s_cbranch_execz .LBB89_106
.LBB89_166:
	v_sub_u32_e32 v3, v50, v18
	v_readfirstlane_b32 s44, v54
	v_readfirstlane_b32 s45, v55
	s_or_b64 s[38:39], s[38:39], exec
	s_nop 3
	global_store_byte v3, v8, s[44:45]
	v_sub_u32_e32 v3, v48, v18
	global_store_byte v3, v65, s[44:45]
	v_sub_u32_e32 v3, v46, v18
	;; [unrolled: 2-line block ×13, first 2 shown]
	global_store_byte v3, v11, s[44:45]
	s_or_b64 exec, exec, s[0:1]
	s_and_b64 exec, exec, s[38:39]
	s_cbranch_execnz .LBB89_107
	s_branch .LBB89_108
.LBB89_167:
	s_and_saveexec_b64 s[38:39], s[30:31]
	s_cbranch_execnz .LBB89_231
; %bb.168:
	s_or_b64 exec, exec, s[38:39]
	s_and_saveexec_b64 s[30:31], s[28:29]
	s_cbranch_execnz .LBB89_232
.LBB89_169:
	s_or_b64 exec, exec, s[30:31]
	s_and_saveexec_b64 s[28:29], s[26:27]
	s_cbranch_execnz .LBB89_233
.LBB89_170:
	s_or_b64 exec, exec, s[28:29]
	s_and_saveexec_b64 s[26:27], s[24:25]
	s_cbranch_execnz .LBB89_234
.LBB89_171:
	s_or_b64 exec, exec, s[26:27]
	s_and_saveexec_b64 s[24:25], s[22:23]
	s_cbranch_execnz .LBB89_235
.LBB89_172:
	s_or_b64 exec, exec, s[24:25]
	s_and_saveexec_b64 s[22:23], s[20:21]
	s_cbranch_execnz .LBB89_236
.LBB89_173:
	s_or_b64 exec, exec, s[22:23]
	s_and_saveexec_b64 s[20:21], s[18:19]
	s_cbranch_execnz .LBB89_237
.LBB89_174:
	s_or_b64 exec, exec, s[20:21]
	s_and_saveexec_b64 s[18:19], s[16:17]
	s_cbranch_execnz .LBB89_238
.LBB89_175:
	s_or_b64 exec, exec, s[18:19]
	s_and_saveexec_b64 s[16:17], s[14:15]
	s_cbranch_execnz .LBB89_239
.LBB89_176:
	s_or_b64 exec, exec, s[16:17]
	s_and_saveexec_b64 s[14:15], s[12:13]
	s_cbranch_execnz .LBB89_240
.LBB89_177:
	s_or_b64 exec, exec, s[14:15]
	s_and_saveexec_b64 s[12:13], s[10:11]
	s_cbranch_execnz .LBB89_241
.LBB89_178:
	s_or_b64 exec, exec, s[12:13]
	s_and_saveexec_b64 s[10:11], s[8:9]
	s_cbranch_execnz .LBB89_242
.LBB89_179:
	s_or_b64 exec, exec, s[10:11]
	s_and_saveexec_b64 s[8:9], s[6:7]
	s_cbranch_execnz .LBB89_243
.LBB89_180:
	s_or_b64 exec, exec, s[8:9]
	s_and_saveexec_b64 s[6:7], s[4:5]
	s_cbranch_execz .LBB89_182
.LBB89_181:
	v_sub_u32_e32 v2, v22, v18
	ds_write_b8 v2, v11
.LBB89_182:
	s_or_b64 exec, exec, s[6:7]
	s_and_b64 s[38:39], s[2:3], exec
                                        ; implicit-def: $vgpr11
                                        ; implicit-def: $vgpr56
                                        ; implicit-def: $vgpr57
                                        ; implicit-def: $vgpr58
                                        ; implicit-def: $vgpr59
                                        ; implicit-def: $vgpr10
                                        ; implicit-def: $vgpr60
                                        ; implicit-def: $vgpr61
                                        ; implicit-def: $vgpr62
                                        ; implicit-def: $vgpr63
                                        ; implicit-def: $vgpr64
                                        ; implicit-def: $vgpr65
	s_andn2_saveexec_b64 s[2:3], s[36:37]
	s_cbranch_execz .LBB89_113
.LBB89_183:
	v_sub_u32_e32 v2, v50, v18
	ds_write_b8 v2, v8
	v_sub_u32_e32 v2, v48, v18
	ds_write_b8 v2, v65
	;; [unrolled: 2-line block ×13, first 2 shown]
	v_sub_u32_e32 v2, v22, v18
	s_or_b64 s[38:39], s[38:39], exec
	ds_write_b8 v2, v11
	s_or_b64 exec, exec, s[2:3]
	s_and_b64 exec, exec, s[38:39]
	s_cbranch_execnz .LBB89_114
	s_branch .LBB89_115
.LBB89_184:
	s_and_saveexec_b64 s[36:37], s[28:29]
	s_cbranch_execnz .LBB89_244
; %bb.185:
	s_or_b64 exec, exec, s[36:37]
	s_and_saveexec_b64 s[36:37], s[26:27]
	s_cbranch_execnz .LBB89_245
.LBB89_186:
	s_or_b64 exec, exec, s[36:37]
	s_and_saveexec_b64 s[36:37], s[24:25]
	s_cbranch_execnz .LBB89_246
.LBB89_187:
	s_or_b64 exec, exec, s[36:37]
	s_and_saveexec_b64 s[36:37], s[22:23]
	s_cbranch_execnz .LBB89_247
.LBB89_188:
	s_or_b64 exec, exec, s[36:37]
	s_and_saveexec_b64 s[36:37], s[20:21]
	s_cbranch_execnz .LBB89_248
.LBB89_189:
	s_or_b64 exec, exec, s[36:37]
	s_and_saveexec_b64 s[36:37], s[18:19]
	s_cbranch_execnz .LBB89_249
.LBB89_190:
	s_or_b64 exec, exec, s[36:37]
	s_and_saveexec_b64 s[36:37], s[16:17]
	s_cbranch_execnz .LBB89_250
.LBB89_191:
	s_or_b64 exec, exec, s[36:37]
	s_and_saveexec_b64 s[36:37], s[14:15]
	s_cbranch_execnz .LBB89_251
.LBB89_192:
	s_or_b64 exec, exec, s[36:37]
	s_and_saveexec_b64 s[36:37], s[12:13]
	s_cbranch_execnz .LBB89_252
.LBB89_193:
	s_or_b64 exec, exec, s[36:37]
	s_and_saveexec_b64 s[36:37], s[10:11]
	s_cbranch_execnz .LBB89_253
.LBB89_194:
	s_or_b64 exec, exec, s[36:37]
	s_and_saveexec_b64 s[36:37], s[8:9]
	s_cbranch_execnz .LBB89_254
.LBB89_195:
	s_or_b64 exec, exec, s[36:37]
	s_and_saveexec_b64 s[36:37], s[6:7]
	s_cbranch_execnz .LBB89_255
.LBB89_196:
	s_or_b64 exec, exec, s[36:37]
	s_and_saveexec_b64 s[36:37], s[4:5]
	s_cbranch_execnz .LBB89_256
.LBB89_197:
	s_or_b64 exec, exec, s[36:37]
	s_and_saveexec_b64 s[36:37], s[2:3]
	s_cbranch_execz .LBB89_199
.LBB89_198:
	v_sub_u32_e32 v14, v22, v12
	v_mov_b32_e32 v15, 0
	v_lshl_add_u64 v[54:55], v[14:15], 3, v[10:11]
	v_mov_b32_e32 v14, v23
	global_store_dwordx2 v[54:55], v[14:15], off
.LBB89_199:
	s_or_b64 exec, exec, s[36:37]
	s_and_b64 s[36:37], s[0:1], exec
	s_andn2_saveexec_b64 s[30:31], s[30:31]
	s_cbranch_execz .LBB89_132
.LBB89_200:
	v_mov_b32_e32 v15, 0
	v_sub_u32_e32 v54, v50, v12
	v_mov_b32_e32 v55, v15
	v_mov_b32_e32 v14, v51
	v_lshl_add_u64 v[54:55], v[54:55], 3, v[10:11]
	global_store_dwordx2 v[54:55], v[14:15], off
	v_sub_u32_e32 v54, v48, v12
	v_mov_b32_e32 v55, v15
	v_mov_b32_e32 v14, v49
	v_lshl_add_u64 v[54:55], v[54:55], 3, v[10:11]
	global_store_dwordx2 v[54:55], v[14:15], off
	;; [unrolled: 5-line block ×13, first 2 shown]
	v_sub_u32_e32 v54, v22, v12
	v_mov_b32_e32 v55, v15
	v_mov_b32_e32 v14, v23
	v_lshl_add_u64 v[54:55], v[54:55], 3, v[10:11]
	s_or_b64 s[36:37], s[36:37], exec
	global_store_dwordx2 v[54:55], v[14:15], off
	s_or_b64 exec, exec, s[30:31]
	s_and_b64 exec, exec, s[36:37]
	s_cbranch_execnz .LBB89_133
	s_branch .LBB89_134
.LBB89_201:
	s_and_saveexec_b64 s[36:37], s[28:29]
	s_cbranch_execnz .LBB89_257
; %bb.202:
	s_or_b64 exec, exec, s[36:37]
	s_and_saveexec_b64 s[28:29], s[26:27]
	s_cbranch_execnz .LBB89_258
.LBB89_203:
	s_or_b64 exec, exec, s[28:29]
	s_and_saveexec_b64 s[26:27], s[24:25]
	s_cbranch_execnz .LBB89_259
.LBB89_204:
	s_or_b64 exec, exec, s[26:27]
	s_and_saveexec_b64 s[24:25], s[22:23]
	s_cbranch_execnz .LBB89_260
.LBB89_205:
	s_or_b64 exec, exec, s[24:25]
	s_and_saveexec_b64 s[22:23], s[20:21]
	s_cbranch_execnz .LBB89_261
.LBB89_206:
	s_or_b64 exec, exec, s[22:23]
	s_and_saveexec_b64 s[20:21], s[18:19]
	s_cbranch_execnz .LBB89_262
.LBB89_207:
	s_or_b64 exec, exec, s[20:21]
	s_and_saveexec_b64 s[18:19], s[16:17]
	s_cbranch_execnz .LBB89_263
.LBB89_208:
	s_or_b64 exec, exec, s[18:19]
	s_and_saveexec_b64 s[16:17], s[14:15]
	s_cbranch_execnz .LBB89_264
.LBB89_209:
	s_or_b64 exec, exec, s[16:17]
	s_and_saveexec_b64 s[14:15], s[12:13]
	s_cbranch_execnz .LBB89_265
.LBB89_210:
	s_or_b64 exec, exec, s[14:15]
	s_and_saveexec_b64 s[12:13], s[10:11]
	s_cbranch_execnz .LBB89_266
.LBB89_211:
	s_or_b64 exec, exec, s[12:13]
	s_and_saveexec_b64 s[10:11], s[8:9]
	s_cbranch_execnz .LBB89_267
.LBB89_212:
	s_or_b64 exec, exec, s[10:11]
	s_and_saveexec_b64 s[8:9], s[6:7]
	s_cbranch_execnz .LBB89_268
.LBB89_213:
	s_or_b64 exec, exec, s[8:9]
	s_and_saveexec_b64 s[6:7], s[4:5]
	s_cbranch_execnz .LBB89_269
.LBB89_214:
	s_or_b64 exec, exec, s[6:7]
	s_and_saveexec_b64 s[4:5], s[2:3]
	s_cbranch_execz .LBB89_216
.LBB89_215:
	v_sub_u32_e32 v10, v22, v12
	v_lshlrev_b32_e32 v10, 2, v10
	ds_write_b32 v10, v23
.LBB89_216:
	s_or_b64 exec, exec, s[4:5]
	s_and_b64 s[36:37], s[0:1], exec
                                        ; implicit-def: $vgpr22_vgpr23
                                        ; implicit-def: $vgpr26_vgpr27
                                        ; implicit-def: $vgpr28_vgpr29
                                        ; implicit-def: $vgpr50_vgpr51
                                        ; implicit-def: $vgpr48_vgpr49
                                        ; implicit-def: $vgpr46_vgpr47
                                        ; implicit-def: $vgpr44_vgpr45
                                        ; implicit-def: $vgpr42_vgpr43
                                        ; implicit-def: $vgpr40_vgpr41
                                        ; implicit-def: $vgpr38_vgpr39
                                        ; implicit-def: $vgpr36_vgpr37
                                        ; implicit-def: $vgpr34_vgpr35
                                        ; implicit-def: $vgpr32_vgpr33
                                        ; implicit-def: $vgpr30_vgpr31
	s_andn2_saveexec_b64 s[0:1], s[34:35]
	s_cbranch_execz .LBB89_139
.LBB89_217:
	v_sub_u32_e32 v10, v50, v12
	v_lshlrev_b32_e32 v10, 2, v10
	ds_write_b32 v10, v51
	v_sub_u32_e32 v10, v48, v12
	v_lshlrev_b32_e32 v10, 2, v10
	ds_write_b32 v10, v49
	;; [unrolled: 3-line block ×13, first 2 shown]
	v_sub_u32_e32 v10, v22, v12
	v_lshlrev_b32_e32 v10, 2, v10
	s_or_b64 s[36:37], s[36:37], exec
	ds_write_b32 v10, v23
	s_or_b64 exec, exec, s[0:1]
	s_and_b64 exec, exec, s[36:37]
	s_cbranch_execnz .LBB89_140
	s_branch .LBB89_141
.LBB89_218:
	v_sub_u32_e32 v3, v50, v18
	v_readfirstlane_b32 s44, v54
	v_readfirstlane_b32 s45, v55
	s_nop 4
	global_store_byte v3, v8, s[44:45]
	s_or_b64 exec, exec, s[38:39]
	s_and_saveexec_b64 s[38:39], s[28:29]
	s_cbranch_execz .LBB89_152
.LBB89_219:
	v_sub_u32_e32 v3, v48, v18
	v_readfirstlane_b32 s44, v54
	v_readfirstlane_b32 s45, v55
	s_nop 4
	global_store_byte v3, v65, s[44:45]
	s_or_b64 exec, exec, s[38:39]
	s_and_saveexec_b64 s[38:39], s[26:27]
	s_cbranch_execz .LBB89_153
.LBB89_220:
	v_sub_u32_e32 v3, v46, v18
	v_readfirstlane_b32 s44, v54
	v_readfirstlane_b32 s45, v55
	s_nop 4
	global_store_byte v3, v64, s[44:45]
	s_or_b64 exec, exec, s[38:39]
	s_and_saveexec_b64 s[38:39], s[24:25]
	s_cbranch_execz .LBB89_154
.LBB89_221:
	v_sub_u32_e32 v3, v44, v18
	v_readfirstlane_b32 s44, v54
	v_readfirstlane_b32 s45, v55
	s_nop 4
	global_store_byte v3, v63, s[44:45]
	s_or_b64 exec, exec, s[38:39]
	s_and_saveexec_b64 s[38:39], s[22:23]
	s_cbranch_execz .LBB89_155
.LBB89_222:
	v_sub_u32_e32 v3, v42, v18
	v_readfirstlane_b32 s44, v54
	v_readfirstlane_b32 s45, v55
	s_nop 4
	global_store_byte v3, v9, s[44:45]
	s_or_b64 exec, exec, s[38:39]
	s_and_saveexec_b64 s[38:39], s[20:21]
	s_cbranch_execz .LBB89_156
.LBB89_223:
	v_sub_u32_e32 v3, v40, v18
	v_readfirstlane_b32 s44, v54
	v_readfirstlane_b32 s45, v55
	s_nop 4
	global_store_byte v3, v62, s[44:45]
	s_or_b64 exec, exec, s[38:39]
	s_and_saveexec_b64 s[38:39], s[18:19]
	s_cbranch_execz .LBB89_157
.LBB89_224:
	v_sub_u32_e32 v3, v38, v18
	v_readfirstlane_b32 s44, v54
	v_readfirstlane_b32 s45, v55
	s_nop 4
	global_store_byte v3, v61, s[44:45]
	s_or_b64 exec, exec, s[38:39]
	s_and_saveexec_b64 s[38:39], s[16:17]
	s_cbranch_execz .LBB89_158
.LBB89_225:
	v_sub_u32_e32 v3, v36, v18
	v_readfirstlane_b32 s44, v54
	v_readfirstlane_b32 s45, v55
	s_nop 4
	global_store_byte v3, v60, s[44:45]
	s_or_b64 exec, exec, s[38:39]
	s_and_saveexec_b64 s[38:39], s[14:15]
	s_cbranch_execz .LBB89_159
.LBB89_226:
	v_sub_u32_e32 v3, v34, v18
	v_readfirstlane_b32 s44, v54
	v_readfirstlane_b32 s45, v55
	s_nop 4
	global_store_byte v3, v10, s[44:45]
	s_or_b64 exec, exec, s[38:39]
	s_and_saveexec_b64 s[38:39], s[12:13]
	s_cbranch_execz .LBB89_160
.LBB89_227:
	v_sub_u32_e32 v3, v32, v18
	v_readfirstlane_b32 s44, v54
	v_readfirstlane_b32 s45, v55
	s_nop 4
	global_store_byte v3, v59, s[44:45]
	s_or_b64 exec, exec, s[38:39]
	s_and_saveexec_b64 s[38:39], s[10:11]
	s_cbranch_execz .LBB89_161
.LBB89_228:
	v_sub_u32_e32 v3, v30, v18
	v_readfirstlane_b32 s44, v54
	v_readfirstlane_b32 s45, v55
	s_nop 4
	global_store_byte v3, v58, s[44:45]
	s_or_b64 exec, exec, s[38:39]
	s_and_saveexec_b64 s[38:39], s[8:9]
	s_cbranch_execz .LBB89_162
.LBB89_229:
	v_sub_u32_e32 v3, v28, v18
	v_readfirstlane_b32 s44, v54
	v_readfirstlane_b32 s45, v55
	s_nop 4
	global_store_byte v3, v57, s[44:45]
	s_or_b64 exec, exec, s[38:39]
	s_and_saveexec_b64 s[38:39], s[6:7]
	s_cbranch_execz .LBB89_163
.LBB89_230:
	v_sub_u32_e32 v3, v26, v18
	v_readfirstlane_b32 s44, v54
	v_readfirstlane_b32 s45, v55
	s_nop 4
	global_store_byte v3, v56, s[44:45]
	s_or_b64 exec, exec, s[38:39]
	s_and_saveexec_b64 s[38:39], s[4:5]
	s_cbranch_execnz .LBB89_164
	s_branch .LBB89_165
.LBB89_231:
	v_sub_u32_e32 v2, v50, v18
	ds_write_b8 v2, v8
	s_or_b64 exec, exec, s[38:39]
	s_and_saveexec_b64 s[30:31], s[28:29]
	s_cbranch_execz .LBB89_169
.LBB89_232:
	v_sub_u32_e32 v2, v48, v18
	ds_write_b8 v2, v65
	s_or_b64 exec, exec, s[30:31]
	s_and_saveexec_b64 s[28:29], s[26:27]
	s_cbranch_execz .LBB89_170
.LBB89_233:
	v_sub_u32_e32 v2, v46, v18
	ds_write_b8 v2, v64
	s_or_b64 exec, exec, s[28:29]
	s_and_saveexec_b64 s[26:27], s[24:25]
	s_cbranch_execz .LBB89_171
.LBB89_234:
	v_sub_u32_e32 v2, v44, v18
	ds_write_b8 v2, v63
	s_or_b64 exec, exec, s[26:27]
	s_and_saveexec_b64 s[24:25], s[22:23]
	s_cbranch_execz .LBB89_172
.LBB89_235:
	v_sub_u32_e32 v2, v42, v18
	ds_write_b8 v2, v9
	s_or_b64 exec, exec, s[24:25]
	s_and_saveexec_b64 s[22:23], s[20:21]
	s_cbranch_execz .LBB89_173
.LBB89_236:
	v_sub_u32_e32 v2, v40, v18
	ds_write_b8 v2, v62
	s_or_b64 exec, exec, s[22:23]
	s_and_saveexec_b64 s[20:21], s[18:19]
	s_cbranch_execz .LBB89_174
.LBB89_237:
	v_sub_u32_e32 v2, v38, v18
	ds_write_b8 v2, v61
	s_or_b64 exec, exec, s[20:21]
	s_and_saveexec_b64 s[18:19], s[16:17]
	s_cbranch_execz .LBB89_175
.LBB89_238:
	v_sub_u32_e32 v2, v36, v18
	ds_write_b8 v2, v60
	s_or_b64 exec, exec, s[18:19]
	s_and_saveexec_b64 s[16:17], s[14:15]
	s_cbranch_execz .LBB89_176
.LBB89_239:
	v_sub_u32_e32 v2, v34, v18
	ds_write_b8 v2, v10
	s_or_b64 exec, exec, s[16:17]
	s_and_saveexec_b64 s[14:15], s[12:13]
	s_cbranch_execz .LBB89_177
.LBB89_240:
	v_sub_u32_e32 v2, v32, v18
	ds_write_b8 v2, v59
	s_or_b64 exec, exec, s[14:15]
	s_and_saveexec_b64 s[12:13], s[10:11]
	s_cbranch_execz .LBB89_178
.LBB89_241:
	v_sub_u32_e32 v2, v30, v18
	ds_write_b8 v2, v58
	s_or_b64 exec, exec, s[12:13]
	s_and_saveexec_b64 s[10:11], s[8:9]
	s_cbranch_execz .LBB89_179
.LBB89_242:
	v_sub_u32_e32 v2, v28, v18
	ds_write_b8 v2, v57
	s_or_b64 exec, exec, s[10:11]
	s_and_saveexec_b64 s[8:9], s[6:7]
	s_cbranch_execz .LBB89_180
.LBB89_243:
	v_sub_u32_e32 v2, v26, v18
	ds_write_b8 v2, v56
	s_or_b64 exec, exec, s[8:9]
	s_and_saveexec_b64 s[6:7], s[4:5]
	s_cbranch_execnz .LBB89_181
	s_branch .LBB89_182
.LBB89_244:
	v_sub_u32_e32 v14, v50, v12
	v_mov_b32_e32 v15, 0
	v_lshl_add_u64 v[54:55], v[14:15], 3, v[10:11]
	v_mov_b32_e32 v14, v51
	global_store_dwordx2 v[54:55], v[14:15], off
	s_or_b64 exec, exec, s[36:37]
	s_and_saveexec_b64 s[36:37], s[26:27]
	s_cbranch_execz .LBB89_186
.LBB89_245:
	v_sub_u32_e32 v14, v48, v12
	v_mov_b32_e32 v15, 0
	v_lshl_add_u64 v[54:55], v[14:15], 3, v[10:11]
	v_mov_b32_e32 v14, v49
	global_store_dwordx2 v[54:55], v[14:15], off
	s_or_b64 exec, exec, s[36:37]
	s_and_saveexec_b64 s[36:37], s[24:25]
	s_cbranch_execz .LBB89_187
.LBB89_246:
	v_sub_u32_e32 v14, v46, v12
	v_mov_b32_e32 v15, 0
	v_lshl_add_u64 v[54:55], v[14:15], 3, v[10:11]
	v_mov_b32_e32 v14, v47
	global_store_dwordx2 v[54:55], v[14:15], off
	s_or_b64 exec, exec, s[36:37]
	s_and_saveexec_b64 s[36:37], s[22:23]
	s_cbranch_execz .LBB89_188
.LBB89_247:
	v_sub_u32_e32 v14, v44, v12
	v_mov_b32_e32 v15, 0
	v_lshl_add_u64 v[54:55], v[14:15], 3, v[10:11]
	v_mov_b32_e32 v14, v45
	global_store_dwordx2 v[54:55], v[14:15], off
	s_or_b64 exec, exec, s[36:37]
	s_and_saveexec_b64 s[36:37], s[20:21]
	s_cbranch_execz .LBB89_189
.LBB89_248:
	v_sub_u32_e32 v14, v42, v12
	v_mov_b32_e32 v15, 0
	v_lshl_add_u64 v[54:55], v[14:15], 3, v[10:11]
	v_mov_b32_e32 v14, v43
	global_store_dwordx2 v[54:55], v[14:15], off
	s_or_b64 exec, exec, s[36:37]
	s_and_saveexec_b64 s[36:37], s[18:19]
	s_cbranch_execz .LBB89_190
.LBB89_249:
	v_sub_u32_e32 v14, v40, v12
	v_mov_b32_e32 v15, 0
	v_lshl_add_u64 v[54:55], v[14:15], 3, v[10:11]
	v_mov_b32_e32 v14, v41
	global_store_dwordx2 v[54:55], v[14:15], off
	s_or_b64 exec, exec, s[36:37]
	s_and_saveexec_b64 s[36:37], s[16:17]
	s_cbranch_execz .LBB89_191
.LBB89_250:
	v_sub_u32_e32 v14, v38, v12
	v_mov_b32_e32 v15, 0
	v_lshl_add_u64 v[54:55], v[14:15], 3, v[10:11]
	v_mov_b32_e32 v14, v39
	global_store_dwordx2 v[54:55], v[14:15], off
	s_or_b64 exec, exec, s[36:37]
	s_and_saveexec_b64 s[36:37], s[14:15]
	s_cbranch_execz .LBB89_192
.LBB89_251:
	v_sub_u32_e32 v14, v36, v12
	v_mov_b32_e32 v15, 0
	v_lshl_add_u64 v[54:55], v[14:15], 3, v[10:11]
	v_mov_b32_e32 v14, v37
	global_store_dwordx2 v[54:55], v[14:15], off
	s_or_b64 exec, exec, s[36:37]
	s_and_saveexec_b64 s[36:37], s[12:13]
	s_cbranch_execz .LBB89_193
.LBB89_252:
	v_sub_u32_e32 v14, v34, v12
	v_mov_b32_e32 v15, 0
	v_lshl_add_u64 v[54:55], v[14:15], 3, v[10:11]
	v_mov_b32_e32 v14, v35
	global_store_dwordx2 v[54:55], v[14:15], off
	s_or_b64 exec, exec, s[36:37]
	s_and_saveexec_b64 s[36:37], s[10:11]
	s_cbranch_execz .LBB89_194
.LBB89_253:
	v_sub_u32_e32 v14, v32, v12
	v_mov_b32_e32 v15, 0
	v_lshl_add_u64 v[54:55], v[14:15], 3, v[10:11]
	v_mov_b32_e32 v14, v33
	global_store_dwordx2 v[54:55], v[14:15], off
	s_or_b64 exec, exec, s[36:37]
	s_and_saveexec_b64 s[36:37], s[8:9]
	s_cbranch_execz .LBB89_195
.LBB89_254:
	v_sub_u32_e32 v14, v30, v12
	v_mov_b32_e32 v15, 0
	v_lshl_add_u64 v[54:55], v[14:15], 3, v[10:11]
	v_mov_b32_e32 v14, v31
	global_store_dwordx2 v[54:55], v[14:15], off
	s_or_b64 exec, exec, s[36:37]
	s_and_saveexec_b64 s[36:37], s[6:7]
	s_cbranch_execz .LBB89_196
.LBB89_255:
	v_sub_u32_e32 v14, v28, v12
	v_mov_b32_e32 v15, 0
	v_lshl_add_u64 v[54:55], v[14:15], 3, v[10:11]
	v_mov_b32_e32 v14, v29
	global_store_dwordx2 v[54:55], v[14:15], off
	s_or_b64 exec, exec, s[36:37]
	s_and_saveexec_b64 s[36:37], s[4:5]
	s_cbranch_execz .LBB89_197
.LBB89_256:
	v_sub_u32_e32 v14, v26, v12
	v_mov_b32_e32 v15, 0
	v_lshl_add_u64 v[54:55], v[14:15], 3, v[10:11]
	v_mov_b32_e32 v14, v27
	global_store_dwordx2 v[54:55], v[14:15], off
	s_or_b64 exec, exec, s[36:37]
	s_and_saveexec_b64 s[36:37], s[2:3]
	s_cbranch_execnz .LBB89_198
	s_branch .LBB89_199
.LBB89_257:
	v_sub_u32_e32 v10, v50, v12
	v_lshlrev_b32_e32 v10, 2, v10
	ds_write_b32 v10, v51
	s_or_b64 exec, exec, s[36:37]
	s_and_saveexec_b64 s[28:29], s[26:27]
	s_cbranch_execz .LBB89_203
.LBB89_258:
	v_sub_u32_e32 v10, v48, v12
	v_lshlrev_b32_e32 v10, 2, v10
	ds_write_b32 v10, v49
	s_or_b64 exec, exec, s[28:29]
	s_and_saveexec_b64 s[26:27], s[24:25]
	s_cbranch_execz .LBB89_204
.LBB89_259:
	v_sub_u32_e32 v10, v46, v12
	v_lshlrev_b32_e32 v10, 2, v10
	ds_write_b32 v10, v47
	s_or_b64 exec, exec, s[26:27]
	s_and_saveexec_b64 s[24:25], s[22:23]
	s_cbranch_execz .LBB89_205
.LBB89_260:
	v_sub_u32_e32 v10, v44, v12
	v_lshlrev_b32_e32 v10, 2, v10
	ds_write_b32 v10, v45
	s_or_b64 exec, exec, s[24:25]
	s_and_saveexec_b64 s[22:23], s[20:21]
	s_cbranch_execz .LBB89_206
.LBB89_261:
	v_sub_u32_e32 v10, v42, v12
	v_lshlrev_b32_e32 v10, 2, v10
	ds_write_b32 v10, v43
	s_or_b64 exec, exec, s[22:23]
	s_and_saveexec_b64 s[20:21], s[18:19]
	s_cbranch_execz .LBB89_207
.LBB89_262:
	v_sub_u32_e32 v10, v40, v12
	v_lshlrev_b32_e32 v10, 2, v10
	ds_write_b32 v10, v41
	s_or_b64 exec, exec, s[20:21]
	s_and_saveexec_b64 s[18:19], s[16:17]
	s_cbranch_execz .LBB89_208
.LBB89_263:
	v_sub_u32_e32 v10, v38, v12
	v_lshlrev_b32_e32 v10, 2, v10
	ds_write_b32 v10, v39
	s_or_b64 exec, exec, s[18:19]
	s_and_saveexec_b64 s[16:17], s[14:15]
	s_cbranch_execz .LBB89_209
.LBB89_264:
	v_sub_u32_e32 v10, v36, v12
	v_lshlrev_b32_e32 v10, 2, v10
	ds_write_b32 v10, v37
	s_or_b64 exec, exec, s[16:17]
	s_and_saveexec_b64 s[14:15], s[12:13]
	s_cbranch_execz .LBB89_210
.LBB89_265:
	v_sub_u32_e32 v10, v34, v12
	v_lshlrev_b32_e32 v10, 2, v10
	ds_write_b32 v10, v35
	s_or_b64 exec, exec, s[14:15]
	s_and_saveexec_b64 s[12:13], s[10:11]
	s_cbranch_execz .LBB89_211
.LBB89_266:
	v_sub_u32_e32 v10, v32, v12
	v_lshlrev_b32_e32 v10, 2, v10
	ds_write_b32 v10, v33
	s_or_b64 exec, exec, s[12:13]
	s_and_saveexec_b64 s[10:11], s[8:9]
	s_cbranch_execz .LBB89_212
.LBB89_267:
	v_sub_u32_e32 v10, v30, v12
	v_lshlrev_b32_e32 v10, 2, v10
	ds_write_b32 v10, v31
	s_or_b64 exec, exec, s[10:11]
	s_and_saveexec_b64 s[8:9], s[6:7]
	s_cbranch_execz .LBB89_213
.LBB89_268:
	v_sub_u32_e32 v10, v28, v12
	v_lshlrev_b32_e32 v10, 2, v10
	ds_write_b32 v10, v29
	s_or_b64 exec, exec, s[8:9]
	s_and_saveexec_b64 s[6:7], s[4:5]
	s_cbranch_execz .LBB89_214
.LBB89_269:
	v_sub_u32_e32 v10, v26, v12
	v_lshlrev_b32_e32 v10, 2, v10
	ds_write_b32 v10, v27
	s_or_b64 exec, exec, s[6:7]
	s_and_saveexec_b64 s[4:5], s[2:3]
	s_cbranch_execnz .LBB89_215
	s_branch .LBB89_216
	.section	.rodata,"a",@progbits
	.p2align	6, 0x0
	.amdhsa_kernel _ZN7rocprim17ROCPRIM_400000_NS6detail17trampoline_kernelINS0_14default_configENS1_33run_length_encode_config_selectorIbjNS0_4plusIjEEEEZZNS1_33reduce_by_key_impl_wrapped_configILNS1_25lookback_scan_determinismE0ES3_S7_N6hipcub16HIPCUB_304000_NS22TransformInputIteratorIbN2at6native8internal12_GLOBAL__N_110LoadBoolOpEPKhlEENS0_17constant_iteratorIjlEEPbPlSO_S6_NS0_8equal_toIbEEEE10hipError_tPvRmT2_T3_mT4_T5_T6_T7_T8_P12ihipStream_tbENKUlT_T0_E_clISt17integral_constantIbLb0EES17_IbLb1EEEEDaS13_S14_EUlS13_E_NS1_11comp_targetILNS1_3genE5ELNS1_11target_archE942ELNS1_3gpuE9ELNS1_3repE0EEENS1_30default_config_static_selectorELNS0_4arch9wavefront6targetE1EEEvT1_
		.amdhsa_group_segment_fixed_size 30720
		.amdhsa_private_segment_fixed_size 0
		.amdhsa_kernarg_size 136
		.amdhsa_user_sgpr_count 2
		.amdhsa_user_sgpr_dispatch_ptr 0
		.amdhsa_user_sgpr_queue_ptr 0
		.amdhsa_user_sgpr_kernarg_segment_ptr 1
		.amdhsa_user_sgpr_dispatch_id 0
		.amdhsa_user_sgpr_kernarg_preload_length 0
		.amdhsa_user_sgpr_kernarg_preload_offset 0
		.amdhsa_user_sgpr_private_segment_size 0
		.amdhsa_uses_dynamic_stack 0
		.amdhsa_enable_private_segment 0
		.amdhsa_system_sgpr_workgroup_id_x 1
		.amdhsa_system_sgpr_workgroup_id_y 0
		.amdhsa_system_sgpr_workgroup_id_z 0
		.amdhsa_system_sgpr_workgroup_info 0
		.amdhsa_system_vgpr_workitem_id 0
		.amdhsa_next_free_vgpr 109
		.amdhsa_next_free_sgpr 79
		.amdhsa_accum_offset 112
		.amdhsa_reserve_vcc 1
		.amdhsa_float_round_mode_32 0
		.amdhsa_float_round_mode_16_64 0
		.amdhsa_float_denorm_mode_32 3
		.amdhsa_float_denorm_mode_16_64 3
		.amdhsa_dx10_clamp 1
		.amdhsa_ieee_mode 1
		.amdhsa_fp16_overflow 0
		.amdhsa_tg_split 0
		.amdhsa_exception_fp_ieee_invalid_op 0
		.amdhsa_exception_fp_denorm_src 0
		.amdhsa_exception_fp_ieee_div_zero 0
		.amdhsa_exception_fp_ieee_overflow 0
		.amdhsa_exception_fp_ieee_underflow 0
		.amdhsa_exception_fp_ieee_inexact 0
		.amdhsa_exception_int_div_zero 0
	.end_amdhsa_kernel
	.section	.text._ZN7rocprim17ROCPRIM_400000_NS6detail17trampoline_kernelINS0_14default_configENS1_33run_length_encode_config_selectorIbjNS0_4plusIjEEEEZZNS1_33reduce_by_key_impl_wrapped_configILNS1_25lookback_scan_determinismE0ES3_S7_N6hipcub16HIPCUB_304000_NS22TransformInputIteratorIbN2at6native8internal12_GLOBAL__N_110LoadBoolOpEPKhlEENS0_17constant_iteratorIjlEEPbPlSO_S6_NS0_8equal_toIbEEEE10hipError_tPvRmT2_T3_mT4_T5_T6_T7_T8_P12ihipStream_tbENKUlT_T0_E_clISt17integral_constantIbLb0EES17_IbLb1EEEEDaS13_S14_EUlS13_E_NS1_11comp_targetILNS1_3genE5ELNS1_11target_archE942ELNS1_3gpuE9ELNS1_3repE0EEENS1_30default_config_static_selectorELNS0_4arch9wavefront6targetE1EEEvT1_,"axG",@progbits,_ZN7rocprim17ROCPRIM_400000_NS6detail17trampoline_kernelINS0_14default_configENS1_33run_length_encode_config_selectorIbjNS0_4plusIjEEEEZZNS1_33reduce_by_key_impl_wrapped_configILNS1_25lookback_scan_determinismE0ES3_S7_N6hipcub16HIPCUB_304000_NS22TransformInputIteratorIbN2at6native8internal12_GLOBAL__N_110LoadBoolOpEPKhlEENS0_17constant_iteratorIjlEEPbPlSO_S6_NS0_8equal_toIbEEEE10hipError_tPvRmT2_T3_mT4_T5_T6_T7_T8_P12ihipStream_tbENKUlT_T0_E_clISt17integral_constantIbLb0EES17_IbLb1EEEEDaS13_S14_EUlS13_E_NS1_11comp_targetILNS1_3genE5ELNS1_11target_archE942ELNS1_3gpuE9ELNS1_3repE0EEENS1_30default_config_static_selectorELNS0_4arch9wavefront6targetE1EEEvT1_,comdat
.Lfunc_end89:
	.size	_ZN7rocprim17ROCPRIM_400000_NS6detail17trampoline_kernelINS0_14default_configENS1_33run_length_encode_config_selectorIbjNS0_4plusIjEEEEZZNS1_33reduce_by_key_impl_wrapped_configILNS1_25lookback_scan_determinismE0ES3_S7_N6hipcub16HIPCUB_304000_NS22TransformInputIteratorIbN2at6native8internal12_GLOBAL__N_110LoadBoolOpEPKhlEENS0_17constant_iteratorIjlEEPbPlSO_S6_NS0_8equal_toIbEEEE10hipError_tPvRmT2_T3_mT4_T5_T6_T7_T8_P12ihipStream_tbENKUlT_T0_E_clISt17integral_constantIbLb0EES17_IbLb1EEEEDaS13_S14_EUlS13_E_NS1_11comp_targetILNS1_3genE5ELNS1_11target_archE942ELNS1_3gpuE9ELNS1_3repE0EEENS1_30default_config_static_selectorELNS0_4arch9wavefront6targetE1EEEvT1_, .Lfunc_end89-_ZN7rocprim17ROCPRIM_400000_NS6detail17trampoline_kernelINS0_14default_configENS1_33run_length_encode_config_selectorIbjNS0_4plusIjEEEEZZNS1_33reduce_by_key_impl_wrapped_configILNS1_25lookback_scan_determinismE0ES3_S7_N6hipcub16HIPCUB_304000_NS22TransformInputIteratorIbN2at6native8internal12_GLOBAL__N_110LoadBoolOpEPKhlEENS0_17constant_iteratorIjlEEPbPlSO_S6_NS0_8equal_toIbEEEE10hipError_tPvRmT2_T3_mT4_T5_T6_T7_T8_P12ihipStream_tbENKUlT_T0_E_clISt17integral_constantIbLb0EES17_IbLb1EEEEDaS13_S14_EUlS13_E_NS1_11comp_targetILNS1_3genE5ELNS1_11target_archE942ELNS1_3gpuE9ELNS1_3repE0EEENS1_30default_config_static_selectorELNS0_4arch9wavefront6targetE1EEEvT1_
                                        ; -- End function
	.section	.AMDGPU.csdata,"",@progbits
; Kernel info:
; codeLenInByte = 15544
; NumSgprs: 85
; NumVgprs: 109
; NumAgprs: 0
; TotalNumVgprs: 109
; ScratchSize: 0
; MemoryBound: 0
; FloatMode: 240
; IeeeMode: 1
; LDSByteSize: 30720 bytes/workgroup (compile time only)
; SGPRBlocks: 10
; VGPRBlocks: 13
; NumSGPRsForWavesPerEU: 85
; NumVGPRsForWavesPerEU: 109
; AccumOffset: 112
; Occupancy: 4
; WaveLimiterHint : 1
; COMPUTE_PGM_RSRC2:SCRATCH_EN: 0
; COMPUTE_PGM_RSRC2:USER_SGPR: 2
; COMPUTE_PGM_RSRC2:TRAP_HANDLER: 0
; COMPUTE_PGM_RSRC2:TGID_X_EN: 1
; COMPUTE_PGM_RSRC2:TGID_Y_EN: 0
; COMPUTE_PGM_RSRC2:TGID_Z_EN: 0
; COMPUTE_PGM_RSRC2:TIDIG_COMP_CNT: 0
; COMPUTE_PGM_RSRC3_GFX90A:ACCUM_OFFSET: 27
; COMPUTE_PGM_RSRC3_GFX90A:TG_SPLIT: 0
	.section	.text._ZN7rocprim17ROCPRIM_400000_NS6detail17trampoline_kernelINS0_14default_configENS1_33run_length_encode_config_selectorIbjNS0_4plusIjEEEEZZNS1_33reduce_by_key_impl_wrapped_configILNS1_25lookback_scan_determinismE0ES3_S7_N6hipcub16HIPCUB_304000_NS22TransformInputIteratorIbN2at6native8internal12_GLOBAL__N_110LoadBoolOpEPKhlEENS0_17constant_iteratorIjlEEPbPlSO_S6_NS0_8equal_toIbEEEE10hipError_tPvRmT2_T3_mT4_T5_T6_T7_T8_P12ihipStream_tbENKUlT_T0_E_clISt17integral_constantIbLb0EES17_IbLb1EEEEDaS13_S14_EUlS13_E_NS1_11comp_targetILNS1_3genE4ELNS1_11target_archE910ELNS1_3gpuE8ELNS1_3repE0EEENS1_30default_config_static_selectorELNS0_4arch9wavefront6targetE1EEEvT1_,"axG",@progbits,_ZN7rocprim17ROCPRIM_400000_NS6detail17trampoline_kernelINS0_14default_configENS1_33run_length_encode_config_selectorIbjNS0_4plusIjEEEEZZNS1_33reduce_by_key_impl_wrapped_configILNS1_25lookback_scan_determinismE0ES3_S7_N6hipcub16HIPCUB_304000_NS22TransformInputIteratorIbN2at6native8internal12_GLOBAL__N_110LoadBoolOpEPKhlEENS0_17constant_iteratorIjlEEPbPlSO_S6_NS0_8equal_toIbEEEE10hipError_tPvRmT2_T3_mT4_T5_T6_T7_T8_P12ihipStream_tbENKUlT_T0_E_clISt17integral_constantIbLb0EES17_IbLb1EEEEDaS13_S14_EUlS13_E_NS1_11comp_targetILNS1_3genE4ELNS1_11target_archE910ELNS1_3gpuE8ELNS1_3repE0EEENS1_30default_config_static_selectorELNS0_4arch9wavefront6targetE1EEEvT1_,comdat
	.globl	_ZN7rocprim17ROCPRIM_400000_NS6detail17trampoline_kernelINS0_14default_configENS1_33run_length_encode_config_selectorIbjNS0_4plusIjEEEEZZNS1_33reduce_by_key_impl_wrapped_configILNS1_25lookback_scan_determinismE0ES3_S7_N6hipcub16HIPCUB_304000_NS22TransformInputIteratorIbN2at6native8internal12_GLOBAL__N_110LoadBoolOpEPKhlEENS0_17constant_iteratorIjlEEPbPlSO_S6_NS0_8equal_toIbEEEE10hipError_tPvRmT2_T3_mT4_T5_T6_T7_T8_P12ihipStream_tbENKUlT_T0_E_clISt17integral_constantIbLb0EES17_IbLb1EEEEDaS13_S14_EUlS13_E_NS1_11comp_targetILNS1_3genE4ELNS1_11target_archE910ELNS1_3gpuE8ELNS1_3repE0EEENS1_30default_config_static_selectorELNS0_4arch9wavefront6targetE1EEEvT1_ ; -- Begin function _ZN7rocprim17ROCPRIM_400000_NS6detail17trampoline_kernelINS0_14default_configENS1_33run_length_encode_config_selectorIbjNS0_4plusIjEEEEZZNS1_33reduce_by_key_impl_wrapped_configILNS1_25lookback_scan_determinismE0ES3_S7_N6hipcub16HIPCUB_304000_NS22TransformInputIteratorIbN2at6native8internal12_GLOBAL__N_110LoadBoolOpEPKhlEENS0_17constant_iteratorIjlEEPbPlSO_S6_NS0_8equal_toIbEEEE10hipError_tPvRmT2_T3_mT4_T5_T6_T7_T8_P12ihipStream_tbENKUlT_T0_E_clISt17integral_constantIbLb0EES17_IbLb1EEEEDaS13_S14_EUlS13_E_NS1_11comp_targetILNS1_3genE4ELNS1_11target_archE910ELNS1_3gpuE8ELNS1_3repE0EEENS1_30default_config_static_selectorELNS0_4arch9wavefront6targetE1EEEvT1_
	.p2align	8
	.type	_ZN7rocprim17ROCPRIM_400000_NS6detail17trampoline_kernelINS0_14default_configENS1_33run_length_encode_config_selectorIbjNS0_4plusIjEEEEZZNS1_33reduce_by_key_impl_wrapped_configILNS1_25lookback_scan_determinismE0ES3_S7_N6hipcub16HIPCUB_304000_NS22TransformInputIteratorIbN2at6native8internal12_GLOBAL__N_110LoadBoolOpEPKhlEENS0_17constant_iteratorIjlEEPbPlSO_S6_NS0_8equal_toIbEEEE10hipError_tPvRmT2_T3_mT4_T5_T6_T7_T8_P12ihipStream_tbENKUlT_T0_E_clISt17integral_constantIbLb0EES17_IbLb1EEEEDaS13_S14_EUlS13_E_NS1_11comp_targetILNS1_3genE4ELNS1_11target_archE910ELNS1_3gpuE8ELNS1_3repE0EEENS1_30default_config_static_selectorELNS0_4arch9wavefront6targetE1EEEvT1_,@function
_ZN7rocprim17ROCPRIM_400000_NS6detail17trampoline_kernelINS0_14default_configENS1_33run_length_encode_config_selectorIbjNS0_4plusIjEEEEZZNS1_33reduce_by_key_impl_wrapped_configILNS1_25lookback_scan_determinismE0ES3_S7_N6hipcub16HIPCUB_304000_NS22TransformInputIteratorIbN2at6native8internal12_GLOBAL__N_110LoadBoolOpEPKhlEENS0_17constant_iteratorIjlEEPbPlSO_S6_NS0_8equal_toIbEEEE10hipError_tPvRmT2_T3_mT4_T5_T6_T7_T8_P12ihipStream_tbENKUlT_T0_E_clISt17integral_constantIbLb0EES17_IbLb1EEEEDaS13_S14_EUlS13_E_NS1_11comp_targetILNS1_3genE4ELNS1_11target_archE910ELNS1_3gpuE8ELNS1_3repE0EEENS1_30default_config_static_selectorELNS0_4arch9wavefront6targetE1EEEvT1_: ; @_ZN7rocprim17ROCPRIM_400000_NS6detail17trampoline_kernelINS0_14default_configENS1_33run_length_encode_config_selectorIbjNS0_4plusIjEEEEZZNS1_33reduce_by_key_impl_wrapped_configILNS1_25lookback_scan_determinismE0ES3_S7_N6hipcub16HIPCUB_304000_NS22TransformInputIteratorIbN2at6native8internal12_GLOBAL__N_110LoadBoolOpEPKhlEENS0_17constant_iteratorIjlEEPbPlSO_S6_NS0_8equal_toIbEEEE10hipError_tPvRmT2_T3_mT4_T5_T6_T7_T8_P12ihipStream_tbENKUlT_T0_E_clISt17integral_constantIbLb0EES17_IbLb1EEEEDaS13_S14_EUlS13_E_NS1_11comp_targetILNS1_3genE4ELNS1_11target_archE910ELNS1_3gpuE8ELNS1_3repE0EEENS1_30default_config_static_selectorELNS0_4arch9wavefront6targetE1EEEvT1_
; %bb.0:
	.section	.rodata,"a",@progbits
	.p2align	6, 0x0
	.amdhsa_kernel _ZN7rocprim17ROCPRIM_400000_NS6detail17trampoline_kernelINS0_14default_configENS1_33run_length_encode_config_selectorIbjNS0_4plusIjEEEEZZNS1_33reduce_by_key_impl_wrapped_configILNS1_25lookback_scan_determinismE0ES3_S7_N6hipcub16HIPCUB_304000_NS22TransformInputIteratorIbN2at6native8internal12_GLOBAL__N_110LoadBoolOpEPKhlEENS0_17constant_iteratorIjlEEPbPlSO_S6_NS0_8equal_toIbEEEE10hipError_tPvRmT2_T3_mT4_T5_T6_T7_T8_P12ihipStream_tbENKUlT_T0_E_clISt17integral_constantIbLb0EES17_IbLb1EEEEDaS13_S14_EUlS13_E_NS1_11comp_targetILNS1_3genE4ELNS1_11target_archE910ELNS1_3gpuE8ELNS1_3repE0EEENS1_30default_config_static_selectorELNS0_4arch9wavefront6targetE1EEEvT1_
		.amdhsa_group_segment_fixed_size 0
		.amdhsa_private_segment_fixed_size 0
		.amdhsa_kernarg_size 136
		.amdhsa_user_sgpr_count 2
		.amdhsa_user_sgpr_dispatch_ptr 0
		.amdhsa_user_sgpr_queue_ptr 0
		.amdhsa_user_sgpr_kernarg_segment_ptr 1
		.amdhsa_user_sgpr_dispatch_id 0
		.amdhsa_user_sgpr_kernarg_preload_length 0
		.amdhsa_user_sgpr_kernarg_preload_offset 0
		.amdhsa_user_sgpr_private_segment_size 0
		.amdhsa_uses_dynamic_stack 0
		.amdhsa_enable_private_segment 0
		.amdhsa_system_sgpr_workgroup_id_x 1
		.amdhsa_system_sgpr_workgroup_id_y 0
		.amdhsa_system_sgpr_workgroup_id_z 0
		.amdhsa_system_sgpr_workgroup_info 0
		.amdhsa_system_vgpr_workitem_id 0
		.amdhsa_next_free_vgpr 1
		.amdhsa_next_free_sgpr 0
		.amdhsa_accum_offset 4
		.amdhsa_reserve_vcc 0
		.amdhsa_float_round_mode_32 0
		.amdhsa_float_round_mode_16_64 0
		.amdhsa_float_denorm_mode_32 3
		.amdhsa_float_denorm_mode_16_64 3
		.amdhsa_dx10_clamp 1
		.amdhsa_ieee_mode 1
		.amdhsa_fp16_overflow 0
		.amdhsa_tg_split 0
		.amdhsa_exception_fp_ieee_invalid_op 0
		.amdhsa_exception_fp_denorm_src 0
		.amdhsa_exception_fp_ieee_div_zero 0
		.amdhsa_exception_fp_ieee_overflow 0
		.amdhsa_exception_fp_ieee_underflow 0
		.amdhsa_exception_fp_ieee_inexact 0
		.amdhsa_exception_int_div_zero 0
	.end_amdhsa_kernel
	.section	.text._ZN7rocprim17ROCPRIM_400000_NS6detail17trampoline_kernelINS0_14default_configENS1_33run_length_encode_config_selectorIbjNS0_4plusIjEEEEZZNS1_33reduce_by_key_impl_wrapped_configILNS1_25lookback_scan_determinismE0ES3_S7_N6hipcub16HIPCUB_304000_NS22TransformInputIteratorIbN2at6native8internal12_GLOBAL__N_110LoadBoolOpEPKhlEENS0_17constant_iteratorIjlEEPbPlSO_S6_NS0_8equal_toIbEEEE10hipError_tPvRmT2_T3_mT4_T5_T6_T7_T8_P12ihipStream_tbENKUlT_T0_E_clISt17integral_constantIbLb0EES17_IbLb1EEEEDaS13_S14_EUlS13_E_NS1_11comp_targetILNS1_3genE4ELNS1_11target_archE910ELNS1_3gpuE8ELNS1_3repE0EEENS1_30default_config_static_selectorELNS0_4arch9wavefront6targetE1EEEvT1_,"axG",@progbits,_ZN7rocprim17ROCPRIM_400000_NS6detail17trampoline_kernelINS0_14default_configENS1_33run_length_encode_config_selectorIbjNS0_4plusIjEEEEZZNS1_33reduce_by_key_impl_wrapped_configILNS1_25lookback_scan_determinismE0ES3_S7_N6hipcub16HIPCUB_304000_NS22TransformInputIteratorIbN2at6native8internal12_GLOBAL__N_110LoadBoolOpEPKhlEENS0_17constant_iteratorIjlEEPbPlSO_S6_NS0_8equal_toIbEEEE10hipError_tPvRmT2_T3_mT4_T5_T6_T7_T8_P12ihipStream_tbENKUlT_T0_E_clISt17integral_constantIbLb0EES17_IbLb1EEEEDaS13_S14_EUlS13_E_NS1_11comp_targetILNS1_3genE4ELNS1_11target_archE910ELNS1_3gpuE8ELNS1_3repE0EEENS1_30default_config_static_selectorELNS0_4arch9wavefront6targetE1EEEvT1_,comdat
.Lfunc_end90:
	.size	_ZN7rocprim17ROCPRIM_400000_NS6detail17trampoline_kernelINS0_14default_configENS1_33run_length_encode_config_selectorIbjNS0_4plusIjEEEEZZNS1_33reduce_by_key_impl_wrapped_configILNS1_25lookback_scan_determinismE0ES3_S7_N6hipcub16HIPCUB_304000_NS22TransformInputIteratorIbN2at6native8internal12_GLOBAL__N_110LoadBoolOpEPKhlEENS0_17constant_iteratorIjlEEPbPlSO_S6_NS0_8equal_toIbEEEE10hipError_tPvRmT2_T3_mT4_T5_T6_T7_T8_P12ihipStream_tbENKUlT_T0_E_clISt17integral_constantIbLb0EES17_IbLb1EEEEDaS13_S14_EUlS13_E_NS1_11comp_targetILNS1_3genE4ELNS1_11target_archE910ELNS1_3gpuE8ELNS1_3repE0EEENS1_30default_config_static_selectorELNS0_4arch9wavefront6targetE1EEEvT1_, .Lfunc_end90-_ZN7rocprim17ROCPRIM_400000_NS6detail17trampoline_kernelINS0_14default_configENS1_33run_length_encode_config_selectorIbjNS0_4plusIjEEEEZZNS1_33reduce_by_key_impl_wrapped_configILNS1_25lookback_scan_determinismE0ES3_S7_N6hipcub16HIPCUB_304000_NS22TransformInputIteratorIbN2at6native8internal12_GLOBAL__N_110LoadBoolOpEPKhlEENS0_17constant_iteratorIjlEEPbPlSO_S6_NS0_8equal_toIbEEEE10hipError_tPvRmT2_T3_mT4_T5_T6_T7_T8_P12ihipStream_tbENKUlT_T0_E_clISt17integral_constantIbLb0EES17_IbLb1EEEEDaS13_S14_EUlS13_E_NS1_11comp_targetILNS1_3genE4ELNS1_11target_archE910ELNS1_3gpuE8ELNS1_3repE0EEENS1_30default_config_static_selectorELNS0_4arch9wavefront6targetE1EEEvT1_
                                        ; -- End function
	.section	.AMDGPU.csdata,"",@progbits
; Kernel info:
; codeLenInByte = 0
; NumSgprs: 6
; NumVgprs: 0
; NumAgprs: 0
; TotalNumVgprs: 0
; ScratchSize: 0
; MemoryBound: 0
; FloatMode: 240
; IeeeMode: 1
; LDSByteSize: 0 bytes/workgroup (compile time only)
; SGPRBlocks: 0
; VGPRBlocks: 0
; NumSGPRsForWavesPerEU: 6
; NumVGPRsForWavesPerEU: 1
; AccumOffset: 4
; Occupancy: 8
; WaveLimiterHint : 0
; COMPUTE_PGM_RSRC2:SCRATCH_EN: 0
; COMPUTE_PGM_RSRC2:USER_SGPR: 2
; COMPUTE_PGM_RSRC2:TRAP_HANDLER: 0
; COMPUTE_PGM_RSRC2:TGID_X_EN: 1
; COMPUTE_PGM_RSRC2:TGID_Y_EN: 0
; COMPUTE_PGM_RSRC2:TGID_Z_EN: 0
; COMPUTE_PGM_RSRC2:TIDIG_COMP_CNT: 0
; COMPUTE_PGM_RSRC3_GFX90A:ACCUM_OFFSET: 0
; COMPUTE_PGM_RSRC3_GFX90A:TG_SPLIT: 0
	.section	.text._ZN7rocprim17ROCPRIM_400000_NS6detail17trampoline_kernelINS0_14default_configENS1_33run_length_encode_config_selectorIbjNS0_4plusIjEEEEZZNS1_33reduce_by_key_impl_wrapped_configILNS1_25lookback_scan_determinismE0ES3_S7_N6hipcub16HIPCUB_304000_NS22TransformInputIteratorIbN2at6native8internal12_GLOBAL__N_110LoadBoolOpEPKhlEENS0_17constant_iteratorIjlEEPbPlSO_S6_NS0_8equal_toIbEEEE10hipError_tPvRmT2_T3_mT4_T5_T6_T7_T8_P12ihipStream_tbENKUlT_T0_E_clISt17integral_constantIbLb0EES17_IbLb1EEEEDaS13_S14_EUlS13_E_NS1_11comp_targetILNS1_3genE3ELNS1_11target_archE908ELNS1_3gpuE7ELNS1_3repE0EEENS1_30default_config_static_selectorELNS0_4arch9wavefront6targetE1EEEvT1_,"axG",@progbits,_ZN7rocprim17ROCPRIM_400000_NS6detail17trampoline_kernelINS0_14default_configENS1_33run_length_encode_config_selectorIbjNS0_4plusIjEEEEZZNS1_33reduce_by_key_impl_wrapped_configILNS1_25lookback_scan_determinismE0ES3_S7_N6hipcub16HIPCUB_304000_NS22TransformInputIteratorIbN2at6native8internal12_GLOBAL__N_110LoadBoolOpEPKhlEENS0_17constant_iteratorIjlEEPbPlSO_S6_NS0_8equal_toIbEEEE10hipError_tPvRmT2_T3_mT4_T5_T6_T7_T8_P12ihipStream_tbENKUlT_T0_E_clISt17integral_constantIbLb0EES17_IbLb1EEEEDaS13_S14_EUlS13_E_NS1_11comp_targetILNS1_3genE3ELNS1_11target_archE908ELNS1_3gpuE7ELNS1_3repE0EEENS1_30default_config_static_selectorELNS0_4arch9wavefront6targetE1EEEvT1_,comdat
	.globl	_ZN7rocprim17ROCPRIM_400000_NS6detail17trampoline_kernelINS0_14default_configENS1_33run_length_encode_config_selectorIbjNS0_4plusIjEEEEZZNS1_33reduce_by_key_impl_wrapped_configILNS1_25lookback_scan_determinismE0ES3_S7_N6hipcub16HIPCUB_304000_NS22TransformInputIteratorIbN2at6native8internal12_GLOBAL__N_110LoadBoolOpEPKhlEENS0_17constant_iteratorIjlEEPbPlSO_S6_NS0_8equal_toIbEEEE10hipError_tPvRmT2_T3_mT4_T5_T6_T7_T8_P12ihipStream_tbENKUlT_T0_E_clISt17integral_constantIbLb0EES17_IbLb1EEEEDaS13_S14_EUlS13_E_NS1_11comp_targetILNS1_3genE3ELNS1_11target_archE908ELNS1_3gpuE7ELNS1_3repE0EEENS1_30default_config_static_selectorELNS0_4arch9wavefront6targetE1EEEvT1_ ; -- Begin function _ZN7rocprim17ROCPRIM_400000_NS6detail17trampoline_kernelINS0_14default_configENS1_33run_length_encode_config_selectorIbjNS0_4plusIjEEEEZZNS1_33reduce_by_key_impl_wrapped_configILNS1_25lookback_scan_determinismE0ES3_S7_N6hipcub16HIPCUB_304000_NS22TransformInputIteratorIbN2at6native8internal12_GLOBAL__N_110LoadBoolOpEPKhlEENS0_17constant_iteratorIjlEEPbPlSO_S6_NS0_8equal_toIbEEEE10hipError_tPvRmT2_T3_mT4_T5_T6_T7_T8_P12ihipStream_tbENKUlT_T0_E_clISt17integral_constantIbLb0EES17_IbLb1EEEEDaS13_S14_EUlS13_E_NS1_11comp_targetILNS1_3genE3ELNS1_11target_archE908ELNS1_3gpuE7ELNS1_3repE0EEENS1_30default_config_static_selectorELNS0_4arch9wavefront6targetE1EEEvT1_
	.p2align	8
	.type	_ZN7rocprim17ROCPRIM_400000_NS6detail17trampoline_kernelINS0_14default_configENS1_33run_length_encode_config_selectorIbjNS0_4plusIjEEEEZZNS1_33reduce_by_key_impl_wrapped_configILNS1_25lookback_scan_determinismE0ES3_S7_N6hipcub16HIPCUB_304000_NS22TransformInputIteratorIbN2at6native8internal12_GLOBAL__N_110LoadBoolOpEPKhlEENS0_17constant_iteratorIjlEEPbPlSO_S6_NS0_8equal_toIbEEEE10hipError_tPvRmT2_T3_mT4_T5_T6_T7_T8_P12ihipStream_tbENKUlT_T0_E_clISt17integral_constantIbLb0EES17_IbLb1EEEEDaS13_S14_EUlS13_E_NS1_11comp_targetILNS1_3genE3ELNS1_11target_archE908ELNS1_3gpuE7ELNS1_3repE0EEENS1_30default_config_static_selectorELNS0_4arch9wavefront6targetE1EEEvT1_,@function
_ZN7rocprim17ROCPRIM_400000_NS6detail17trampoline_kernelINS0_14default_configENS1_33run_length_encode_config_selectorIbjNS0_4plusIjEEEEZZNS1_33reduce_by_key_impl_wrapped_configILNS1_25lookback_scan_determinismE0ES3_S7_N6hipcub16HIPCUB_304000_NS22TransformInputIteratorIbN2at6native8internal12_GLOBAL__N_110LoadBoolOpEPKhlEENS0_17constant_iteratorIjlEEPbPlSO_S6_NS0_8equal_toIbEEEE10hipError_tPvRmT2_T3_mT4_T5_T6_T7_T8_P12ihipStream_tbENKUlT_T0_E_clISt17integral_constantIbLb0EES17_IbLb1EEEEDaS13_S14_EUlS13_E_NS1_11comp_targetILNS1_3genE3ELNS1_11target_archE908ELNS1_3gpuE7ELNS1_3repE0EEENS1_30default_config_static_selectorELNS0_4arch9wavefront6targetE1EEEvT1_: ; @_ZN7rocprim17ROCPRIM_400000_NS6detail17trampoline_kernelINS0_14default_configENS1_33run_length_encode_config_selectorIbjNS0_4plusIjEEEEZZNS1_33reduce_by_key_impl_wrapped_configILNS1_25lookback_scan_determinismE0ES3_S7_N6hipcub16HIPCUB_304000_NS22TransformInputIteratorIbN2at6native8internal12_GLOBAL__N_110LoadBoolOpEPKhlEENS0_17constant_iteratorIjlEEPbPlSO_S6_NS0_8equal_toIbEEEE10hipError_tPvRmT2_T3_mT4_T5_T6_T7_T8_P12ihipStream_tbENKUlT_T0_E_clISt17integral_constantIbLb0EES17_IbLb1EEEEDaS13_S14_EUlS13_E_NS1_11comp_targetILNS1_3genE3ELNS1_11target_archE908ELNS1_3gpuE7ELNS1_3repE0EEENS1_30default_config_static_selectorELNS0_4arch9wavefront6targetE1EEEvT1_
; %bb.0:
	.section	.rodata,"a",@progbits
	.p2align	6, 0x0
	.amdhsa_kernel _ZN7rocprim17ROCPRIM_400000_NS6detail17trampoline_kernelINS0_14default_configENS1_33run_length_encode_config_selectorIbjNS0_4plusIjEEEEZZNS1_33reduce_by_key_impl_wrapped_configILNS1_25lookback_scan_determinismE0ES3_S7_N6hipcub16HIPCUB_304000_NS22TransformInputIteratorIbN2at6native8internal12_GLOBAL__N_110LoadBoolOpEPKhlEENS0_17constant_iteratorIjlEEPbPlSO_S6_NS0_8equal_toIbEEEE10hipError_tPvRmT2_T3_mT4_T5_T6_T7_T8_P12ihipStream_tbENKUlT_T0_E_clISt17integral_constantIbLb0EES17_IbLb1EEEEDaS13_S14_EUlS13_E_NS1_11comp_targetILNS1_3genE3ELNS1_11target_archE908ELNS1_3gpuE7ELNS1_3repE0EEENS1_30default_config_static_selectorELNS0_4arch9wavefront6targetE1EEEvT1_
		.amdhsa_group_segment_fixed_size 0
		.amdhsa_private_segment_fixed_size 0
		.amdhsa_kernarg_size 136
		.amdhsa_user_sgpr_count 2
		.amdhsa_user_sgpr_dispatch_ptr 0
		.amdhsa_user_sgpr_queue_ptr 0
		.amdhsa_user_sgpr_kernarg_segment_ptr 1
		.amdhsa_user_sgpr_dispatch_id 0
		.amdhsa_user_sgpr_kernarg_preload_length 0
		.amdhsa_user_sgpr_kernarg_preload_offset 0
		.amdhsa_user_sgpr_private_segment_size 0
		.amdhsa_uses_dynamic_stack 0
		.amdhsa_enable_private_segment 0
		.amdhsa_system_sgpr_workgroup_id_x 1
		.amdhsa_system_sgpr_workgroup_id_y 0
		.amdhsa_system_sgpr_workgroup_id_z 0
		.amdhsa_system_sgpr_workgroup_info 0
		.amdhsa_system_vgpr_workitem_id 0
		.amdhsa_next_free_vgpr 1
		.amdhsa_next_free_sgpr 0
		.amdhsa_accum_offset 4
		.amdhsa_reserve_vcc 0
		.amdhsa_float_round_mode_32 0
		.amdhsa_float_round_mode_16_64 0
		.amdhsa_float_denorm_mode_32 3
		.amdhsa_float_denorm_mode_16_64 3
		.amdhsa_dx10_clamp 1
		.amdhsa_ieee_mode 1
		.amdhsa_fp16_overflow 0
		.amdhsa_tg_split 0
		.amdhsa_exception_fp_ieee_invalid_op 0
		.amdhsa_exception_fp_denorm_src 0
		.amdhsa_exception_fp_ieee_div_zero 0
		.amdhsa_exception_fp_ieee_overflow 0
		.amdhsa_exception_fp_ieee_underflow 0
		.amdhsa_exception_fp_ieee_inexact 0
		.amdhsa_exception_int_div_zero 0
	.end_amdhsa_kernel
	.section	.text._ZN7rocprim17ROCPRIM_400000_NS6detail17trampoline_kernelINS0_14default_configENS1_33run_length_encode_config_selectorIbjNS0_4plusIjEEEEZZNS1_33reduce_by_key_impl_wrapped_configILNS1_25lookback_scan_determinismE0ES3_S7_N6hipcub16HIPCUB_304000_NS22TransformInputIteratorIbN2at6native8internal12_GLOBAL__N_110LoadBoolOpEPKhlEENS0_17constant_iteratorIjlEEPbPlSO_S6_NS0_8equal_toIbEEEE10hipError_tPvRmT2_T3_mT4_T5_T6_T7_T8_P12ihipStream_tbENKUlT_T0_E_clISt17integral_constantIbLb0EES17_IbLb1EEEEDaS13_S14_EUlS13_E_NS1_11comp_targetILNS1_3genE3ELNS1_11target_archE908ELNS1_3gpuE7ELNS1_3repE0EEENS1_30default_config_static_selectorELNS0_4arch9wavefront6targetE1EEEvT1_,"axG",@progbits,_ZN7rocprim17ROCPRIM_400000_NS6detail17trampoline_kernelINS0_14default_configENS1_33run_length_encode_config_selectorIbjNS0_4plusIjEEEEZZNS1_33reduce_by_key_impl_wrapped_configILNS1_25lookback_scan_determinismE0ES3_S7_N6hipcub16HIPCUB_304000_NS22TransformInputIteratorIbN2at6native8internal12_GLOBAL__N_110LoadBoolOpEPKhlEENS0_17constant_iteratorIjlEEPbPlSO_S6_NS0_8equal_toIbEEEE10hipError_tPvRmT2_T3_mT4_T5_T6_T7_T8_P12ihipStream_tbENKUlT_T0_E_clISt17integral_constantIbLb0EES17_IbLb1EEEEDaS13_S14_EUlS13_E_NS1_11comp_targetILNS1_3genE3ELNS1_11target_archE908ELNS1_3gpuE7ELNS1_3repE0EEENS1_30default_config_static_selectorELNS0_4arch9wavefront6targetE1EEEvT1_,comdat
.Lfunc_end91:
	.size	_ZN7rocprim17ROCPRIM_400000_NS6detail17trampoline_kernelINS0_14default_configENS1_33run_length_encode_config_selectorIbjNS0_4plusIjEEEEZZNS1_33reduce_by_key_impl_wrapped_configILNS1_25lookback_scan_determinismE0ES3_S7_N6hipcub16HIPCUB_304000_NS22TransformInputIteratorIbN2at6native8internal12_GLOBAL__N_110LoadBoolOpEPKhlEENS0_17constant_iteratorIjlEEPbPlSO_S6_NS0_8equal_toIbEEEE10hipError_tPvRmT2_T3_mT4_T5_T6_T7_T8_P12ihipStream_tbENKUlT_T0_E_clISt17integral_constantIbLb0EES17_IbLb1EEEEDaS13_S14_EUlS13_E_NS1_11comp_targetILNS1_3genE3ELNS1_11target_archE908ELNS1_3gpuE7ELNS1_3repE0EEENS1_30default_config_static_selectorELNS0_4arch9wavefront6targetE1EEEvT1_, .Lfunc_end91-_ZN7rocprim17ROCPRIM_400000_NS6detail17trampoline_kernelINS0_14default_configENS1_33run_length_encode_config_selectorIbjNS0_4plusIjEEEEZZNS1_33reduce_by_key_impl_wrapped_configILNS1_25lookback_scan_determinismE0ES3_S7_N6hipcub16HIPCUB_304000_NS22TransformInputIteratorIbN2at6native8internal12_GLOBAL__N_110LoadBoolOpEPKhlEENS0_17constant_iteratorIjlEEPbPlSO_S6_NS0_8equal_toIbEEEE10hipError_tPvRmT2_T3_mT4_T5_T6_T7_T8_P12ihipStream_tbENKUlT_T0_E_clISt17integral_constantIbLb0EES17_IbLb1EEEEDaS13_S14_EUlS13_E_NS1_11comp_targetILNS1_3genE3ELNS1_11target_archE908ELNS1_3gpuE7ELNS1_3repE0EEENS1_30default_config_static_selectorELNS0_4arch9wavefront6targetE1EEEvT1_
                                        ; -- End function
	.section	.AMDGPU.csdata,"",@progbits
; Kernel info:
; codeLenInByte = 0
; NumSgprs: 6
; NumVgprs: 0
; NumAgprs: 0
; TotalNumVgprs: 0
; ScratchSize: 0
; MemoryBound: 0
; FloatMode: 240
; IeeeMode: 1
; LDSByteSize: 0 bytes/workgroup (compile time only)
; SGPRBlocks: 0
; VGPRBlocks: 0
; NumSGPRsForWavesPerEU: 6
; NumVGPRsForWavesPerEU: 1
; AccumOffset: 4
; Occupancy: 8
; WaveLimiterHint : 0
; COMPUTE_PGM_RSRC2:SCRATCH_EN: 0
; COMPUTE_PGM_RSRC2:USER_SGPR: 2
; COMPUTE_PGM_RSRC2:TRAP_HANDLER: 0
; COMPUTE_PGM_RSRC2:TGID_X_EN: 1
; COMPUTE_PGM_RSRC2:TGID_Y_EN: 0
; COMPUTE_PGM_RSRC2:TGID_Z_EN: 0
; COMPUTE_PGM_RSRC2:TIDIG_COMP_CNT: 0
; COMPUTE_PGM_RSRC3_GFX90A:ACCUM_OFFSET: 0
; COMPUTE_PGM_RSRC3_GFX90A:TG_SPLIT: 0
	.section	.text._ZN7rocprim17ROCPRIM_400000_NS6detail17trampoline_kernelINS0_14default_configENS1_33run_length_encode_config_selectorIbjNS0_4plusIjEEEEZZNS1_33reduce_by_key_impl_wrapped_configILNS1_25lookback_scan_determinismE0ES3_S7_N6hipcub16HIPCUB_304000_NS22TransformInputIteratorIbN2at6native8internal12_GLOBAL__N_110LoadBoolOpEPKhlEENS0_17constant_iteratorIjlEEPbPlSO_S6_NS0_8equal_toIbEEEE10hipError_tPvRmT2_T3_mT4_T5_T6_T7_T8_P12ihipStream_tbENKUlT_T0_E_clISt17integral_constantIbLb0EES17_IbLb1EEEEDaS13_S14_EUlS13_E_NS1_11comp_targetILNS1_3genE2ELNS1_11target_archE906ELNS1_3gpuE6ELNS1_3repE0EEENS1_30default_config_static_selectorELNS0_4arch9wavefront6targetE1EEEvT1_,"axG",@progbits,_ZN7rocprim17ROCPRIM_400000_NS6detail17trampoline_kernelINS0_14default_configENS1_33run_length_encode_config_selectorIbjNS0_4plusIjEEEEZZNS1_33reduce_by_key_impl_wrapped_configILNS1_25lookback_scan_determinismE0ES3_S7_N6hipcub16HIPCUB_304000_NS22TransformInputIteratorIbN2at6native8internal12_GLOBAL__N_110LoadBoolOpEPKhlEENS0_17constant_iteratorIjlEEPbPlSO_S6_NS0_8equal_toIbEEEE10hipError_tPvRmT2_T3_mT4_T5_T6_T7_T8_P12ihipStream_tbENKUlT_T0_E_clISt17integral_constantIbLb0EES17_IbLb1EEEEDaS13_S14_EUlS13_E_NS1_11comp_targetILNS1_3genE2ELNS1_11target_archE906ELNS1_3gpuE6ELNS1_3repE0EEENS1_30default_config_static_selectorELNS0_4arch9wavefront6targetE1EEEvT1_,comdat
	.globl	_ZN7rocprim17ROCPRIM_400000_NS6detail17trampoline_kernelINS0_14default_configENS1_33run_length_encode_config_selectorIbjNS0_4plusIjEEEEZZNS1_33reduce_by_key_impl_wrapped_configILNS1_25lookback_scan_determinismE0ES3_S7_N6hipcub16HIPCUB_304000_NS22TransformInputIteratorIbN2at6native8internal12_GLOBAL__N_110LoadBoolOpEPKhlEENS0_17constant_iteratorIjlEEPbPlSO_S6_NS0_8equal_toIbEEEE10hipError_tPvRmT2_T3_mT4_T5_T6_T7_T8_P12ihipStream_tbENKUlT_T0_E_clISt17integral_constantIbLb0EES17_IbLb1EEEEDaS13_S14_EUlS13_E_NS1_11comp_targetILNS1_3genE2ELNS1_11target_archE906ELNS1_3gpuE6ELNS1_3repE0EEENS1_30default_config_static_selectorELNS0_4arch9wavefront6targetE1EEEvT1_ ; -- Begin function _ZN7rocprim17ROCPRIM_400000_NS6detail17trampoline_kernelINS0_14default_configENS1_33run_length_encode_config_selectorIbjNS0_4plusIjEEEEZZNS1_33reduce_by_key_impl_wrapped_configILNS1_25lookback_scan_determinismE0ES3_S7_N6hipcub16HIPCUB_304000_NS22TransformInputIteratorIbN2at6native8internal12_GLOBAL__N_110LoadBoolOpEPKhlEENS0_17constant_iteratorIjlEEPbPlSO_S6_NS0_8equal_toIbEEEE10hipError_tPvRmT2_T3_mT4_T5_T6_T7_T8_P12ihipStream_tbENKUlT_T0_E_clISt17integral_constantIbLb0EES17_IbLb1EEEEDaS13_S14_EUlS13_E_NS1_11comp_targetILNS1_3genE2ELNS1_11target_archE906ELNS1_3gpuE6ELNS1_3repE0EEENS1_30default_config_static_selectorELNS0_4arch9wavefront6targetE1EEEvT1_
	.p2align	8
	.type	_ZN7rocprim17ROCPRIM_400000_NS6detail17trampoline_kernelINS0_14default_configENS1_33run_length_encode_config_selectorIbjNS0_4plusIjEEEEZZNS1_33reduce_by_key_impl_wrapped_configILNS1_25lookback_scan_determinismE0ES3_S7_N6hipcub16HIPCUB_304000_NS22TransformInputIteratorIbN2at6native8internal12_GLOBAL__N_110LoadBoolOpEPKhlEENS0_17constant_iteratorIjlEEPbPlSO_S6_NS0_8equal_toIbEEEE10hipError_tPvRmT2_T3_mT4_T5_T6_T7_T8_P12ihipStream_tbENKUlT_T0_E_clISt17integral_constantIbLb0EES17_IbLb1EEEEDaS13_S14_EUlS13_E_NS1_11comp_targetILNS1_3genE2ELNS1_11target_archE906ELNS1_3gpuE6ELNS1_3repE0EEENS1_30default_config_static_selectorELNS0_4arch9wavefront6targetE1EEEvT1_,@function
_ZN7rocprim17ROCPRIM_400000_NS6detail17trampoline_kernelINS0_14default_configENS1_33run_length_encode_config_selectorIbjNS0_4plusIjEEEEZZNS1_33reduce_by_key_impl_wrapped_configILNS1_25lookback_scan_determinismE0ES3_S7_N6hipcub16HIPCUB_304000_NS22TransformInputIteratorIbN2at6native8internal12_GLOBAL__N_110LoadBoolOpEPKhlEENS0_17constant_iteratorIjlEEPbPlSO_S6_NS0_8equal_toIbEEEE10hipError_tPvRmT2_T3_mT4_T5_T6_T7_T8_P12ihipStream_tbENKUlT_T0_E_clISt17integral_constantIbLb0EES17_IbLb1EEEEDaS13_S14_EUlS13_E_NS1_11comp_targetILNS1_3genE2ELNS1_11target_archE906ELNS1_3gpuE6ELNS1_3repE0EEENS1_30default_config_static_selectorELNS0_4arch9wavefront6targetE1EEEvT1_: ; @_ZN7rocprim17ROCPRIM_400000_NS6detail17trampoline_kernelINS0_14default_configENS1_33run_length_encode_config_selectorIbjNS0_4plusIjEEEEZZNS1_33reduce_by_key_impl_wrapped_configILNS1_25lookback_scan_determinismE0ES3_S7_N6hipcub16HIPCUB_304000_NS22TransformInputIteratorIbN2at6native8internal12_GLOBAL__N_110LoadBoolOpEPKhlEENS0_17constant_iteratorIjlEEPbPlSO_S6_NS0_8equal_toIbEEEE10hipError_tPvRmT2_T3_mT4_T5_T6_T7_T8_P12ihipStream_tbENKUlT_T0_E_clISt17integral_constantIbLb0EES17_IbLb1EEEEDaS13_S14_EUlS13_E_NS1_11comp_targetILNS1_3genE2ELNS1_11target_archE906ELNS1_3gpuE6ELNS1_3repE0EEENS1_30default_config_static_selectorELNS0_4arch9wavefront6targetE1EEEvT1_
; %bb.0:
	.section	.rodata,"a",@progbits
	.p2align	6, 0x0
	.amdhsa_kernel _ZN7rocprim17ROCPRIM_400000_NS6detail17trampoline_kernelINS0_14default_configENS1_33run_length_encode_config_selectorIbjNS0_4plusIjEEEEZZNS1_33reduce_by_key_impl_wrapped_configILNS1_25lookback_scan_determinismE0ES3_S7_N6hipcub16HIPCUB_304000_NS22TransformInputIteratorIbN2at6native8internal12_GLOBAL__N_110LoadBoolOpEPKhlEENS0_17constant_iteratorIjlEEPbPlSO_S6_NS0_8equal_toIbEEEE10hipError_tPvRmT2_T3_mT4_T5_T6_T7_T8_P12ihipStream_tbENKUlT_T0_E_clISt17integral_constantIbLb0EES17_IbLb1EEEEDaS13_S14_EUlS13_E_NS1_11comp_targetILNS1_3genE2ELNS1_11target_archE906ELNS1_3gpuE6ELNS1_3repE0EEENS1_30default_config_static_selectorELNS0_4arch9wavefront6targetE1EEEvT1_
		.amdhsa_group_segment_fixed_size 0
		.amdhsa_private_segment_fixed_size 0
		.amdhsa_kernarg_size 136
		.amdhsa_user_sgpr_count 2
		.amdhsa_user_sgpr_dispatch_ptr 0
		.amdhsa_user_sgpr_queue_ptr 0
		.amdhsa_user_sgpr_kernarg_segment_ptr 1
		.amdhsa_user_sgpr_dispatch_id 0
		.amdhsa_user_sgpr_kernarg_preload_length 0
		.amdhsa_user_sgpr_kernarg_preload_offset 0
		.amdhsa_user_sgpr_private_segment_size 0
		.amdhsa_uses_dynamic_stack 0
		.amdhsa_enable_private_segment 0
		.amdhsa_system_sgpr_workgroup_id_x 1
		.amdhsa_system_sgpr_workgroup_id_y 0
		.amdhsa_system_sgpr_workgroup_id_z 0
		.amdhsa_system_sgpr_workgroup_info 0
		.amdhsa_system_vgpr_workitem_id 0
		.amdhsa_next_free_vgpr 1
		.amdhsa_next_free_sgpr 0
		.amdhsa_accum_offset 4
		.amdhsa_reserve_vcc 0
		.amdhsa_float_round_mode_32 0
		.amdhsa_float_round_mode_16_64 0
		.amdhsa_float_denorm_mode_32 3
		.amdhsa_float_denorm_mode_16_64 3
		.amdhsa_dx10_clamp 1
		.amdhsa_ieee_mode 1
		.amdhsa_fp16_overflow 0
		.amdhsa_tg_split 0
		.amdhsa_exception_fp_ieee_invalid_op 0
		.amdhsa_exception_fp_denorm_src 0
		.amdhsa_exception_fp_ieee_div_zero 0
		.amdhsa_exception_fp_ieee_overflow 0
		.amdhsa_exception_fp_ieee_underflow 0
		.amdhsa_exception_fp_ieee_inexact 0
		.amdhsa_exception_int_div_zero 0
	.end_amdhsa_kernel
	.section	.text._ZN7rocprim17ROCPRIM_400000_NS6detail17trampoline_kernelINS0_14default_configENS1_33run_length_encode_config_selectorIbjNS0_4plusIjEEEEZZNS1_33reduce_by_key_impl_wrapped_configILNS1_25lookback_scan_determinismE0ES3_S7_N6hipcub16HIPCUB_304000_NS22TransformInputIteratorIbN2at6native8internal12_GLOBAL__N_110LoadBoolOpEPKhlEENS0_17constant_iteratorIjlEEPbPlSO_S6_NS0_8equal_toIbEEEE10hipError_tPvRmT2_T3_mT4_T5_T6_T7_T8_P12ihipStream_tbENKUlT_T0_E_clISt17integral_constantIbLb0EES17_IbLb1EEEEDaS13_S14_EUlS13_E_NS1_11comp_targetILNS1_3genE2ELNS1_11target_archE906ELNS1_3gpuE6ELNS1_3repE0EEENS1_30default_config_static_selectorELNS0_4arch9wavefront6targetE1EEEvT1_,"axG",@progbits,_ZN7rocprim17ROCPRIM_400000_NS6detail17trampoline_kernelINS0_14default_configENS1_33run_length_encode_config_selectorIbjNS0_4plusIjEEEEZZNS1_33reduce_by_key_impl_wrapped_configILNS1_25lookback_scan_determinismE0ES3_S7_N6hipcub16HIPCUB_304000_NS22TransformInputIteratorIbN2at6native8internal12_GLOBAL__N_110LoadBoolOpEPKhlEENS0_17constant_iteratorIjlEEPbPlSO_S6_NS0_8equal_toIbEEEE10hipError_tPvRmT2_T3_mT4_T5_T6_T7_T8_P12ihipStream_tbENKUlT_T0_E_clISt17integral_constantIbLb0EES17_IbLb1EEEEDaS13_S14_EUlS13_E_NS1_11comp_targetILNS1_3genE2ELNS1_11target_archE906ELNS1_3gpuE6ELNS1_3repE0EEENS1_30default_config_static_selectorELNS0_4arch9wavefront6targetE1EEEvT1_,comdat
.Lfunc_end92:
	.size	_ZN7rocprim17ROCPRIM_400000_NS6detail17trampoline_kernelINS0_14default_configENS1_33run_length_encode_config_selectorIbjNS0_4plusIjEEEEZZNS1_33reduce_by_key_impl_wrapped_configILNS1_25lookback_scan_determinismE0ES3_S7_N6hipcub16HIPCUB_304000_NS22TransformInputIteratorIbN2at6native8internal12_GLOBAL__N_110LoadBoolOpEPKhlEENS0_17constant_iteratorIjlEEPbPlSO_S6_NS0_8equal_toIbEEEE10hipError_tPvRmT2_T3_mT4_T5_T6_T7_T8_P12ihipStream_tbENKUlT_T0_E_clISt17integral_constantIbLb0EES17_IbLb1EEEEDaS13_S14_EUlS13_E_NS1_11comp_targetILNS1_3genE2ELNS1_11target_archE906ELNS1_3gpuE6ELNS1_3repE0EEENS1_30default_config_static_selectorELNS0_4arch9wavefront6targetE1EEEvT1_, .Lfunc_end92-_ZN7rocprim17ROCPRIM_400000_NS6detail17trampoline_kernelINS0_14default_configENS1_33run_length_encode_config_selectorIbjNS0_4plusIjEEEEZZNS1_33reduce_by_key_impl_wrapped_configILNS1_25lookback_scan_determinismE0ES3_S7_N6hipcub16HIPCUB_304000_NS22TransformInputIteratorIbN2at6native8internal12_GLOBAL__N_110LoadBoolOpEPKhlEENS0_17constant_iteratorIjlEEPbPlSO_S6_NS0_8equal_toIbEEEE10hipError_tPvRmT2_T3_mT4_T5_T6_T7_T8_P12ihipStream_tbENKUlT_T0_E_clISt17integral_constantIbLb0EES17_IbLb1EEEEDaS13_S14_EUlS13_E_NS1_11comp_targetILNS1_3genE2ELNS1_11target_archE906ELNS1_3gpuE6ELNS1_3repE0EEENS1_30default_config_static_selectorELNS0_4arch9wavefront6targetE1EEEvT1_
                                        ; -- End function
	.section	.AMDGPU.csdata,"",@progbits
; Kernel info:
; codeLenInByte = 0
; NumSgprs: 6
; NumVgprs: 0
; NumAgprs: 0
; TotalNumVgprs: 0
; ScratchSize: 0
; MemoryBound: 0
; FloatMode: 240
; IeeeMode: 1
; LDSByteSize: 0 bytes/workgroup (compile time only)
; SGPRBlocks: 0
; VGPRBlocks: 0
; NumSGPRsForWavesPerEU: 6
; NumVGPRsForWavesPerEU: 1
; AccumOffset: 4
; Occupancy: 8
; WaveLimiterHint : 0
; COMPUTE_PGM_RSRC2:SCRATCH_EN: 0
; COMPUTE_PGM_RSRC2:USER_SGPR: 2
; COMPUTE_PGM_RSRC2:TRAP_HANDLER: 0
; COMPUTE_PGM_RSRC2:TGID_X_EN: 1
; COMPUTE_PGM_RSRC2:TGID_Y_EN: 0
; COMPUTE_PGM_RSRC2:TGID_Z_EN: 0
; COMPUTE_PGM_RSRC2:TIDIG_COMP_CNT: 0
; COMPUTE_PGM_RSRC3_GFX90A:ACCUM_OFFSET: 0
; COMPUTE_PGM_RSRC3_GFX90A:TG_SPLIT: 0
	.section	.text._ZN7rocprim17ROCPRIM_400000_NS6detail17trampoline_kernelINS0_14default_configENS1_33run_length_encode_config_selectorIbjNS0_4plusIjEEEEZZNS1_33reduce_by_key_impl_wrapped_configILNS1_25lookback_scan_determinismE0ES3_S7_N6hipcub16HIPCUB_304000_NS22TransformInputIteratorIbN2at6native8internal12_GLOBAL__N_110LoadBoolOpEPKhlEENS0_17constant_iteratorIjlEEPbPlSO_S6_NS0_8equal_toIbEEEE10hipError_tPvRmT2_T3_mT4_T5_T6_T7_T8_P12ihipStream_tbENKUlT_T0_E_clISt17integral_constantIbLb0EES17_IbLb1EEEEDaS13_S14_EUlS13_E_NS1_11comp_targetILNS1_3genE10ELNS1_11target_archE1201ELNS1_3gpuE5ELNS1_3repE0EEENS1_30default_config_static_selectorELNS0_4arch9wavefront6targetE1EEEvT1_,"axG",@progbits,_ZN7rocprim17ROCPRIM_400000_NS6detail17trampoline_kernelINS0_14default_configENS1_33run_length_encode_config_selectorIbjNS0_4plusIjEEEEZZNS1_33reduce_by_key_impl_wrapped_configILNS1_25lookback_scan_determinismE0ES3_S7_N6hipcub16HIPCUB_304000_NS22TransformInputIteratorIbN2at6native8internal12_GLOBAL__N_110LoadBoolOpEPKhlEENS0_17constant_iteratorIjlEEPbPlSO_S6_NS0_8equal_toIbEEEE10hipError_tPvRmT2_T3_mT4_T5_T6_T7_T8_P12ihipStream_tbENKUlT_T0_E_clISt17integral_constantIbLb0EES17_IbLb1EEEEDaS13_S14_EUlS13_E_NS1_11comp_targetILNS1_3genE10ELNS1_11target_archE1201ELNS1_3gpuE5ELNS1_3repE0EEENS1_30default_config_static_selectorELNS0_4arch9wavefront6targetE1EEEvT1_,comdat
	.globl	_ZN7rocprim17ROCPRIM_400000_NS6detail17trampoline_kernelINS0_14default_configENS1_33run_length_encode_config_selectorIbjNS0_4plusIjEEEEZZNS1_33reduce_by_key_impl_wrapped_configILNS1_25lookback_scan_determinismE0ES3_S7_N6hipcub16HIPCUB_304000_NS22TransformInputIteratorIbN2at6native8internal12_GLOBAL__N_110LoadBoolOpEPKhlEENS0_17constant_iteratorIjlEEPbPlSO_S6_NS0_8equal_toIbEEEE10hipError_tPvRmT2_T3_mT4_T5_T6_T7_T8_P12ihipStream_tbENKUlT_T0_E_clISt17integral_constantIbLb0EES17_IbLb1EEEEDaS13_S14_EUlS13_E_NS1_11comp_targetILNS1_3genE10ELNS1_11target_archE1201ELNS1_3gpuE5ELNS1_3repE0EEENS1_30default_config_static_selectorELNS0_4arch9wavefront6targetE1EEEvT1_ ; -- Begin function _ZN7rocprim17ROCPRIM_400000_NS6detail17trampoline_kernelINS0_14default_configENS1_33run_length_encode_config_selectorIbjNS0_4plusIjEEEEZZNS1_33reduce_by_key_impl_wrapped_configILNS1_25lookback_scan_determinismE0ES3_S7_N6hipcub16HIPCUB_304000_NS22TransformInputIteratorIbN2at6native8internal12_GLOBAL__N_110LoadBoolOpEPKhlEENS0_17constant_iteratorIjlEEPbPlSO_S6_NS0_8equal_toIbEEEE10hipError_tPvRmT2_T3_mT4_T5_T6_T7_T8_P12ihipStream_tbENKUlT_T0_E_clISt17integral_constantIbLb0EES17_IbLb1EEEEDaS13_S14_EUlS13_E_NS1_11comp_targetILNS1_3genE10ELNS1_11target_archE1201ELNS1_3gpuE5ELNS1_3repE0EEENS1_30default_config_static_selectorELNS0_4arch9wavefront6targetE1EEEvT1_
	.p2align	8
	.type	_ZN7rocprim17ROCPRIM_400000_NS6detail17trampoline_kernelINS0_14default_configENS1_33run_length_encode_config_selectorIbjNS0_4plusIjEEEEZZNS1_33reduce_by_key_impl_wrapped_configILNS1_25lookback_scan_determinismE0ES3_S7_N6hipcub16HIPCUB_304000_NS22TransformInputIteratorIbN2at6native8internal12_GLOBAL__N_110LoadBoolOpEPKhlEENS0_17constant_iteratorIjlEEPbPlSO_S6_NS0_8equal_toIbEEEE10hipError_tPvRmT2_T3_mT4_T5_T6_T7_T8_P12ihipStream_tbENKUlT_T0_E_clISt17integral_constantIbLb0EES17_IbLb1EEEEDaS13_S14_EUlS13_E_NS1_11comp_targetILNS1_3genE10ELNS1_11target_archE1201ELNS1_3gpuE5ELNS1_3repE0EEENS1_30default_config_static_selectorELNS0_4arch9wavefront6targetE1EEEvT1_,@function
_ZN7rocprim17ROCPRIM_400000_NS6detail17trampoline_kernelINS0_14default_configENS1_33run_length_encode_config_selectorIbjNS0_4plusIjEEEEZZNS1_33reduce_by_key_impl_wrapped_configILNS1_25lookback_scan_determinismE0ES3_S7_N6hipcub16HIPCUB_304000_NS22TransformInputIteratorIbN2at6native8internal12_GLOBAL__N_110LoadBoolOpEPKhlEENS0_17constant_iteratorIjlEEPbPlSO_S6_NS0_8equal_toIbEEEE10hipError_tPvRmT2_T3_mT4_T5_T6_T7_T8_P12ihipStream_tbENKUlT_T0_E_clISt17integral_constantIbLb0EES17_IbLb1EEEEDaS13_S14_EUlS13_E_NS1_11comp_targetILNS1_3genE10ELNS1_11target_archE1201ELNS1_3gpuE5ELNS1_3repE0EEENS1_30default_config_static_selectorELNS0_4arch9wavefront6targetE1EEEvT1_: ; @_ZN7rocprim17ROCPRIM_400000_NS6detail17trampoline_kernelINS0_14default_configENS1_33run_length_encode_config_selectorIbjNS0_4plusIjEEEEZZNS1_33reduce_by_key_impl_wrapped_configILNS1_25lookback_scan_determinismE0ES3_S7_N6hipcub16HIPCUB_304000_NS22TransformInputIteratorIbN2at6native8internal12_GLOBAL__N_110LoadBoolOpEPKhlEENS0_17constant_iteratorIjlEEPbPlSO_S6_NS0_8equal_toIbEEEE10hipError_tPvRmT2_T3_mT4_T5_T6_T7_T8_P12ihipStream_tbENKUlT_T0_E_clISt17integral_constantIbLb0EES17_IbLb1EEEEDaS13_S14_EUlS13_E_NS1_11comp_targetILNS1_3genE10ELNS1_11target_archE1201ELNS1_3gpuE5ELNS1_3repE0EEENS1_30default_config_static_selectorELNS0_4arch9wavefront6targetE1EEEvT1_
; %bb.0:
	.section	.rodata,"a",@progbits
	.p2align	6, 0x0
	.amdhsa_kernel _ZN7rocprim17ROCPRIM_400000_NS6detail17trampoline_kernelINS0_14default_configENS1_33run_length_encode_config_selectorIbjNS0_4plusIjEEEEZZNS1_33reduce_by_key_impl_wrapped_configILNS1_25lookback_scan_determinismE0ES3_S7_N6hipcub16HIPCUB_304000_NS22TransformInputIteratorIbN2at6native8internal12_GLOBAL__N_110LoadBoolOpEPKhlEENS0_17constant_iteratorIjlEEPbPlSO_S6_NS0_8equal_toIbEEEE10hipError_tPvRmT2_T3_mT4_T5_T6_T7_T8_P12ihipStream_tbENKUlT_T0_E_clISt17integral_constantIbLb0EES17_IbLb1EEEEDaS13_S14_EUlS13_E_NS1_11comp_targetILNS1_3genE10ELNS1_11target_archE1201ELNS1_3gpuE5ELNS1_3repE0EEENS1_30default_config_static_selectorELNS0_4arch9wavefront6targetE1EEEvT1_
		.amdhsa_group_segment_fixed_size 0
		.amdhsa_private_segment_fixed_size 0
		.amdhsa_kernarg_size 136
		.amdhsa_user_sgpr_count 2
		.amdhsa_user_sgpr_dispatch_ptr 0
		.amdhsa_user_sgpr_queue_ptr 0
		.amdhsa_user_sgpr_kernarg_segment_ptr 1
		.amdhsa_user_sgpr_dispatch_id 0
		.amdhsa_user_sgpr_kernarg_preload_length 0
		.amdhsa_user_sgpr_kernarg_preload_offset 0
		.amdhsa_user_sgpr_private_segment_size 0
		.amdhsa_uses_dynamic_stack 0
		.amdhsa_enable_private_segment 0
		.amdhsa_system_sgpr_workgroup_id_x 1
		.amdhsa_system_sgpr_workgroup_id_y 0
		.amdhsa_system_sgpr_workgroup_id_z 0
		.amdhsa_system_sgpr_workgroup_info 0
		.amdhsa_system_vgpr_workitem_id 0
		.amdhsa_next_free_vgpr 1
		.amdhsa_next_free_sgpr 0
		.amdhsa_accum_offset 4
		.amdhsa_reserve_vcc 0
		.amdhsa_float_round_mode_32 0
		.amdhsa_float_round_mode_16_64 0
		.amdhsa_float_denorm_mode_32 3
		.amdhsa_float_denorm_mode_16_64 3
		.amdhsa_dx10_clamp 1
		.amdhsa_ieee_mode 1
		.amdhsa_fp16_overflow 0
		.amdhsa_tg_split 0
		.amdhsa_exception_fp_ieee_invalid_op 0
		.amdhsa_exception_fp_denorm_src 0
		.amdhsa_exception_fp_ieee_div_zero 0
		.amdhsa_exception_fp_ieee_overflow 0
		.amdhsa_exception_fp_ieee_underflow 0
		.amdhsa_exception_fp_ieee_inexact 0
		.amdhsa_exception_int_div_zero 0
	.end_amdhsa_kernel
	.section	.text._ZN7rocprim17ROCPRIM_400000_NS6detail17trampoline_kernelINS0_14default_configENS1_33run_length_encode_config_selectorIbjNS0_4plusIjEEEEZZNS1_33reduce_by_key_impl_wrapped_configILNS1_25lookback_scan_determinismE0ES3_S7_N6hipcub16HIPCUB_304000_NS22TransformInputIteratorIbN2at6native8internal12_GLOBAL__N_110LoadBoolOpEPKhlEENS0_17constant_iteratorIjlEEPbPlSO_S6_NS0_8equal_toIbEEEE10hipError_tPvRmT2_T3_mT4_T5_T6_T7_T8_P12ihipStream_tbENKUlT_T0_E_clISt17integral_constantIbLb0EES17_IbLb1EEEEDaS13_S14_EUlS13_E_NS1_11comp_targetILNS1_3genE10ELNS1_11target_archE1201ELNS1_3gpuE5ELNS1_3repE0EEENS1_30default_config_static_selectorELNS0_4arch9wavefront6targetE1EEEvT1_,"axG",@progbits,_ZN7rocprim17ROCPRIM_400000_NS6detail17trampoline_kernelINS0_14default_configENS1_33run_length_encode_config_selectorIbjNS0_4plusIjEEEEZZNS1_33reduce_by_key_impl_wrapped_configILNS1_25lookback_scan_determinismE0ES3_S7_N6hipcub16HIPCUB_304000_NS22TransformInputIteratorIbN2at6native8internal12_GLOBAL__N_110LoadBoolOpEPKhlEENS0_17constant_iteratorIjlEEPbPlSO_S6_NS0_8equal_toIbEEEE10hipError_tPvRmT2_T3_mT4_T5_T6_T7_T8_P12ihipStream_tbENKUlT_T0_E_clISt17integral_constantIbLb0EES17_IbLb1EEEEDaS13_S14_EUlS13_E_NS1_11comp_targetILNS1_3genE10ELNS1_11target_archE1201ELNS1_3gpuE5ELNS1_3repE0EEENS1_30default_config_static_selectorELNS0_4arch9wavefront6targetE1EEEvT1_,comdat
.Lfunc_end93:
	.size	_ZN7rocprim17ROCPRIM_400000_NS6detail17trampoline_kernelINS0_14default_configENS1_33run_length_encode_config_selectorIbjNS0_4plusIjEEEEZZNS1_33reduce_by_key_impl_wrapped_configILNS1_25lookback_scan_determinismE0ES3_S7_N6hipcub16HIPCUB_304000_NS22TransformInputIteratorIbN2at6native8internal12_GLOBAL__N_110LoadBoolOpEPKhlEENS0_17constant_iteratorIjlEEPbPlSO_S6_NS0_8equal_toIbEEEE10hipError_tPvRmT2_T3_mT4_T5_T6_T7_T8_P12ihipStream_tbENKUlT_T0_E_clISt17integral_constantIbLb0EES17_IbLb1EEEEDaS13_S14_EUlS13_E_NS1_11comp_targetILNS1_3genE10ELNS1_11target_archE1201ELNS1_3gpuE5ELNS1_3repE0EEENS1_30default_config_static_selectorELNS0_4arch9wavefront6targetE1EEEvT1_, .Lfunc_end93-_ZN7rocprim17ROCPRIM_400000_NS6detail17trampoline_kernelINS0_14default_configENS1_33run_length_encode_config_selectorIbjNS0_4plusIjEEEEZZNS1_33reduce_by_key_impl_wrapped_configILNS1_25lookback_scan_determinismE0ES3_S7_N6hipcub16HIPCUB_304000_NS22TransformInputIteratorIbN2at6native8internal12_GLOBAL__N_110LoadBoolOpEPKhlEENS0_17constant_iteratorIjlEEPbPlSO_S6_NS0_8equal_toIbEEEE10hipError_tPvRmT2_T3_mT4_T5_T6_T7_T8_P12ihipStream_tbENKUlT_T0_E_clISt17integral_constantIbLb0EES17_IbLb1EEEEDaS13_S14_EUlS13_E_NS1_11comp_targetILNS1_3genE10ELNS1_11target_archE1201ELNS1_3gpuE5ELNS1_3repE0EEENS1_30default_config_static_selectorELNS0_4arch9wavefront6targetE1EEEvT1_
                                        ; -- End function
	.section	.AMDGPU.csdata,"",@progbits
; Kernel info:
; codeLenInByte = 0
; NumSgprs: 6
; NumVgprs: 0
; NumAgprs: 0
; TotalNumVgprs: 0
; ScratchSize: 0
; MemoryBound: 0
; FloatMode: 240
; IeeeMode: 1
; LDSByteSize: 0 bytes/workgroup (compile time only)
; SGPRBlocks: 0
; VGPRBlocks: 0
; NumSGPRsForWavesPerEU: 6
; NumVGPRsForWavesPerEU: 1
; AccumOffset: 4
; Occupancy: 8
; WaveLimiterHint : 0
; COMPUTE_PGM_RSRC2:SCRATCH_EN: 0
; COMPUTE_PGM_RSRC2:USER_SGPR: 2
; COMPUTE_PGM_RSRC2:TRAP_HANDLER: 0
; COMPUTE_PGM_RSRC2:TGID_X_EN: 1
; COMPUTE_PGM_RSRC2:TGID_Y_EN: 0
; COMPUTE_PGM_RSRC2:TGID_Z_EN: 0
; COMPUTE_PGM_RSRC2:TIDIG_COMP_CNT: 0
; COMPUTE_PGM_RSRC3_GFX90A:ACCUM_OFFSET: 0
; COMPUTE_PGM_RSRC3_GFX90A:TG_SPLIT: 0
	.section	.text._ZN7rocprim17ROCPRIM_400000_NS6detail17trampoline_kernelINS0_14default_configENS1_33run_length_encode_config_selectorIbjNS0_4plusIjEEEEZZNS1_33reduce_by_key_impl_wrapped_configILNS1_25lookback_scan_determinismE0ES3_S7_N6hipcub16HIPCUB_304000_NS22TransformInputIteratorIbN2at6native8internal12_GLOBAL__N_110LoadBoolOpEPKhlEENS0_17constant_iteratorIjlEEPbPlSO_S6_NS0_8equal_toIbEEEE10hipError_tPvRmT2_T3_mT4_T5_T6_T7_T8_P12ihipStream_tbENKUlT_T0_E_clISt17integral_constantIbLb0EES17_IbLb1EEEEDaS13_S14_EUlS13_E_NS1_11comp_targetILNS1_3genE10ELNS1_11target_archE1200ELNS1_3gpuE4ELNS1_3repE0EEENS1_30default_config_static_selectorELNS0_4arch9wavefront6targetE1EEEvT1_,"axG",@progbits,_ZN7rocprim17ROCPRIM_400000_NS6detail17trampoline_kernelINS0_14default_configENS1_33run_length_encode_config_selectorIbjNS0_4plusIjEEEEZZNS1_33reduce_by_key_impl_wrapped_configILNS1_25lookback_scan_determinismE0ES3_S7_N6hipcub16HIPCUB_304000_NS22TransformInputIteratorIbN2at6native8internal12_GLOBAL__N_110LoadBoolOpEPKhlEENS0_17constant_iteratorIjlEEPbPlSO_S6_NS0_8equal_toIbEEEE10hipError_tPvRmT2_T3_mT4_T5_T6_T7_T8_P12ihipStream_tbENKUlT_T0_E_clISt17integral_constantIbLb0EES17_IbLb1EEEEDaS13_S14_EUlS13_E_NS1_11comp_targetILNS1_3genE10ELNS1_11target_archE1200ELNS1_3gpuE4ELNS1_3repE0EEENS1_30default_config_static_selectorELNS0_4arch9wavefront6targetE1EEEvT1_,comdat
	.globl	_ZN7rocprim17ROCPRIM_400000_NS6detail17trampoline_kernelINS0_14default_configENS1_33run_length_encode_config_selectorIbjNS0_4plusIjEEEEZZNS1_33reduce_by_key_impl_wrapped_configILNS1_25lookback_scan_determinismE0ES3_S7_N6hipcub16HIPCUB_304000_NS22TransformInputIteratorIbN2at6native8internal12_GLOBAL__N_110LoadBoolOpEPKhlEENS0_17constant_iteratorIjlEEPbPlSO_S6_NS0_8equal_toIbEEEE10hipError_tPvRmT2_T3_mT4_T5_T6_T7_T8_P12ihipStream_tbENKUlT_T0_E_clISt17integral_constantIbLb0EES17_IbLb1EEEEDaS13_S14_EUlS13_E_NS1_11comp_targetILNS1_3genE10ELNS1_11target_archE1200ELNS1_3gpuE4ELNS1_3repE0EEENS1_30default_config_static_selectorELNS0_4arch9wavefront6targetE1EEEvT1_ ; -- Begin function _ZN7rocprim17ROCPRIM_400000_NS6detail17trampoline_kernelINS0_14default_configENS1_33run_length_encode_config_selectorIbjNS0_4plusIjEEEEZZNS1_33reduce_by_key_impl_wrapped_configILNS1_25lookback_scan_determinismE0ES3_S7_N6hipcub16HIPCUB_304000_NS22TransformInputIteratorIbN2at6native8internal12_GLOBAL__N_110LoadBoolOpEPKhlEENS0_17constant_iteratorIjlEEPbPlSO_S6_NS0_8equal_toIbEEEE10hipError_tPvRmT2_T3_mT4_T5_T6_T7_T8_P12ihipStream_tbENKUlT_T0_E_clISt17integral_constantIbLb0EES17_IbLb1EEEEDaS13_S14_EUlS13_E_NS1_11comp_targetILNS1_3genE10ELNS1_11target_archE1200ELNS1_3gpuE4ELNS1_3repE0EEENS1_30default_config_static_selectorELNS0_4arch9wavefront6targetE1EEEvT1_
	.p2align	8
	.type	_ZN7rocprim17ROCPRIM_400000_NS6detail17trampoline_kernelINS0_14default_configENS1_33run_length_encode_config_selectorIbjNS0_4plusIjEEEEZZNS1_33reduce_by_key_impl_wrapped_configILNS1_25lookback_scan_determinismE0ES3_S7_N6hipcub16HIPCUB_304000_NS22TransformInputIteratorIbN2at6native8internal12_GLOBAL__N_110LoadBoolOpEPKhlEENS0_17constant_iteratorIjlEEPbPlSO_S6_NS0_8equal_toIbEEEE10hipError_tPvRmT2_T3_mT4_T5_T6_T7_T8_P12ihipStream_tbENKUlT_T0_E_clISt17integral_constantIbLb0EES17_IbLb1EEEEDaS13_S14_EUlS13_E_NS1_11comp_targetILNS1_3genE10ELNS1_11target_archE1200ELNS1_3gpuE4ELNS1_3repE0EEENS1_30default_config_static_selectorELNS0_4arch9wavefront6targetE1EEEvT1_,@function
_ZN7rocprim17ROCPRIM_400000_NS6detail17trampoline_kernelINS0_14default_configENS1_33run_length_encode_config_selectorIbjNS0_4plusIjEEEEZZNS1_33reduce_by_key_impl_wrapped_configILNS1_25lookback_scan_determinismE0ES3_S7_N6hipcub16HIPCUB_304000_NS22TransformInputIteratorIbN2at6native8internal12_GLOBAL__N_110LoadBoolOpEPKhlEENS0_17constant_iteratorIjlEEPbPlSO_S6_NS0_8equal_toIbEEEE10hipError_tPvRmT2_T3_mT4_T5_T6_T7_T8_P12ihipStream_tbENKUlT_T0_E_clISt17integral_constantIbLb0EES17_IbLb1EEEEDaS13_S14_EUlS13_E_NS1_11comp_targetILNS1_3genE10ELNS1_11target_archE1200ELNS1_3gpuE4ELNS1_3repE0EEENS1_30default_config_static_selectorELNS0_4arch9wavefront6targetE1EEEvT1_: ; @_ZN7rocprim17ROCPRIM_400000_NS6detail17trampoline_kernelINS0_14default_configENS1_33run_length_encode_config_selectorIbjNS0_4plusIjEEEEZZNS1_33reduce_by_key_impl_wrapped_configILNS1_25lookback_scan_determinismE0ES3_S7_N6hipcub16HIPCUB_304000_NS22TransformInputIteratorIbN2at6native8internal12_GLOBAL__N_110LoadBoolOpEPKhlEENS0_17constant_iteratorIjlEEPbPlSO_S6_NS0_8equal_toIbEEEE10hipError_tPvRmT2_T3_mT4_T5_T6_T7_T8_P12ihipStream_tbENKUlT_T0_E_clISt17integral_constantIbLb0EES17_IbLb1EEEEDaS13_S14_EUlS13_E_NS1_11comp_targetILNS1_3genE10ELNS1_11target_archE1200ELNS1_3gpuE4ELNS1_3repE0EEENS1_30default_config_static_selectorELNS0_4arch9wavefront6targetE1EEEvT1_
; %bb.0:
	.section	.rodata,"a",@progbits
	.p2align	6, 0x0
	.amdhsa_kernel _ZN7rocprim17ROCPRIM_400000_NS6detail17trampoline_kernelINS0_14default_configENS1_33run_length_encode_config_selectorIbjNS0_4plusIjEEEEZZNS1_33reduce_by_key_impl_wrapped_configILNS1_25lookback_scan_determinismE0ES3_S7_N6hipcub16HIPCUB_304000_NS22TransformInputIteratorIbN2at6native8internal12_GLOBAL__N_110LoadBoolOpEPKhlEENS0_17constant_iteratorIjlEEPbPlSO_S6_NS0_8equal_toIbEEEE10hipError_tPvRmT2_T3_mT4_T5_T6_T7_T8_P12ihipStream_tbENKUlT_T0_E_clISt17integral_constantIbLb0EES17_IbLb1EEEEDaS13_S14_EUlS13_E_NS1_11comp_targetILNS1_3genE10ELNS1_11target_archE1200ELNS1_3gpuE4ELNS1_3repE0EEENS1_30default_config_static_selectorELNS0_4arch9wavefront6targetE1EEEvT1_
		.amdhsa_group_segment_fixed_size 0
		.amdhsa_private_segment_fixed_size 0
		.amdhsa_kernarg_size 136
		.amdhsa_user_sgpr_count 2
		.amdhsa_user_sgpr_dispatch_ptr 0
		.amdhsa_user_sgpr_queue_ptr 0
		.amdhsa_user_sgpr_kernarg_segment_ptr 1
		.amdhsa_user_sgpr_dispatch_id 0
		.amdhsa_user_sgpr_kernarg_preload_length 0
		.amdhsa_user_sgpr_kernarg_preload_offset 0
		.amdhsa_user_sgpr_private_segment_size 0
		.amdhsa_uses_dynamic_stack 0
		.amdhsa_enable_private_segment 0
		.amdhsa_system_sgpr_workgroup_id_x 1
		.amdhsa_system_sgpr_workgroup_id_y 0
		.amdhsa_system_sgpr_workgroup_id_z 0
		.amdhsa_system_sgpr_workgroup_info 0
		.amdhsa_system_vgpr_workitem_id 0
		.amdhsa_next_free_vgpr 1
		.amdhsa_next_free_sgpr 0
		.amdhsa_accum_offset 4
		.amdhsa_reserve_vcc 0
		.amdhsa_float_round_mode_32 0
		.amdhsa_float_round_mode_16_64 0
		.amdhsa_float_denorm_mode_32 3
		.amdhsa_float_denorm_mode_16_64 3
		.amdhsa_dx10_clamp 1
		.amdhsa_ieee_mode 1
		.amdhsa_fp16_overflow 0
		.amdhsa_tg_split 0
		.amdhsa_exception_fp_ieee_invalid_op 0
		.amdhsa_exception_fp_denorm_src 0
		.amdhsa_exception_fp_ieee_div_zero 0
		.amdhsa_exception_fp_ieee_overflow 0
		.amdhsa_exception_fp_ieee_underflow 0
		.amdhsa_exception_fp_ieee_inexact 0
		.amdhsa_exception_int_div_zero 0
	.end_amdhsa_kernel
	.section	.text._ZN7rocprim17ROCPRIM_400000_NS6detail17trampoline_kernelINS0_14default_configENS1_33run_length_encode_config_selectorIbjNS0_4plusIjEEEEZZNS1_33reduce_by_key_impl_wrapped_configILNS1_25lookback_scan_determinismE0ES3_S7_N6hipcub16HIPCUB_304000_NS22TransformInputIteratorIbN2at6native8internal12_GLOBAL__N_110LoadBoolOpEPKhlEENS0_17constant_iteratorIjlEEPbPlSO_S6_NS0_8equal_toIbEEEE10hipError_tPvRmT2_T3_mT4_T5_T6_T7_T8_P12ihipStream_tbENKUlT_T0_E_clISt17integral_constantIbLb0EES17_IbLb1EEEEDaS13_S14_EUlS13_E_NS1_11comp_targetILNS1_3genE10ELNS1_11target_archE1200ELNS1_3gpuE4ELNS1_3repE0EEENS1_30default_config_static_selectorELNS0_4arch9wavefront6targetE1EEEvT1_,"axG",@progbits,_ZN7rocprim17ROCPRIM_400000_NS6detail17trampoline_kernelINS0_14default_configENS1_33run_length_encode_config_selectorIbjNS0_4plusIjEEEEZZNS1_33reduce_by_key_impl_wrapped_configILNS1_25lookback_scan_determinismE0ES3_S7_N6hipcub16HIPCUB_304000_NS22TransformInputIteratorIbN2at6native8internal12_GLOBAL__N_110LoadBoolOpEPKhlEENS0_17constant_iteratorIjlEEPbPlSO_S6_NS0_8equal_toIbEEEE10hipError_tPvRmT2_T3_mT4_T5_T6_T7_T8_P12ihipStream_tbENKUlT_T0_E_clISt17integral_constantIbLb0EES17_IbLb1EEEEDaS13_S14_EUlS13_E_NS1_11comp_targetILNS1_3genE10ELNS1_11target_archE1200ELNS1_3gpuE4ELNS1_3repE0EEENS1_30default_config_static_selectorELNS0_4arch9wavefront6targetE1EEEvT1_,comdat
.Lfunc_end94:
	.size	_ZN7rocprim17ROCPRIM_400000_NS6detail17trampoline_kernelINS0_14default_configENS1_33run_length_encode_config_selectorIbjNS0_4plusIjEEEEZZNS1_33reduce_by_key_impl_wrapped_configILNS1_25lookback_scan_determinismE0ES3_S7_N6hipcub16HIPCUB_304000_NS22TransformInputIteratorIbN2at6native8internal12_GLOBAL__N_110LoadBoolOpEPKhlEENS0_17constant_iteratorIjlEEPbPlSO_S6_NS0_8equal_toIbEEEE10hipError_tPvRmT2_T3_mT4_T5_T6_T7_T8_P12ihipStream_tbENKUlT_T0_E_clISt17integral_constantIbLb0EES17_IbLb1EEEEDaS13_S14_EUlS13_E_NS1_11comp_targetILNS1_3genE10ELNS1_11target_archE1200ELNS1_3gpuE4ELNS1_3repE0EEENS1_30default_config_static_selectorELNS0_4arch9wavefront6targetE1EEEvT1_, .Lfunc_end94-_ZN7rocprim17ROCPRIM_400000_NS6detail17trampoline_kernelINS0_14default_configENS1_33run_length_encode_config_selectorIbjNS0_4plusIjEEEEZZNS1_33reduce_by_key_impl_wrapped_configILNS1_25lookback_scan_determinismE0ES3_S7_N6hipcub16HIPCUB_304000_NS22TransformInputIteratorIbN2at6native8internal12_GLOBAL__N_110LoadBoolOpEPKhlEENS0_17constant_iteratorIjlEEPbPlSO_S6_NS0_8equal_toIbEEEE10hipError_tPvRmT2_T3_mT4_T5_T6_T7_T8_P12ihipStream_tbENKUlT_T0_E_clISt17integral_constantIbLb0EES17_IbLb1EEEEDaS13_S14_EUlS13_E_NS1_11comp_targetILNS1_3genE10ELNS1_11target_archE1200ELNS1_3gpuE4ELNS1_3repE0EEENS1_30default_config_static_selectorELNS0_4arch9wavefront6targetE1EEEvT1_
                                        ; -- End function
	.section	.AMDGPU.csdata,"",@progbits
; Kernel info:
; codeLenInByte = 0
; NumSgprs: 6
; NumVgprs: 0
; NumAgprs: 0
; TotalNumVgprs: 0
; ScratchSize: 0
; MemoryBound: 0
; FloatMode: 240
; IeeeMode: 1
; LDSByteSize: 0 bytes/workgroup (compile time only)
; SGPRBlocks: 0
; VGPRBlocks: 0
; NumSGPRsForWavesPerEU: 6
; NumVGPRsForWavesPerEU: 1
; AccumOffset: 4
; Occupancy: 8
; WaveLimiterHint : 0
; COMPUTE_PGM_RSRC2:SCRATCH_EN: 0
; COMPUTE_PGM_RSRC2:USER_SGPR: 2
; COMPUTE_PGM_RSRC2:TRAP_HANDLER: 0
; COMPUTE_PGM_RSRC2:TGID_X_EN: 1
; COMPUTE_PGM_RSRC2:TGID_Y_EN: 0
; COMPUTE_PGM_RSRC2:TGID_Z_EN: 0
; COMPUTE_PGM_RSRC2:TIDIG_COMP_CNT: 0
; COMPUTE_PGM_RSRC3_GFX90A:ACCUM_OFFSET: 0
; COMPUTE_PGM_RSRC3_GFX90A:TG_SPLIT: 0
	.section	.text._ZN7rocprim17ROCPRIM_400000_NS6detail17trampoline_kernelINS0_14default_configENS1_33run_length_encode_config_selectorIbjNS0_4plusIjEEEEZZNS1_33reduce_by_key_impl_wrapped_configILNS1_25lookback_scan_determinismE0ES3_S7_N6hipcub16HIPCUB_304000_NS22TransformInputIteratorIbN2at6native8internal12_GLOBAL__N_110LoadBoolOpEPKhlEENS0_17constant_iteratorIjlEEPbPlSO_S6_NS0_8equal_toIbEEEE10hipError_tPvRmT2_T3_mT4_T5_T6_T7_T8_P12ihipStream_tbENKUlT_T0_E_clISt17integral_constantIbLb0EES17_IbLb1EEEEDaS13_S14_EUlS13_E_NS1_11comp_targetILNS1_3genE9ELNS1_11target_archE1100ELNS1_3gpuE3ELNS1_3repE0EEENS1_30default_config_static_selectorELNS0_4arch9wavefront6targetE1EEEvT1_,"axG",@progbits,_ZN7rocprim17ROCPRIM_400000_NS6detail17trampoline_kernelINS0_14default_configENS1_33run_length_encode_config_selectorIbjNS0_4plusIjEEEEZZNS1_33reduce_by_key_impl_wrapped_configILNS1_25lookback_scan_determinismE0ES3_S7_N6hipcub16HIPCUB_304000_NS22TransformInputIteratorIbN2at6native8internal12_GLOBAL__N_110LoadBoolOpEPKhlEENS0_17constant_iteratorIjlEEPbPlSO_S6_NS0_8equal_toIbEEEE10hipError_tPvRmT2_T3_mT4_T5_T6_T7_T8_P12ihipStream_tbENKUlT_T0_E_clISt17integral_constantIbLb0EES17_IbLb1EEEEDaS13_S14_EUlS13_E_NS1_11comp_targetILNS1_3genE9ELNS1_11target_archE1100ELNS1_3gpuE3ELNS1_3repE0EEENS1_30default_config_static_selectorELNS0_4arch9wavefront6targetE1EEEvT1_,comdat
	.globl	_ZN7rocprim17ROCPRIM_400000_NS6detail17trampoline_kernelINS0_14default_configENS1_33run_length_encode_config_selectorIbjNS0_4plusIjEEEEZZNS1_33reduce_by_key_impl_wrapped_configILNS1_25lookback_scan_determinismE0ES3_S7_N6hipcub16HIPCUB_304000_NS22TransformInputIteratorIbN2at6native8internal12_GLOBAL__N_110LoadBoolOpEPKhlEENS0_17constant_iteratorIjlEEPbPlSO_S6_NS0_8equal_toIbEEEE10hipError_tPvRmT2_T3_mT4_T5_T6_T7_T8_P12ihipStream_tbENKUlT_T0_E_clISt17integral_constantIbLb0EES17_IbLb1EEEEDaS13_S14_EUlS13_E_NS1_11comp_targetILNS1_3genE9ELNS1_11target_archE1100ELNS1_3gpuE3ELNS1_3repE0EEENS1_30default_config_static_selectorELNS0_4arch9wavefront6targetE1EEEvT1_ ; -- Begin function _ZN7rocprim17ROCPRIM_400000_NS6detail17trampoline_kernelINS0_14default_configENS1_33run_length_encode_config_selectorIbjNS0_4plusIjEEEEZZNS1_33reduce_by_key_impl_wrapped_configILNS1_25lookback_scan_determinismE0ES3_S7_N6hipcub16HIPCUB_304000_NS22TransformInputIteratorIbN2at6native8internal12_GLOBAL__N_110LoadBoolOpEPKhlEENS0_17constant_iteratorIjlEEPbPlSO_S6_NS0_8equal_toIbEEEE10hipError_tPvRmT2_T3_mT4_T5_T6_T7_T8_P12ihipStream_tbENKUlT_T0_E_clISt17integral_constantIbLb0EES17_IbLb1EEEEDaS13_S14_EUlS13_E_NS1_11comp_targetILNS1_3genE9ELNS1_11target_archE1100ELNS1_3gpuE3ELNS1_3repE0EEENS1_30default_config_static_selectorELNS0_4arch9wavefront6targetE1EEEvT1_
	.p2align	8
	.type	_ZN7rocprim17ROCPRIM_400000_NS6detail17trampoline_kernelINS0_14default_configENS1_33run_length_encode_config_selectorIbjNS0_4plusIjEEEEZZNS1_33reduce_by_key_impl_wrapped_configILNS1_25lookback_scan_determinismE0ES3_S7_N6hipcub16HIPCUB_304000_NS22TransformInputIteratorIbN2at6native8internal12_GLOBAL__N_110LoadBoolOpEPKhlEENS0_17constant_iteratorIjlEEPbPlSO_S6_NS0_8equal_toIbEEEE10hipError_tPvRmT2_T3_mT4_T5_T6_T7_T8_P12ihipStream_tbENKUlT_T0_E_clISt17integral_constantIbLb0EES17_IbLb1EEEEDaS13_S14_EUlS13_E_NS1_11comp_targetILNS1_3genE9ELNS1_11target_archE1100ELNS1_3gpuE3ELNS1_3repE0EEENS1_30default_config_static_selectorELNS0_4arch9wavefront6targetE1EEEvT1_,@function
_ZN7rocprim17ROCPRIM_400000_NS6detail17trampoline_kernelINS0_14default_configENS1_33run_length_encode_config_selectorIbjNS0_4plusIjEEEEZZNS1_33reduce_by_key_impl_wrapped_configILNS1_25lookback_scan_determinismE0ES3_S7_N6hipcub16HIPCUB_304000_NS22TransformInputIteratorIbN2at6native8internal12_GLOBAL__N_110LoadBoolOpEPKhlEENS0_17constant_iteratorIjlEEPbPlSO_S6_NS0_8equal_toIbEEEE10hipError_tPvRmT2_T3_mT4_T5_T6_T7_T8_P12ihipStream_tbENKUlT_T0_E_clISt17integral_constantIbLb0EES17_IbLb1EEEEDaS13_S14_EUlS13_E_NS1_11comp_targetILNS1_3genE9ELNS1_11target_archE1100ELNS1_3gpuE3ELNS1_3repE0EEENS1_30default_config_static_selectorELNS0_4arch9wavefront6targetE1EEEvT1_: ; @_ZN7rocprim17ROCPRIM_400000_NS6detail17trampoline_kernelINS0_14default_configENS1_33run_length_encode_config_selectorIbjNS0_4plusIjEEEEZZNS1_33reduce_by_key_impl_wrapped_configILNS1_25lookback_scan_determinismE0ES3_S7_N6hipcub16HIPCUB_304000_NS22TransformInputIteratorIbN2at6native8internal12_GLOBAL__N_110LoadBoolOpEPKhlEENS0_17constant_iteratorIjlEEPbPlSO_S6_NS0_8equal_toIbEEEE10hipError_tPvRmT2_T3_mT4_T5_T6_T7_T8_P12ihipStream_tbENKUlT_T0_E_clISt17integral_constantIbLb0EES17_IbLb1EEEEDaS13_S14_EUlS13_E_NS1_11comp_targetILNS1_3genE9ELNS1_11target_archE1100ELNS1_3gpuE3ELNS1_3repE0EEENS1_30default_config_static_selectorELNS0_4arch9wavefront6targetE1EEEvT1_
; %bb.0:
	.section	.rodata,"a",@progbits
	.p2align	6, 0x0
	.amdhsa_kernel _ZN7rocprim17ROCPRIM_400000_NS6detail17trampoline_kernelINS0_14default_configENS1_33run_length_encode_config_selectorIbjNS0_4plusIjEEEEZZNS1_33reduce_by_key_impl_wrapped_configILNS1_25lookback_scan_determinismE0ES3_S7_N6hipcub16HIPCUB_304000_NS22TransformInputIteratorIbN2at6native8internal12_GLOBAL__N_110LoadBoolOpEPKhlEENS0_17constant_iteratorIjlEEPbPlSO_S6_NS0_8equal_toIbEEEE10hipError_tPvRmT2_T3_mT4_T5_T6_T7_T8_P12ihipStream_tbENKUlT_T0_E_clISt17integral_constantIbLb0EES17_IbLb1EEEEDaS13_S14_EUlS13_E_NS1_11comp_targetILNS1_3genE9ELNS1_11target_archE1100ELNS1_3gpuE3ELNS1_3repE0EEENS1_30default_config_static_selectorELNS0_4arch9wavefront6targetE1EEEvT1_
		.amdhsa_group_segment_fixed_size 0
		.amdhsa_private_segment_fixed_size 0
		.amdhsa_kernarg_size 136
		.amdhsa_user_sgpr_count 2
		.amdhsa_user_sgpr_dispatch_ptr 0
		.amdhsa_user_sgpr_queue_ptr 0
		.amdhsa_user_sgpr_kernarg_segment_ptr 1
		.amdhsa_user_sgpr_dispatch_id 0
		.amdhsa_user_sgpr_kernarg_preload_length 0
		.amdhsa_user_sgpr_kernarg_preload_offset 0
		.amdhsa_user_sgpr_private_segment_size 0
		.amdhsa_uses_dynamic_stack 0
		.amdhsa_enable_private_segment 0
		.amdhsa_system_sgpr_workgroup_id_x 1
		.amdhsa_system_sgpr_workgroup_id_y 0
		.amdhsa_system_sgpr_workgroup_id_z 0
		.amdhsa_system_sgpr_workgroup_info 0
		.amdhsa_system_vgpr_workitem_id 0
		.amdhsa_next_free_vgpr 1
		.amdhsa_next_free_sgpr 0
		.amdhsa_accum_offset 4
		.amdhsa_reserve_vcc 0
		.amdhsa_float_round_mode_32 0
		.amdhsa_float_round_mode_16_64 0
		.amdhsa_float_denorm_mode_32 3
		.amdhsa_float_denorm_mode_16_64 3
		.amdhsa_dx10_clamp 1
		.amdhsa_ieee_mode 1
		.amdhsa_fp16_overflow 0
		.amdhsa_tg_split 0
		.amdhsa_exception_fp_ieee_invalid_op 0
		.amdhsa_exception_fp_denorm_src 0
		.amdhsa_exception_fp_ieee_div_zero 0
		.amdhsa_exception_fp_ieee_overflow 0
		.amdhsa_exception_fp_ieee_underflow 0
		.amdhsa_exception_fp_ieee_inexact 0
		.amdhsa_exception_int_div_zero 0
	.end_amdhsa_kernel
	.section	.text._ZN7rocprim17ROCPRIM_400000_NS6detail17trampoline_kernelINS0_14default_configENS1_33run_length_encode_config_selectorIbjNS0_4plusIjEEEEZZNS1_33reduce_by_key_impl_wrapped_configILNS1_25lookback_scan_determinismE0ES3_S7_N6hipcub16HIPCUB_304000_NS22TransformInputIteratorIbN2at6native8internal12_GLOBAL__N_110LoadBoolOpEPKhlEENS0_17constant_iteratorIjlEEPbPlSO_S6_NS0_8equal_toIbEEEE10hipError_tPvRmT2_T3_mT4_T5_T6_T7_T8_P12ihipStream_tbENKUlT_T0_E_clISt17integral_constantIbLb0EES17_IbLb1EEEEDaS13_S14_EUlS13_E_NS1_11comp_targetILNS1_3genE9ELNS1_11target_archE1100ELNS1_3gpuE3ELNS1_3repE0EEENS1_30default_config_static_selectorELNS0_4arch9wavefront6targetE1EEEvT1_,"axG",@progbits,_ZN7rocprim17ROCPRIM_400000_NS6detail17trampoline_kernelINS0_14default_configENS1_33run_length_encode_config_selectorIbjNS0_4plusIjEEEEZZNS1_33reduce_by_key_impl_wrapped_configILNS1_25lookback_scan_determinismE0ES3_S7_N6hipcub16HIPCUB_304000_NS22TransformInputIteratorIbN2at6native8internal12_GLOBAL__N_110LoadBoolOpEPKhlEENS0_17constant_iteratorIjlEEPbPlSO_S6_NS0_8equal_toIbEEEE10hipError_tPvRmT2_T3_mT4_T5_T6_T7_T8_P12ihipStream_tbENKUlT_T0_E_clISt17integral_constantIbLb0EES17_IbLb1EEEEDaS13_S14_EUlS13_E_NS1_11comp_targetILNS1_3genE9ELNS1_11target_archE1100ELNS1_3gpuE3ELNS1_3repE0EEENS1_30default_config_static_selectorELNS0_4arch9wavefront6targetE1EEEvT1_,comdat
.Lfunc_end95:
	.size	_ZN7rocprim17ROCPRIM_400000_NS6detail17trampoline_kernelINS0_14default_configENS1_33run_length_encode_config_selectorIbjNS0_4plusIjEEEEZZNS1_33reduce_by_key_impl_wrapped_configILNS1_25lookback_scan_determinismE0ES3_S7_N6hipcub16HIPCUB_304000_NS22TransformInputIteratorIbN2at6native8internal12_GLOBAL__N_110LoadBoolOpEPKhlEENS0_17constant_iteratorIjlEEPbPlSO_S6_NS0_8equal_toIbEEEE10hipError_tPvRmT2_T3_mT4_T5_T6_T7_T8_P12ihipStream_tbENKUlT_T0_E_clISt17integral_constantIbLb0EES17_IbLb1EEEEDaS13_S14_EUlS13_E_NS1_11comp_targetILNS1_3genE9ELNS1_11target_archE1100ELNS1_3gpuE3ELNS1_3repE0EEENS1_30default_config_static_selectorELNS0_4arch9wavefront6targetE1EEEvT1_, .Lfunc_end95-_ZN7rocprim17ROCPRIM_400000_NS6detail17trampoline_kernelINS0_14default_configENS1_33run_length_encode_config_selectorIbjNS0_4plusIjEEEEZZNS1_33reduce_by_key_impl_wrapped_configILNS1_25lookback_scan_determinismE0ES3_S7_N6hipcub16HIPCUB_304000_NS22TransformInputIteratorIbN2at6native8internal12_GLOBAL__N_110LoadBoolOpEPKhlEENS0_17constant_iteratorIjlEEPbPlSO_S6_NS0_8equal_toIbEEEE10hipError_tPvRmT2_T3_mT4_T5_T6_T7_T8_P12ihipStream_tbENKUlT_T0_E_clISt17integral_constantIbLb0EES17_IbLb1EEEEDaS13_S14_EUlS13_E_NS1_11comp_targetILNS1_3genE9ELNS1_11target_archE1100ELNS1_3gpuE3ELNS1_3repE0EEENS1_30default_config_static_selectorELNS0_4arch9wavefront6targetE1EEEvT1_
                                        ; -- End function
	.section	.AMDGPU.csdata,"",@progbits
; Kernel info:
; codeLenInByte = 0
; NumSgprs: 6
; NumVgprs: 0
; NumAgprs: 0
; TotalNumVgprs: 0
; ScratchSize: 0
; MemoryBound: 0
; FloatMode: 240
; IeeeMode: 1
; LDSByteSize: 0 bytes/workgroup (compile time only)
; SGPRBlocks: 0
; VGPRBlocks: 0
; NumSGPRsForWavesPerEU: 6
; NumVGPRsForWavesPerEU: 1
; AccumOffset: 4
; Occupancy: 8
; WaveLimiterHint : 0
; COMPUTE_PGM_RSRC2:SCRATCH_EN: 0
; COMPUTE_PGM_RSRC2:USER_SGPR: 2
; COMPUTE_PGM_RSRC2:TRAP_HANDLER: 0
; COMPUTE_PGM_RSRC2:TGID_X_EN: 1
; COMPUTE_PGM_RSRC2:TGID_Y_EN: 0
; COMPUTE_PGM_RSRC2:TGID_Z_EN: 0
; COMPUTE_PGM_RSRC2:TIDIG_COMP_CNT: 0
; COMPUTE_PGM_RSRC3_GFX90A:ACCUM_OFFSET: 0
; COMPUTE_PGM_RSRC3_GFX90A:TG_SPLIT: 0
	.section	.text._ZN7rocprim17ROCPRIM_400000_NS6detail17trampoline_kernelINS0_14default_configENS1_33run_length_encode_config_selectorIbjNS0_4plusIjEEEEZZNS1_33reduce_by_key_impl_wrapped_configILNS1_25lookback_scan_determinismE0ES3_S7_N6hipcub16HIPCUB_304000_NS22TransformInputIteratorIbN2at6native8internal12_GLOBAL__N_110LoadBoolOpEPKhlEENS0_17constant_iteratorIjlEEPbPlSO_S6_NS0_8equal_toIbEEEE10hipError_tPvRmT2_T3_mT4_T5_T6_T7_T8_P12ihipStream_tbENKUlT_T0_E_clISt17integral_constantIbLb0EES17_IbLb1EEEEDaS13_S14_EUlS13_E_NS1_11comp_targetILNS1_3genE8ELNS1_11target_archE1030ELNS1_3gpuE2ELNS1_3repE0EEENS1_30default_config_static_selectorELNS0_4arch9wavefront6targetE1EEEvT1_,"axG",@progbits,_ZN7rocprim17ROCPRIM_400000_NS6detail17trampoline_kernelINS0_14default_configENS1_33run_length_encode_config_selectorIbjNS0_4plusIjEEEEZZNS1_33reduce_by_key_impl_wrapped_configILNS1_25lookback_scan_determinismE0ES3_S7_N6hipcub16HIPCUB_304000_NS22TransformInputIteratorIbN2at6native8internal12_GLOBAL__N_110LoadBoolOpEPKhlEENS0_17constant_iteratorIjlEEPbPlSO_S6_NS0_8equal_toIbEEEE10hipError_tPvRmT2_T3_mT4_T5_T6_T7_T8_P12ihipStream_tbENKUlT_T0_E_clISt17integral_constantIbLb0EES17_IbLb1EEEEDaS13_S14_EUlS13_E_NS1_11comp_targetILNS1_3genE8ELNS1_11target_archE1030ELNS1_3gpuE2ELNS1_3repE0EEENS1_30default_config_static_selectorELNS0_4arch9wavefront6targetE1EEEvT1_,comdat
	.globl	_ZN7rocprim17ROCPRIM_400000_NS6detail17trampoline_kernelINS0_14default_configENS1_33run_length_encode_config_selectorIbjNS0_4plusIjEEEEZZNS1_33reduce_by_key_impl_wrapped_configILNS1_25lookback_scan_determinismE0ES3_S7_N6hipcub16HIPCUB_304000_NS22TransformInputIteratorIbN2at6native8internal12_GLOBAL__N_110LoadBoolOpEPKhlEENS0_17constant_iteratorIjlEEPbPlSO_S6_NS0_8equal_toIbEEEE10hipError_tPvRmT2_T3_mT4_T5_T6_T7_T8_P12ihipStream_tbENKUlT_T0_E_clISt17integral_constantIbLb0EES17_IbLb1EEEEDaS13_S14_EUlS13_E_NS1_11comp_targetILNS1_3genE8ELNS1_11target_archE1030ELNS1_3gpuE2ELNS1_3repE0EEENS1_30default_config_static_selectorELNS0_4arch9wavefront6targetE1EEEvT1_ ; -- Begin function _ZN7rocprim17ROCPRIM_400000_NS6detail17trampoline_kernelINS0_14default_configENS1_33run_length_encode_config_selectorIbjNS0_4plusIjEEEEZZNS1_33reduce_by_key_impl_wrapped_configILNS1_25lookback_scan_determinismE0ES3_S7_N6hipcub16HIPCUB_304000_NS22TransformInputIteratorIbN2at6native8internal12_GLOBAL__N_110LoadBoolOpEPKhlEENS0_17constant_iteratorIjlEEPbPlSO_S6_NS0_8equal_toIbEEEE10hipError_tPvRmT2_T3_mT4_T5_T6_T7_T8_P12ihipStream_tbENKUlT_T0_E_clISt17integral_constantIbLb0EES17_IbLb1EEEEDaS13_S14_EUlS13_E_NS1_11comp_targetILNS1_3genE8ELNS1_11target_archE1030ELNS1_3gpuE2ELNS1_3repE0EEENS1_30default_config_static_selectorELNS0_4arch9wavefront6targetE1EEEvT1_
	.p2align	8
	.type	_ZN7rocprim17ROCPRIM_400000_NS6detail17trampoline_kernelINS0_14default_configENS1_33run_length_encode_config_selectorIbjNS0_4plusIjEEEEZZNS1_33reduce_by_key_impl_wrapped_configILNS1_25lookback_scan_determinismE0ES3_S7_N6hipcub16HIPCUB_304000_NS22TransformInputIteratorIbN2at6native8internal12_GLOBAL__N_110LoadBoolOpEPKhlEENS0_17constant_iteratorIjlEEPbPlSO_S6_NS0_8equal_toIbEEEE10hipError_tPvRmT2_T3_mT4_T5_T6_T7_T8_P12ihipStream_tbENKUlT_T0_E_clISt17integral_constantIbLb0EES17_IbLb1EEEEDaS13_S14_EUlS13_E_NS1_11comp_targetILNS1_3genE8ELNS1_11target_archE1030ELNS1_3gpuE2ELNS1_3repE0EEENS1_30default_config_static_selectorELNS0_4arch9wavefront6targetE1EEEvT1_,@function
_ZN7rocprim17ROCPRIM_400000_NS6detail17trampoline_kernelINS0_14default_configENS1_33run_length_encode_config_selectorIbjNS0_4plusIjEEEEZZNS1_33reduce_by_key_impl_wrapped_configILNS1_25lookback_scan_determinismE0ES3_S7_N6hipcub16HIPCUB_304000_NS22TransformInputIteratorIbN2at6native8internal12_GLOBAL__N_110LoadBoolOpEPKhlEENS0_17constant_iteratorIjlEEPbPlSO_S6_NS0_8equal_toIbEEEE10hipError_tPvRmT2_T3_mT4_T5_T6_T7_T8_P12ihipStream_tbENKUlT_T0_E_clISt17integral_constantIbLb0EES17_IbLb1EEEEDaS13_S14_EUlS13_E_NS1_11comp_targetILNS1_3genE8ELNS1_11target_archE1030ELNS1_3gpuE2ELNS1_3repE0EEENS1_30default_config_static_selectorELNS0_4arch9wavefront6targetE1EEEvT1_: ; @_ZN7rocprim17ROCPRIM_400000_NS6detail17trampoline_kernelINS0_14default_configENS1_33run_length_encode_config_selectorIbjNS0_4plusIjEEEEZZNS1_33reduce_by_key_impl_wrapped_configILNS1_25lookback_scan_determinismE0ES3_S7_N6hipcub16HIPCUB_304000_NS22TransformInputIteratorIbN2at6native8internal12_GLOBAL__N_110LoadBoolOpEPKhlEENS0_17constant_iteratorIjlEEPbPlSO_S6_NS0_8equal_toIbEEEE10hipError_tPvRmT2_T3_mT4_T5_T6_T7_T8_P12ihipStream_tbENKUlT_T0_E_clISt17integral_constantIbLb0EES17_IbLb1EEEEDaS13_S14_EUlS13_E_NS1_11comp_targetILNS1_3genE8ELNS1_11target_archE1030ELNS1_3gpuE2ELNS1_3repE0EEENS1_30default_config_static_selectorELNS0_4arch9wavefront6targetE1EEEvT1_
; %bb.0:
	.section	.rodata,"a",@progbits
	.p2align	6, 0x0
	.amdhsa_kernel _ZN7rocprim17ROCPRIM_400000_NS6detail17trampoline_kernelINS0_14default_configENS1_33run_length_encode_config_selectorIbjNS0_4plusIjEEEEZZNS1_33reduce_by_key_impl_wrapped_configILNS1_25lookback_scan_determinismE0ES3_S7_N6hipcub16HIPCUB_304000_NS22TransformInputIteratorIbN2at6native8internal12_GLOBAL__N_110LoadBoolOpEPKhlEENS0_17constant_iteratorIjlEEPbPlSO_S6_NS0_8equal_toIbEEEE10hipError_tPvRmT2_T3_mT4_T5_T6_T7_T8_P12ihipStream_tbENKUlT_T0_E_clISt17integral_constantIbLb0EES17_IbLb1EEEEDaS13_S14_EUlS13_E_NS1_11comp_targetILNS1_3genE8ELNS1_11target_archE1030ELNS1_3gpuE2ELNS1_3repE0EEENS1_30default_config_static_selectorELNS0_4arch9wavefront6targetE1EEEvT1_
		.amdhsa_group_segment_fixed_size 0
		.amdhsa_private_segment_fixed_size 0
		.amdhsa_kernarg_size 136
		.amdhsa_user_sgpr_count 2
		.amdhsa_user_sgpr_dispatch_ptr 0
		.amdhsa_user_sgpr_queue_ptr 0
		.amdhsa_user_sgpr_kernarg_segment_ptr 1
		.amdhsa_user_sgpr_dispatch_id 0
		.amdhsa_user_sgpr_kernarg_preload_length 0
		.amdhsa_user_sgpr_kernarg_preload_offset 0
		.amdhsa_user_sgpr_private_segment_size 0
		.amdhsa_uses_dynamic_stack 0
		.amdhsa_enable_private_segment 0
		.amdhsa_system_sgpr_workgroup_id_x 1
		.amdhsa_system_sgpr_workgroup_id_y 0
		.amdhsa_system_sgpr_workgroup_id_z 0
		.amdhsa_system_sgpr_workgroup_info 0
		.amdhsa_system_vgpr_workitem_id 0
		.amdhsa_next_free_vgpr 1
		.amdhsa_next_free_sgpr 0
		.amdhsa_accum_offset 4
		.amdhsa_reserve_vcc 0
		.amdhsa_float_round_mode_32 0
		.amdhsa_float_round_mode_16_64 0
		.amdhsa_float_denorm_mode_32 3
		.amdhsa_float_denorm_mode_16_64 3
		.amdhsa_dx10_clamp 1
		.amdhsa_ieee_mode 1
		.amdhsa_fp16_overflow 0
		.amdhsa_tg_split 0
		.amdhsa_exception_fp_ieee_invalid_op 0
		.amdhsa_exception_fp_denorm_src 0
		.amdhsa_exception_fp_ieee_div_zero 0
		.amdhsa_exception_fp_ieee_overflow 0
		.amdhsa_exception_fp_ieee_underflow 0
		.amdhsa_exception_fp_ieee_inexact 0
		.amdhsa_exception_int_div_zero 0
	.end_amdhsa_kernel
	.section	.text._ZN7rocprim17ROCPRIM_400000_NS6detail17trampoline_kernelINS0_14default_configENS1_33run_length_encode_config_selectorIbjNS0_4plusIjEEEEZZNS1_33reduce_by_key_impl_wrapped_configILNS1_25lookback_scan_determinismE0ES3_S7_N6hipcub16HIPCUB_304000_NS22TransformInputIteratorIbN2at6native8internal12_GLOBAL__N_110LoadBoolOpEPKhlEENS0_17constant_iteratorIjlEEPbPlSO_S6_NS0_8equal_toIbEEEE10hipError_tPvRmT2_T3_mT4_T5_T6_T7_T8_P12ihipStream_tbENKUlT_T0_E_clISt17integral_constantIbLb0EES17_IbLb1EEEEDaS13_S14_EUlS13_E_NS1_11comp_targetILNS1_3genE8ELNS1_11target_archE1030ELNS1_3gpuE2ELNS1_3repE0EEENS1_30default_config_static_selectorELNS0_4arch9wavefront6targetE1EEEvT1_,"axG",@progbits,_ZN7rocprim17ROCPRIM_400000_NS6detail17trampoline_kernelINS0_14default_configENS1_33run_length_encode_config_selectorIbjNS0_4plusIjEEEEZZNS1_33reduce_by_key_impl_wrapped_configILNS1_25lookback_scan_determinismE0ES3_S7_N6hipcub16HIPCUB_304000_NS22TransformInputIteratorIbN2at6native8internal12_GLOBAL__N_110LoadBoolOpEPKhlEENS0_17constant_iteratorIjlEEPbPlSO_S6_NS0_8equal_toIbEEEE10hipError_tPvRmT2_T3_mT4_T5_T6_T7_T8_P12ihipStream_tbENKUlT_T0_E_clISt17integral_constantIbLb0EES17_IbLb1EEEEDaS13_S14_EUlS13_E_NS1_11comp_targetILNS1_3genE8ELNS1_11target_archE1030ELNS1_3gpuE2ELNS1_3repE0EEENS1_30default_config_static_selectorELNS0_4arch9wavefront6targetE1EEEvT1_,comdat
.Lfunc_end96:
	.size	_ZN7rocprim17ROCPRIM_400000_NS6detail17trampoline_kernelINS0_14default_configENS1_33run_length_encode_config_selectorIbjNS0_4plusIjEEEEZZNS1_33reduce_by_key_impl_wrapped_configILNS1_25lookback_scan_determinismE0ES3_S7_N6hipcub16HIPCUB_304000_NS22TransformInputIteratorIbN2at6native8internal12_GLOBAL__N_110LoadBoolOpEPKhlEENS0_17constant_iteratorIjlEEPbPlSO_S6_NS0_8equal_toIbEEEE10hipError_tPvRmT2_T3_mT4_T5_T6_T7_T8_P12ihipStream_tbENKUlT_T0_E_clISt17integral_constantIbLb0EES17_IbLb1EEEEDaS13_S14_EUlS13_E_NS1_11comp_targetILNS1_3genE8ELNS1_11target_archE1030ELNS1_3gpuE2ELNS1_3repE0EEENS1_30default_config_static_selectorELNS0_4arch9wavefront6targetE1EEEvT1_, .Lfunc_end96-_ZN7rocprim17ROCPRIM_400000_NS6detail17trampoline_kernelINS0_14default_configENS1_33run_length_encode_config_selectorIbjNS0_4plusIjEEEEZZNS1_33reduce_by_key_impl_wrapped_configILNS1_25lookback_scan_determinismE0ES3_S7_N6hipcub16HIPCUB_304000_NS22TransformInputIteratorIbN2at6native8internal12_GLOBAL__N_110LoadBoolOpEPKhlEENS0_17constant_iteratorIjlEEPbPlSO_S6_NS0_8equal_toIbEEEE10hipError_tPvRmT2_T3_mT4_T5_T6_T7_T8_P12ihipStream_tbENKUlT_T0_E_clISt17integral_constantIbLb0EES17_IbLb1EEEEDaS13_S14_EUlS13_E_NS1_11comp_targetILNS1_3genE8ELNS1_11target_archE1030ELNS1_3gpuE2ELNS1_3repE0EEENS1_30default_config_static_selectorELNS0_4arch9wavefront6targetE1EEEvT1_
                                        ; -- End function
	.section	.AMDGPU.csdata,"",@progbits
; Kernel info:
; codeLenInByte = 0
; NumSgprs: 6
; NumVgprs: 0
; NumAgprs: 0
; TotalNumVgprs: 0
; ScratchSize: 0
; MemoryBound: 0
; FloatMode: 240
; IeeeMode: 1
; LDSByteSize: 0 bytes/workgroup (compile time only)
; SGPRBlocks: 0
; VGPRBlocks: 0
; NumSGPRsForWavesPerEU: 6
; NumVGPRsForWavesPerEU: 1
; AccumOffset: 4
; Occupancy: 8
; WaveLimiterHint : 0
; COMPUTE_PGM_RSRC2:SCRATCH_EN: 0
; COMPUTE_PGM_RSRC2:USER_SGPR: 2
; COMPUTE_PGM_RSRC2:TRAP_HANDLER: 0
; COMPUTE_PGM_RSRC2:TGID_X_EN: 1
; COMPUTE_PGM_RSRC2:TGID_Y_EN: 0
; COMPUTE_PGM_RSRC2:TGID_Z_EN: 0
; COMPUTE_PGM_RSRC2:TIDIG_COMP_CNT: 0
; COMPUTE_PGM_RSRC3_GFX90A:ACCUM_OFFSET: 0
; COMPUTE_PGM_RSRC3_GFX90A:TG_SPLIT: 0
	.section	.text._ZN7rocprim17ROCPRIM_400000_NS6detail17trampoline_kernelINS0_14default_configENS1_22reduce_config_selectorIiEEZNS1_11reduce_implILb1ES3_PiS7_iN6hipcub16HIPCUB_304000_NS6detail34convert_binary_result_type_wrapperISt4plusIvENS9_22TransformInputIteratorIiN2at6native8internal21MapNumberOfTrueValuesEPKhlEEiEEEE10hipError_tPvRmT1_T2_T3_mT4_P12ihipStream_tbEUlT_E0_NS1_11comp_targetILNS1_3genE0ELNS1_11target_archE4294967295ELNS1_3gpuE0ELNS1_3repE0EEENS1_30default_config_static_selectorELNS0_4arch9wavefront6targetE1EEEvSQ_,"axG",@progbits,_ZN7rocprim17ROCPRIM_400000_NS6detail17trampoline_kernelINS0_14default_configENS1_22reduce_config_selectorIiEEZNS1_11reduce_implILb1ES3_PiS7_iN6hipcub16HIPCUB_304000_NS6detail34convert_binary_result_type_wrapperISt4plusIvENS9_22TransformInputIteratorIiN2at6native8internal21MapNumberOfTrueValuesEPKhlEEiEEEE10hipError_tPvRmT1_T2_T3_mT4_P12ihipStream_tbEUlT_E0_NS1_11comp_targetILNS1_3genE0ELNS1_11target_archE4294967295ELNS1_3gpuE0ELNS1_3repE0EEENS1_30default_config_static_selectorELNS0_4arch9wavefront6targetE1EEEvSQ_,comdat
	.protected	_ZN7rocprim17ROCPRIM_400000_NS6detail17trampoline_kernelINS0_14default_configENS1_22reduce_config_selectorIiEEZNS1_11reduce_implILb1ES3_PiS7_iN6hipcub16HIPCUB_304000_NS6detail34convert_binary_result_type_wrapperISt4plusIvENS9_22TransformInputIteratorIiN2at6native8internal21MapNumberOfTrueValuesEPKhlEEiEEEE10hipError_tPvRmT1_T2_T3_mT4_P12ihipStream_tbEUlT_E0_NS1_11comp_targetILNS1_3genE0ELNS1_11target_archE4294967295ELNS1_3gpuE0ELNS1_3repE0EEENS1_30default_config_static_selectorELNS0_4arch9wavefront6targetE1EEEvSQ_ ; -- Begin function _ZN7rocprim17ROCPRIM_400000_NS6detail17trampoline_kernelINS0_14default_configENS1_22reduce_config_selectorIiEEZNS1_11reduce_implILb1ES3_PiS7_iN6hipcub16HIPCUB_304000_NS6detail34convert_binary_result_type_wrapperISt4plusIvENS9_22TransformInputIteratorIiN2at6native8internal21MapNumberOfTrueValuesEPKhlEEiEEEE10hipError_tPvRmT1_T2_T3_mT4_P12ihipStream_tbEUlT_E0_NS1_11comp_targetILNS1_3genE0ELNS1_11target_archE4294967295ELNS1_3gpuE0ELNS1_3repE0EEENS1_30default_config_static_selectorELNS0_4arch9wavefront6targetE1EEEvSQ_
	.globl	_ZN7rocprim17ROCPRIM_400000_NS6detail17trampoline_kernelINS0_14default_configENS1_22reduce_config_selectorIiEEZNS1_11reduce_implILb1ES3_PiS7_iN6hipcub16HIPCUB_304000_NS6detail34convert_binary_result_type_wrapperISt4plusIvENS9_22TransformInputIteratorIiN2at6native8internal21MapNumberOfTrueValuesEPKhlEEiEEEE10hipError_tPvRmT1_T2_T3_mT4_P12ihipStream_tbEUlT_E0_NS1_11comp_targetILNS1_3genE0ELNS1_11target_archE4294967295ELNS1_3gpuE0ELNS1_3repE0EEENS1_30default_config_static_selectorELNS0_4arch9wavefront6targetE1EEEvSQ_
	.p2align	8
	.type	_ZN7rocprim17ROCPRIM_400000_NS6detail17trampoline_kernelINS0_14default_configENS1_22reduce_config_selectorIiEEZNS1_11reduce_implILb1ES3_PiS7_iN6hipcub16HIPCUB_304000_NS6detail34convert_binary_result_type_wrapperISt4plusIvENS9_22TransformInputIteratorIiN2at6native8internal21MapNumberOfTrueValuesEPKhlEEiEEEE10hipError_tPvRmT1_T2_T3_mT4_P12ihipStream_tbEUlT_E0_NS1_11comp_targetILNS1_3genE0ELNS1_11target_archE4294967295ELNS1_3gpuE0ELNS1_3repE0EEENS1_30default_config_static_selectorELNS0_4arch9wavefront6targetE1EEEvSQ_,@function
_ZN7rocprim17ROCPRIM_400000_NS6detail17trampoline_kernelINS0_14default_configENS1_22reduce_config_selectorIiEEZNS1_11reduce_implILb1ES3_PiS7_iN6hipcub16HIPCUB_304000_NS6detail34convert_binary_result_type_wrapperISt4plusIvENS9_22TransformInputIteratorIiN2at6native8internal21MapNumberOfTrueValuesEPKhlEEiEEEE10hipError_tPvRmT1_T2_T3_mT4_P12ihipStream_tbEUlT_E0_NS1_11comp_targetILNS1_3genE0ELNS1_11target_archE4294967295ELNS1_3gpuE0ELNS1_3repE0EEENS1_30default_config_static_selectorELNS0_4arch9wavefront6targetE1EEEvSQ_: ; @_ZN7rocprim17ROCPRIM_400000_NS6detail17trampoline_kernelINS0_14default_configENS1_22reduce_config_selectorIiEEZNS1_11reduce_implILb1ES3_PiS7_iN6hipcub16HIPCUB_304000_NS6detail34convert_binary_result_type_wrapperISt4plusIvENS9_22TransformInputIteratorIiN2at6native8internal21MapNumberOfTrueValuesEPKhlEEiEEEE10hipError_tPvRmT1_T2_T3_mT4_P12ihipStream_tbEUlT_E0_NS1_11comp_targetILNS1_3genE0ELNS1_11target_archE4294967295ELNS1_3gpuE0ELNS1_3repE0EEENS1_30default_config_static_selectorELNS0_4arch9wavefront6targetE1EEEvSQ_
; %bb.0:
	.section	.rodata,"a",@progbits
	.p2align	6, 0x0
	.amdhsa_kernel _ZN7rocprim17ROCPRIM_400000_NS6detail17trampoline_kernelINS0_14default_configENS1_22reduce_config_selectorIiEEZNS1_11reduce_implILb1ES3_PiS7_iN6hipcub16HIPCUB_304000_NS6detail34convert_binary_result_type_wrapperISt4plusIvENS9_22TransformInputIteratorIiN2at6native8internal21MapNumberOfTrueValuesEPKhlEEiEEEE10hipError_tPvRmT1_T2_T3_mT4_P12ihipStream_tbEUlT_E0_NS1_11comp_targetILNS1_3genE0ELNS1_11target_archE4294967295ELNS1_3gpuE0ELNS1_3repE0EEENS1_30default_config_static_selectorELNS0_4arch9wavefront6targetE1EEEvSQ_
		.amdhsa_group_segment_fixed_size 0
		.amdhsa_private_segment_fixed_size 0
		.amdhsa_kernarg_size 56
		.amdhsa_user_sgpr_count 2
		.amdhsa_user_sgpr_dispatch_ptr 0
		.amdhsa_user_sgpr_queue_ptr 0
		.amdhsa_user_sgpr_kernarg_segment_ptr 1
		.amdhsa_user_sgpr_dispatch_id 0
		.amdhsa_user_sgpr_kernarg_preload_length 0
		.amdhsa_user_sgpr_kernarg_preload_offset 0
		.amdhsa_user_sgpr_private_segment_size 0
		.amdhsa_uses_dynamic_stack 0
		.amdhsa_enable_private_segment 0
		.amdhsa_system_sgpr_workgroup_id_x 1
		.amdhsa_system_sgpr_workgroup_id_y 0
		.amdhsa_system_sgpr_workgroup_id_z 0
		.amdhsa_system_sgpr_workgroup_info 0
		.amdhsa_system_vgpr_workitem_id 0
		.amdhsa_next_free_vgpr 1
		.amdhsa_next_free_sgpr 0
		.amdhsa_accum_offset 4
		.amdhsa_reserve_vcc 0
		.amdhsa_float_round_mode_32 0
		.amdhsa_float_round_mode_16_64 0
		.amdhsa_float_denorm_mode_32 3
		.amdhsa_float_denorm_mode_16_64 3
		.amdhsa_dx10_clamp 1
		.amdhsa_ieee_mode 1
		.amdhsa_fp16_overflow 0
		.amdhsa_tg_split 0
		.amdhsa_exception_fp_ieee_invalid_op 0
		.amdhsa_exception_fp_denorm_src 0
		.amdhsa_exception_fp_ieee_div_zero 0
		.amdhsa_exception_fp_ieee_overflow 0
		.amdhsa_exception_fp_ieee_underflow 0
		.amdhsa_exception_fp_ieee_inexact 0
		.amdhsa_exception_int_div_zero 0
	.end_amdhsa_kernel
	.section	.text._ZN7rocprim17ROCPRIM_400000_NS6detail17trampoline_kernelINS0_14default_configENS1_22reduce_config_selectorIiEEZNS1_11reduce_implILb1ES3_PiS7_iN6hipcub16HIPCUB_304000_NS6detail34convert_binary_result_type_wrapperISt4plusIvENS9_22TransformInputIteratorIiN2at6native8internal21MapNumberOfTrueValuesEPKhlEEiEEEE10hipError_tPvRmT1_T2_T3_mT4_P12ihipStream_tbEUlT_E0_NS1_11comp_targetILNS1_3genE0ELNS1_11target_archE4294967295ELNS1_3gpuE0ELNS1_3repE0EEENS1_30default_config_static_selectorELNS0_4arch9wavefront6targetE1EEEvSQ_,"axG",@progbits,_ZN7rocprim17ROCPRIM_400000_NS6detail17trampoline_kernelINS0_14default_configENS1_22reduce_config_selectorIiEEZNS1_11reduce_implILb1ES3_PiS7_iN6hipcub16HIPCUB_304000_NS6detail34convert_binary_result_type_wrapperISt4plusIvENS9_22TransformInputIteratorIiN2at6native8internal21MapNumberOfTrueValuesEPKhlEEiEEEE10hipError_tPvRmT1_T2_T3_mT4_P12ihipStream_tbEUlT_E0_NS1_11comp_targetILNS1_3genE0ELNS1_11target_archE4294967295ELNS1_3gpuE0ELNS1_3repE0EEENS1_30default_config_static_selectorELNS0_4arch9wavefront6targetE1EEEvSQ_,comdat
.Lfunc_end97:
	.size	_ZN7rocprim17ROCPRIM_400000_NS6detail17trampoline_kernelINS0_14default_configENS1_22reduce_config_selectorIiEEZNS1_11reduce_implILb1ES3_PiS7_iN6hipcub16HIPCUB_304000_NS6detail34convert_binary_result_type_wrapperISt4plusIvENS9_22TransformInputIteratorIiN2at6native8internal21MapNumberOfTrueValuesEPKhlEEiEEEE10hipError_tPvRmT1_T2_T3_mT4_P12ihipStream_tbEUlT_E0_NS1_11comp_targetILNS1_3genE0ELNS1_11target_archE4294967295ELNS1_3gpuE0ELNS1_3repE0EEENS1_30default_config_static_selectorELNS0_4arch9wavefront6targetE1EEEvSQ_, .Lfunc_end97-_ZN7rocprim17ROCPRIM_400000_NS6detail17trampoline_kernelINS0_14default_configENS1_22reduce_config_selectorIiEEZNS1_11reduce_implILb1ES3_PiS7_iN6hipcub16HIPCUB_304000_NS6detail34convert_binary_result_type_wrapperISt4plusIvENS9_22TransformInputIteratorIiN2at6native8internal21MapNumberOfTrueValuesEPKhlEEiEEEE10hipError_tPvRmT1_T2_T3_mT4_P12ihipStream_tbEUlT_E0_NS1_11comp_targetILNS1_3genE0ELNS1_11target_archE4294967295ELNS1_3gpuE0ELNS1_3repE0EEENS1_30default_config_static_selectorELNS0_4arch9wavefront6targetE1EEEvSQ_
                                        ; -- End function
	.section	.AMDGPU.csdata,"",@progbits
; Kernel info:
; codeLenInByte = 0
; NumSgprs: 6
; NumVgprs: 0
; NumAgprs: 0
; TotalNumVgprs: 0
; ScratchSize: 0
; MemoryBound: 0
; FloatMode: 240
; IeeeMode: 1
; LDSByteSize: 0 bytes/workgroup (compile time only)
; SGPRBlocks: 0
; VGPRBlocks: 0
; NumSGPRsForWavesPerEU: 6
; NumVGPRsForWavesPerEU: 1
; AccumOffset: 4
; Occupancy: 8
; WaveLimiterHint : 0
; COMPUTE_PGM_RSRC2:SCRATCH_EN: 0
; COMPUTE_PGM_RSRC2:USER_SGPR: 2
; COMPUTE_PGM_RSRC2:TRAP_HANDLER: 0
; COMPUTE_PGM_RSRC2:TGID_X_EN: 1
; COMPUTE_PGM_RSRC2:TGID_Y_EN: 0
; COMPUTE_PGM_RSRC2:TGID_Z_EN: 0
; COMPUTE_PGM_RSRC2:TIDIG_COMP_CNT: 0
; COMPUTE_PGM_RSRC3_GFX90A:ACCUM_OFFSET: 0
; COMPUTE_PGM_RSRC3_GFX90A:TG_SPLIT: 0
	.section	.text._ZN7rocprim17ROCPRIM_400000_NS6detail17trampoline_kernelINS0_14default_configENS1_22reduce_config_selectorIiEEZNS1_11reduce_implILb1ES3_PiS7_iN6hipcub16HIPCUB_304000_NS6detail34convert_binary_result_type_wrapperISt4plusIvENS9_22TransformInputIteratorIiN2at6native8internal21MapNumberOfTrueValuesEPKhlEEiEEEE10hipError_tPvRmT1_T2_T3_mT4_P12ihipStream_tbEUlT_E0_NS1_11comp_targetILNS1_3genE5ELNS1_11target_archE942ELNS1_3gpuE9ELNS1_3repE0EEENS1_30default_config_static_selectorELNS0_4arch9wavefront6targetE1EEEvSQ_,"axG",@progbits,_ZN7rocprim17ROCPRIM_400000_NS6detail17trampoline_kernelINS0_14default_configENS1_22reduce_config_selectorIiEEZNS1_11reduce_implILb1ES3_PiS7_iN6hipcub16HIPCUB_304000_NS6detail34convert_binary_result_type_wrapperISt4plusIvENS9_22TransformInputIteratorIiN2at6native8internal21MapNumberOfTrueValuesEPKhlEEiEEEE10hipError_tPvRmT1_T2_T3_mT4_P12ihipStream_tbEUlT_E0_NS1_11comp_targetILNS1_3genE5ELNS1_11target_archE942ELNS1_3gpuE9ELNS1_3repE0EEENS1_30default_config_static_selectorELNS0_4arch9wavefront6targetE1EEEvSQ_,comdat
	.protected	_ZN7rocprim17ROCPRIM_400000_NS6detail17trampoline_kernelINS0_14default_configENS1_22reduce_config_selectorIiEEZNS1_11reduce_implILb1ES3_PiS7_iN6hipcub16HIPCUB_304000_NS6detail34convert_binary_result_type_wrapperISt4plusIvENS9_22TransformInputIteratorIiN2at6native8internal21MapNumberOfTrueValuesEPKhlEEiEEEE10hipError_tPvRmT1_T2_T3_mT4_P12ihipStream_tbEUlT_E0_NS1_11comp_targetILNS1_3genE5ELNS1_11target_archE942ELNS1_3gpuE9ELNS1_3repE0EEENS1_30default_config_static_selectorELNS0_4arch9wavefront6targetE1EEEvSQ_ ; -- Begin function _ZN7rocprim17ROCPRIM_400000_NS6detail17trampoline_kernelINS0_14default_configENS1_22reduce_config_selectorIiEEZNS1_11reduce_implILb1ES3_PiS7_iN6hipcub16HIPCUB_304000_NS6detail34convert_binary_result_type_wrapperISt4plusIvENS9_22TransformInputIteratorIiN2at6native8internal21MapNumberOfTrueValuesEPKhlEEiEEEE10hipError_tPvRmT1_T2_T3_mT4_P12ihipStream_tbEUlT_E0_NS1_11comp_targetILNS1_3genE5ELNS1_11target_archE942ELNS1_3gpuE9ELNS1_3repE0EEENS1_30default_config_static_selectorELNS0_4arch9wavefront6targetE1EEEvSQ_
	.globl	_ZN7rocprim17ROCPRIM_400000_NS6detail17trampoline_kernelINS0_14default_configENS1_22reduce_config_selectorIiEEZNS1_11reduce_implILb1ES3_PiS7_iN6hipcub16HIPCUB_304000_NS6detail34convert_binary_result_type_wrapperISt4plusIvENS9_22TransformInputIteratorIiN2at6native8internal21MapNumberOfTrueValuesEPKhlEEiEEEE10hipError_tPvRmT1_T2_T3_mT4_P12ihipStream_tbEUlT_E0_NS1_11comp_targetILNS1_3genE5ELNS1_11target_archE942ELNS1_3gpuE9ELNS1_3repE0EEENS1_30default_config_static_selectorELNS0_4arch9wavefront6targetE1EEEvSQ_
	.p2align	8
	.type	_ZN7rocprim17ROCPRIM_400000_NS6detail17trampoline_kernelINS0_14default_configENS1_22reduce_config_selectorIiEEZNS1_11reduce_implILb1ES3_PiS7_iN6hipcub16HIPCUB_304000_NS6detail34convert_binary_result_type_wrapperISt4plusIvENS9_22TransformInputIteratorIiN2at6native8internal21MapNumberOfTrueValuesEPKhlEEiEEEE10hipError_tPvRmT1_T2_T3_mT4_P12ihipStream_tbEUlT_E0_NS1_11comp_targetILNS1_3genE5ELNS1_11target_archE942ELNS1_3gpuE9ELNS1_3repE0EEENS1_30default_config_static_selectorELNS0_4arch9wavefront6targetE1EEEvSQ_,@function
_ZN7rocprim17ROCPRIM_400000_NS6detail17trampoline_kernelINS0_14default_configENS1_22reduce_config_selectorIiEEZNS1_11reduce_implILb1ES3_PiS7_iN6hipcub16HIPCUB_304000_NS6detail34convert_binary_result_type_wrapperISt4plusIvENS9_22TransformInputIteratorIiN2at6native8internal21MapNumberOfTrueValuesEPKhlEEiEEEE10hipError_tPvRmT1_T2_T3_mT4_P12ihipStream_tbEUlT_E0_NS1_11comp_targetILNS1_3genE5ELNS1_11target_archE942ELNS1_3gpuE9ELNS1_3repE0EEENS1_30default_config_static_selectorELNS0_4arch9wavefront6targetE1EEEvSQ_: ; @_ZN7rocprim17ROCPRIM_400000_NS6detail17trampoline_kernelINS0_14default_configENS1_22reduce_config_selectorIiEEZNS1_11reduce_implILb1ES3_PiS7_iN6hipcub16HIPCUB_304000_NS6detail34convert_binary_result_type_wrapperISt4plusIvENS9_22TransformInputIteratorIiN2at6native8internal21MapNumberOfTrueValuesEPKhlEEiEEEE10hipError_tPvRmT1_T2_T3_mT4_P12ihipStream_tbEUlT_E0_NS1_11comp_targetILNS1_3genE5ELNS1_11target_archE942ELNS1_3gpuE9ELNS1_3repE0EEENS1_30default_config_static_selectorELNS0_4arch9wavefront6targetE1EEEvSQ_
; %bb.0:
	s_load_dwordx8 s[12:19], s[0:1], 0x0
	s_load_dwordx4 s[20:23], s[0:1], 0x20
	v_lshlrev_b32_e32 v10, 2, v0
	v_mbcnt_lo_u32_b32 v1, -1, 0
	s_waitcnt lgkmcnt(0)
	s_lshl_b64 s[4:5], s[14:15], 2
	s_add_u32 s10, s12, s4
	s_addc_u32 s11, s13, s5
	s_lshl_b32 s4, s2, 11
	s_mov_b32 s5, 0
	s_lshr_b64 s[6:7], s[16:17], 11
	s_lshl_b64 s[8:9], s[4:5], 2
	s_add_u32 s14, s10, s8
	s_mov_b32 s3, s5
	s_addc_u32 s15, s11, s9
	s_cmp_lg_u64 s[6:7], s[2:3]
	s_cbranch_scc0 .LBB98_6
; %bb.1:
	v_mov_b32_e32 v11, 0
	v_lshl_add_u64 v[2:3], s[14:15], 0, v[10:11]
	global_load_dword v4, v10, s[14:15]
	global_load_dword v5, v10, s[14:15] offset:1024
	global_load_dword v6, v10, s[14:15] offset:2048
	;; [unrolled: 1-line block ×3, first 2 shown]
	v_add_co_u32_e32 v2, vcc, 0x1000, v2
	s_waitcnt vmcnt(2)
	v_add_u32_e32 v4, v5, v4
	v_addc_co_u32_e32 v3, vcc, 0, v3, vcc
	global_load_dword v8, v[2:3], off
	global_load_dword v9, v[2:3], off offset:1024
	global_load_dword v11, v[2:3], off offset:2048
	global_load_dword v12, v[2:3], off offset:3072
	s_waitcnt vmcnt(4)
	v_add3_u32 v4, v4, v6, v7
	v_mbcnt_hi_u32_b32 v3, -1, v1
	v_bfrev_b32_e32 v2, 0.5
	v_lshl_or_b32 v2, v3, 2, v2
	v_cmp_eq_u32_e32 vcc, 0, v3
	s_waitcnt vmcnt(2)
	v_add3_u32 v4, v4, v8, v9
	s_waitcnt vmcnt(0)
	v_add3_u32 v4, v4, v11, v12
	s_nop 1
	v_add_u32_dpp v4, v4, v4 quad_perm:[1,0,3,2] row_mask:0xf bank_mask:0xf bound_ctrl:1
	s_nop 1
	v_add_u32_dpp v4, v4, v4 quad_perm:[2,3,0,1] row_mask:0xf bank_mask:0xf bound_ctrl:1
	s_nop 1
	v_add_u32_dpp v4, v4, v4 row_ror:4 row_mask:0xf bank_mask:0xf bound_ctrl:1
	s_nop 1
	v_add_u32_dpp v4, v4, v4 row_ror:8 row_mask:0xf bank_mask:0xf bound_ctrl:1
	s_nop 1
	v_add_u32_dpp v4, v4, v4 row_bcast:15 row_mask:0xf bank_mask:0xf bound_ctrl:1
	s_nop 1
	v_add_u32_dpp v4, v4, v4 row_bcast:31 row_mask:0xf bank_mask:0xf bound_ctrl:1
	ds_bpermute_b32 v2, v2, v4
	s_and_saveexec_b64 s[6:7], vcc
	s_cbranch_execz .LBB98_3
; %bb.2:
	v_lshrrev_b32_e32 v4, 4, v0
	v_and_b32_e32 v4, 12, v4
	s_waitcnt lgkmcnt(0)
	ds_write_b32 v4, v2
.LBB98_3:
	s_or_b64 exec, exec, s[6:7]
	v_cmp_gt_u32_e32 vcc, 64, v0
	s_waitcnt lgkmcnt(0)
	s_barrier
	s_and_saveexec_b64 s[6:7], vcc
	s_cbranch_execz .LBB98_5
; %bb.4:
	v_and_b32_e32 v2, 3, v3
	v_lshlrev_b32_e32 v4, 2, v2
	ds_read_b32 v4, v4
	v_cmp_ne_u32_e32 vcc, 3, v2
	s_nop 1
	v_addc_co_u32_e32 v5, vcc, 0, v3, vcc
	v_lshlrev_b32_e32 v5, 2, v5
	s_waitcnt lgkmcnt(0)
	ds_bpermute_b32 v5, v5, v4
	v_cmp_gt_u32_e32 vcc, 2, v2
	s_waitcnt lgkmcnt(0)
	v_add_u32_e32 v4, v5, v4
	v_cndmask_b32_e64 v2, 0, 1, vcc
	v_lshlrev_b32_e32 v2, 1, v2
	v_add_lshl_u32 v2, v2, v3, 2
	ds_bpermute_b32 v2, v2, v4
	s_waitcnt lgkmcnt(0)
	v_add_u32_e32 v2, v2, v4
.LBB98_5:
	s_or_b64 exec, exec, s[6:7]
	s_load_dword s26, s[0:1], 0x30
	s_branch .LBB98_28
.LBB98_6:
                                        ; implicit-def: $vgpr2
	s_load_dword s26, s[0:1], 0x30
	s_cbranch_execz .LBB98_28
; %bb.7:
	s_sub_i32 s27, s16, s4
	v_cmp_gt_u32_e32 vcc, s27, v0
                                        ; implicit-def: $vgpr2_vgpr3_vgpr4_vgpr5_vgpr6_vgpr7_vgpr8_vgpr9
	s_and_saveexec_b64 s[0:1], vcc
	s_cbranch_execz .LBB98_9
; %bb.8:
	global_load_dword v2, v10, s[14:15]
.LBB98_9:
	s_or_b64 exec, exec, s[0:1]
	v_or_b32_e32 v11, 0x100, v0
	v_cmp_gt_u32_e32 vcc, s27, v11
	s_and_saveexec_b64 s[0:1], vcc
	s_cbranch_execz .LBB98_11
; %bb.10:
	global_load_dword v3, v10, s[14:15] offset:1024
.LBB98_11:
	s_or_b64 exec, exec, s[0:1]
	v_or_b32_e32 v11, 0x200, v0
	v_cmp_gt_u32_e64 s[0:1], s27, v11
	s_and_saveexec_b64 s[4:5], s[0:1]
	s_cbranch_execz .LBB98_13
; %bb.12:
	global_load_dword v4, v10, s[14:15] offset:2048
.LBB98_13:
	s_or_b64 exec, exec, s[4:5]
	v_or_b32_e32 v11, 0x300, v0
	v_cmp_gt_u32_e64 s[4:5], s27, v11
	s_and_saveexec_b64 s[6:7], s[4:5]
	;; [unrolled: 8-line block ×3, first 2 shown]
	s_cbranch_execz .LBB98_17
; %bb.16:
	v_lshlrev_b32_e32 v6, 2, v10
	global_load_dword v6, v6, s[14:15]
.LBB98_17:
	s_or_b64 exec, exec, s[8:9]
	v_or_b32_e32 v10, 0x500, v0
	v_cmp_gt_u32_e64 s[8:9], s27, v10
	s_and_saveexec_b64 s[10:11], s[8:9]
	s_cbranch_execz .LBB98_19
; %bb.18:
	v_lshlrev_b32_e32 v7, 2, v10
	global_load_dword v7, v7, s[14:15]
.LBB98_19:
	s_or_b64 exec, exec, s[10:11]
	v_or_b32_e32 v10, 0x600, v0
	v_cmp_gt_u32_e64 s[10:11], s27, v10
	s_and_saveexec_b64 s[12:13], s[10:11]
	;; [unrolled: 9-line block ×3, first 2 shown]
	s_cbranch_execz .LBB98_23
; %bb.22:
	v_lshlrev_b32_e32 v9, 2, v10
	global_load_dword v9, v9, s[14:15]
.LBB98_23:
	s_or_b64 exec, exec, s[24:25]
	s_waitcnt vmcnt(0)
	v_cndmask_b32_e32 v3, 0, v3, vcc
	v_add_u32_e32 v2, v3, v2
	v_cndmask_b32_e64 v3, 0, v4, s[0:1]
	v_cndmask_b32_e64 v4, 0, v5, s[4:5]
	v_add3_u32 v2, v2, v3, v4
	v_cndmask_b32_e64 v3, 0, v6, s[6:7]
	v_cndmask_b32_e64 v4, 0, v7, s[8:9]
	v_add3_u32 v2, v2, v3, v4
	v_cndmask_b32_e64 v3, 0, v8, s[10:11]
	v_cndmask_b32_e64 v4, 0, v9, s[12:13]
	v_mbcnt_hi_u32_b32 v1, -1, v1
	v_add3_u32 v2, v2, v3, v4
	v_and_b32_e32 v3, 63, v1
	v_cmp_ne_u32_e32 vcc, 63, v3
	s_min_u32 s4, s27, 0x100
	v_and_b32_e32 v5, 0xc0, v0
	v_addc_co_u32_e32 v4, vcc, 0, v1, vcc
	v_lshlrev_b32_e32 v4, 2, v4
	ds_bpermute_b32 v4, v4, v2
	v_sub_u32_e64 v5, s4, v5 clamp
	v_add_u32_e32 v6, 1, v3
	v_cmp_lt_u32_e32 vcc, v6, v5
	v_add_u32_e32 v6, 2, v3
	s_waitcnt lgkmcnt(0)
	v_cndmask_b32_e32 v4, 0, v4, vcc
	v_cmp_gt_u32_e32 vcc, 62, v3
	v_add_u32_e32 v2, v2, v4
	s_nop 0
	v_cndmask_b32_e64 v4, 0, 1, vcc
	v_lshlrev_b32_e32 v4, 1, v4
	v_add_lshl_u32 v4, v4, v1, 2
	ds_bpermute_b32 v4, v4, v2
	v_cmp_lt_u32_e32 vcc, v6, v5
	v_add_u32_e32 v6, 4, v3
	s_waitcnt lgkmcnt(0)
	v_cndmask_b32_e32 v4, 0, v4, vcc
	v_cmp_gt_u32_e32 vcc, 60, v3
	v_add_u32_e32 v2, v2, v4
	s_nop 0
	v_cndmask_b32_e64 v4, 0, 1, vcc
	v_lshlrev_b32_e32 v4, 2, v4
	v_add_lshl_u32 v4, v4, v1, 2
	ds_bpermute_b32 v4, v4, v2
	;; [unrolled: 11-line block ×4, first 2 shown]
	v_cmp_lt_u32_e32 vcc, v6, v5
	s_waitcnt lgkmcnt(0)
	s_nop 0
	v_cndmask_b32_e32 v4, 0, v4, vcc
	v_cmp_gt_u32_e32 vcc, 32, v3
	v_add_u32_e32 v2, v2, v4
	v_add_u32_e32 v3, 32, v3
	v_cndmask_b32_e64 v4, 0, 1, vcc
	v_lshlrev_b32_e32 v4, 5, v4
	v_add_lshl_u32 v4, v4, v1, 2
	ds_bpermute_b32 v4, v4, v2
	v_cmp_lt_u32_e32 vcc, v3, v5
	s_waitcnt lgkmcnt(0)
	s_nop 0
	v_cndmask_b32_e32 v3, 0, v4, vcc
	v_add_u32_e32 v2, v2, v3
	v_cmp_eq_u32_e32 vcc, 0, v1
	s_and_saveexec_b64 s[0:1], vcc
	s_cbranch_execz .LBB98_25
; %bb.24:
	v_lshrrev_b32_e32 v3, 4, v0
	v_and_b32_e32 v3, 12, v3
	ds_write_b32 v3, v2 offset:16
.LBB98_25:
	s_or_b64 exec, exec, s[0:1]
	v_cmp_gt_u32_e32 vcc, 4, v0
	s_waitcnt lgkmcnt(0)
	s_barrier
	s_and_saveexec_b64 s[0:1], vcc
	s_cbranch_execz .LBB98_27
; %bb.26:
	v_lshlrev_b32_e32 v2, 2, v1
	ds_read_b32 v2, v2 offset:16
	v_and_b32_e32 v3, 3, v1
	v_cmp_ne_u32_e32 vcc, 3, v3
	s_add_i32 s4, s4, 63
	s_lshr_b32 s4, s4, 6
	v_addc_co_u32_e32 v4, vcc, 0, v1, vcc
	v_lshlrev_b32_e32 v4, 2, v4
	s_waitcnt lgkmcnt(0)
	ds_bpermute_b32 v4, v4, v2
	v_add_u32_e32 v5, 1, v3
	v_cmp_gt_u32_e32 vcc, s4, v5
	s_waitcnt lgkmcnt(0)
	s_nop 0
	v_cndmask_b32_e32 v4, 0, v4, vcc
	v_cmp_gt_u32_e32 vcc, 2, v3
	v_add_u32_e32 v2, v4, v2
	v_add_u32_e32 v3, 2, v3
	v_cndmask_b32_e64 v4, 0, 1, vcc
	v_lshlrev_b32_e32 v4, 1, v4
	v_add_lshl_u32 v1, v4, v1, 2
	ds_bpermute_b32 v1, v1, v2
	v_cmp_gt_u32_e32 vcc, s4, v3
	s_waitcnt lgkmcnt(0)
	s_nop 0
	v_cndmask_b32_e32 v1, 0, v1, vcc
	v_add_u32_e32 v2, v2, v1
.LBB98_27:
	s_or_b64 exec, exec, s[0:1]
.LBB98_28:
	v_cmp_eq_u32_e32 vcc, 0, v0
	s_and_saveexec_b64 s[0:1], vcc
	s_cbranch_execnz .LBB98_30
; %bb.29:
	s_endpgm
.LBB98_30:
	s_mul_i32 s0, s22, s21
	s_mul_hi_u32 s1, s22, s20
	s_add_i32 s0, s1, s0
	s_mul_i32 s1, s23, s20
	s_add_i32 s1, s0, s1
	s_mul_i32 s0, s22, s20
	s_lshl_b64 s[0:1], s[0:1], 2
	s_add_u32 s4, s18, s0
	s_addc_u32 s5, s19, s1
	s_cmp_eq_u64 s[16:17], 0
	s_cselect_b64 vcc, -1, 0
	s_lshl_b64 s[0:1], s[2:3], 2
	s_waitcnt lgkmcnt(0)
	v_mov_b32_e32 v0, s26
	s_add_u32 s0, s4, s0
	v_cndmask_b32_e32 v0, v2, v0, vcc
	s_addc_u32 s1, s5, s1
	v_mov_b32_e32 v1, 0
	global_store_dword v1, v0, s[0:1]
	s_endpgm
	.section	.rodata,"a",@progbits
	.p2align	6, 0x0
	.amdhsa_kernel _ZN7rocprim17ROCPRIM_400000_NS6detail17trampoline_kernelINS0_14default_configENS1_22reduce_config_selectorIiEEZNS1_11reduce_implILb1ES3_PiS7_iN6hipcub16HIPCUB_304000_NS6detail34convert_binary_result_type_wrapperISt4plusIvENS9_22TransformInputIteratorIiN2at6native8internal21MapNumberOfTrueValuesEPKhlEEiEEEE10hipError_tPvRmT1_T2_T3_mT4_P12ihipStream_tbEUlT_E0_NS1_11comp_targetILNS1_3genE5ELNS1_11target_archE942ELNS1_3gpuE9ELNS1_3repE0EEENS1_30default_config_static_selectorELNS0_4arch9wavefront6targetE1EEEvSQ_
		.amdhsa_group_segment_fixed_size 32
		.amdhsa_private_segment_fixed_size 0
		.amdhsa_kernarg_size 56
		.amdhsa_user_sgpr_count 2
		.amdhsa_user_sgpr_dispatch_ptr 0
		.amdhsa_user_sgpr_queue_ptr 0
		.amdhsa_user_sgpr_kernarg_segment_ptr 1
		.amdhsa_user_sgpr_dispatch_id 0
		.amdhsa_user_sgpr_kernarg_preload_length 0
		.amdhsa_user_sgpr_kernarg_preload_offset 0
		.amdhsa_user_sgpr_private_segment_size 0
		.amdhsa_uses_dynamic_stack 0
		.amdhsa_enable_private_segment 0
		.amdhsa_system_sgpr_workgroup_id_x 1
		.amdhsa_system_sgpr_workgroup_id_y 0
		.amdhsa_system_sgpr_workgroup_id_z 0
		.amdhsa_system_sgpr_workgroup_info 0
		.amdhsa_system_vgpr_workitem_id 0
		.amdhsa_next_free_vgpr 13
		.amdhsa_next_free_sgpr 28
		.amdhsa_accum_offset 16
		.amdhsa_reserve_vcc 1
		.amdhsa_float_round_mode_32 0
		.amdhsa_float_round_mode_16_64 0
		.amdhsa_float_denorm_mode_32 3
		.amdhsa_float_denorm_mode_16_64 3
		.amdhsa_dx10_clamp 1
		.amdhsa_ieee_mode 1
		.amdhsa_fp16_overflow 0
		.amdhsa_tg_split 0
		.amdhsa_exception_fp_ieee_invalid_op 0
		.amdhsa_exception_fp_denorm_src 0
		.amdhsa_exception_fp_ieee_div_zero 0
		.amdhsa_exception_fp_ieee_overflow 0
		.amdhsa_exception_fp_ieee_underflow 0
		.amdhsa_exception_fp_ieee_inexact 0
		.amdhsa_exception_int_div_zero 0
	.end_amdhsa_kernel
	.section	.text._ZN7rocprim17ROCPRIM_400000_NS6detail17trampoline_kernelINS0_14default_configENS1_22reduce_config_selectorIiEEZNS1_11reduce_implILb1ES3_PiS7_iN6hipcub16HIPCUB_304000_NS6detail34convert_binary_result_type_wrapperISt4plusIvENS9_22TransformInputIteratorIiN2at6native8internal21MapNumberOfTrueValuesEPKhlEEiEEEE10hipError_tPvRmT1_T2_T3_mT4_P12ihipStream_tbEUlT_E0_NS1_11comp_targetILNS1_3genE5ELNS1_11target_archE942ELNS1_3gpuE9ELNS1_3repE0EEENS1_30default_config_static_selectorELNS0_4arch9wavefront6targetE1EEEvSQ_,"axG",@progbits,_ZN7rocprim17ROCPRIM_400000_NS6detail17trampoline_kernelINS0_14default_configENS1_22reduce_config_selectorIiEEZNS1_11reduce_implILb1ES3_PiS7_iN6hipcub16HIPCUB_304000_NS6detail34convert_binary_result_type_wrapperISt4plusIvENS9_22TransformInputIteratorIiN2at6native8internal21MapNumberOfTrueValuesEPKhlEEiEEEE10hipError_tPvRmT1_T2_T3_mT4_P12ihipStream_tbEUlT_E0_NS1_11comp_targetILNS1_3genE5ELNS1_11target_archE942ELNS1_3gpuE9ELNS1_3repE0EEENS1_30default_config_static_selectorELNS0_4arch9wavefront6targetE1EEEvSQ_,comdat
.Lfunc_end98:
	.size	_ZN7rocprim17ROCPRIM_400000_NS6detail17trampoline_kernelINS0_14default_configENS1_22reduce_config_selectorIiEEZNS1_11reduce_implILb1ES3_PiS7_iN6hipcub16HIPCUB_304000_NS6detail34convert_binary_result_type_wrapperISt4plusIvENS9_22TransformInputIteratorIiN2at6native8internal21MapNumberOfTrueValuesEPKhlEEiEEEE10hipError_tPvRmT1_T2_T3_mT4_P12ihipStream_tbEUlT_E0_NS1_11comp_targetILNS1_3genE5ELNS1_11target_archE942ELNS1_3gpuE9ELNS1_3repE0EEENS1_30default_config_static_selectorELNS0_4arch9wavefront6targetE1EEEvSQ_, .Lfunc_end98-_ZN7rocprim17ROCPRIM_400000_NS6detail17trampoline_kernelINS0_14default_configENS1_22reduce_config_selectorIiEEZNS1_11reduce_implILb1ES3_PiS7_iN6hipcub16HIPCUB_304000_NS6detail34convert_binary_result_type_wrapperISt4plusIvENS9_22TransformInputIteratorIiN2at6native8internal21MapNumberOfTrueValuesEPKhlEEiEEEE10hipError_tPvRmT1_T2_T3_mT4_P12ihipStream_tbEUlT_E0_NS1_11comp_targetILNS1_3genE5ELNS1_11target_archE942ELNS1_3gpuE9ELNS1_3repE0EEENS1_30default_config_static_selectorELNS0_4arch9wavefront6targetE1EEEvSQ_
                                        ; -- End function
	.section	.AMDGPU.csdata,"",@progbits
; Kernel info:
; codeLenInByte = 1508
; NumSgprs: 34
; NumVgprs: 13
; NumAgprs: 0
; TotalNumVgprs: 13
; ScratchSize: 0
; MemoryBound: 0
; FloatMode: 240
; IeeeMode: 1
; LDSByteSize: 32 bytes/workgroup (compile time only)
; SGPRBlocks: 4
; VGPRBlocks: 1
; NumSGPRsForWavesPerEU: 34
; NumVGPRsForWavesPerEU: 13
; AccumOffset: 16
; Occupancy: 8
; WaveLimiterHint : 1
; COMPUTE_PGM_RSRC2:SCRATCH_EN: 0
; COMPUTE_PGM_RSRC2:USER_SGPR: 2
; COMPUTE_PGM_RSRC2:TRAP_HANDLER: 0
; COMPUTE_PGM_RSRC2:TGID_X_EN: 1
; COMPUTE_PGM_RSRC2:TGID_Y_EN: 0
; COMPUTE_PGM_RSRC2:TGID_Z_EN: 0
; COMPUTE_PGM_RSRC2:TIDIG_COMP_CNT: 0
; COMPUTE_PGM_RSRC3_GFX90A:ACCUM_OFFSET: 3
; COMPUTE_PGM_RSRC3_GFX90A:TG_SPLIT: 0
	.section	.text._ZN7rocprim17ROCPRIM_400000_NS6detail17trampoline_kernelINS0_14default_configENS1_22reduce_config_selectorIiEEZNS1_11reduce_implILb1ES3_PiS7_iN6hipcub16HIPCUB_304000_NS6detail34convert_binary_result_type_wrapperISt4plusIvENS9_22TransformInputIteratorIiN2at6native8internal21MapNumberOfTrueValuesEPKhlEEiEEEE10hipError_tPvRmT1_T2_T3_mT4_P12ihipStream_tbEUlT_E0_NS1_11comp_targetILNS1_3genE4ELNS1_11target_archE910ELNS1_3gpuE8ELNS1_3repE0EEENS1_30default_config_static_selectorELNS0_4arch9wavefront6targetE1EEEvSQ_,"axG",@progbits,_ZN7rocprim17ROCPRIM_400000_NS6detail17trampoline_kernelINS0_14default_configENS1_22reduce_config_selectorIiEEZNS1_11reduce_implILb1ES3_PiS7_iN6hipcub16HIPCUB_304000_NS6detail34convert_binary_result_type_wrapperISt4plusIvENS9_22TransformInputIteratorIiN2at6native8internal21MapNumberOfTrueValuesEPKhlEEiEEEE10hipError_tPvRmT1_T2_T3_mT4_P12ihipStream_tbEUlT_E0_NS1_11comp_targetILNS1_3genE4ELNS1_11target_archE910ELNS1_3gpuE8ELNS1_3repE0EEENS1_30default_config_static_selectorELNS0_4arch9wavefront6targetE1EEEvSQ_,comdat
	.protected	_ZN7rocprim17ROCPRIM_400000_NS6detail17trampoline_kernelINS0_14default_configENS1_22reduce_config_selectorIiEEZNS1_11reduce_implILb1ES3_PiS7_iN6hipcub16HIPCUB_304000_NS6detail34convert_binary_result_type_wrapperISt4plusIvENS9_22TransformInputIteratorIiN2at6native8internal21MapNumberOfTrueValuesEPKhlEEiEEEE10hipError_tPvRmT1_T2_T3_mT4_P12ihipStream_tbEUlT_E0_NS1_11comp_targetILNS1_3genE4ELNS1_11target_archE910ELNS1_3gpuE8ELNS1_3repE0EEENS1_30default_config_static_selectorELNS0_4arch9wavefront6targetE1EEEvSQ_ ; -- Begin function _ZN7rocprim17ROCPRIM_400000_NS6detail17trampoline_kernelINS0_14default_configENS1_22reduce_config_selectorIiEEZNS1_11reduce_implILb1ES3_PiS7_iN6hipcub16HIPCUB_304000_NS6detail34convert_binary_result_type_wrapperISt4plusIvENS9_22TransformInputIteratorIiN2at6native8internal21MapNumberOfTrueValuesEPKhlEEiEEEE10hipError_tPvRmT1_T2_T3_mT4_P12ihipStream_tbEUlT_E0_NS1_11comp_targetILNS1_3genE4ELNS1_11target_archE910ELNS1_3gpuE8ELNS1_3repE0EEENS1_30default_config_static_selectorELNS0_4arch9wavefront6targetE1EEEvSQ_
	.globl	_ZN7rocprim17ROCPRIM_400000_NS6detail17trampoline_kernelINS0_14default_configENS1_22reduce_config_selectorIiEEZNS1_11reduce_implILb1ES3_PiS7_iN6hipcub16HIPCUB_304000_NS6detail34convert_binary_result_type_wrapperISt4plusIvENS9_22TransformInputIteratorIiN2at6native8internal21MapNumberOfTrueValuesEPKhlEEiEEEE10hipError_tPvRmT1_T2_T3_mT4_P12ihipStream_tbEUlT_E0_NS1_11comp_targetILNS1_3genE4ELNS1_11target_archE910ELNS1_3gpuE8ELNS1_3repE0EEENS1_30default_config_static_selectorELNS0_4arch9wavefront6targetE1EEEvSQ_
	.p2align	8
	.type	_ZN7rocprim17ROCPRIM_400000_NS6detail17trampoline_kernelINS0_14default_configENS1_22reduce_config_selectorIiEEZNS1_11reduce_implILb1ES3_PiS7_iN6hipcub16HIPCUB_304000_NS6detail34convert_binary_result_type_wrapperISt4plusIvENS9_22TransformInputIteratorIiN2at6native8internal21MapNumberOfTrueValuesEPKhlEEiEEEE10hipError_tPvRmT1_T2_T3_mT4_P12ihipStream_tbEUlT_E0_NS1_11comp_targetILNS1_3genE4ELNS1_11target_archE910ELNS1_3gpuE8ELNS1_3repE0EEENS1_30default_config_static_selectorELNS0_4arch9wavefront6targetE1EEEvSQ_,@function
_ZN7rocprim17ROCPRIM_400000_NS6detail17trampoline_kernelINS0_14default_configENS1_22reduce_config_selectorIiEEZNS1_11reduce_implILb1ES3_PiS7_iN6hipcub16HIPCUB_304000_NS6detail34convert_binary_result_type_wrapperISt4plusIvENS9_22TransformInputIteratorIiN2at6native8internal21MapNumberOfTrueValuesEPKhlEEiEEEE10hipError_tPvRmT1_T2_T3_mT4_P12ihipStream_tbEUlT_E0_NS1_11comp_targetILNS1_3genE4ELNS1_11target_archE910ELNS1_3gpuE8ELNS1_3repE0EEENS1_30default_config_static_selectorELNS0_4arch9wavefront6targetE1EEEvSQ_: ; @_ZN7rocprim17ROCPRIM_400000_NS6detail17trampoline_kernelINS0_14default_configENS1_22reduce_config_selectorIiEEZNS1_11reduce_implILb1ES3_PiS7_iN6hipcub16HIPCUB_304000_NS6detail34convert_binary_result_type_wrapperISt4plusIvENS9_22TransformInputIteratorIiN2at6native8internal21MapNumberOfTrueValuesEPKhlEEiEEEE10hipError_tPvRmT1_T2_T3_mT4_P12ihipStream_tbEUlT_E0_NS1_11comp_targetILNS1_3genE4ELNS1_11target_archE910ELNS1_3gpuE8ELNS1_3repE0EEENS1_30default_config_static_selectorELNS0_4arch9wavefront6targetE1EEEvSQ_
; %bb.0:
	.section	.rodata,"a",@progbits
	.p2align	6, 0x0
	.amdhsa_kernel _ZN7rocprim17ROCPRIM_400000_NS6detail17trampoline_kernelINS0_14default_configENS1_22reduce_config_selectorIiEEZNS1_11reduce_implILb1ES3_PiS7_iN6hipcub16HIPCUB_304000_NS6detail34convert_binary_result_type_wrapperISt4plusIvENS9_22TransformInputIteratorIiN2at6native8internal21MapNumberOfTrueValuesEPKhlEEiEEEE10hipError_tPvRmT1_T2_T3_mT4_P12ihipStream_tbEUlT_E0_NS1_11comp_targetILNS1_3genE4ELNS1_11target_archE910ELNS1_3gpuE8ELNS1_3repE0EEENS1_30default_config_static_selectorELNS0_4arch9wavefront6targetE1EEEvSQ_
		.amdhsa_group_segment_fixed_size 0
		.amdhsa_private_segment_fixed_size 0
		.amdhsa_kernarg_size 56
		.amdhsa_user_sgpr_count 2
		.amdhsa_user_sgpr_dispatch_ptr 0
		.amdhsa_user_sgpr_queue_ptr 0
		.amdhsa_user_sgpr_kernarg_segment_ptr 1
		.amdhsa_user_sgpr_dispatch_id 0
		.amdhsa_user_sgpr_kernarg_preload_length 0
		.amdhsa_user_sgpr_kernarg_preload_offset 0
		.amdhsa_user_sgpr_private_segment_size 0
		.amdhsa_uses_dynamic_stack 0
		.amdhsa_enable_private_segment 0
		.amdhsa_system_sgpr_workgroup_id_x 1
		.amdhsa_system_sgpr_workgroup_id_y 0
		.amdhsa_system_sgpr_workgroup_id_z 0
		.amdhsa_system_sgpr_workgroup_info 0
		.amdhsa_system_vgpr_workitem_id 0
		.amdhsa_next_free_vgpr 1
		.amdhsa_next_free_sgpr 0
		.amdhsa_accum_offset 4
		.amdhsa_reserve_vcc 0
		.amdhsa_float_round_mode_32 0
		.amdhsa_float_round_mode_16_64 0
		.amdhsa_float_denorm_mode_32 3
		.amdhsa_float_denorm_mode_16_64 3
		.amdhsa_dx10_clamp 1
		.amdhsa_ieee_mode 1
		.amdhsa_fp16_overflow 0
		.amdhsa_tg_split 0
		.amdhsa_exception_fp_ieee_invalid_op 0
		.amdhsa_exception_fp_denorm_src 0
		.amdhsa_exception_fp_ieee_div_zero 0
		.amdhsa_exception_fp_ieee_overflow 0
		.amdhsa_exception_fp_ieee_underflow 0
		.amdhsa_exception_fp_ieee_inexact 0
		.amdhsa_exception_int_div_zero 0
	.end_amdhsa_kernel
	.section	.text._ZN7rocprim17ROCPRIM_400000_NS6detail17trampoline_kernelINS0_14default_configENS1_22reduce_config_selectorIiEEZNS1_11reduce_implILb1ES3_PiS7_iN6hipcub16HIPCUB_304000_NS6detail34convert_binary_result_type_wrapperISt4plusIvENS9_22TransformInputIteratorIiN2at6native8internal21MapNumberOfTrueValuesEPKhlEEiEEEE10hipError_tPvRmT1_T2_T3_mT4_P12ihipStream_tbEUlT_E0_NS1_11comp_targetILNS1_3genE4ELNS1_11target_archE910ELNS1_3gpuE8ELNS1_3repE0EEENS1_30default_config_static_selectorELNS0_4arch9wavefront6targetE1EEEvSQ_,"axG",@progbits,_ZN7rocprim17ROCPRIM_400000_NS6detail17trampoline_kernelINS0_14default_configENS1_22reduce_config_selectorIiEEZNS1_11reduce_implILb1ES3_PiS7_iN6hipcub16HIPCUB_304000_NS6detail34convert_binary_result_type_wrapperISt4plusIvENS9_22TransformInputIteratorIiN2at6native8internal21MapNumberOfTrueValuesEPKhlEEiEEEE10hipError_tPvRmT1_T2_T3_mT4_P12ihipStream_tbEUlT_E0_NS1_11comp_targetILNS1_3genE4ELNS1_11target_archE910ELNS1_3gpuE8ELNS1_3repE0EEENS1_30default_config_static_selectorELNS0_4arch9wavefront6targetE1EEEvSQ_,comdat
.Lfunc_end99:
	.size	_ZN7rocprim17ROCPRIM_400000_NS6detail17trampoline_kernelINS0_14default_configENS1_22reduce_config_selectorIiEEZNS1_11reduce_implILb1ES3_PiS7_iN6hipcub16HIPCUB_304000_NS6detail34convert_binary_result_type_wrapperISt4plusIvENS9_22TransformInputIteratorIiN2at6native8internal21MapNumberOfTrueValuesEPKhlEEiEEEE10hipError_tPvRmT1_T2_T3_mT4_P12ihipStream_tbEUlT_E0_NS1_11comp_targetILNS1_3genE4ELNS1_11target_archE910ELNS1_3gpuE8ELNS1_3repE0EEENS1_30default_config_static_selectorELNS0_4arch9wavefront6targetE1EEEvSQ_, .Lfunc_end99-_ZN7rocprim17ROCPRIM_400000_NS6detail17trampoline_kernelINS0_14default_configENS1_22reduce_config_selectorIiEEZNS1_11reduce_implILb1ES3_PiS7_iN6hipcub16HIPCUB_304000_NS6detail34convert_binary_result_type_wrapperISt4plusIvENS9_22TransformInputIteratorIiN2at6native8internal21MapNumberOfTrueValuesEPKhlEEiEEEE10hipError_tPvRmT1_T2_T3_mT4_P12ihipStream_tbEUlT_E0_NS1_11comp_targetILNS1_3genE4ELNS1_11target_archE910ELNS1_3gpuE8ELNS1_3repE0EEENS1_30default_config_static_selectorELNS0_4arch9wavefront6targetE1EEEvSQ_
                                        ; -- End function
	.section	.AMDGPU.csdata,"",@progbits
; Kernel info:
; codeLenInByte = 0
; NumSgprs: 6
; NumVgprs: 0
; NumAgprs: 0
; TotalNumVgprs: 0
; ScratchSize: 0
; MemoryBound: 0
; FloatMode: 240
; IeeeMode: 1
; LDSByteSize: 0 bytes/workgroup (compile time only)
; SGPRBlocks: 0
; VGPRBlocks: 0
; NumSGPRsForWavesPerEU: 6
; NumVGPRsForWavesPerEU: 1
; AccumOffset: 4
; Occupancy: 8
; WaveLimiterHint : 0
; COMPUTE_PGM_RSRC2:SCRATCH_EN: 0
; COMPUTE_PGM_RSRC2:USER_SGPR: 2
; COMPUTE_PGM_RSRC2:TRAP_HANDLER: 0
; COMPUTE_PGM_RSRC2:TGID_X_EN: 1
; COMPUTE_PGM_RSRC2:TGID_Y_EN: 0
; COMPUTE_PGM_RSRC2:TGID_Z_EN: 0
; COMPUTE_PGM_RSRC2:TIDIG_COMP_CNT: 0
; COMPUTE_PGM_RSRC3_GFX90A:ACCUM_OFFSET: 0
; COMPUTE_PGM_RSRC3_GFX90A:TG_SPLIT: 0
	.section	.text._ZN7rocprim17ROCPRIM_400000_NS6detail17trampoline_kernelINS0_14default_configENS1_22reduce_config_selectorIiEEZNS1_11reduce_implILb1ES3_PiS7_iN6hipcub16HIPCUB_304000_NS6detail34convert_binary_result_type_wrapperISt4plusIvENS9_22TransformInputIteratorIiN2at6native8internal21MapNumberOfTrueValuesEPKhlEEiEEEE10hipError_tPvRmT1_T2_T3_mT4_P12ihipStream_tbEUlT_E0_NS1_11comp_targetILNS1_3genE3ELNS1_11target_archE908ELNS1_3gpuE7ELNS1_3repE0EEENS1_30default_config_static_selectorELNS0_4arch9wavefront6targetE1EEEvSQ_,"axG",@progbits,_ZN7rocprim17ROCPRIM_400000_NS6detail17trampoline_kernelINS0_14default_configENS1_22reduce_config_selectorIiEEZNS1_11reduce_implILb1ES3_PiS7_iN6hipcub16HIPCUB_304000_NS6detail34convert_binary_result_type_wrapperISt4plusIvENS9_22TransformInputIteratorIiN2at6native8internal21MapNumberOfTrueValuesEPKhlEEiEEEE10hipError_tPvRmT1_T2_T3_mT4_P12ihipStream_tbEUlT_E0_NS1_11comp_targetILNS1_3genE3ELNS1_11target_archE908ELNS1_3gpuE7ELNS1_3repE0EEENS1_30default_config_static_selectorELNS0_4arch9wavefront6targetE1EEEvSQ_,comdat
	.protected	_ZN7rocprim17ROCPRIM_400000_NS6detail17trampoline_kernelINS0_14default_configENS1_22reduce_config_selectorIiEEZNS1_11reduce_implILb1ES3_PiS7_iN6hipcub16HIPCUB_304000_NS6detail34convert_binary_result_type_wrapperISt4plusIvENS9_22TransformInputIteratorIiN2at6native8internal21MapNumberOfTrueValuesEPKhlEEiEEEE10hipError_tPvRmT1_T2_T3_mT4_P12ihipStream_tbEUlT_E0_NS1_11comp_targetILNS1_3genE3ELNS1_11target_archE908ELNS1_3gpuE7ELNS1_3repE0EEENS1_30default_config_static_selectorELNS0_4arch9wavefront6targetE1EEEvSQ_ ; -- Begin function _ZN7rocprim17ROCPRIM_400000_NS6detail17trampoline_kernelINS0_14default_configENS1_22reduce_config_selectorIiEEZNS1_11reduce_implILb1ES3_PiS7_iN6hipcub16HIPCUB_304000_NS6detail34convert_binary_result_type_wrapperISt4plusIvENS9_22TransformInputIteratorIiN2at6native8internal21MapNumberOfTrueValuesEPKhlEEiEEEE10hipError_tPvRmT1_T2_T3_mT4_P12ihipStream_tbEUlT_E0_NS1_11comp_targetILNS1_3genE3ELNS1_11target_archE908ELNS1_3gpuE7ELNS1_3repE0EEENS1_30default_config_static_selectorELNS0_4arch9wavefront6targetE1EEEvSQ_
	.globl	_ZN7rocprim17ROCPRIM_400000_NS6detail17trampoline_kernelINS0_14default_configENS1_22reduce_config_selectorIiEEZNS1_11reduce_implILb1ES3_PiS7_iN6hipcub16HIPCUB_304000_NS6detail34convert_binary_result_type_wrapperISt4plusIvENS9_22TransformInputIteratorIiN2at6native8internal21MapNumberOfTrueValuesEPKhlEEiEEEE10hipError_tPvRmT1_T2_T3_mT4_P12ihipStream_tbEUlT_E0_NS1_11comp_targetILNS1_3genE3ELNS1_11target_archE908ELNS1_3gpuE7ELNS1_3repE0EEENS1_30default_config_static_selectorELNS0_4arch9wavefront6targetE1EEEvSQ_
	.p2align	8
	.type	_ZN7rocprim17ROCPRIM_400000_NS6detail17trampoline_kernelINS0_14default_configENS1_22reduce_config_selectorIiEEZNS1_11reduce_implILb1ES3_PiS7_iN6hipcub16HIPCUB_304000_NS6detail34convert_binary_result_type_wrapperISt4plusIvENS9_22TransformInputIteratorIiN2at6native8internal21MapNumberOfTrueValuesEPKhlEEiEEEE10hipError_tPvRmT1_T2_T3_mT4_P12ihipStream_tbEUlT_E0_NS1_11comp_targetILNS1_3genE3ELNS1_11target_archE908ELNS1_3gpuE7ELNS1_3repE0EEENS1_30default_config_static_selectorELNS0_4arch9wavefront6targetE1EEEvSQ_,@function
_ZN7rocprim17ROCPRIM_400000_NS6detail17trampoline_kernelINS0_14default_configENS1_22reduce_config_selectorIiEEZNS1_11reduce_implILb1ES3_PiS7_iN6hipcub16HIPCUB_304000_NS6detail34convert_binary_result_type_wrapperISt4plusIvENS9_22TransformInputIteratorIiN2at6native8internal21MapNumberOfTrueValuesEPKhlEEiEEEE10hipError_tPvRmT1_T2_T3_mT4_P12ihipStream_tbEUlT_E0_NS1_11comp_targetILNS1_3genE3ELNS1_11target_archE908ELNS1_3gpuE7ELNS1_3repE0EEENS1_30default_config_static_selectorELNS0_4arch9wavefront6targetE1EEEvSQ_: ; @_ZN7rocprim17ROCPRIM_400000_NS6detail17trampoline_kernelINS0_14default_configENS1_22reduce_config_selectorIiEEZNS1_11reduce_implILb1ES3_PiS7_iN6hipcub16HIPCUB_304000_NS6detail34convert_binary_result_type_wrapperISt4plusIvENS9_22TransformInputIteratorIiN2at6native8internal21MapNumberOfTrueValuesEPKhlEEiEEEE10hipError_tPvRmT1_T2_T3_mT4_P12ihipStream_tbEUlT_E0_NS1_11comp_targetILNS1_3genE3ELNS1_11target_archE908ELNS1_3gpuE7ELNS1_3repE0EEENS1_30default_config_static_selectorELNS0_4arch9wavefront6targetE1EEEvSQ_
; %bb.0:
	.section	.rodata,"a",@progbits
	.p2align	6, 0x0
	.amdhsa_kernel _ZN7rocprim17ROCPRIM_400000_NS6detail17trampoline_kernelINS0_14default_configENS1_22reduce_config_selectorIiEEZNS1_11reduce_implILb1ES3_PiS7_iN6hipcub16HIPCUB_304000_NS6detail34convert_binary_result_type_wrapperISt4plusIvENS9_22TransformInputIteratorIiN2at6native8internal21MapNumberOfTrueValuesEPKhlEEiEEEE10hipError_tPvRmT1_T2_T3_mT4_P12ihipStream_tbEUlT_E0_NS1_11comp_targetILNS1_3genE3ELNS1_11target_archE908ELNS1_3gpuE7ELNS1_3repE0EEENS1_30default_config_static_selectorELNS0_4arch9wavefront6targetE1EEEvSQ_
		.amdhsa_group_segment_fixed_size 0
		.amdhsa_private_segment_fixed_size 0
		.amdhsa_kernarg_size 56
		.amdhsa_user_sgpr_count 2
		.amdhsa_user_sgpr_dispatch_ptr 0
		.amdhsa_user_sgpr_queue_ptr 0
		.amdhsa_user_sgpr_kernarg_segment_ptr 1
		.amdhsa_user_sgpr_dispatch_id 0
		.amdhsa_user_sgpr_kernarg_preload_length 0
		.amdhsa_user_sgpr_kernarg_preload_offset 0
		.amdhsa_user_sgpr_private_segment_size 0
		.amdhsa_uses_dynamic_stack 0
		.amdhsa_enable_private_segment 0
		.amdhsa_system_sgpr_workgroup_id_x 1
		.amdhsa_system_sgpr_workgroup_id_y 0
		.amdhsa_system_sgpr_workgroup_id_z 0
		.amdhsa_system_sgpr_workgroup_info 0
		.amdhsa_system_vgpr_workitem_id 0
		.amdhsa_next_free_vgpr 1
		.amdhsa_next_free_sgpr 0
		.amdhsa_accum_offset 4
		.amdhsa_reserve_vcc 0
		.amdhsa_float_round_mode_32 0
		.amdhsa_float_round_mode_16_64 0
		.amdhsa_float_denorm_mode_32 3
		.amdhsa_float_denorm_mode_16_64 3
		.amdhsa_dx10_clamp 1
		.amdhsa_ieee_mode 1
		.amdhsa_fp16_overflow 0
		.amdhsa_tg_split 0
		.amdhsa_exception_fp_ieee_invalid_op 0
		.amdhsa_exception_fp_denorm_src 0
		.amdhsa_exception_fp_ieee_div_zero 0
		.amdhsa_exception_fp_ieee_overflow 0
		.amdhsa_exception_fp_ieee_underflow 0
		.amdhsa_exception_fp_ieee_inexact 0
		.amdhsa_exception_int_div_zero 0
	.end_amdhsa_kernel
	.section	.text._ZN7rocprim17ROCPRIM_400000_NS6detail17trampoline_kernelINS0_14default_configENS1_22reduce_config_selectorIiEEZNS1_11reduce_implILb1ES3_PiS7_iN6hipcub16HIPCUB_304000_NS6detail34convert_binary_result_type_wrapperISt4plusIvENS9_22TransformInputIteratorIiN2at6native8internal21MapNumberOfTrueValuesEPKhlEEiEEEE10hipError_tPvRmT1_T2_T3_mT4_P12ihipStream_tbEUlT_E0_NS1_11comp_targetILNS1_3genE3ELNS1_11target_archE908ELNS1_3gpuE7ELNS1_3repE0EEENS1_30default_config_static_selectorELNS0_4arch9wavefront6targetE1EEEvSQ_,"axG",@progbits,_ZN7rocprim17ROCPRIM_400000_NS6detail17trampoline_kernelINS0_14default_configENS1_22reduce_config_selectorIiEEZNS1_11reduce_implILb1ES3_PiS7_iN6hipcub16HIPCUB_304000_NS6detail34convert_binary_result_type_wrapperISt4plusIvENS9_22TransformInputIteratorIiN2at6native8internal21MapNumberOfTrueValuesEPKhlEEiEEEE10hipError_tPvRmT1_T2_T3_mT4_P12ihipStream_tbEUlT_E0_NS1_11comp_targetILNS1_3genE3ELNS1_11target_archE908ELNS1_3gpuE7ELNS1_3repE0EEENS1_30default_config_static_selectorELNS0_4arch9wavefront6targetE1EEEvSQ_,comdat
.Lfunc_end100:
	.size	_ZN7rocprim17ROCPRIM_400000_NS6detail17trampoline_kernelINS0_14default_configENS1_22reduce_config_selectorIiEEZNS1_11reduce_implILb1ES3_PiS7_iN6hipcub16HIPCUB_304000_NS6detail34convert_binary_result_type_wrapperISt4plusIvENS9_22TransformInputIteratorIiN2at6native8internal21MapNumberOfTrueValuesEPKhlEEiEEEE10hipError_tPvRmT1_T2_T3_mT4_P12ihipStream_tbEUlT_E0_NS1_11comp_targetILNS1_3genE3ELNS1_11target_archE908ELNS1_3gpuE7ELNS1_3repE0EEENS1_30default_config_static_selectorELNS0_4arch9wavefront6targetE1EEEvSQ_, .Lfunc_end100-_ZN7rocprim17ROCPRIM_400000_NS6detail17trampoline_kernelINS0_14default_configENS1_22reduce_config_selectorIiEEZNS1_11reduce_implILb1ES3_PiS7_iN6hipcub16HIPCUB_304000_NS6detail34convert_binary_result_type_wrapperISt4plusIvENS9_22TransformInputIteratorIiN2at6native8internal21MapNumberOfTrueValuesEPKhlEEiEEEE10hipError_tPvRmT1_T2_T3_mT4_P12ihipStream_tbEUlT_E0_NS1_11comp_targetILNS1_3genE3ELNS1_11target_archE908ELNS1_3gpuE7ELNS1_3repE0EEENS1_30default_config_static_selectorELNS0_4arch9wavefront6targetE1EEEvSQ_
                                        ; -- End function
	.section	.AMDGPU.csdata,"",@progbits
; Kernel info:
; codeLenInByte = 0
; NumSgprs: 6
; NumVgprs: 0
; NumAgprs: 0
; TotalNumVgprs: 0
; ScratchSize: 0
; MemoryBound: 0
; FloatMode: 240
; IeeeMode: 1
; LDSByteSize: 0 bytes/workgroup (compile time only)
; SGPRBlocks: 0
; VGPRBlocks: 0
; NumSGPRsForWavesPerEU: 6
; NumVGPRsForWavesPerEU: 1
; AccumOffset: 4
; Occupancy: 8
; WaveLimiterHint : 0
; COMPUTE_PGM_RSRC2:SCRATCH_EN: 0
; COMPUTE_PGM_RSRC2:USER_SGPR: 2
; COMPUTE_PGM_RSRC2:TRAP_HANDLER: 0
; COMPUTE_PGM_RSRC2:TGID_X_EN: 1
; COMPUTE_PGM_RSRC2:TGID_Y_EN: 0
; COMPUTE_PGM_RSRC2:TGID_Z_EN: 0
; COMPUTE_PGM_RSRC2:TIDIG_COMP_CNT: 0
; COMPUTE_PGM_RSRC3_GFX90A:ACCUM_OFFSET: 0
; COMPUTE_PGM_RSRC3_GFX90A:TG_SPLIT: 0
	.section	.text._ZN7rocprim17ROCPRIM_400000_NS6detail17trampoline_kernelINS0_14default_configENS1_22reduce_config_selectorIiEEZNS1_11reduce_implILb1ES3_PiS7_iN6hipcub16HIPCUB_304000_NS6detail34convert_binary_result_type_wrapperISt4plusIvENS9_22TransformInputIteratorIiN2at6native8internal21MapNumberOfTrueValuesEPKhlEEiEEEE10hipError_tPvRmT1_T2_T3_mT4_P12ihipStream_tbEUlT_E0_NS1_11comp_targetILNS1_3genE2ELNS1_11target_archE906ELNS1_3gpuE6ELNS1_3repE0EEENS1_30default_config_static_selectorELNS0_4arch9wavefront6targetE1EEEvSQ_,"axG",@progbits,_ZN7rocprim17ROCPRIM_400000_NS6detail17trampoline_kernelINS0_14default_configENS1_22reduce_config_selectorIiEEZNS1_11reduce_implILb1ES3_PiS7_iN6hipcub16HIPCUB_304000_NS6detail34convert_binary_result_type_wrapperISt4plusIvENS9_22TransformInputIteratorIiN2at6native8internal21MapNumberOfTrueValuesEPKhlEEiEEEE10hipError_tPvRmT1_T2_T3_mT4_P12ihipStream_tbEUlT_E0_NS1_11comp_targetILNS1_3genE2ELNS1_11target_archE906ELNS1_3gpuE6ELNS1_3repE0EEENS1_30default_config_static_selectorELNS0_4arch9wavefront6targetE1EEEvSQ_,comdat
	.protected	_ZN7rocprim17ROCPRIM_400000_NS6detail17trampoline_kernelINS0_14default_configENS1_22reduce_config_selectorIiEEZNS1_11reduce_implILb1ES3_PiS7_iN6hipcub16HIPCUB_304000_NS6detail34convert_binary_result_type_wrapperISt4plusIvENS9_22TransformInputIteratorIiN2at6native8internal21MapNumberOfTrueValuesEPKhlEEiEEEE10hipError_tPvRmT1_T2_T3_mT4_P12ihipStream_tbEUlT_E0_NS1_11comp_targetILNS1_3genE2ELNS1_11target_archE906ELNS1_3gpuE6ELNS1_3repE0EEENS1_30default_config_static_selectorELNS0_4arch9wavefront6targetE1EEEvSQ_ ; -- Begin function _ZN7rocprim17ROCPRIM_400000_NS6detail17trampoline_kernelINS0_14default_configENS1_22reduce_config_selectorIiEEZNS1_11reduce_implILb1ES3_PiS7_iN6hipcub16HIPCUB_304000_NS6detail34convert_binary_result_type_wrapperISt4plusIvENS9_22TransformInputIteratorIiN2at6native8internal21MapNumberOfTrueValuesEPKhlEEiEEEE10hipError_tPvRmT1_T2_T3_mT4_P12ihipStream_tbEUlT_E0_NS1_11comp_targetILNS1_3genE2ELNS1_11target_archE906ELNS1_3gpuE6ELNS1_3repE0EEENS1_30default_config_static_selectorELNS0_4arch9wavefront6targetE1EEEvSQ_
	.globl	_ZN7rocprim17ROCPRIM_400000_NS6detail17trampoline_kernelINS0_14default_configENS1_22reduce_config_selectorIiEEZNS1_11reduce_implILb1ES3_PiS7_iN6hipcub16HIPCUB_304000_NS6detail34convert_binary_result_type_wrapperISt4plusIvENS9_22TransformInputIteratorIiN2at6native8internal21MapNumberOfTrueValuesEPKhlEEiEEEE10hipError_tPvRmT1_T2_T3_mT4_P12ihipStream_tbEUlT_E0_NS1_11comp_targetILNS1_3genE2ELNS1_11target_archE906ELNS1_3gpuE6ELNS1_3repE0EEENS1_30default_config_static_selectorELNS0_4arch9wavefront6targetE1EEEvSQ_
	.p2align	8
	.type	_ZN7rocprim17ROCPRIM_400000_NS6detail17trampoline_kernelINS0_14default_configENS1_22reduce_config_selectorIiEEZNS1_11reduce_implILb1ES3_PiS7_iN6hipcub16HIPCUB_304000_NS6detail34convert_binary_result_type_wrapperISt4plusIvENS9_22TransformInputIteratorIiN2at6native8internal21MapNumberOfTrueValuesEPKhlEEiEEEE10hipError_tPvRmT1_T2_T3_mT4_P12ihipStream_tbEUlT_E0_NS1_11comp_targetILNS1_3genE2ELNS1_11target_archE906ELNS1_3gpuE6ELNS1_3repE0EEENS1_30default_config_static_selectorELNS0_4arch9wavefront6targetE1EEEvSQ_,@function
_ZN7rocprim17ROCPRIM_400000_NS6detail17trampoline_kernelINS0_14default_configENS1_22reduce_config_selectorIiEEZNS1_11reduce_implILb1ES3_PiS7_iN6hipcub16HIPCUB_304000_NS6detail34convert_binary_result_type_wrapperISt4plusIvENS9_22TransformInputIteratorIiN2at6native8internal21MapNumberOfTrueValuesEPKhlEEiEEEE10hipError_tPvRmT1_T2_T3_mT4_P12ihipStream_tbEUlT_E0_NS1_11comp_targetILNS1_3genE2ELNS1_11target_archE906ELNS1_3gpuE6ELNS1_3repE0EEENS1_30default_config_static_selectorELNS0_4arch9wavefront6targetE1EEEvSQ_: ; @_ZN7rocprim17ROCPRIM_400000_NS6detail17trampoline_kernelINS0_14default_configENS1_22reduce_config_selectorIiEEZNS1_11reduce_implILb1ES3_PiS7_iN6hipcub16HIPCUB_304000_NS6detail34convert_binary_result_type_wrapperISt4plusIvENS9_22TransformInputIteratorIiN2at6native8internal21MapNumberOfTrueValuesEPKhlEEiEEEE10hipError_tPvRmT1_T2_T3_mT4_P12ihipStream_tbEUlT_E0_NS1_11comp_targetILNS1_3genE2ELNS1_11target_archE906ELNS1_3gpuE6ELNS1_3repE0EEENS1_30default_config_static_selectorELNS0_4arch9wavefront6targetE1EEEvSQ_
; %bb.0:
	.section	.rodata,"a",@progbits
	.p2align	6, 0x0
	.amdhsa_kernel _ZN7rocprim17ROCPRIM_400000_NS6detail17trampoline_kernelINS0_14default_configENS1_22reduce_config_selectorIiEEZNS1_11reduce_implILb1ES3_PiS7_iN6hipcub16HIPCUB_304000_NS6detail34convert_binary_result_type_wrapperISt4plusIvENS9_22TransformInputIteratorIiN2at6native8internal21MapNumberOfTrueValuesEPKhlEEiEEEE10hipError_tPvRmT1_T2_T3_mT4_P12ihipStream_tbEUlT_E0_NS1_11comp_targetILNS1_3genE2ELNS1_11target_archE906ELNS1_3gpuE6ELNS1_3repE0EEENS1_30default_config_static_selectorELNS0_4arch9wavefront6targetE1EEEvSQ_
		.amdhsa_group_segment_fixed_size 0
		.amdhsa_private_segment_fixed_size 0
		.amdhsa_kernarg_size 56
		.amdhsa_user_sgpr_count 2
		.amdhsa_user_sgpr_dispatch_ptr 0
		.amdhsa_user_sgpr_queue_ptr 0
		.amdhsa_user_sgpr_kernarg_segment_ptr 1
		.amdhsa_user_sgpr_dispatch_id 0
		.amdhsa_user_sgpr_kernarg_preload_length 0
		.amdhsa_user_sgpr_kernarg_preload_offset 0
		.amdhsa_user_sgpr_private_segment_size 0
		.amdhsa_uses_dynamic_stack 0
		.amdhsa_enable_private_segment 0
		.amdhsa_system_sgpr_workgroup_id_x 1
		.amdhsa_system_sgpr_workgroup_id_y 0
		.amdhsa_system_sgpr_workgroup_id_z 0
		.amdhsa_system_sgpr_workgroup_info 0
		.amdhsa_system_vgpr_workitem_id 0
		.amdhsa_next_free_vgpr 1
		.amdhsa_next_free_sgpr 0
		.amdhsa_accum_offset 4
		.amdhsa_reserve_vcc 0
		.amdhsa_float_round_mode_32 0
		.amdhsa_float_round_mode_16_64 0
		.amdhsa_float_denorm_mode_32 3
		.amdhsa_float_denorm_mode_16_64 3
		.amdhsa_dx10_clamp 1
		.amdhsa_ieee_mode 1
		.amdhsa_fp16_overflow 0
		.amdhsa_tg_split 0
		.amdhsa_exception_fp_ieee_invalid_op 0
		.amdhsa_exception_fp_denorm_src 0
		.amdhsa_exception_fp_ieee_div_zero 0
		.amdhsa_exception_fp_ieee_overflow 0
		.amdhsa_exception_fp_ieee_underflow 0
		.amdhsa_exception_fp_ieee_inexact 0
		.amdhsa_exception_int_div_zero 0
	.end_amdhsa_kernel
	.section	.text._ZN7rocprim17ROCPRIM_400000_NS6detail17trampoline_kernelINS0_14default_configENS1_22reduce_config_selectorIiEEZNS1_11reduce_implILb1ES3_PiS7_iN6hipcub16HIPCUB_304000_NS6detail34convert_binary_result_type_wrapperISt4plusIvENS9_22TransformInputIteratorIiN2at6native8internal21MapNumberOfTrueValuesEPKhlEEiEEEE10hipError_tPvRmT1_T2_T3_mT4_P12ihipStream_tbEUlT_E0_NS1_11comp_targetILNS1_3genE2ELNS1_11target_archE906ELNS1_3gpuE6ELNS1_3repE0EEENS1_30default_config_static_selectorELNS0_4arch9wavefront6targetE1EEEvSQ_,"axG",@progbits,_ZN7rocprim17ROCPRIM_400000_NS6detail17trampoline_kernelINS0_14default_configENS1_22reduce_config_selectorIiEEZNS1_11reduce_implILb1ES3_PiS7_iN6hipcub16HIPCUB_304000_NS6detail34convert_binary_result_type_wrapperISt4plusIvENS9_22TransformInputIteratorIiN2at6native8internal21MapNumberOfTrueValuesEPKhlEEiEEEE10hipError_tPvRmT1_T2_T3_mT4_P12ihipStream_tbEUlT_E0_NS1_11comp_targetILNS1_3genE2ELNS1_11target_archE906ELNS1_3gpuE6ELNS1_3repE0EEENS1_30default_config_static_selectorELNS0_4arch9wavefront6targetE1EEEvSQ_,comdat
.Lfunc_end101:
	.size	_ZN7rocprim17ROCPRIM_400000_NS6detail17trampoline_kernelINS0_14default_configENS1_22reduce_config_selectorIiEEZNS1_11reduce_implILb1ES3_PiS7_iN6hipcub16HIPCUB_304000_NS6detail34convert_binary_result_type_wrapperISt4plusIvENS9_22TransformInputIteratorIiN2at6native8internal21MapNumberOfTrueValuesEPKhlEEiEEEE10hipError_tPvRmT1_T2_T3_mT4_P12ihipStream_tbEUlT_E0_NS1_11comp_targetILNS1_3genE2ELNS1_11target_archE906ELNS1_3gpuE6ELNS1_3repE0EEENS1_30default_config_static_selectorELNS0_4arch9wavefront6targetE1EEEvSQ_, .Lfunc_end101-_ZN7rocprim17ROCPRIM_400000_NS6detail17trampoline_kernelINS0_14default_configENS1_22reduce_config_selectorIiEEZNS1_11reduce_implILb1ES3_PiS7_iN6hipcub16HIPCUB_304000_NS6detail34convert_binary_result_type_wrapperISt4plusIvENS9_22TransformInputIteratorIiN2at6native8internal21MapNumberOfTrueValuesEPKhlEEiEEEE10hipError_tPvRmT1_T2_T3_mT4_P12ihipStream_tbEUlT_E0_NS1_11comp_targetILNS1_3genE2ELNS1_11target_archE906ELNS1_3gpuE6ELNS1_3repE0EEENS1_30default_config_static_selectorELNS0_4arch9wavefront6targetE1EEEvSQ_
                                        ; -- End function
	.section	.AMDGPU.csdata,"",@progbits
; Kernel info:
; codeLenInByte = 0
; NumSgprs: 6
; NumVgprs: 0
; NumAgprs: 0
; TotalNumVgprs: 0
; ScratchSize: 0
; MemoryBound: 0
; FloatMode: 240
; IeeeMode: 1
; LDSByteSize: 0 bytes/workgroup (compile time only)
; SGPRBlocks: 0
; VGPRBlocks: 0
; NumSGPRsForWavesPerEU: 6
; NumVGPRsForWavesPerEU: 1
; AccumOffset: 4
; Occupancy: 8
; WaveLimiterHint : 0
; COMPUTE_PGM_RSRC2:SCRATCH_EN: 0
; COMPUTE_PGM_RSRC2:USER_SGPR: 2
; COMPUTE_PGM_RSRC2:TRAP_HANDLER: 0
; COMPUTE_PGM_RSRC2:TGID_X_EN: 1
; COMPUTE_PGM_RSRC2:TGID_Y_EN: 0
; COMPUTE_PGM_RSRC2:TGID_Z_EN: 0
; COMPUTE_PGM_RSRC2:TIDIG_COMP_CNT: 0
; COMPUTE_PGM_RSRC3_GFX90A:ACCUM_OFFSET: 0
; COMPUTE_PGM_RSRC3_GFX90A:TG_SPLIT: 0
	.section	.text._ZN7rocprim17ROCPRIM_400000_NS6detail17trampoline_kernelINS0_14default_configENS1_22reduce_config_selectorIiEEZNS1_11reduce_implILb1ES3_PiS7_iN6hipcub16HIPCUB_304000_NS6detail34convert_binary_result_type_wrapperISt4plusIvENS9_22TransformInputIteratorIiN2at6native8internal21MapNumberOfTrueValuesEPKhlEEiEEEE10hipError_tPvRmT1_T2_T3_mT4_P12ihipStream_tbEUlT_E0_NS1_11comp_targetILNS1_3genE10ELNS1_11target_archE1201ELNS1_3gpuE5ELNS1_3repE0EEENS1_30default_config_static_selectorELNS0_4arch9wavefront6targetE1EEEvSQ_,"axG",@progbits,_ZN7rocprim17ROCPRIM_400000_NS6detail17trampoline_kernelINS0_14default_configENS1_22reduce_config_selectorIiEEZNS1_11reduce_implILb1ES3_PiS7_iN6hipcub16HIPCUB_304000_NS6detail34convert_binary_result_type_wrapperISt4plusIvENS9_22TransformInputIteratorIiN2at6native8internal21MapNumberOfTrueValuesEPKhlEEiEEEE10hipError_tPvRmT1_T2_T3_mT4_P12ihipStream_tbEUlT_E0_NS1_11comp_targetILNS1_3genE10ELNS1_11target_archE1201ELNS1_3gpuE5ELNS1_3repE0EEENS1_30default_config_static_selectorELNS0_4arch9wavefront6targetE1EEEvSQ_,comdat
	.protected	_ZN7rocprim17ROCPRIM_400000_NS6detail17trampoline_kernelINS0_14default_configENS1_22reduce_config_selectorIiEEZNS1_11reduce_implILb1ES3_PiS7_iN6hipcub16HIPCUB_304000_NS6detail34convert_binary_result_type_wrapperISt4plusIvENS9_22TransformInputIteratorIiN2at6native8internal21MapNumberOfTrueValuesEPKhlEEiEEEE10hipError_tPvRmT1_T2_T3_mT4_P12ihipStream_tbEUlT_E0_NS1_11comp_targetILNS1_3genE10ELNS1_11target_archE1201ELNS1_3gpuE5ELNS1_3repE0EEENS1_30default_config_static_selectorELNS0_4arch9wavefront6targetE1EEEvSQ_ ; -- Begin function _ZN7rocprim17ROCPRIM_400000_NS6detail17trampoline_kernelINS0_14default_configENS1_22reduce_config_selectorIiEEZNS1_11reduce_implILb1ES3_PiS7_iN6hipcub16HIPCUB_304000_NS6detail34convert_binary_result_type_wrapperISt4plusIvENS9_22TransformInputIteratorIiN2at6native8internal21MapNumberOfTrueValuesEPKhlEEiEEEE10hipError_tPvRmT1_T2_T3_mT4_P12ihipStream_tbEUlT_E0_NS1_11comp_targetILNS1_3genE10ELNS1_11target_archE1201ELNS1_3gpuE5ELNS1_3repE0EEENS1_30default_config_static_selectorELNS0_4arch9wavefront6targetE1EEEvSQ_
	.globl	_ZN7rocprim17ROCPRIM_400000_NS6detail17trampoline_kernelINS0_14default_configENS1_22reduce_config_selectorIiEEZNS1_11reduce_implILb1ES3_PiS7_iN6hipcub16HIPCUB_304000_NS6detail34convert_binary_result_type_wrapperISt4plusIvENS9_22TransformInputIteratorIiN2at6native8internal21MapNumberOfTrueValuesEPKhlEEiEEEE10hipError_tPvRmT1_T2_T3_mT4_P12ihipStream_tbEUlT_E0_NS1_11comp_targetILNS1_3genE10ELNS1_11target_archE1201ELNS1_3gpuE5ELNS1_3repE0EEENS1_30default_config_static_selectorELNS0_4arch9wavefront6targetE1EEEvSQ_
	.p2align	8
	.type	_ZN7rocprim17ROCPRIM_400000_NS6detail17trampoline_kernelINS0_14default_configENS1_22reduce_config_selectorIiEEZNS1_11reduce_implILb1ES3_PiS7_iN6hipcub16HIPCUB_304000_NS6detail34convert_binary_result_type_wrapperISt4plusIvENS9_22TransformInputIteratorIiN2at6native8internal21MapNumberOfTrueValuesEPKhlEEiEEEE10hipError_tPvRmT1_T2_T3_mT4_P12ihipStream_tbEUlT_E0_NS1_11comp_targetILNS1_3genE10ELNS1_11target_archE1201ELNS1_3gpuE5ELNS1_3repE0EEENS1_30default_config_static_selectorELNS0_4arch9wavefront6targetE1EEEvSQ_,@function
_ZN7rocprim17ROCPRIM_400000_NS6detail17trampoline_kernelINS0_14default_configENS1_22reduce_config_selectorIiEEZNS1_11reduce_implILb1ES3_PiS7_iN6hipcub16HIPCUB_304000_NS6detail34convert_binary_result_type_wrapperISt4plusIvENS9_22TransformInputIteratorIiN2at6native8internal21MapNumberOfTrueValuesEPKhlEEiEEEE10hipError_tPvRmT1_T2_T3_mT4_P12ihipStream_tbEUlT_E0_NS1_11comp_targetILNS1_3genE10ELNS1_11target_archE1201ELNS1_3gpuE5ELNS1_3repE0EEENS1_30default_config_static_selectorELNS0_4arch9wavefront6targetE1EEEvSQ_: ; @_ZN7rocprim17ROCPRIM_400000_NS6detail17trampoline_kernelINS0_14default_configENS1_22reduce_config_selectorIiEEZNS1_11reduce_implILb1ES3_PiS7_iN6hipcub16HIPCUB_304000_NS6detail34convert_binary_result_type_wrapperISt4plusIvENS9_22TransformInputIteratorIiN2at6native8internal21MapNumberOfTrueValuesEPKhlEEiEEEE10hipError_tPvRmT1_T2_T3_mT4_P12ihipStream_tbEUlT_E0_NS1_11comp_targetILNS1_3genE10ELNS1_11target_archE1201ELNS1_3gpuE5ELNS1_3repE0EEENS1_30default_config_static_selectorELNS0_4arch9wavefront6targetE1EEEvSQ_
; %bb.0:
	.section	.rodata,"a",@progbits
	.p2align	6, 0x0
	.amdhsa_kernel _ZN7rocprim17ROCPRIM_400000_NS6detail17trampoline_kernelINS0_14default_configENS1_22reduce_config_selectorIiEEZNS1_11reduce_implILb1ES3_PiS7_iN6hipcub16HIPCUB_304000_NS6detail34convert_binary_result_type_wrapperISt4plusIvENS9_22TransformInputIteratorIiN2at6native8internal21MapNumberOfTrueValuesEPKhlEEiEEEE10hipError_tPvRmT1_T2_T3_mT4_P12ihipStream_tbEUlT_E0_NS1_11comp_targetILNS1_3genE10ELNS1_11target_archE1201ELNS1_3gpuE5ELNS1_3repE0EEENS1_30default_config_static_selectorELNS0_4arch9wavefront6targetE1EEEvSQ_
		.amdhsa_group_segment_fixed_size 0
		.amdhsa_private_segment_fixed_size 0
		.amdhsa_kernarg_size 56
		.amdhsa_user_sgpr_count 2
		.amdhsa_user_sgpr_dispatch_ptr 0
		.amdhsa_user_sgpr_queue_ptr 0
		.amdhsa_user_sgpr_kernarg_segment_ptr 1
		.amdhsa_user_sgpr_dispatch_id 0
		.amdhsa_user_sgpr_kernarg_preload_length 0
		.amdhsa_user_sgpr_kernarg_preload_offset 0
		.amdhsa_user_sgpr_private_segment_size 0
		.amdhsa_uses_dynamic_stack 0
		.amdhsa_enable_private_segment 0
		.amdhsa_system_sgpr_workgroup_id_x 1
		.amdhsa_system_sgpr_workgroup_id_y 0
		.amdhsa_system_sgpr_workgroup_id_z 0
		.amdhsa_system_sgpr_workgroup_info 0
		.amdhsa_system_vgpr_workitem_id 0
		.amdhsa_next_free_vgpr 1
		.amdhsa_next_free_sgpr 0
		.amdhsa_accum_offset 4
		.amdhsa_reserve_vcc 0
		.amdhsa_float_round_mode_32 0
		.amdhsa_float_round_mode_16_64 0
		.amdhsa_float_denorm_mode_32 3
		.amdhsa_float_denorm_mode_16_64 3
		.amdhsa_dx10_clamp 1
		.amdhsa_ieee_mode 1
		.amdhsa_fp16_overflow 0
		.amdhsa_tg_split 0
		.amdhsa_exception_fp_ieee_invalid_op 0
		.amdhsa_exception_fp_denorm_src 0
		.amdhsa_exception_fp_ieee_div_zero 0
		.amdhsa_exception_fp_ieee_overflow 0
		.amdhsa_exception_fp_ieee_underflow 0
		.amdhsa_exception_fp_ieee_inexact 0
		.amdhsa_exception_int_div_zero 0
	.end_amdhsa_kernel
	.section	.text._ZN7rocprim17ROCPRIM_400000_NS6detail17trampoline_kernelINS0_14default_configENS1_22reduce_config_selectorIiEEZNS1_11reduce_implILb1ES3_PiS7_iN6hipcub16HIPCUB_304000_NS6detail34convert_binary_result_type_wrapperISt4plusIvENS9_22TransformInputIteratorIiN2at6native8internal21MapNumberOfTrueValuesEPKhlEEiEEEE10hipError_tPvRmT1_T2_T3_mT4_P12ihipStream_tbEUlT_E0_NS1_11comp_targetILNS1_3genE10ELNS1_11target_archE1201ELNS1_3gpuE5ELNS1_3repE0EEENS1_30default_config_static_selectorELNS0_4arch9wavefront6targetE1EEEvSQ_,"axG",@progbits,_ZN7rocprim17ROCPRIM_400000_NS6detail17trampoline_kernelINS0_14default_configENS1_22reduce_config_selectorIiEEZNS1_11reduce_implILb1ES3_PiS7_iN6hipcub16HIPCUB_304000_NS6detail34convert_binary_result_type_wrapperISt4plusIvENS9_22TransformInputIteratorIiN2at6native8internal21MapNumberOfTrueValuesEPKhlEEiEEEE10hipError_tPvRmT1_T2_T3_mT4_P12ihipStream_tbEUlT_E0_NS1_11comp_targetILNS1_3genE10ELNS1_11target_archE1201ELNS1_3gpuE5ELNS1_3repE0EEENS1_30default_config_static_selectorELNS0_4arch9wavefront6targetE1EEEvSQ_,comdat
.Lfunc_end102:
	.size	_ZN7rocprim17ROCPRIM_400000_NS6detail17trampoline_kernelINS0_14default_configENS1_22reduce_config_selectorIiEEZNS1_11reduce_implILb1ES3_PiS7_iN6hipcub16HIPCUB_304000_NS6detail34convert_binary_result_type_wrapperISt4plusIvENS9_22TransformInputIteratorIiN2at6native8internal21MapNumberOfTrueValuesEPKhlEEiEEEE10hipError_tPvRmT1_T2_T3_mT4_P12ihipStream_tbEUlT_E0_NS1_11comp_targetILNS1_3genE10ELNS1_11target_archE1201ELNS1_3gpuE5ELNS1_3repE0EEENS1_30default_config_static_selectorELNS0_4arch9wavefront6targetE1EEEvSQ_, .Lfunc_end102-_ZN7rocprim17ROCPRIM_400000_NS6detail17trampoline_kernelINS0_14default_configENS1_22reduce_config_selectorIiEEZNS1_11reduce_implILb1ES3_PiS7_iN6hipcub16HIPCUB_304000_NS6detail34convert_binary_result_type_wrapperISt4plusIvENS9_22TransformInputIteratorIiN2at6native8internal21MapNumberOfTrueValuesEPKhlEEiEEEE10hipError_tPvRmT1_T2_T3_mT4_P12ihipStream_tbEUlT_E0_NS1_11comp_targetILNS1_3genE10ELNS1_11target_archE1201ELNS1_3gpuE5ELNS1_3repE0EEENS1_30default_config_static_selectorELNS0_4arch9wavefront6targetE1EEEvSQ_
                                        ; -- End function
	.section	.AMDGPU.csdata,"",@progbits
; Kernel info:
; codeLenInByte = 0
; NumSgprs: 6
; NumVgprs: 0
; NumAgprs: 0
; TotalNumVgprs: 0
; ScratchSize: 0
; MemoryBound: 0
; FloatMode: 240
; IeeeMode: 1
; LDSByteSize: 0 bytes/workgroup (compile time only)
; SGPRBlocks: 0
; VGPRBlocks: 0
; NumSGPRsForWavesPerEU: 6
; NumVGPRsForWavesPerEU: 1
; AccumOffset: 4
; Occupancy: 8
; WaveLimiterHint : 0
; COMPUTE_PGM_RSRC2:SCRATCH_EN: 0
; COMPUTE_PGM_RSRC2:USER_SGPR: 2
; COMPUTE_PGM_RSRC2:TRAP_HANDLER: 0
; COMPUTE_PGM_RSRC2:TGID_X_EN: 1
; COMPUTE_PGM_RSRC2:TGID_Y_EN: 0
; COMPUTE_PGM_RSRC2:TGID_Z_EN: 0
; COMPUTE_PGM_RSRC2:TIDIG_COMP_CNT: 0
; COMPUTE_PGM_RSRC3_GFX90A:ACCUM_OFFSET: 0
; COMPUTE_PGM_RSRC3_GFX90A:TG_SPLIT: 0
	.section	.text._ZN7rocprim17ROCPRIM_400000_NS6detail17trampoline_kernelINS0_14default_configENS1_22reduce_config_selectorIiEEZNS1_11reduce_implILb1ES3_PiS7_iN6hipcub16HIPCUB_304000_NS6detail34convert_binary_result_type_wrapperISt4plusIvENS9_22TransformInputIteratorIiN2at6native8internal21MapNumberOfTrueValuesEPKhlEEiEEEE10hipError_tPvRmT1_T2_T3_mT4_P12ihipStream_tbEUlT_E0_NS1_11comp_targetILNS1_3genE10ELNS1_11target_archE1200ELNS1_3gpuE4ELNS1_3repE0EEENS1_30default_config_static_selectorELNS0_4arch9wavefront6targetE1EEEvSQ_,"axG",@progbits,_ZN7rocprim17ROCPRIM_400000_NS6detail17trampoline_kernelINS0_14default_configENS1_22reduce_config_selectorIiEEZNS1_11reduce_implILb1ES3_PiS7_iN6hipcub16HIPCUB_304000_NS6detail34convert_binary_result_type_wrapperISt4plusIvENS9_22TransformInputIteratorIiN2at6native8internal21MapNumberOfTrueValuesEPKhlEEiEEEE10hipError_tPvRmT1_T2_T3_mT4_P12ihipStream_tbEUlT_E0_NS1_11comp_targetILNS1_3genE10ELNS1_11target_archE1200ELNS1_3gpuE4ELNS1_3repE0EEENS1_30default_config_static_selectorELNS0_4arch9wavefront6targetE1EEEvSQ_,comdat
	.protected	_ZN7rocprim17ROCPRIM_400000_NS6detail17trampoline_kernelINS0_14default_configENS1_22reduce_config_selectorIiEEZNS1_11reduce_implILb1ES3_PiS7_iN6hipcub16HIPCUB_304000_NS6detail34convert_binary_result_type_wrapperISt4plusIvENS9_22TransformInputIteratorIiN2at6native8internal21MapNumberOfTrueValuesEPKhlEEiEEEE10hipError_tPvRmT1_T2_T3_mT4_P12ihipStream_tbEUlT_E0_NS1_11comp_targetILNS1_3genE10ELNS1_11target_archE1200ELNS1_3gpuE4ELNS1_3repE0EEENS1_30default_config_static_selectorELNS0_4arch9wavefront6targetE1EEEvSQ_ ; -- Begin function _ZN7rocprim17ROCPRIM_400000_NS6detail17trampoline_kernelINS0_14default_configENS1_22reduce_config_selectorIiEEZNS1_11reduce_implILb1ES3_PiS7_iN6hipcub16HIPCUB_304000_NS6detail34convert_binary_result_type_wrapperISt4plusIvENS9_22TransformInputIteratorIiN2at6native8internal21MapNumberOfTrueValuesEPKhlEEiEEEE10hipError_tPvRmT1_T2_T3_mT4_P12ihipStream_tbEUlT_E0_NS1_11comp_targetILNS1_3genE10ELNS1_11target_archE1200ELNS1_3gpuE4ELNS1_3repE0EEENS1_30default_config_static_selectorELNS0_4arch9wavefront6targetE1EEEvSQ_
	.globl	_ZN7rocprim17ROCPRIM_400000_NS6detail17trampoline_kernelINS0_14default_configENS1_22reduce_config_selectorIiEEZNS1_11reduce_implILb1ES3_PiS7_iN6hipcub16HIPCUB_304000_NS6detail34convert_binary_result_type_wrapperISt4plusIvENS9_22TransformInputIteratorIiN2at6native8internal21MapNumberOfTrueValuesEPKhlEEiEEEE10hipError_tPvRmT1_T2_T3_mT4_P12ihipStream_tbEUlT_E0_NS1_11comp_targetILNS1_3genE10ELNS1_11target_archE1200ELNS1_3gpuE4ELNS1_3repE0EEENS1_30default_config_static_selectorELNS0_4arch9wavefront6targetE1EEEvSQ_
	.p2align	8
	.type	_ZN7rocprim17ROCPRIM_400000_NS6detail17trampoline_kernelINS0_14default_configENS1_22reduce_config_selectorIiEEZNS1_11reduce_implILb1ES3_PiS7_iN6hipcub16HIPCUB_304000_NS6detail34convert_binary_result_type_wrapperISt4plusIvENS9_22TransformInputIteratorIiN2at6native8internal21MapNumberOfTrueValuesEPKhlEEiEEEE10hipError_tPvRmT1_T2_T3_mT4_P12ihipStream_tbEUlT_E0_NS1_11comp_targetILNS1_3genE10ELNS1_11target_archE1200ELNS1_3gpuE4ELNS1_3repE0EEENS1_30default_config_static_selectorELNS0_4arch9wavefront6targetE1EEEvSQ_,@function
_ZN7rocprim17ROCPRIM_400000_NS6detail17trampoline_kernelINS0_14default_configENS1_22reduce_config_selectorIiEEZNS1_11reduce_implILb1ES3_PiS7_iN6hipcub16HIPCUB_304000_NS6detail34convert_binary_result_type_wrapperISt4plusIvENS9_22TransformInputIteratorIiN2at6native8internal21MapNumberOfTrueValuesEPKhlEEiEEEE10hipError_tPvRmT1_T2_T3_mT4_P12ihipStream_tbEUlT_E0_NS1_11comp_targetILNS1_3genE10ELNS1_11target_archE1200ELNS1_3gpuE4ELNS1_3repE0EEENS1_30default_config_static_selectorELNS0_4arch9wavefront6targetE1EEEvSQ_: ; @_ZN7rocprim17ROCPRIM_400000_NS6detail17trampoline_kernelINS0_14default_configENS1_22reduce_config_selectorIiEEZNS1_11reduce_implILb1ES3_PiS7_iN6hipcub16HIPCUB_304000_NS6detail34convert_binary_result_type_wrapperISt4plusIvENS9_22TransformInputIteratorIiN2at6native8internal21MapNumberOfTrueValuesEPKhlEEiEEEE10hipError_tPvRmT1_T2_T3_mT4_P12ihipStream_tbEUlT_E0_NS1_11comp_targetILNS1_3genE10ELNS1_11target_archE1200ELNS1_3gpuE4ELNS1_3repE0EEENS1_30default_config_static_selectorELNS0_4arch9wavefront6targetE1EEEvSQ_
; %bb.0:
	.section	.rodata,"a",@progbits
	.p2align	6, 0x0
	.amdhsa_kernel _ZN7rocprim17ROCPRIM_400000_NS6detail17trampoline_kernelINS0_14default_configENS1_22reduce_config_selectorIiEEZNS1_11reduce_implILb1ES3_PiS7_iN6hipcub16HIPCUB_304000_NS6detail34convert_binary_result_type_wrapperISt4plusIvENS9_22TransformInputIteratorIiN2at6native8internal21MapNumberOfTrueValuesEPKhlEEiEEEE10hipError_tPvRmT1_T2_T3_mT4_P12ihipStream_tbEUlT_E0_NS1_11comp_targetILNS1_3genE10ELNS1_11target_archE1200ELNS1_3gpuE4ELNS1_3repE0EEENS1_30default_config_static_selectorELNS0_4arch9wavefront6targetE1EEEvSQ_
		.amdhsa_group_segment_fixed_size 0
		.amdhsa_private_segment_fixed_size 0
		.amdhsa_kernarg_size 56
		.amdhsa_user_sgpr_count 2
		.amdhsa_user_sgpr_dispatch_ptr 0
		.amdhsa_user_sgpr_queue_ptr 0
		.amdhsa_user_sgpr_kernarg_segment_ptr 1
		.amdhsa_user_sgpr_dispatch_id 0
		.amdhsa_user_sgpr_kernarg_preload_length 0
		.amdhsa_user_sgpr_kernarg_preload_offset 0
		.amdhsa_user_sgpr_private_segment_size 0
		.amdhsa_uses_dynamic_stack 0
		.amdhsa_enable_private_segment 0
		.amdhsa_system_sgpr_workgroup_id_x 1
		.amdhsa_system_sgpr_workgroup_id_y 0
		.amdhsa_system_sgpr_workgroup_id_z 0
		.amdhsa_system_sgpr_workgroup_info 0
		.amdhsa_system_vgpr_workitem_id 0
		.amdhsa_next_free_vgpr 1
		.amdhsa_next_free_sgpr 0
		.amdhsa_accum_offset 4
		.amdhsa_reserve_vcc 0
		.amdhsa_float_round_mode_32 0
		.amdhsa_float_round_mode_16_64 0
		.amdhsa_float_denorm_mode_32 3
		.amdhsa_float_denorm_mode_16_64 3
		.amdhsa_dx10_clamp 1
		.amdhsa_ieee_mode 1
		.amdhsa_fp16_overflow 0
		.amdhsa_tg_split 0
		.amdhsa_exception_fp_ieee_invalid_op 0
		.amdhsa_exception_fp_denorm_src 0
		.amdhsa_exception_fp_ieee_div_zero 0
		.amdhsa_exception_fp_ieee_overflow 0
		.amdhsa_exception_fp_ieee_underflow 0
		.amdhsa_exception_fp_ieee_inexact 0
		.amdhsa_exception_int_div_zero 0
	.end_amdhsa_kernel
	.section	.text._ZN7rocprim17ROCPRIM_400000_NS6detail17trampoline_kernelINS0_14default_configENS1_22reduce_config_selectorIiEEZNS1_11reduce_implILb1ES3_PiS7_iN6hipcub16HIPCUB_304000_NS6detail34convert_binary_result_type_wrapperISt4plusIvENS9_22TransformInputIteratorIiN2at6native8internal21MapNumberOfTrueValuesEPKhlEEiEEEE10hipError_tPvRmT1_T2_T3_mT4_P12ihipStream_tbEUlT_E0_NS1_11comp_targetILNS1_3genE10ELNS1_11target_archE1200ELNS1_3gpuE4ELNS1_3repE0EEENS1_30default_config_static_selectorELNS0_4arch9wavefront6targetE1EEEvSQ_,"axG",@progbits,_ZN7rocprim17ROCPRIM_400000_NS6detail17trampoline_kernelINS0_14default_configENS1_22reduce_config_selectorIiEEZNS1_11reduce_implILb1ES3_PiS7_iN6hipcub16HIPCUB_304000_NS6detail34convert_binary_result_type_wrapperISt4plusIvENS9_22TransformInputIteratorIiN2at6native8internal21MapNumberOfTrueValuesEPKhlEEiEEEE10hipError_tPvRmT1_T2_T3_mT4_P12ihipStream_tbEUlT_E0_NS1_11comp_targetILNS1_3genE10ELNS1_11target_archE1200ELNS1_3gpuE4ELNS1_3repE0EEENS1_30default_config_static_selectorELNS0_4arch9wavefront6targetE1EEEvSQ_,comdat
.Lfunc_end103:
	.size	_ZN7rocprim17ROCPRIM_400000_NS6detail17trampoline_kernelINS0_14default_configENS1_22reduce_config_selectorIiEEZNS1_11reduce_implILb1ES3_PiS7_iN6hipcub16HIPCUB_304000_NS6detail34convert_binary_result_type_wrapperISt4plusIvENS9_22TransformInputIteratorIiN2at6native8internal21MapNumberOfTrueValuesEPKhlEEiEEEE10hipError_tPvRmT1_T2_T3_mT4_P12ihipStream_tbEUlT_E0_NS1_11comp_targetILNS1_3genE10ELNS1_11target_archE1200ELNS1_3gpuE4ELNS1_3repE0EEENS1_30default_config_static_selectorELNS0_4arch9wavefront6targetE1EEEvSQ_, .Lfunc_end103-_ZN7rocprim17ROCPRIM_400000_NS6detail17trampoline_kernelINS0_14default_configENS1_22reduce_config_selectorIiEEZNS1_11reduce_implILb1ES3_PiS7_iN6hipcub16HIPCUB_304000_NS6detail34convert_binary_result_type_wrapperISt4plusIvENS9_22TransformInputIteratorIiN2at6native8internal21MapNumberOfTrueValuesEPKhlEEiEEEE10hipError_tPvRmT1_T2_T3_mT4_P12ihipStream_tbEUlT_E0_NS1_11comp_targetILNS1_3genE10ELNS1_11target_archE1200ELNS1_3gpuE4ELNS1_3repE0EEENS1_30default_config_static_selectorELNS0_4arch9wavefront6targetE1EEEvSQ_
                                        ; -- End function
	.section	.AMDGPU.csdata,"",@progbits
; Kernel info:
; codeLenInByte = 0
; NumSgprs: 6
; NumVgprs: 0
; NumAgprs: 0
; TotalNumVgprs: 0
; ScratchSize: 0
; MemoryBound: 0
; FloatMode: 240
; IeeeMode: 1
; LDSByteSize: 0 bytes/workgroup (compile time only)
; SGPRBlocks: 0
; VGPRBlocks: 0
; NumSGPRsForWavesPerEU: 6
; NumVGPRsForWavesPerEU: 1
; AccumOffset: 4
; Occupancy: 8
; WaveLimiterHint : 0
; COMPUTE_PGM_RSRC2:SCRATCH_EN: 0
; COMPUTE_PGM_RSRC2:USER_SGPR: 2
; COMPUTE_PGM_RSRC2:TRAP_HANDLER: 0
; COMPUTE_PGM_RSRC2:TGID_X_EN: 1
; COMPUTE_PGM_RSRC2:TGID_Y_EN: 0
; COMPUTE_PGM_RSRC2:TGID_Z_EN: 0
; COMPUTE_PGM_RSRC2:TIDIG_COMP_CNT: 0
; COMPUTE_PGM_RSRC3_GFX90A:ACCUM_OFFSET: 0
; COMPUTE_PGM_RSRC3_GFX90A:TG_SPLIT: 0
	.section	.text._ZN7rocprim17ROCPRIM_400000_NS6detail17trampoline_kernelINS0_14default_configENS1_22reduce_config_selectorIiEEZNS1_11reduce_implILb1ES3_PiS7_iN6hipcub16HIPCUB_304000_NS6detail34convert_binary_result_type_wrapperISt4plusIvENS9_22TransformInputIteratorIiN2at6native8internal21MapNumberOfTrueValuesEPKhlEEiEEEE10hipError_tPvRmT1_T2_T3_mT4_P12ihipStream_tbEUlT_E0_NS1_11comp_targetILNS1_3genE9ELNS1_11target_archE1100ELNS1_3gpuE3ELNS1_3repE0EEENS1_30default_config_static_selectorELNS0_4arch9wavefront6targetE1EEEvSQ_,"axG",@progbits,_ZN7rocprim17ROCPRIM_400000_NS6detail17trampoline_kernelINS0_14default_configENS1_22reduce_config_selectorIiEEZNS1_11reduce_implILb1ES3_PiS7_iN6hipcub16HIPCUB_304000_NS6detail34convert_binary_result_type_wrapperISt4plusIvENS9_22TransformInputIteratorIiN2at6native8internal21MapNumberOfTrueValuesEPKhlEEiEEEE10hipError_tPvRmT1_T2_T3_mT4_P12ihipStream_tbEUlT_E0_NS1_11comp_targetILNS1_3genE9ELNS1_11target_archE1100ELNS1_3gpuE3ELNS1_3repE0EEENS1_30default_config_static_selectorELNS0_4arch9wavefront6targetE1EEEvSQ_,comdat
	.protected	_ZN7rocprim17ROCPRIM_400000_NS6detail17trampoline_kernelINS0_14default_configENS1_22reduce_config_selectorIiEEZNS1_11reduce_implILb1ES3_PiS7_iN6hipcub16HIPCUB_304000_NS6detail34convert_binary_result_type_wrapperISt4plusIvENS9_22TransformInputIteratorIiN2at6native8internal21MapNumberOfTrueValuesEPKhlEEiEEEE10hipError_tPvRmT1_T2_T3_mT4_P12ihipStream_tbEUlT_E0_NS1_11comp_targetILNS1_3genE9ELNS1_11target_archE1100ELNS1_3gpuE3ELNS1_3repE0EEENS1_30default_config_static_selectorELNS0_4arch9wavefront6targetE1EEEvSQ_ ; -- Begin function _ZN7rocprim17ROCPRIM_400000_NS6detail17trampoline_kernelINS0_14default_configENS1_22reduce_config_selectorIiEEZNS1_11reduce_implILb1ES3_PiS7_iN6hipcub16HIPCUB_304000_NS6detail34convert_binary_result_type_wrapperISt4plusIvENS9_22TransformInputIteratorIiN2at6native8internal21MapNumberOfTrueValuesEPKhlEEiEEEE10hipError_tPvRmT1_T2_T3_mT4_P12ihipStream_tbEUlT_E0_NS1_11comp_targetILNS1_3genE9ELNS1_11target_archE1100ELNS1_3gpuE3ELNS1_3repE0EEENS1_30default_config_static_selectorELNS0_4arch9wavefront6targetE1EEEvSQ_
	.globl	_ZN7rocprim17ROCPRIM_400000_NS6detail17trampoline_kernelINS0_14default_configENS1_22reduce_config_selectorIiEEZNS1_11reduce_implILb1ES3_PiS7_iN6hipcub16HIPCUB_304000_NS6detail34convert_binary_result_type_wrapperISt4plusIvENS9_22TransformInputIteratorIiN2at6native8internal21MapNumberOfTrueValuesEPKhlEEiEEEE10hipError_tPvRmT1_T2_T3_mT4_P12ihipStream_tbEUlT_E0_NS1_11comp_targetILNS1_3genE9ELNS1_11target_archE1100ELNS1_3gpuE3ELNS1_3repE0EEENS1_30default_config_static_selectorELNS0_4arch9wavefront6targetE1EEEvSQ_
	.p2align	8
	.type	_ZN7rocprim17ROCPRIM_400000_NS6detail17trampoline_kernelINS0_14default_configENS1_22reduce_config_selectorIiEEZNS1_11reduce_implILb1ES3_PiS7_iN6hipcub16HIPCUB_304000_NS6detail34convert_binary_result_type_wrapperISt4plusIvENS9_22TransformInputIteratorIiN2at6native8internal21MapNumberOfTrueValuesEPKhlEEiEEEE10hipError_tPvRmT1_T2_T3_mT4_P12ihipStream_tbEUlT_E0_NS1_11comp_targetILNS1_3genE9ELNS1_11target_archE1100ELNS1_3gpuE3ELNS1_3repE0EEENS1_30default_config_static_selectorELNS0_4arch9wavefront6targetE1EEEvSQ_,@function
_ZN7rocprim17ROCPRIM_400000_NS6detail17trampoline_kernelINS0_14default_configENS1_22reduce_config_selectorIiEEZNS1_11reduce_implILb1ES3_PiS7_iN6hipcub16HIPCUB_304000_NS6detail34convert_binary_result_type_wrapperISt4plusIvENS9_22TransformInputIteratorIiN2at6native8internal21MapNumberOfTrueValuesEPKhlEEiEEEE10hipError_tPvRmT1_T2_T3_mT4_P12ihipStream_tbEUlT_E0_NS1_11comp_targetILNS1_3genE9ELNS1_11target_archE1100ELNS1_3gpuE3ELNS1_3repE0EEENS1_30default_config_static_selectorELNS0_4arch9wavefront6targetE1EEEvSQ_: ; @_ZN7rocprim17ROCPRIM_400000_NS6detail17trampoline_kernelINS0_14default_configENS1_22reduce_config_selectorIiEEZNS1_11reduce_implILb1ES3_PiS7_iN6hipcub16HIPCUB_304000_NS6detail34convert_binary_result_type_wrapperISt4plusIvENS9_22TransformInputIteratorIiN2at6native8internal21MapNumberOfTrueValuesEPKhlEEiEEEE10hipError_tPvRmT1_T2_T3_mT4_P12ihipStream_tbEUlT_E0_NS1_11comp_targetILNS1_3genE9ELNS1_11target_archE1100ELNS1_3gpuE3ELNS1_3repE0EEENS1_30default_config_static_selectorELNS0_4arch9wavefront6targetE1EEEvSQ_
; %bb.0:
	.section	.rodata,"a",@progbits
	.p2align	6, 0x0
	.amdhsa_kernel _ZN7rocprim17ROCPRIM_400000_NS6detail17trampoline_kernelINS0_14default_configENS1_22reduce_config_selectorIiEEZNS1_11reduce_implILb1ES3_PiS7_iN6hipcub16HIPCUB_304000_NS6detail34convert_binary_result_type_wrapperISt4plusIvENS9_22TransformInputIteratorIiN2at6native8internal21MapNumberOfTrueValuesEPKhlEEiEEEE10hipError_tPvRmT1_T2_T3_mT4_P12ihipStream_tbEUlT_E0_NS1_11comp_targetILNS1_3genE9ELNS1_11target_archE1100ELNS1_3gpuE3ELNS1_3repE0EEENS1_30default_config_static_selectorELNS0_4arch9wavefront6targetE1EEEvSQ_
		.amdhsa_group_segment_fixed_size 0
		.amdhsa_private_segment_fixed_size 0
		.amdhsa_kernarg_size 56
		.amdhsa_user_sgpr_count 2
		.amdhsa_user_sgpr_dispatch_ptr 0
		.amdhsa_user_sgpr_queue_ptr 0
		.amdhsa_user_sgpr_kernarg_segment_ptr 1
		.amdhsa_user_sgpr_dispatch_id 0
		.amdhsa_user_sgpr_kernarg_preload_length 0
		.amdhsa_user_sgpr_kernarg_preload_offset 0
		.amdhsa_user_sgpr_private_segment_size 0
		.amdhsa_uses_dynamic_stack 0
		.amdhsa_enable_private_segment 0
		.amdhsa_system_sgpr_workgroup_id_x 1
		.amdhsa_system_sgpr_workgroup_id_y 0
		.amdhsa_system_sgpr_workgroup_id_z 0
		.amdhsa_system_sgpr_workgroup_info 0
		.amdhsa_system_vgpr_workitem_id 0
		.amdhsa_next_free_vgpr 1
		.amdhsa_next_free_sgpr 0
		.amdhsa_accum_offset 4
		.amdhsa_reserve_vcc 0
		.amdhsa_float_round_mode_32 0
		.amdhsa_float_round_mode_16_64 0
		.amdhsa_float_denorm_mode_32 3
		.amdhsa_float_denorm_mode_16_64 3
		.amdhsa_dx10_clamp 1
		.amdhsa_ieee_mode 1
		.amdhsa_fp16_overflow 0
		.amdhsa_tg_split 0
		.amdhsa_exception_fp_ieee_invalid_op 0
		.amdhsa_exception_fp_denorm_src 0
		.amdhsa_exception_fp_ieee_div_zero 0
		.amdhsa_exception_fp_ieee_overflow 0
		.amdhsa_exception_fp_ieee_underflow 0
		.amdhsa_exception_fp_ieee_inexact 0
		.amdhsa_exception_int_div_zero 0
	.end_amdhsa_kernel
	.section	.text._ZN7rocprim17ROCPRIM_400000_NS6detail17trampoline_kernelINS0_14default_configENS1_22reduce_config_selectorIiEEZNS1_11reduce_implILb1ES3_PiS7_iN6hipcub16HIPCUB_304000_NS6detail34convert_binary_result_type_wrapperISt4plusIvENS9_22TransformInputIteratorIiN2at6native8internal21MapNumberOfTrueValuesEPKhlEEiEEEE10hipError_tPvRmT1_T2_T3_mT4_P12ihipStream_tbEUlT_E0_NS1_11comp_targetILNS1_3genE9ELNS1_11target_archE1100ELNS1_3gpuE3ELNS1_3repE0EEENS1_30default_config_static_selectorELNS0_4arch9wavefront6targetE1EEEvSQ_,"axG",@progbits,_ZN7rocprim17ROCPRIM_400000_NS6detail17trampoline_kernelINS0_14default_configENS1_22reduce_config_selectorIiEEZNS1_11reduce_implILb1ES3_PiS7_iN6hipcub16HIPCUB_304000_NS6detail34convert_binary_result_type_wrapperISt4plusIvENS9_22TransformInputIteratorIiN2at6native8internal21MapNumberOfTrueValuesEPKhlEEiEEEE10hipError_tPvRmT1_T2_T3_mT4_P12ihipStream_tbEUlT_E0_NS1_11comp_targetILNS1_3genE9ELNS1_11target_archE1100ELNS1_3gpuE3ELNS1_3repE0EEENS1_30default_config_static_selectorELNS0_4arch9wavefront6targetE1EEEvSQ_,comdat
.Lfunc_end104:
	.size	_ZN7rocprim17ROCPRIM_400000_NS6detail17trampoline_kernelINS0_14default_configENS1_22reduce_config_selectorIiEEZNS1_11reduce_implILb1ES3_PiS7_iN6hipcub16HIPCUB_304000_NS6detail34convert_binary_result_type_wrapperISt4plusIvENS9_22TransformInputIteratorIiN2at6native8internal21MapNumberOfTrueValuesEPKhlEEiEEEE10hipError_tPvRmT1_T2_T3_mT4_P12ihipStream_tbEUlT_E0_NS1_11comp_targetILNS1_3genE9ELNS1_11target_archE1100ELNS1_3gpuE3ELNS1_3repE0EEENS1_30default_config_static_selectorELNS0_4arch9wavefront6targetE1EEEvSQ_, .Lfunc_end104-_ZN7rocprim17ROCPRIM_400000_NS6detail17trampoline_kernelINS0_14default_configENS1_22reduce_config_selectorIiEEZNS1_11reduce_implILb1ES3_PiS7_iN6hipcub16HIPCUB_304000_NS6detail34convert_binary_result_type_wrapperISt4plusIvENS9_22TransformInputIteratorIiN2at6native8internal21MapNumberOfTrueValuesEPKhlEEiEEEE10hipError_tPvRmT1_T2_T3_mT4_P12ihipStream_tbEUlT_E0_NS1_11comp_targetILNS1_3genE9ELNS1_11target_archE1100ELNS1_3gpuE3ELNS1_3repE0EEENS1_30default_config_static_selectorELNS0_4arch9wavefront6targetE1EEEvSQ_
                                        ; -- End function
	.section	.AMDGPU.csdata,"",@progbits
; Kernel info:
; codeLenInByte = 0
; NumSgprs: 6
; NumVgprs: 0
; NumAgprs: 0
; TotalNumVgprs: 0
; ScratchSize: 0
; MemoryBound: 0
; FloatMode: 240
; IeeeMode: 1
; LDSByteSize: 0 bytes/workgroup (compile time only)
; SGPRBlocks: 0
; VGPRBlocks: 0
; NumSGPRsForWavesPerEU: 6
; NumVGPRsForWavesPerEU: 1
; AccumOffset: 4
; Occupancy: 8
; WaveLimiterHint : 0
; COMPUTE_PGM_RSRC2:SCRATCH_EN: 0
; COMPUTE_PGM_RSRC2:USER_SGPR: 2
; COMPUTE_PGM_RSRC2:TRAP_HANDLER: 0
; COMPUTE_PGM_RSRC2:TGID_X_EN: 1
; COMPUTE_PGM_RSRC2:TGID_Y_EN: 0
; COMPUTE_PGM_RSRC2:TGID_Z_EN: 0
; COMPUTE_PGM_RSRC2:TIDIG_COMP_CNT: 0
; COMPUTE_PGM_RSRC3_GFX90A:ACCUM_OFFSET: 0
; COMPUTE_PGM_RSRC3_GFX90A:TG_SPLIT: 0
	.section	.text._ZN7rocprim17ROCPRIM_400000_NS6detail17trampoline_kernelINS0_14default_configENS1_22reduce_config_selectorIiEEZNS1_11reduce_implILb1ES3_PiS7_iN6hipcub16HIPCUB_304000_NS6detail34convert_binary_result_type_wrapperISt4plusIvENS9_22TransformInputIteratorIiN2at6native8internal21MapNumberOfTrueValuesEPKhlEEiEEEE10hipError_tPvRmT1_T2_T3_mT4_P12ihipStream_tbEUlT_E0_NS1_11comp_targetILNS1_3genE8ELNS1_11target_archE1030ELNS1_3gpuE2ELNS1_3repE0EEENS1_30default_config_static_selectorELNS0_4arch9wavefront6targetE1EEEvSQ_,"axG",@progbits,_ZN7rocprim17ROCPRIM_400000_NS6detail17trampoline_kernelINS0_14default_configENS1_22reduce_config_selectorIiEEZNS1_11reduce_implILb1ES3_PiS7_iN6hipcub16HIPCUB_304000_NS6detail34convert_binary_result_type_wrapperISt4plusIvENS9_22TransformInputIteratorIiN2at6native8internal21MapNumberOfTrueValuesEPKhlEEiEEEE10hipError_tPvRmT1_T2_T3_mT4_P12ihipStream_tbEUlT_E0_NS1_11comp_targetILNS1_3genE8ELNS1_11target_archE1030ELNS1_3gpuE2ELNS1_3repE0EEENS1_30default_config_static_selectorELNS0_4arch9wavefront6targetE1EEEvSQ_,comdat
	.protected	_ZN7rocprim17ROCPRIM_400000_NS6detail17trampoline_kernelINS0_14default_configENS1_22reduce_config_selectorIiEEZNS1_11reduce_implILb1ES3_PiS7_iN6hipcub16HIPCUB_304000_NS6detail34convert_binary_result_type_wrapperISt4plusIvENS9_22TransformInputIteratorIiN2at6native8internal21MapNumberOfTrueValuesEPKhlEEiEEEE10hipError_tPvRmT1_T2_T3_mT4_P12ihipStream_tbEUlT_E0_NS1_11comp_targetILNS1_3genE8ELNS1_11target_archE1030ELNS1_3gpuE2ELNS1_3repE0EEENS1_30default_config_static_selectorELNS0_4arch9wavefront6targetE1EEEvSQ_ ; -- Begin function _ZN7rocprim17ROCPRIM_400000_NS6detail17trampoline_kernelINS0_14default_configENS1_22reduce_config_selectorIiEEZNS1_11reduce_implILb1ES3_PiS7_iN6hipcub16HIPCUB_304000_NS6detail34convert_binary_result_type_wrapperISt4plusIvENS9_22TransformInputIteratorIiN2at6native8internal21MapNumberOfTrueValuesEPKhlEEiEEEE10hipError_tPvRmT1_T2_T3_mT4_P12ihipStream_tbEUlT_E0_NS1_11comp_targetILNS1_3genE8ELNS1_11target_archE1030ELNS1_3gpuE2ELNS1_3repE0EEENS1_30default_config_static_selectorELNS0_4arch9wavefront6targetE1EEEvSQ_
	.globl	_ZN7rocprim17ROCPRIM_400000_NS6detail17trampoline_kernelINS0_14default_configENS1_22reduce_config_selectorIiEEZNS1_11reduce_implILb1ES3_PiS7_iN6hipcub16HIPCUB_304000_NS6detail34convert_binary_result_type_wrapperISt4plusIvENS9_22TransformInputIteratorIiN2at6native8internal21MapNumberOfTrueValuesEPKhlEEiEEEE10hipError_tPvRmT1_T2_T3_mT4_P12ihipStream_tbEUlT_E0_NS1_11comp_targetILNS1_3genE8ELNS1_11target_archE1030ELNS1_3gpuE2ELNS1_3repE0EEENS1_30default_config_static_selectorELNS0_4arch9wavefront6targetE1EEEvSQ_
	.p2align	8
	.type	_ZN7rocprim17ROCPRIM_400000_NS6detail17trampoline_kernelINS0_14default_configENS1_22reduce_config_selectorIiEEZNS1_11reduce_implILb1ES3_PiS7_iN6hipcub16HIPCUB_304000_NS6detail34convert_binary_result_type_wrapperISt4plusIvENS9_22TransformInputIteratorIiN2at6native8internal21MapNumberOfTrueValuesEPKhlEEiEEEE10hipError_tPvRmT1_T2_T3_mT4_P12ihipStream_tbEUlT_E0_NS1_11comp_targetILNS1_3genE8ELNS1_11target_archE1030ELNS1_3gpuE2ELNS1_3repE0EEENS1_30default_config_static_selectorELNS0_4arch9wavefront6targetE1EEEvSQ_,@function
_ZN7rocprim17ROCPRIM_400000_NS6detail17trampoline_kernelINS0_14default_configENS1_22reduce_config_selectorIiEEZNS1_11reduce_implILb1ES3_PiS7_iN6hipcub16HIPCUB_304000_NS6detail34convert_binary_result_type_wrapperISt4plusIvENS9_22TransformInputIteratorIiN2at6native8internal21MapNumberOfTrueValuesEPKhlEEiEEEE10hipError_tPvRmT1_T2_T3_mT4_P12ihipStream_tbEUlT_E0_NS1_11comp_targetILNS1_3genE8ELNS1_11target_archE1030ELNS1_3gpuE2ELNS1_3repE0EEENS1_30default_config_static_selectorELNS0_4arch9wavefront6targetE1EEEvSQ_: ; @_ZN7rocprim17ROCPRIM_400000_NS6detail17trampoline_kernelINS0_14default_configENS1_22reduce_config_selectorIiEEZNS1_11reduce_implILb1ES3_PiS7_iN6hipcub16HIPCUB_304000_NS6detail34convert_binary_result_type_wrapperISt4plusIvENS9_22TransformInputIteratorIiN2at6native8internal21MapNumberOfTrueValuesEPKhlEEiEEEE10hipError_tPvRmT1_T2_T3_mT4_P12ihipStream_tbEUlT_E0_NS1_11comp_targetILNS1_3genE8ELNS1_11target_archE1030ELNS1_3gpuE2ELNS1_3repE0EEENS1_30default_config_static_selectorELNS0_4arch9wavefront6targetE1EEEvSQ_
; %bb.0:
	.section	.rodata,"a",@progbits
	.p2align	6, 0x0
	.amdhsa_kernel _ZN7rocprim17ROCPRIM_400000_NS6detail17trampoline_kernelINS0_14default_configENS1_22reduce_config_selectorIiEEZNS1_11reduce_implILb1ES3_PiS7_iN6hipcub16HIPCUB_304000_NS6detail34convert_binary_result_type_wrapperISt4plusIvENS9_22TransformInputIteratorIiN2at6native8internal21MapNumberOfTrueValuesEPKhlEEiEEEE10hipError_tPvRmT1_T2_T3_mT4_P12ihipStream_tbEUlT_E0_NS1_11comp_targetILNS1_3genE8ELNS1_11target_archE1030ELNS1_3gpuE2ELNS1_3repE0EEENS1_30default_config_static_selectorELNS0_4arch9wavefront6targetE1EEEvSQ_
		.amdhsa_group_segment_fixed_size 0
		.amdhsa_private_segment_fixed_size 0
		.amdhsa_kernarg_size 56
		.amdhsa_user_sgpr_count 2
		.amdhsa_user_sgpr_dispatch_ptr 0
		.amdhsa_user_sgpr_queue_ptr 0
		.amdhsa_user_sgpr_kernarg_segment_ptr 1
		.amdhsa_user_sgpr_dispatch_id 0
		.amdhsa_user_sgpr_kernarg_preload_length 0
		.amdhsa_user_sgpr_kernarg_preload_offset 0
		.amdhsa_user_sgpr_private_segment_size 0
		.amdhsa_uses_dynamic_stack 0
		.amdhsa_enable_private_segment 0
		.amdhsa_system_sgpr_workgroup_id_x 1
		.amdhsa_system_sgpr_workgroup_id_y 0
		.amdhsa_system_sgpr_workgroup_id_z 0
		.amdhsa_system_sgpr_workgroup_info 0
		.amdhsa_system_vgpr_workitem_id 0
		.amdhsa_next_free_vgpr 1
		.amdhsa_next_free_sgpr 0
		.amdhsa_accum_offset 4
		.amdhsa_reserve_vcc 0
		.amdhsa_float_round_mode_32 0
		.amdhsa_float_round_mode_16_64 0
		.amdhsa_float_denorm_mode_32 3
		.amdhsa_float_denorm_mode_16_64 3
		.amdhsa_dx10_clamp 1
		.amdhsa_ieee_mode 1
		.amdhsa_fp16_overflow 0
		.amdhsa_tg_split 0
		.amdhsa_exception_fp_ieee_invalid_op 0
		.amdhsa_exception_fp_denorm_src 0
		.amdhsa_exception_fp_ieee_div_zero 0
		.amdhsa_exception_fp_ieee_overflow 0
		.amdhsa_exception_fp_ieee_underflow 0
		.amdhsa_exception_fp_ieee_inexact 0
		.amdhsa_exception_int_div_zero 0
	.end_amdhsa_kernel
	.section	.text._ZN7rocprim17ROCPRIM_400000_NS6detail17trampoline_kernelINS0_14default_configENS1_22reduce_config_selectorIiEEZNS1_11reduce_implILb1ES3_PiS7_iN6hipcub16HIPCUB_304000_NS6detail34convert_binary_result_type_wrapperISt4plusIvENS9_22TransformInputIteratorIiN2at6native8internal21MapNumberOfTrueValuesEPKhlEEiEEEE10hipError_tPvRmT1_T2_T3_mT4_P12ihipStream_tbEUlT_E0_NS1_11comp_targetILNS1_3genE8ELNS1_11target_archE1030ELNS1_3gpuE2ELNS1_3repE0EEENS1_30default_config_static_selectorELNS0_4arch9wavefront6targetE1EEEvSQ_,"axG",@progbits,_ZN7rocprim17ROCPRIM_400000_NS6detail17trampoline_kernelINS0_14default_configENS1_22reduce_config_selectorIiEEZNS1_11reduce_implILb1ES3_PiS7_iN6hipcub16HIPCUB_304000_NS6detail34convert_binary_result_type_wrapperISt4plusIvENS9_22TransformInputIteratorIiN2at6native8internal21MapNumberOfTrueValuesEPKhlEEiEEEE10hipError_tPvRmT1_T2_T3_mT4_P12ihipStream_tbEUlT_E0_NS1_11comp_targetILNS1_3genE8ELNS1_11target_archE1030ELNS1_3gpuE2ELNS1_3repE0EEENS1_30default_config_static_selectorELNS0_4arch9wavefront6targetE1EEEvSQ_,comdat
.Lfunc_end105:
	.size	_ZN7rocprim17ROCPRIM_400000_NS6detail17trampoline_kernelINS0_14default_configENS1_22reduce_config_selectorIiEEZNS1_11reduce_implILb1ES3_PiS7_iN6hipcub16HIPCUB_304000_NS6detail34convert_binary_result_type_wrapperISt4plusIvENS9_22TransformInputIteratorIiN2at6native8internal21MapNumberOfTrueValuesEPKhlEEiEEEE10hipError_tPvRmT1_T2_T3_mT4_P12ihipStream_tbEUlT_E0_NS1_11comp_targetILNS1_3genE8ELNS1_11target_archE1030ELNS1_3gpuE2ELNS1_3repE0EEENS1_30default_config_static_selectorELNS0_4arch9wavefront6targetE1EEEvSQ_, .Lfunc_end105-_ZN7rocprim17ROCPRIM_400000_NS6detail17trampoline_kernelINS0_14default_configENS1_22reduce_config_selectorIiEEZNS1_11reduce_implILb1ES3_PiS7_iN6hipcub16HIPCUB_304000_NS6detail34convert_binary_result_type_wrapperISt4plusIvENS9_22TransformInputIteratorIiN2at6native8internal21MapNumberOfTrueValuesEPKhlEEiEEEE10hipError_tPvRmT1_T2_T3_mT4_P12ihipStream_tbEUlT_E0_NS1_11comp_targetILNS1_3genE8ELNS1_11target_archE1030ELNS1_3gpuE2ELNS1_3repE0EEENS1_30default_config_static_selectorELNS0_4arch9wavefront6targetE1EEEvSQ_
                                        ; -- End function
	.section	.AMDGPU.csdata,"",@progbits
; Kernel info:
; codeLenInByte = 0
; NumSgprs: 6
; NumVgprs: 0
; NumAgprs: 0
; TotalNumVgprs: 0
; ScratchSize: 0
; MemoryBound: 0
; FloatMode: 240
; IeeeMode: 1
; LDSByteSize: 0 bytes/workgroup (compile time only)
; SGPRBlocks: 0
; VGPRBlocks: 0
; NumSGPRsForWavesPerEU: 6
; NumVGPRsForWavesPerEU: 1
; AccumOffset: 4
; Occupancy: 8
; WaveLimiterHint : 0
; COMPUTE_PGM_RSRC2:SCRATCH_EN: 0
; COMPUTE_PGM_RSRC2:USER_SGPR: 2
; COMPUTE_PGM_RSRC2:TRAP_HANDLER: 0
; COMPUTE_PGM_RSRC2:TGID_X_EN: 1
; COMPUTE_PGM_RSRC2:TGID_Y_EN: 0
; COMPUTE_PGM_RSRC2:TGID_Z_EN: 0
; COMPUTE_PGM_RSRC2:TIDIG_COMP_CNT: 0
; COMPUTE_PGM_RSRC3_GFX90A:ACCUM_OFFSET: 0
; COMPUTE_PGM_RSRC3_GFX90A:TG_SPLIT: 0
	.section	.text._ZN7rocprim17ROCPRIM_400000_NS6detail17trampoline_kernelINS0_14default_configENS1_22reduce_config_selectorIiEEZNS1_11reduce_implILb1ES3_PiS7_iN6hipcub16HIPCUB_304000_NS6detail34convert_binary_result_type_wrapperISt4plusIvENS9_22TransformInputIteratorIiN2at6native8internal21MapNumberOfTrueValuesEPKhlEEiEEEE10hipError_tPvRmT1_T2_T3_mT4_P12ihipStream_tbEUlT_E1_NS1_11comp_targetILNS1_3genE0ELNS1_11target_archE4294967295ELNS1_3gpuE0ELNS1_3repE0EEENS1_30default_config_static_selectorELNS0_4arch9wavefront6targetE1EEEvSQ_,"axG",@progbits,_ZN7rocprim17ROCPRIM_400000_NS6detail17trampoline_kernelINS0_14default_configENS1_22reduce_config_selectorIiEEZNS1_11reduce_implILb1ES3_PiS7_iN6hipcub16HIPCUB_304000_NS6detail34convert_binary_result_type_wrapperISt4plusIvENS9_22TransformInputIteratorIiN2at6native8internal21MapNumberOfTrueValuesEPKhlEEiEEEE10hipError_tPvRmT1_T2_T3_mT4_P12ihipStream_tbEUlT_E1_NS1_11comp_targetILNS1_3genE0ELNS1_11target_archE4294967295ELNS1_3gpuE0ELNS1_3repE0EEENS1_30default_config_static_selectorELNS0_4arch9wavefront6targetE1EEEvSQ_,comdat
	.protected	_ZN7rocprim17ROCPRIM_400000_NS6detail17trampoline_kernelINS0_14default_configENS1_22reduce_config_selectorIiEEZNS1_11reduce_implILb1ES3_PiS7_iN6hipcub16HIPCUB_304000_NS6detail34convert_binary_result_type_wrapperISt4plusIvENS9_22TransformInputIteratorIiN2at6native8internal21MapNumberOfTrueValuesEPKhlEEiEEEE10hipError_tPvRmT1_T2_T3_mT4_P12ihipStream_tbEUlT_E1_NS1_11comp_targetILNS1_3genE0ELNS1_11target_archE4294967295ELNS1_3gpuE0ELNS1_3repE0EEENS1_30default_config_static_selectorELNS0_4arch9wavefront6targetE1EEEvSQ_ ; -- Begin function _ZN7rocprim17ROCPRIM_400000_NS6detail17trampoline_kernelINS0_14default_configENS1_22reduce_config_selectorIiEEZNS1_11reduce_implILb1ES3_PiS7_iN6hipcub16HIPCUB_304000_NS6detail34convert_binary_result_type_wrapperISt4plusIvENS9_22TransformInputIteratorIiN2at6native8internal21MapNumberOfTrueValuesEPKhlEEiEEEE10hipError_tPvRmT1_T2_T3_mT4_P12ihipStream_tbEUlT_E1_NS1_11comp_targetILNS1_3genE0ELNS1_11target_archE4294967295ELNS1_3gpuE0ELNS1_3repE0EEENS1_30default_config_static_selectorELNS0_4arch9wavefront6targetE1EEEvSQ_
	.globl	_ZN7rocprim17ROCPRIM_400000_NS6detail17trampoline_kernelINS0_14default_configENS1_22reduce_config_selectorIiEEZNS1_11reduce_implILb1ES3_PiS7_iN6hipcub16HIPCUB_304000_NS6detail34convert_binary_result_type_wrapperISt4plusIvENS9_22TransformInputIteratorIiN2at6native8internal21MapNumberOfTrueValuesEPKhlEEiEEEE10hipError_tPvRmT1_T2_T3_mT4_P12ihipStream_tbEUlT_E1_NS1_11comp_targetILNS1_3genE0ELNS1_11target_archE4294967295ELNS1_3gpuE0ELNS1_3repE0EEENS1_30default_config_static_selectorELNS0_4arch9wavefront6targetE1EEEvSQ_
	.p2align	8
	.type	_ZN7rocprim17ROCPRIM_400000_NS6detail17trampoline_kernelINS0_14default_configENS1_22reduce_config_selectorIiEEZNS1_11reduce_implILb1ES3_PiS7_iN6hipcub16HIPCUB_304000_NS6detail34convert_binary_result_type_wrapperISt4plusIvENS9_22TransformInputIteratorIiN2at6native8internal21MapNumberOfTrueValuesEPKhlEEiEEEE10hipError_tPvRmT1_T2_T3_mT4_P12ihipStream_tbEUlT_E1_NS1_11comp_targetILNS1_3genE0ELNS1_11target_archE4294967295ELNS1_3gpuE0ELNS1_3repE0EEENS1_30default_config_static_selectorELNS0_4arch9wavefront6targetE1EEEvSQ_,@function
_ZN7rocprim17ROCPRIM_400000_NS6detail17trampoline_kernelINS0_14default_configENS1_22reduce_config_selectorIiEEZNS1_11reduce_implILb1ES3_PiS7_iN6hipcub16HIPCUB_304000_NS6detail34convert_binary_result_type_wrapperISt4plusIvENS9_22TransformInputIteratorIiN2at6native8internal21MapNumberOfTrueValuesEPKhlEEiEEEE10hipError_tPvRmT1_T2_T3_mT4_P12ihipStream_tbEUlT_E1_NS1_11comp_targetILNS1_3genE0ELNS1_11target_archE4294967295ELNS1_3gpuE0ELNS1_3repE0EEENS1_30default_config_static_selectorELNS0_4arch9wavefront6targetE1EEEvSQ_: ; @_ZN7rocprim17ROCPRIM_400000_NS6detail17trampoline_kernelINS0_14default_configENS1_22reduce_config_selectorIiEEZNS1_11reduce_implILb1ES3_PiS7_iN6hipcub16HIPCUB_304000_NS6detail34convert_binary_result_type_wrapperISt4plusIvENS9_22TransformInputIteratorIiN2at6native8internal21MapNumberOfTrueValuesEPKhlEEiEEEE10hipError_tPvRmT1_T2_T3_mT4_P12ihipStream_tbEUlT_E1_NS1_11comp_targetILNS1_3genE0ELNS1_11target_archE4294967295ELNS1_3gpuE0ELNS1_3repE0EEENS1_30default_config_static_selectorELNS0_4arch9wavefront6targetE1EEEvSQ_
; %bb.0:
	.section	.rodata,"a",@progbits
	.p2align	6, 0x0
	.amdhsa_kernel _ZN7rocprim17ROCPRIM_400000_NS6detail17trampoline_kernelINS0_14default_configENS1_22reduce_config_selectorIiEEZNS1_11reduce_implILb1ES3_PiS7_iN6hipcub16HIPCUB_304000_NS6detail34convert_binary_result_type_wrapperISt4plusIvENS9_22TransformInputIteratorIiN2at6native8internal21MapNumberOfTrueValuesEPKhlEEiEEEE10hipError_tPvRmT1_T2_T3_mT4_P12ihipStream_tbEUlT_E1_NS1_11comp_targetILNS1_3genE0ELNS1_11target_archE4294967295ELNS1_3gpuE0ELNS1_3repE0EEENS1_30default_config_static_selectorELNS0_4arch9wavefront6targetE1EEEvSQ_
		.amdhsa_group_segment_fixed_size 0
		.amdhsa_private_segment_fixed_size 0
		.amdhsa_kernarg_size 40
		.amdhsa_user_sgpr_count 2
		.amdhsa_user_sgpr_dispatch_ptr 0
		.amdhsa_user_sgpr_queue_ptr 0
		.amdhsa_user_sgpr_kernarg_segment_ptr 1
		.amdhsa_user_sgpr_dispatch_id 0
		.amdhsa_user_sgpr_kernarg_preload_length 0
		.amdhsa_user_sgpr_kernarg_preload_offset 0
		.amdhsa_user_sgpr_private_segment_size 0
		.amdhsa_uses_dynamic_stack 0
		.amdhsa_enable_private_segment 0
		.amdhsa_system_sgpr_workgroup_id_x 1
		.amdhsa_system_sgpr_workgroup_id_y 0
		.amdhsa_system_sgpr_workgroup_id_z 0
		.amdhsa_system_sgpr_workgroup_info 0
		.amdhsa_system_vgpr_workitem_id 0
		.amdhsa_next_free_vgpr 1
		.amdhsa_next_free_sgpr 0
		.amdhsa_accum_offset 4
		.amdhsa_reserve_vcc 0
		.amdhsa_float_round_mode_32 0
		.amdhsa_float_round_mode_16_64 0
		.amdhsa_float_denorm_mode_32 3
		.amdhsa_float_denorm_mode_16_64 3
		.amdhsa_dx10_clamp 1
		.amdhsa_ieee_mode 1
		.amdhsa_fp16_overflow 0
		.amdhsa_tg_split 0
		.amdhsa_exception_fp_ieee_invalid_op 0
		.amdhsa_exception_fp_denorm_src 0
		.amdhsa_exception_fp_ieee_div_zero 0
		.amdhsa_exception_fp_ieee_overflow 0
		.amdhsa_exception_fp_ieee_underflow 0
		.amdhsa_exception_fp_ieee_inexact 0
		.amdhsa_exception_int_div_zero 0
	.end_amdhsa_kernel
	.section	.text._ZN7rocprim17ROCPRIM_400000_NS6detail17trampoline_kernelINS0_14default_configENS1_22reduce_config_selectorIiEEZNS1_11reduce_implILb1ES3_PiS7_iN6hipcub16HIPCUB_304000_NS6detail34convert_binary_result_type_wrapperISt4plusIvENS9_22TransformInputIteratorIiN2at6native8internal21MapNumberOfTrueValuesEPKhlEEiEEEE10hipError_tPvRmT1_T2_T3_mT4_P12ihipStream_tbEUlT_E1_NS1_11comp_targetILNS1_3genE0ELNS1_11target_archE4294967295ELNS1_3gpuE0ELNS1_3repE0EEENS1_30default_config_static_selectorELNS0_4arch9wavefront6targetE1EEEvSQ_,"axG",@progbits,_ZN7rocprim17ROCPRIM_400000_NS6detail17trampoline_kernelINS0_14default_configENS1_22reduce_config_selectorIiEEZNS1_11reduce_implILb1ES3_PiS7_iN6hipcub16HIPCUB_304000_NS6detail34convert_binary_result_type_wrapperISt4plusIvENS9_22TransformInputIteratorIiN2at6native8internal21MapNumberOfTrueValuesEPKhlEEiEEEE10hipError_tPvRmT1_T2_T3_mT4_P12ihipStream_tbEUlT_E1_NS1_11comp_targetILNS1_3genE0ELNS1_11target_archE4294967295ELNS1_3gpuE0ELNS1_3repE0EEENS1_30default_config_static_selectorELNS0_4arch9wavefront6targetE1EEEvSQ_,comdat
.Lfunc_end106:
	.size	_ZN7rocprim17ROCPRIM_400000_NS6detail17trampoline_kernelINS0_14default_configENS1_22reduce_config_selectorIiEEZNS1_11reduce_implILb1ES3_PiS7_iN6hipcub16HIPCUB_304000_NS6detail34convert_binary_result_type_wrapperISt4plusIvENS9_22TransformInputIteratorIiN2at6native8internal21MapNumberOfTrueValuesEPKhlEEiEEEE10hipError_tPvRmT1_T2_T3_mT4_P12ihipStream_tbEUlT_E1_NS1_11comp_targetILNS1_3genE0ELNS1_11target_archE4294967295ELNS1_3gpuE0ELNS1_3repE0EEENS1_30default_config_static_selectorELNS0_4arch9wavefront6targetE1EEEvSQ_, .Lfunc_end106-_ZN7rocprim17ROCPRIM_400000_NS6detail17trampoline_kernelINS0_14default_configENS1_22reduce_config_selectorIiEEZNS1_11reduce_implILb1ES3_PiS7_iN6hipcub16HIPCUB_304000_NS6detail34convert_binary_result_type_wrapperISt4plusIvENS9_22TransformInputIteratorIiN2at6native8internal21MapNumberOfTrueValuesEPKhlEEiEEEE10hipError_tPvRmT1_T2_T3_mT4_P12ihipStream_tbEUlT_E1_NS1_11comp_targetILNS1_3genE0ELNS1_11target_archE4294967295ELNS1_3gpuE0ELNS1_3repE0EEENS1_30default_config_static_selectorELNS0_4arch9wavefront6targetE1EEEvSQ_
                                        ; -- End function
	.section	.AMDGPU.csdata,"",@progbits
; Kernel info:
; codeLenInByte = 0
; NumSgprs: 6
; NumVgprs: 0
; NumAgprs: 0
; TotalNumVgprs: 0
; ScratchSize: 0
; MemoryBound: 0
; FloatMode: 240
; IeeeMode: 1
; LDSByteSize: 0 bytes/workgroup (compile time only)
; SGPRBlocks: 0
; VGPRBlocks: 0
; NumSGPRsForWavesPerEU: 6
; NumVGPRsForWavesPerEU: 1
; AccumOffset: 4
; Occupancy: 8
; WaveLimiterHint : 0
; COMPUTE_PGM_RSRC2:SCRATCH_EN: 0
; COMPUTE_PGM_RSRC2:USER_SGPR: 2
; COMPUTE_PGM_RSRC2:TRAP_HANDLER: 0
; COMPUTE_PGM_RSRC2:TGID_X_EN: 1
; COMPUTE_PGM_RSRC2:TGID_Y_EN: 0
; COMPUTE_PGM_RSRC2:TGID_Z_EN: 0
; COMPUTE_PGM_RSRC2:TIDIG_COMP_CNT: 0
; COMPUTE_PGM_RSRC3_GFX90A:ACCUM_OFFSET: 0
; COMPUTE_PGM_RSRC3_GFX90A:TG_SPLIT: 0
	.section	.text._ZN7rocprim17ROCPRIM_400000_NS6detail17trampoline_kernelINS0_14default_configENS1_22reduce_config_selectorIiEEZNS1_11reduce_implILb1ES3_PiS7_iN6hipcub16HIPCUB_304000_NS6detail34convert_binary_result_type_wrapperISt4plusIvENS9_22TransformInputIteratorIiN2at6native8internal21MapNumberOfTrueValuesEPKhlEEiEEEE10hipError_tPvRmT1_T2_T3_mT4_P12ihipStream_tbEUlT_E1_NS1_11comp_targetILNS1_3genE5ELNS1_11target_archE942ELNS1_3gpuE9ELNS1_3repE0EEENS1_30default_config_static_selectorELNS0_4arch9wavefront6targetE1EEEvSQ_,"axG",@progbits,_ZN7rocprim17ROCPRIM_400000_NS6detail17trampoline_kernelINS0_14default_configENS1_22reduce_config_selectorIiEEZNS1_11reduce_implILb1ES3_PiS7_iN6hipcub16HIPCUB_304000_NS6detail34convert_binary_result_type_wrapperISt4plusIvENS9_22TransformInputIteratorIiN2at6native8internal21MapNumberOfTrueValuesEPKhlEEiEEEE10hipError_tPvRmT1_T2_T3_mT4_P12ihipStream_tbEUlT_E1_NS1_11comp_targetILNS1_3genE5ELNS1_11target_archE942ELNS1_3gpuE9ELNS1_3repE0EEENS1_30default_config_static_selectorELNS0_4arch9wavefront6targetE1EEEvSQ_,comdat
	.protected	_ZN7rocprim17ROCPRIM_400000_NS6detail17trampoline_kernelINS0_14default_configENS1_22reduce_config_selectorIiEEZNS1_11reduce_implILb1ES3_PiS7_iN6hipcub16HIPCUB_304000_NS6detail34convert_binary_result_type_wrapperISt4plusIvENS9_22TransformInputIteratorIiN2at6native8internal21MapNumberOfTrueValuesEPKhlEEiEEEE10hipError_tPvRmT1_T2_T3_mT4_P12ihipStream_tbEUlT_E1_NS1_11comp_targetILNS1_3genE5ELNS1_11target_archE942ELNS1_3gpuE9ELNS1_3repE0EEENS1_30default_config_static_selectorELNS0_4arch9wavefront6targetE1EEEvSQ_ ; -- Begin function _ZN7rocprim17ROCPRIM_400000_NS6detail17trampoline_kernelINS0_14default_configENS1_22reduce_config_selectorIiEEZNS1_11reduce_implILb1ES3_PiS7_iN6hipcub16HIPCUB_304000_NS6detail34convert_binary_result_type_wrapperISt4plusIvENS9_22TransformInputIteratorIiN2at6native8internal21MapNumberOfTrueValuesEPKhlEEiEEEE10hipError_tPvRmT1_T2_T3_mT4_P12ihipStream_tbEUlT_E1_NS1_11comp_targetILNS1_3genE5ELNS1_11target_archE942ELNS1_3gpuE9ELNS1_3repE0EEENS1_30default_config_static_selectorELNS0_4arch9wavefront6targetE1EEEvSQ_
	.globl	_ZN7rocprim17ROCPRIM_400000_NS6detail17trampoline_kernelINS0_14default_configENS1_22reduce_config_selectorIiEEZNS1_11reduce_implILb1ES3_PiS7_iN6hipcub16HIPCUB_304000_NS6detail34convert_binary_result_type_wrapperISt4plusIvENS9_22TransformInputIteratorIiN2at6native8internal21MapNumberOfTrueValuesEPKhlEEiEEEE10hipError_tPvRmT1_T2_T3_mT4_P12ihipStream_tbEUlT_E1_NS1_11comp_targetILNS1_3genE5ELNS1_11target_archE942ELNS1_3gpuE9ELNS1_3repE0EEENS1_30default_config_static_selectorELNS0_4arch9wavefront6targetE1EEEvSQ_
	.p2align	8
	.type	_ZN7rocprim17ROCPRIM_400000_NS6detail17trampoline_kernelINS0_14default_configENS1_22reduce_config_selectorIiEEZNS1_11reduce_implILb1ES3_PiS7_iN6hipcub16HIPCUB_304000_NS6detail34convert_binary_result_type_wrapperISt4plusIvENS9_22TransformInputIteratorIiN2at6native8internal21MapNumberOfTrueValuesEPKhlEEiEEEE10hipError_tPvRmT1_T2_T3_mT4_P12ihipStream_tbEUlT_E1_NS1_11comp_targetILNS1_3genE5ELNS1_11target_archE942ELNS1_3gpuE9ELNS1_3repE0EEENS1_30default_config_static_selectorELNS0_4arch9wavefront6targetE1EEEvSQ_,@function
_ZN7rocprim17ROCPRIM_400000_NS6detail17trampoline_kernelINS0_14default_configENS1_22reduce_config_selectorIiEEZNS1_11reduce_implILb1ES3_PiS7_iN6hipcub16HIPCUB_304000_NS6detail34convert_binary_result_type_wrapperISt4plusIvENS9_22TransformInputIteratorIiN2at6native8internal21MapNumberOfTrueValuesEPKhlEEiEEEE10hipError_tPvRmT1_T2_T3_mT4_P12ihipStream_tbEUlT_E1_NS1_11comp_targetILNS1_3genE5ELNS1_11target_archE942ELNS1_3gpuE9ELNS1_3repE0EEENS1_30default_config_static_selectorELNS0_4arch9wavefront6targetE1EEEvSQ_: ; @_ZN7rocprim17ROCPRIM_400000_NS6detail17trampoline_kernelINS0_14default_configENS1_22reduce_config_selectorIiEEZNS1_11reduce_implILb1ES3_PiS7_iN6hipcub16HIPCUB_304000_NS6detail34convert_binary_result_type_wrapperISt4plusIvENS9_22TransformInputIteratorIiN2at6native8internal21MapNumberOfTrueValuesEPKhlEEiEEEE10hipError_tPvRmT1_T2_T3_mT4_P12ihipStream_tbEUlT_E1_NS1_11comp_targetILNS1_3genE5ELNS1_11target_archE942ELNS1_3gpuE9ELNS1_3repE0EEENS1_30default_config_static_selectorELNS0_4arch9wavefront6targetE1EEEvSQ_
; %bb.0:
	s_load_dword s33, s[0:1], 0x4
	s_load_dwordx4 s[36:39], s[0:1], 0x8
	s_waitcnt lgkmcnt(0)
	s_cmp_lt_i32 s33, 8
	s_cbranch_scc1 .LBB107_11
; %bb.1:
	s_cmp_gt_i32 s33, 15
	s_cbranch_scc0 .LBB107_12
; %bb.2:
	s_cmp_gt_i32 s33, 31
	s_cbranch_scc0 .LBB107_13
; %bb.3:
	s_cmp_eq_u32 s33, 32
	s_mov_b64 s[4:5], 0
	s_cbranch_scc0 .LBB107_14
; %bb.4:
	s_mov_b32 s3, 0
	s_lshl_b32 s8, s2, 13
	s_mov_b32 s9, s3
	s_lshr_b64 s[10:11], s[38:39], 13
	s_lshl_b64 s[6:7], s[8:9], 2
	s_add_u32 s6, s36, s6
	s_addc_u32 s7, s37, s7
	s_cmp_lg_u64 s[10:11], s[2:3]
	s_cbranch_scc0 .LBB107_23
; %bb.5:
	v_lshlrev_b32_e32 v2, 2, v0
	v_mov_b32_e32 v3, 0
	v_lshl_add_u64 v[4:5], s[6:7], 0, v[2:3]
	global_load_dword v1, v2, s[6:7]
	global_load_dword v8, v2, s[6:7] offset:1024
	global_load_dword v9, v2, s[6:7] offset:2048
	;; [unrolled: 1-line block ×3, first 2 shown]
	v_add_co_u32_e32 v2, vcc, 0x1000, v4
	s_waitcnt vmcnt(2)
	v_add_u32_e32 v1, v8, v1
	v_addc_co_u32_e32 v3, vcc, 0, v5, vcc
	v_add_co_u32_e32 v6, vcc, 0x2000, v4
	s_waitcnt vmcnt(0)
	v_add3_u32 v1, v1, v9, v10
	v_addc_co_u32_e32 v7, vcc, 0, v5, vcc
	global_load_dword v11, v[2:3], off
	global_load_dword v12, v[2:3], off offset:1024
	global_load_dword v13, v[2:3], off offset:2048
	global_load_dword v14, v[2:3], off offset:3072
	global_load_dword v15, v[6:7], off
	global_load_dword v16, v[6:7], off offset:1024
	global_load_dword v17, v[6:7], off offset:2048
	global_load_dword v18, v[6:7], off offset:3072
	v_add_co_u32_e32 v2, vcc, 0x3000, v4
	s_waitcnt vmcnt(6)
	v_add3_u32 v1, v1, v11, v12
	v_addc_co_u32_e32 v3, vcc, 0, v5, vcc
	v_add_co_u32_e32 v6, vcc, 0x4000, v4
	s_waitcnt vmcnt(4)
	v_add3_u32 v1, v1, v13, v14
	v_addc_co_u32_e32 v7, vcc, 0, v5, vcc
	global_load_dword v19, v[2:3], off
	global_load_dword v20, v[2:3], off offset:1024
	global_load_dword v21, v[2:3], off offset:2048
	global_load_dword v22, v[2:3], off offset:3072
	global_load_dword v23, v[6:7], off
	global_load_dword v24, v[6:7], off offset:1024
	global_load_dword v25, v[6:7], off offset:2048
	global_load_dword v26, v[6:7], off offset:3072
	v_add_co_u32_e32 v2, vcc, 0x5000, v4
	s_waitcnt vmcnt(10)
	v_add3_u32 v1, v1, v15, v16
	;; [unrolled: 16-line block ×3, first 2 shown]
	v_addc_co_u32_e32 v3, vcc, 0, v5, vcc
	global_load_dword v4, v[2:3], off
	global_load_dword v5, v[2:3], off offset:1024
	global_load_dword v6, v[2:3], off offset:2048
	;; [unrolled: 1-line block ×3, first 2 shown]
	s_waitcnt vmcnt(16)
	v_add3_u32 v1, v1, v21, v22
	s_waitcnt vmcnt(14)
	v_add3_u32 v1, v1, v23, v24
	;; [unrolled: 2-line block ×3, first 2 shown]
	v_mbcnt_lo_u32_b32 v2, -1, 0
	v_bfrev_b32_e32 v3, 0.5
	v_mbcnt_hi_u32_b32 v2, -1, v2
	v_lshl_or_b32 v3, v2, 2, v3
	s_waitcnt vmcnt(10)
	v_add3_u32 v1, v1, v27, v28
	v_cmp_eq_u32_e32 vcc, 0, v2
	s_waitcnt vmcnt(8)
	v_add3_u32 v1, v1, v29, v30
	s_waitcnt vmcnt(6)
	v_add3_u32 v1, v1, v31, v32
	;; [unrolled: 2-line block ×5, first 2 shown]
	s_nop 1
	v_add_u32_dpp v1, v1, v1 quad_perm:[1,0,3,2] row_mask:0xf bank_mask:0xf bound_ctrl:1
	s_nop 1
	v_add_u32_dpp v1, v1, v1 quad_perm:[2,3,0,1] row_mask:0xf bank_mask:0xf bound_ctrl:1
	s_nop 1
	v_add_u32_dpp v1, v1, v1 row_ror:4 row_mask:0xf bank_mask:0xf bound_ctrl:1
	s_nop 1
	v_add_u32_dpp v1, v1, v1 row_ror:8 row_mask:0xf bank_mask:0xf bound_ctrl:1
	s_nop 1
	v_add_u32_dpp v1, v1, v1 row_bcast:15 row_mask:0xf bank_mask:0xf bound_ctrl:1
	s_nop 1
	v_add_u32_dpp v1, v1, v1 row_bcast:31 row_mask:0xf bank_mask:0xf bound_ctrl:1
	ds_bpermute_b32 v1, v3, v1
	s_and_saveexec_b64 s[10:11], vcc
	s_cbranch_execz .LBB107_7
; %bb.6:
	v_lshrrev_b32_e32 v3, 4, v0
	v_and_b32_e32 v3, 12, v3
	s_waitcnt lgkmcnt(0)
	ds_write_b32 v3, v1 offset:48
.LBB107_7:
	s_or_b64 exec, exec, s[10:11]
	v_cmp_gt_u32_e32 vcc, 64, v0
	s_waitcnt lgkmcnt(0)
	s_barrier
	s_and_saveexec_b64 s[10:11], vcc
	s_cbranch_execz .LBB107_9
; %bb.8:
	v_and_b32_e32 v1, 3, v2
	v_lshlrev_b32_e32 v3, 2, v1
	ds_read_b32 v3, v3 offset:48
	v_cmp_ne_u32_e32 vcc, 3, v1
	s_nop 1
	v_addc_co_u32_e32 v4, vcc, 0, v2, vcc
	v_lshlrev_b32_e32 v4, 2, v4
	s_waitcnt lgkmcnt(0)
	ds_bpermute_b32 v4, v4, v3
	v_cmp_gt_u32_e32 vcc, 2, v1
	s_waitcnt lgkmcnt(0)
	v_add_u32_e32 v3, v4, v3
	v_cndmask_b32_e64 v1, 0, 1, vcc
	v_lshlrev_b32_e32 v1, 1, v1
	v_add_lshl_u32 v1, v1, v2, 2
	ds_bpermute_b32 v1, v1, v3
	s_waitcnt lgkmcnt(0)
	v_add_u32_e32 v1, v1, v3
.LBB107_9:
	s_or_b64 exec, exec, s[10:11]
.LBB107_10:
	v_cmp_eq_u32_e64 s[6:7], 0, v0
	s_and_b64 vcc, exec, s[4:5]
	s_cbranch_vccnz .LBB107_15
	s_branch .LBB107_93
.LBB107_11:
	s_mov_b64 s[6:7], 0
                                        ; implicit-def: $vgpr1
	s_cbranch_execnz .LBB107_166
	s_branch .LBB107_224
.LBB107_12:
	s_mov_b64 s[6:7], 0
                                        ; implicit-def: $vgpr1
	s_cbranch_execnz .LBB107_134
	s_branch .LBB107_142
.LBB107_13:
	s_mov_b64 s[4:5], -1
.LBB107_14:
	s_mov_b64 s[6:7], 0
                                        ; implicit-def: $vgpr1
	s_and_b64 vcc, exec, s[4:5]
	s_cbranch_vccz .LBB107_93
.LBB107_15:
	s_cmp_eq_u32 s33, 16
	s_cbranch_scc0 .LBB107_22
; %bb.16:
	s_mov_b32 s3, 0
	s_lshl_b32 s4, s2, 12
	s_mov_b32 s5, s3
	s_lshr_b64 s[6:7], s[38:39], 12
	s_lshl_b64 s[8:9], s[4:5], 2
	s_add_u32 s34, s36, s8
	s_addc_u32 s35, s37, s9
	s_cmp_lg_u64 s[6:7], s[2:3]
	s_cbranch_scc0 .LBB107_94
; %bb.17:
	v_lshlrev_b32_e32 v2, 2, v0
	v_mov_b32_e32 v3, 0
	v_lshl_add_u64 v[4:5], s[34:35], 0, v[2:3]
	global_load_dword v1, v2, s[34:35]
	global_load_dword v8, v2, s[34:35] offset:1024
	global_load_dword v9, v2, s[34:35] offset:2048
	global_load_dword v10, v2, s[34:35] offset:3072
	v_add_co_u32_e32 v2, vcc, 0x1000, v4
	s_waitcnt vmcnt(2)
	v_add_u32_e32 v1, v8, v1
	v_addc_co_u32_e32 v3, vcc, 0, v5, vcc
	v_add_co_u32_e32 v6, vcc, 0x2000, v4
	s_waitcnt vmcnt(0)
	v_add3_u32 v1, v1, v9, v10
	v_addc_co_u32_e32 v7, vcc, 0, v5, vcc
	global_load_dword v11, v[2:3], off
	global_load_dword v12, v[2:3], off offset:1024
	global_load_dword v13, v[2:3], off offset:2048
	;; [unrolled: 1-line block ×3, first 2 shown]
	global_load_dword v15, v[6:7], off
	global_load_dword v16, v[6:7], off offset:1024
	global_load_dword v17, v[6:7], off offset:2048
	;; [unrolled: 1-line block ×3, first 2 shown]
	v_add_co_u32_e32 v2, vcc, 0x3000, v4
	s_waitcnt vmcnt(6)
	v_add3_u32 v1, v1, v11, v12
	v_addc_co_u32_e32 v3, vcc, 0, v5, vcc
	global_load_dword v4, v[2:3], off
	global_load_dword v5, v[2:3], off offset:1024
	global_load_dword v6, v[2:3], off offset:2048
	global_load_dword v7, v[2:3], off offset:3072
	s_waitcnt vmcnt(8)
	v_add3_u32 v1, v1, v13, v14
	s_waitcnt vmcnt(6)
	v_add3_u32 v1, v1, v15, v16
	;; [unrolled: 2-line block ×3, first 2 shown]
	v_mbcnt_lo_u32_b32 v2, -1, 0
	v_bfrev_b32_e32 v3, 0.5
	v_mbcnt_hi_u32_b32 v2, -1, v2
	v_lshl_or_b32 v3, v2, 2, v3
	v_cmp_eq_u32_e32 vcc, 0, v2
	s_waitcnt vmcnt(2)
	v_add3_u32 v1, v1, v4, v5
	s_waitcnt vmcnt(0)
	v_add3_u32 v1, v1, v6, v7
	s_nop 1
	v_add_u32_dpp v1, v1, v1 quad_perm:[1,0,3,2] row_mask:0xf bank_mask:0xf bound_ctrl:1
	s_nop 1
	v_add_u32_dpp v1, v1, v1 quad_perm:[2,3,0,1] row_mask:0xf bank_mask:0xf bound_ctrl:1
	s_nop 1
	v_add_u32_dpp v1, v1, v1 row_ror:4 row_mask:0xf bank_mask:0xf bound_ctrl:1
	s_nop 1
	v_add_u32_dpp v1, v1, v1 row_ror:8 row_mask:0xf bank_mask:0xf bound_ctrl:1
	s_nop 1
	v_add_u32_dpp v1, v1, v1 row_bcast:15 row_mask:0xf bank_mask:0xf bound_ctrl:1
	s_nop 1
	v_add_u32_dpp v1, v1, v1 row_bcast:31 row_mask:0xf bank_mask:0xf bound_ctrl:1
	ds_bpermute_b32 v1, v3, v1
	s_and_saveexec_b64 s[6:7], vcc
	s_cbranch_execz .LBB107_19
; %bb.18:
	v_lshrrev_b32_e32 v3, 4, v0
	v_and_b32_e32 v3, 12, v3
	s_waitcnt lgkmcnt(0)
	ds_write_b32 v3, v1
.LBB107_19:
	s_or_b64 exec, exec, s[6:7]
	v_cmp_gt_u32_e32 vcc, 64, v0
	s_waitcnt lgkmcnt(0)
	s_barrier
	s_and_saveexec_b64 s[6:7], vcc
	s_cbranch_execz .LBB107_21
; %bb.20:
	v_and_b32_e32 v1, 3, v2
	v_lshlrev_b32_e32 v3, 2, v1
	ds_read_b32 v3, v3
	v_cmp_ne_u32_e32 vcc, 3, v1
	s_nop 1
	v_addc_co_u32_e32 v4, vcc, 0, v2, vcc
	v_lshlrev_b32_e32 v4, 2, v4
	s_waitcnt lgkmcnt(0)
	ds_bpermute_b32 v4, v4, v3
	v_cmp_gt_u32_e32 vcc, 2, v1
	s_waitcnt lgkmcnt(0)
	v_add_u32_e32 v3, v4, v3
	v_cndmask_b32_e64 v1, 0, 1, vcc
	v_lshlrev_b32_e32 v1, 1, v1
	v_add_lshl_u32 v1, v1, v2, 2
	ds_bpermute_b32 v1, v1, v3
	s_waitcnt lgkmcnt(0)
	v_add_u32_e32 v1, v1, v3
.LBB107_21:
	s_or_b64 exec, exec, s[6:7]
	s_mov_b64 s[6:7], 0
	s_branch .LBB107_95
.LBB107_22:
                                        ; implicit-def: $vgpr1
	s_branch .LBB107_142
.LBB107_23:
                                        ; implicit-def: $vgpr1
	s_cbranch_execz .LBB107_10
; %bb.24:
	s_sub_i32 s10, s38, s8
	v_cmp_gt_u32_e32 vcc, s10, v0
                                        ; implicit-def: $vgpr1
	s_and_saveexec_b64 s[8:9], vcc
	s_cbranch_execz .LBB107_26
; %bb.25:
	v_lshlrev_b32_e32 v1, 2, v0
	global_load_dword v1, v1, s[6:7]
.LBB107_26:
	s_or_b64 exec, exec, s[8:9]
	v_or_b32_e32 v2, 0x100, v0
	v_cmp_gt_u32_e32 vcc, s10, v2
	v_mov_b32_e32 v2, 0
	v_mov_b32_e32 v3, 0
	s_and_saveexec_b64 s[8:9], vcc
	s_cbranch_execz .LBB107_28
; %bb.27:
	v_lshlrev_b32_e32 v3, 2, v0
	global_load_dword v3, v3, s[6:7] offset:1024
.LBB107_28:
	s_or_b64 exec, exec, s[8:9]
	v_or_b32_e32 v4, 0x200, v0
	v_cmp_gt_u32_e32 vcc, s10, v4
	s_and_saveexec_b64 s[8:9], vcc
	s_cbranch_execz .LBB107_30
; %bb.29:
	v_lshlrev_b32_e32 v2, 2, v0
	global_load_dword v2, v2, s[6:7] offset:2048
.LBB107_30:
	s_or_b64 exec, exec, s[8:9]
	v_or_b32_e32 v4, 0x300, v0
	v_cmp_gt_u32_e32 vcc, s10, v4
	v_mov_b32_e32 v4, 0
	v_mov_b32_e32 v5, 0
	s_and_saveexec_b64 s[8:9], vcc
	s_cbranch_execz .LBB107_32
; %bb.31:
	v_lshlrev_b32_e32 v5, 2, v0
	global_load_dword v5, v5, s[6:7] offset:3072
.LBB107_32:
	s_or_b64 exec, exec, s[8:9]
	v_or_b32_e32 v6, 0x400, v0
	v_cmp_gt_u32_e32 vcc, s10, v6
	s_and_saveexec_b64 s[8:9], vcc
	s_cbranch_execz .LBB107_34
; %bb.33:
	v_lshlrev_b32_e32 v4, 2, v6
	global_load_dword v4, v4, s[6:7]
.LBB107_34:
	s_or_b64 exec, exec, s[8:9]
	v_or_b32_e32 v8, 0x500, v0
	v_cmp_gt_u32_e32 vcc, s10, v8
	v_mov_b32_e32 v6, 0
	v_mov_b32_e32 v7, 0
	s_and_saveexec_b64 s[8:9], vcc
	s_cbranch_execz .LBB107_36
; %bb.35:
	v_lshlrev_b32_e32 v7, 2, v8
	global_load_dword v7, v7, s[6:7]
.LBB107_36:
	s_or_b64 exec, exec, s[8:9]
	v_or_b32_e32 v8, 0x600, v0
	v_cmp_gt_u32_e32 vcc, s10, v8
	s_and_saveexec_b64 s[8:9], vcc
	s_cbranch_execz .LBB107_38
; %bb.37:
	v_lshlrev_b32_e32 v6, 2, v8
	global_load_dword v6, v6, s[6:7]
.LBB107_38:
	s_or_b64 exec, exec, s[8:9]
	v_or_b32_e32 v10, 0x700, v0
	v_cmp_gt_u32_e32 vcc, s10, v10
	v_mov_b32_e32 v8, 0
	v_mov_b32_e32 v9, 0
	s_and_saveexec_b64 s[8:9], vcc
	s_cbranch_execz .LBB107_40
; %bb.39:
	v_lshlrev_b32_e32 v9, 2, v10
	global_load_dword v9, v9, s[6:7]
.LBB107_40:
	;; [unrolled: 20-line block ×13, first 2 shown]
	s_or_b64 exec, exec, s[8:9]
	v_or_b32_e32 v32, 0x1e00, v0
	v_cmp_gt_u32_e32 vcc, s10, v32
	s_and_saveexec_b64 s[8:9], vcc
	s_cbranch_execz .LBB107_86
; %bb.85:
	v_lshlrev_b32_e32 v30, 2, v32
	global_load_dword v30, v30, s[6:7]
.LBB107_86:
	s_or_b64 exec, exec, s[8:9]
	v_or_b32_e32 v33, 0x1f00, v0
	v_cmp_gt_u32_e32 vcc, s10, v33
	v_mov_b32_e32 v32, 0
	s_and_saveexec_b64 s[8:9], vcc
	s_cbranch_execz .LBB107_88
; %bb.87:
	v_lshlrev_b32_e32 v32, 2, v33
	global_load_dword v32, v32, s[6:7]
.LBB107_88:
	s_or_b64 exec, exec, s[8:9]
	s_waitcnt vmcnt(0)
	v_add_u32_e32 v1, v3, v1
	v_add3_u32 v1, v1, v2, v5
	v_add3_u32 v1, v1, v4, v7
	;; [unrolled: 1-line block ×10, first 2 shown]
	v_mbcnt_lo_u32_b32 v2, -1, 0
	v_add3_u32 v1, v1, v22, v25
	v_mbcnt_hi_u32_b32 v2, -1, v2
	v_add3_u32 v1, v1, v24, v27
	v_and_b32_e32 v3, 63, v2
	v_add3_u32 v1, v1, v26, v29
	v_cmp_ne_u32_e32 vcc, 63, v3
	v_add3_u32 v1, v1, v28, v31
	v_add3_u32 v1, v1, v30, v32
	v_addc_co_u32_e32 v4, vcc, 0, v2, vcc
	v_lshlrev_b32_e32 v4, 2, v4
	ds_bpermute_b32 v4, v4, v1
	s_min_u32 s8, s10, 0x100
	v_and_b32_e32 v5, 0xc0, v0
	v_sub_u32_e64 v5, s8, v5 clamp
	v_add_u32_e32 v6, 1, v3
	v_cmp_lt_u32_e32 vcc, v6, v5
	v_add_u32_e32 v6, 2, v3
	s_waitcnt lgkmcnt(0)
	v_cndmask_b32_e32 v4, 0, v4, vcc
	v_cmp_gt_u32_e32 vcc, 62, v3
	v_add_u32_e32 v1, v4, v1
	s_nop 0
	v_cndmask_b32_e64 v4, 0, 1, vcc
	v_lshlrev_b32_e32 v4, 1, v4
	v_add_lshl_u32 v4, v4, v2, 2
	ds_bpermute_b32 v4, v4, v1
	v_cmp_lt_u32_e32 vcc, v6, v5
	v_add_u32_e32 v6, 4, v3
	s_waitcnt lgkmcnt(0)
	v_cndmask_b32_e32 v4, 0, v4, vcc
	v_cmp_gt_u32_e32 vcc, 60, v3
	v_add_u32_e32 v1, v1, v4
	s_nop 0
	v_cndmask_b32_e64 v4, 0, 1, vcc
	v_lshlrev_b32_e32 v4, 2, v4
	v_add_lshl_u32 v4, v4, v2, 2
	ds_bpermute_b32 v4, v4, v1
	;; [unrolled: 11-line block ×4, first 2 shown]
	v_cmp_lt_u32_e32 vcc, v6, v5
	s_waitcnt lgkmcnt(0)
	s_nop 0
	v_cndmask_b32_e32 v4, 0, v4, vcc
	v_cmp_gt_u32_e32 vcc, 32, v3
	v_add_u32_e32 v1, v1, v4
	v_add_u32_e32 v3, 32, v3
	v_cndmask_b32_e64 v4, 0, 1, vcc
	v_lshlrev_b32_e32 v4, 5, v4
	v_add_lshl_u32 v4, v4, v2, 2
	ds_bpermute_b32 v4, v4, v1
	v_cmp_lt_u32_e32 vcc, v3, v5
	s_waitcnt lgkmcnt(0)
	s_nop 0
	v_cndmask_b32_e32 v3, 0, v4, vcc
	v_add_u32_e32 v1, v1, v3
	v_cmp_eq_u32_e32 vcc, 0, v2
	s_and_saveexec_b64 s[6:7], vcc
	s_cbranch_execz .LBB107_90
; %bb.89:
	v_lshrrev_b32_e32 v3, 4, v0
	v_and_b32_e32 v3, 12, v3
	ds_write_b32 v3, v1 offset:96
.LBB107_90:
	s_or_b64 exec, exec, s[6:7]
	v_cmp_gt_u32_e32 vcc, 4, v0
	s_waitcnt lgkmcnt(0)
	s_barrier
	s_and_saveexec_b64 s[6:7], vcc
	s_cbranch_execz .LBB107_92
; %bb.91:
	v_lshlrev_b32_e32 v1, 2, v2
	ds_read_b32 v1, v1 offset:96
	v_and_b32_e32 v3, 3, v2
	v_cmp_ne_u32_e32 vcc, 3, v3
	s_add_i32 s8, s8, 63
	s_lshr_b32 s8, s8, 6
	v_addc_co_u32_e32 v4, vcc, 0, v2, vcc
	v_lshlrev_b32_e32 v4, 2, v4
	s_waitcnt lgkmcnt(0)
	ds_bpermute_b32 v4, v4, v1
	v_add_u32_e32 v5, 1, v3
	v_cmp_gt_u32_e32 vcc, s8, v5
	s_waitcnt lgkmcnt(0)
	s_nop 0
	v_cndmask_b32_e32 v4, 0, v4, vcc
	v_cmp_gt_u32_e32 vcc, 2, v3
	v_add_u32_e32 v1, v4, v1
	v_add_u32_e32 v3, 2, v3
	v_cndmask_b32_e64 v4, 0, 1, vcc
	v_lshlrev_b32_e32 v4, 1, v4
	v_add_lshl_u32 v2, v4, v2, 2
	ds_bpermute_b32 v2, v2, v1
	v_cmp_gt_u32_e32 vcc, s8, v3
	s_waitcnt lgkmcnt(0)
	s_nop 0
	v_cndmask_b32_e32 v2, 0, v2, vcc
	v_add_u32_e32 v1, v1, v2
.LBB107_92:
	s_or_b64 exec, exec, s[6:7]
	v_cmp_eq_u32_e64 s[6:7], 0, v0
	s_and_b64 vcc, exec, s[4:5]
	s_cbranch_vccnz .LBB107_15
.LBB107_93:
	s_branch .LBB107_142
.LBB107_94:
	s_mov_b64 s[6:7], -1
                                        ; implicit-def: $vgpr1
.LBB107_95:
	s_and_b64 vcc, exec, s[6:7]
	s_cbranch_vccz .LBB107_133
; %bb.96:
	s_sub_i32 s42, s38, s4
	v_cmp_gt_u32_e32 vcc, s42, v0
                                        ; implicit-def: $vgpr2_vgpr3_vgpr4_vgpr5_vgpr6_vgpr7_vgpr8_vgpr9_vgpr10_vgpr11_vgpr12_vgpr13_vgpr14_vgpr15_vgpr16_vgpr17
	s_and_saveexec_b64 s[4:5], vcc
	s_cbranch_execz .LBB107_98
; %bb.97:
	v_lshlrev_b32_e32 v1, 2, v0
	global_load_dword v2, v1, s[34:35]
.LBB107_98:
	s_or_b64 exec, exec, s[4:5]
	v_or_b32_e32 v1, 0x100, v0
	v_cmp_gt_u32_e32 vcc, s42, v1
	s_and_saveexec_b64 s[4:5], vcc
	s_cbranch_execz .LBB107_100
; %bb.99:
	v_lshlrev_b32_e32 v1, 2, v0
	global_load_dword v3, v1, s[34:35] offset:1024
.LBB107_100:
	s_or_b64 exec, exec, s[4:5]
	v_or_b32_e32 v1, 0x200, v0
	v_cmp_gt_u32_e64 s[4:5], s42, v1
	s_and_saveexec_b64 s[6:7], s[4:5]
	s_cbranch_execz .LBB107_102
; %bb.101:
	v_lshlrev_b32_e32 v1, 2, v0
	global_load_dword v4, v1, s[34:35] offset:2048
.LBB107_102:
	s_or_b64 exec, exec, s[6:7]
	v_or_b32_e32 v1, 0x300, v0
	v_cmp_gt_u32_e64 s[6:7], s42, v1
	s_and_saveexec_b64 s[8:9], s[6:7]
	;; [unrolled: 9-line block ×3, first 2 shown]
	s_cbranch_execz .LBB107_106
; %bb.105:
	v_lshlrev_b32_e32 v1, 2, v1
	global_load_dword v6, v1, s[34:35]
.LBB107_106:
	s_or_b64 exec, exec, s[10:11]
	v_or_b32_e32 v1, 0x500, v0
	v_cmp_gt_u32_e64 s[10:11], s42, v1
	s_and_saveexec_b64 s[12:13], s[10:11]
	s_cbranch_execz .LBB107_108
; %bb.107:
	v_lshlrev_b32_e32 v1, 2, v1
	global_load_dword v7, v1, s[34:35]
.LBB107_108:
	s_or_b64 exec, exec, s[12:13]
	v_or_b32_e32 v1, 0x600, v0
	v_cmp_gt_u32_e64 s[12:13], s42, v1
	s_and_saveexec_b64 s[14:15], s[12:13]
	;; [unrolled: 9-line block ×11, first 2 shown]
	s_cbranch_execz .LBB107_128
; %bb.127:
	v_lshlrev_b32_e32 v1, 2, v1
	global_load_dword v17, v1, s[34:35]
.LBB107_128:
	s_or_b64 exec, exec, s[40:41]
	s_waitcnt vmcnt(0)
	v_cndmask_b32_e32 v1, 0, v3, vcc
	v_add_u32_e32 v1, v1, v2
	v_cndmask_b32_e64 v2, 0, v4, s[4:5]
	v_cndmask_b32_e64 v3, 0, v5, s[6:7]
	v_add3_u32 v1, v1, v2, v3
	v_cndmask_b32_e64 v2, 0, v6, s[8:9]
	v_cndmask_b32_e64 v3, 0, v7, s[10:11]
	v_add3_u32 v1, v1, v2, v3
	v_cndmask_b32_e64 v2, 0, v8, s[12:13]
	v_cndmask_b32_e64 v3, 0, v9, s[14:15]
	v_add3_u32 v1, v1, v2, v3
	v_cndmask_b32_e64 v2, 0, v10, s[16:17]
	v_cndmask_b32_e64 v3, 0, v11, s[18:19]
	v_add3_u32 v1, v1, v2, v3
	v_cndmask_b32_e64 v2, 0, v12, s[20:21]
	v_cndmask_b32_e64 v3, 0, v13, s[22:23]
	v_add3_u32 v1, v1, v2, v3
	v_cndmask_b32_e64 v2, 0, v14, s[24:25]
	v_cndmask_b32_e64 v3, 0, v15, s[26:27]
	v_add3_u32 v1, v1, v2, v3
	v_cndmask_b32_e64 v2, 0, v16, s[28:29]
	v_cndmask_b32_e64 v3, 0, v17, s[30:31]
	v_add3_u32 v1, v1, v2, v3
	v_mbcnt_lo_u32_b32 v2, -1, 0
	v_mbcnt_hi_u32_b32 v2, -1, v2
	v_and_b32_e32 v3, 63, v2
	v_cmp_ne_u32_e32 vcc, 63, v3
	s_min_u32 s6, s42, 0x100
	v_and_b32_e32 v5, 0xc0, v0
	v_addc_co_u32_e32 v4, vcc, 0, v2, vcc
	v_lshlrev_b32_e32 v4, 2, v4
	ds_bpermute_b32 v4, v4, v1
	v_sub_u32_e64 v5, s6, v5 clamp
	v_add_u32_e32 v6, 1, v3
	v_cmp_lt_u32_e32 vcc, v6, v5
	v_add_u32_e32 v6, 2, v3
	s_waitcnt lgkmcnt(0)
	v_cndmask_b32_e32 v4, 0, v4, vcc
	v_cmp_gt_u32_e32 vcc, 62, v3
	v_add_u32_e32 v1, v1, v4
	s_nop 0
	v_cndmask_b32_e64 v4, 0, 1, vcc
	v_lshlrev_b32_e32 v4, 1, v4
	v_add_lshl_u32 v4, v4, v2, 2
	ds_bpermute_b32 v4, v4, v1
	v_cmp_lt_u32_e32 vcc, v6, v5
	v_add_u32_e32 v6, 4, v3
	s_waitcnt lgkmcnt(0)
	v_cndmask_b32_e32 v4, 0, v4, vcc
	v_cmp_gt_u32_e32 vcc, 60, v3
	v_add_u32_e32 v1, v1, v4
	s_nop 0
	v_cndmask_b32_e64 v4, 0, 1, vcc
	v_lshlrev_b32_e32 v4, 2, v4
	v_add_lshl_u32 v4, v4, v2, 2
	ds_bpermute_b32 v4, v4, v1
	;; [unrolled: 11-line block ×4, first 2 shown]
	v_cmp_lt_u32_e32 vcc, v6, v5
	s_waitcnt lgkmcnt(0)
	s_nop 0
	v_cndmask_b32_e32 v4, 0, v4, vcc
	v_cmp_gt_u32_e32 vcc, 32, v3
	v_add_u32_e32 v1, v1, v4
	v_add_u32_e32 v3, 32, v3
	v_cndmask_b32_e64 v4, 0, 1, vcc
	v_lshlrev_b32_e32 v4, 5, v4
	v_add_lshl_u32 v4, v4, v2, 2
	ds_bpermute_b32 v4, v4, v1
	v_cmp_lt_u32_e32 vcc, v3, v5
	s_waitcnt lgkmcnt(0)
	s_nop 0
	v_cndmask_b32_e32 v3, 0, v4, vcc
	v_add_u32_e32 v1, v1, v3
	v_cmp_eq_u32_e32 vcc, 0, v2
	s_and_saveexec_b64 s[4:5], vcc
	s_cbranch_execz .LBB107_130
; %bb.129:
	v_lshrrev_b32_e32 v3, 4, v0
	v_and_b32_e32 v3, 12, v3
	ds_write_b32 v3, v1 offset:96
.LBB107_130:
	s_or_b64 exec, exec, s[4:5]
	v_cmp_gt_u32_e32 vcc, 4, v0
	s_waitcnt lgkmcnt(0)
	s_barrier
	s_and_saveexec_b64 s[4:5], vcc
	s_cbranch_execz .LBB107_132
; %bb.131:
	v_lshlrev_b32_e32 v1, 2, v2
	ds_read_b32 v1, v1 offset:96
	v_and_b32_e32 v3, 3, v2
	v_cmp_ne_u32_e32 vcc, 3, v3
	s_add_i32 s6, s6, 63
	s_lshr_b32 s6, s6, 6
	v_addc_co_u32_e32 v4, vcc, 0, v2, vcc
	v_lshlrev_b32_e32 v4, 2, v4
	s_waitcnt lgkmcnt(0)
	ds_bpermute_b32 v4, v4, v1
	v_add_u32_e32 v5, 1, v3
	v_cmp_gt_u32_e32 vcc, s6, v5
	s_waitcnt lgkmcnt(0)
	s_nop 0
	v_cndmask_b32_e32 v4, 0, v4, vcc
	v_cmp_gt_u32_e32 vcc, 2, v3
	v_add_u32_e32 v1, v4, v1
	v_add_u32_e32 v3, 2, v3
	v_cndmask_b32_e64 v4, 0, 1, vcc
	v_lshlrev_b32_e32 v4, 1, v4
	v_add_lshl_u32 v2, v4, v2, 2
	ds_bpermute_b32 v2, v2, v1
	v_cmp_gt_u32_e32 vcc, s6, v3
	s_waitcnt lgkmcnt(0)
	s_nop 0
	v_cndmask_b32_e32 v2, 0, v2, vcc
	v_add_u32_e32 v1, v1, v2
.LBB107_132:
	s_or_b64 exec, exec, s[4:5]
.LBB107_133:
	v_cmp_eq_u32_e64 s[6:7], 0, v0
	s_branch .LBB107_142
.LBB107_134:
	s_cmp_eq_u32 s33, 8
	s_cbranch_scc0 .LBB107_141
; %bb.135:
	s_mov_b32 s3, 0
	s_lshl_b32 s4, s2, 11
	s_mov_b32 s5, s3
	s_lshr_b64 s[6:7], s[38:39], 11
	s_lshl_b64 s[8:9], s[4:5], 2
	s_add_u32 s16, s36, s8
	s_addc_u32 s17, s37, s9
	s_cmp_lg_u64 s[6:7], s[2:3]
	s_cbranch_scc0 .LBB107_143
; %bb.136:
	v_lshlrev_b32_e32 v2, 2, v0
	v_mov_b32_e32 v3, 0
	v_lshl_add_u64 v[4:5], s[16:17], 0, v[2:3]
	global_load_dword v1, v2, s[16:17]
	global_load_dword v6, v2, s[16:17] offset:1024
	global_load_dword v7, v2, s[16:17] offset:2048
	;; [unrolled: 1-line block ×3, first 2 shown]
	v_add_co_u32_e32 v2, vcc, 0x1000, v4
	s_waitcnt vmcnt(2)
	v_add_u32_e32 v1, v6, v1
	v_addc_co_u32_e32 v3, vcc, 0, v5, vcc
	global_load_dword v4, v[2:3], off
	global_load_dword v5, v[2:3], off offset:1024
	global_load_dword v9, v[2:3], off offset:2048
	;; [unrolled: 1-line block ×3, first 2 shown]
	s_waitcnt vmcnt(4)
	v_add3_u32 v1, v1, v7, v8
	v_mbcnt_lo_u32_b32 v2, -1, 0
	v_bfrev_b32_e32 v3, 0.5
	v_mbcnt_hi_u32_b32 v2, -1, v2
	v_lshl_or_b32 v3, v2, 2, v3
	v_cmp_eq_u32_e32 vcc, 0, v2
	s_waitcnt vmcnt(2)
	v_add3_u32 v1, v1, v4, v5
	s_waitcnt vmcnt(0)
	v_add3_u32 v1, v1, v9, v10
	s_nop 1
	v_add_u32_dpp v1, v1, v1 quad_perm:[1,0,3,2] row_mask:0xf bank_mask:0xf bound_ctrl:1
	s_nop 1
	v_add_u32_dpp v1, v1, v1 quad_perm:[2,3,0,1] row_mask:0xf bank_mask:0xf bound_ctrl:1
	s_nop 1
	v_add_u32_dpp v1, v1, v1 row_ror:4 row_mask:0xf bank_mask:0xf bound_ctrl:1
	s_nop 1
	v_add_u32_dpp v1, v1, v1 row_ror:8 row_mask:0xf bank_mask:0xf bound_ctrl:1
	s_nop 1
	v_add_u32_dpp v1, v1, v1 row_bcast:15 row_mask:0xf bank_mask:0xf bound_ctrl:1
	s_nop 1
	v_add_u32_dpp v1, v1, v1 row_bcast:31 row_mask:0xf bank_mask:0xf bound_ctrl:1
	ds_bpermute_b32 v1, v3, v1
	s_and_saveexec_b64 s[6:7], vcc
	s_cbranch_execz .LBB107_138
; %bb.137:
	v_lshrrev_b32_e32 v3, 4, v0
	v_and_b32_e32 v3, 12, v3
	s_waitcnt lgkmcnt(0)
	ds_write_b32 v3, v1 offset:80
.LBB107_138:
	s_or_b64 exec, exec, s[6:7]
	v_cmp_gt_u32_e32 vcc, 64, v0
	s_waitcnt lgkmcnt(0)
	s_barrier
	s_and_saveexec_b64 s[6:7], vcc
	s_cbranch_execz .LBB107_140
; %bb.139:
	v_and_b32_e32 v1, 3, v2
	v_lshlrev_b32_e32 v3, 2, v1
	ds_read_b32 v3, v3 offset:80
	v_cmp_ne_u32_e32 vcc, 3, v1
	s_nop 1
	v_addc_co_u32_e32 v4, vcc, 0, v2, vcc
	v_lshlrev_b32_e32 v4, 2, v4
	s_waitcnt lgkmcnt(0)
	ds_bpermute_b32 v4, v4, v3
	v_cmp_gt_u32_e32 vcc, 2, v1
	s_waitcnt lgkmcnt(0)
	v_add_u32_e32 v3, v4, v3
	v_cndmask_b32_e64 v1, 0, 1, vcc
	v_lshlrev_b32_e32 v1, 1, v1
	v_add_lshl_u32 v1, v1, v2, 2
	ds_bpermute_b32 v1, v1, v3
	s_waitcnt lgkmcnt(0)
	v_add_u32_e32 v1, v1, v3
.LBB107_140:
	s_or_b64 exec, exec, s[6:7]
	s_branch .LBB107_165
.LBB107_141:
                                        ; implicit-def: $vgpr1
.LBB107_142:
	s_branch .LBB107_224
.LBB107_143:
                                        ; implicit-def: $vgpr1
	s_cbranch_execz .LBB107_165
; %bb.144:
	s_sub_i32 s20, s38, s4
	v_cmp_gt_u32_e32 vcc, s20, v0
                                        ; implicit-def: $vgpr2_vgpr3_vgpr4_vgpr5_vgpr6_vgpr7_vgpr8_vgpr9
	s_and_saveexec_b64 s[4:5], vcc
	s_cbranch_execz .LBB107_146
; %bb.145:
	v_lshlrev_b32_e32 v1, 2, v0
	global_load_dword v2, v1, s[16:17]
.LBB107_146:
	s_or_b64 exec, exec, s[4:5]
	v_or_b32_e32 v1, 0x100, v0
	v_cmp_gt_u32_e32 vcc, s20, v1
	s_and_saveexec_b64 s[4:5], vcc
	s_cbranch_execz .LBB107_148
; %bb.147:
	v_lshlrev_b32_e32 v1, 2, v0
	global_load_dword v3, v1, s[16:17] offset:1024
.LBB107_148:
	s_or_b64 exec, exec, s[4:5]
	v_or_b32_e32 v1, 0x200, v0
	v_cmp_gt_u32_e64 s[4:5], s20, v1
	s_and_saveexec_b64 s[6:7], s[4:5]
	s_cbranch_execz .LBB107_150
; %bb.149:
	v_lshlrev_b32_e32 v1, 2, v0
	global_load_dword v4, v1, s[16:17] offset:2048
.LBB107_150:
	s_or_b64 exec, exec, s[6:7]
	v_or_b32_e32 v1, 0x300, v0
	v_cmp_gt_u32_e64 s[6:7], s20, v1
	s_and_saveexec_b64 s[8:9], s[6:7]
	s_cbranch_execz .LBB107_152
; %bb.151:
	v_lshlrev_b32_e32 v1, 2, v0
	global_load_dword v5, v1, s[16:17] offset:3072
.LBB107_152:
	s_or_b64 exec, exec, s[8:9]
	v_or_b32_e32 v1, 0x400, v0
	v_cmp_gt_u32_e64 s[8:9], s20, v1
	s_and_saveexec_b64 s[10:11], s[8:9]
	s_cbranch_execz .LBB107_154
; %bb.153:
	v_lshlrev_b32_e32 v1, 2, v1
	global_load_dword v6, v1, s[16:17]
.LBB107_154:
	s_or_b64 exec, exec, s[10:11]
	v_or_b32_e32 v1, 0x500, v0
	v_cmp_gt_u32_e64 s[10:11], s20, v1
	s_and_saveexec_b64 s[12:13], s[10:11]
	s_cbranch_execz .LBB107_156
; %bb.155:
	v_lshlrev_b32_e32 v1, 2, v1
	global_load_dword v7, v1, s[16:17]
.LBB107_156:
	s_or_b64 exec, exec, s[12:13]
	v_or_b32_e32 v1, 0x600, v0
	v_cmp_gt_u32_e64 s[12:13], s20, v1
	s_and_saveexec_b64 s[14:15], s[12:13]
	;; [unrolled: 9-line block ×3, first 2 shown]
	s_cbranch_execz .LBB107_160
; %bb.159:
	v_lshlrev_b32_e32 v1, 2, v1
	global_load_dword v9, v1, s[16:17]
.LBB107_160:
	s_or_b64 exec, exec, s[18:19]
	s_waitcnt vmcnt(0)
	v_cndmask_b32_e32 v1, 0, v3, vcc
	v_add_u32_e32 v1, v1, v2
	v_cndmask_b32_e64 v2, 0, v4, s[4:5]
	v_cndmask_b32_e64 v3, 0, v5, s[6:7]
	v_add3_u32 v1, v1, v2, v3
	v_cndmask_b32_e64 v2, 0, v6, s[8:9]
	v_cndmask_b32_e64 v3, 0, v7, s[10:11]
	v_add3_u32 v1, v1, v2, v3
	v_cndmask_b32_e64 v2, 0, v8, s[12:13]
	v_cndmask_b32_e64 v3, 0, v9, s[14:15]
	v_add3_u32 v1, v1, v2, v3
	v_mbcnt_lo_u32_b32 v2, -1, 0
	v_mbcnt_hi_u32_b32 v2, -1, v2
	v_and_b32_e32 v3, 63, v2
	v_cmp_ne_u32_e32 vcc, 63, v3
	s_min_u32 s6, s20, 0x100
	v_and_b32_e32 v5, 0xc0, v0
	v_addc_co_u32_e32 v4, vcc, 0, v2, vcc
	v_lshlrev_b32_e32 v4, 2, v4
	ds_bpermute_b32 v4, v4, v1
	v_sub_u32_e64 v5, s6, v5 clamp
	v_add_u32_e32 v6, 1, v3
	v_cmp_lt_u32_e32 vcc, v6, v5
	v_add_u32_e32 v6, 2, v3
	s_waitcnt lgkmcnt(0)
	v_cndmask_b32_e32 v4, 0, v4, vcc
	v_cmp_gt_u32_e32 vcc, 62, v3
	v_add_u32_e32 v1, v1, v4
	s_nop 0
	v_cndmask_b32_e64 v4, 0, 1, vcc
	v_lshlrev_b32_e32 v4, 1, v4
	v_add_lshl_u32 v4, v4, v2, 2
	ds_bpermute_b32 v4, v4, v1
	v_cmp_lt_u32_e32 vcc, v6, v5
	v_add_u32_e32 v6, 4, v3
	s_waitcnt lgkmcnt(0)
	v_cndmask_b32_e32 v4, 0, v4, vcc
	v_cmp_gt_u32_e32 vcc, 60, v3
	v_add_u32_e32 v1, v1, v4
	s_nop 0
	v_cndmask_b32_e64 v4, 0, 1, vcc
	v_lshlrev_b32_e32 v4, 2, v4
	v_add_lshl_u32 v4, v4, v2, 2
	ds_bpermute_b32 v4, v4, v1
	;; [unrolled: 11-line block ×4, first 2 shown]
	v_cmp_lt_u32_e32 vcc, v6, v5
	s_waitcnt lgkmcnt(0)
	s_nop 0
	v_cndmask_b32_e32 v4, 0, v4, vcc
	v_cmp_gt_u32_e32 vcc, 32, v3
	v_add_u32_e32 v1, v1, v4
	v_add_u32_e32 v3, 32, v3
	v_cndmask_b32_e64 v4, 0, 1, vcc
	v_lshlrev_b32_e32 v4, 5, v4
	v_add_lshl_u32 v4, v4, v2, 2
	ds_bpermute_b32 v4, v4, v1
	v_cmp_lt_u32_e32 vcc, v3, v5
	s_waitcnt lgkmcnt(0)
	s_nop 0
	v_cndmask_b32_e32 v3, 0, v4, vcc
	v_add_u32_e32 v1, v1, v3
	v_cmp_eq_u32_e32 vcc, 0, v2
	s_and_saveexec_b64 s[4:5], vcc
	s_cbranch_execz .LBB107_162
; %bb.161:
	v_lshrrev_b32_e32 v3, 4, v0
	v_and_b32_e32 v3, 12, v3
	ds_write_b32 v3, v1 offset:96
.LBB107_162:
	s_or_b64 exec, exec, s[4:5]
	v_cmp_gt_u32_e32 vcc, 4, v0
	s_waitcnt lgkmcnt(0)
	s_barrier
	s_and_saveexec_b64 s[4:5], vcc
	s_cbranch_execz .LBB107_164
; %bb.163:
	v_lshlrev_b32_e32 v1, 2, v2
	ds_read_b32 v1, v1 offset:96
	v_and_b32_e32 v3, 3, v2
	v_cmp_ne_u32_e32 vcc, 3, v3
	s_add_i32 s6, s6, 63
	s_lshr_b32 s6, s6, 6
	v_addc_co_u32_e32 v4, vcc, 0, v2, vcc
	v_lshlrev_b32_e32 v4, 2, v4
	s_waitcnt lgkmcnt(0)
	ds_bpermute_b32 v4, v4, v1
	v_add_u32_e32 v5, 1, v3
	v_cmp_gt_u32_e32 vcc, s6, v5
	s_waitcnt lgkmcnt(0)
	s_nop 0
	v_cndmask_b32_e32 v4, 0, v4, vcc
	v_cmp_gt_u32_e32 vcc, 2, v3
	v_add_u32_e32 v1, v4, v1
	v_add_u32_e32 v3, 2, v3
	v_cndmask_b32_e64 v4, 0, 1, vcc
	v_lshlrev_b32_e32 v4, 1, v4
	v_add_lshl_u32 v2, v4, v2, 2
	ds_bpermute_b32 v2, v2, v1
	v_cmp_gt_u32_e32 vcc, s6, v3
	s_waitcnt lgkmcnt(0)
	s_nop 0
	v_cndmask_b32_e32 v2, 0, v2, vcc
	v_add_u32_e32 v1, v1, v2
.LBB107_164:
	s_or_b64 exec, exec, s[4:5]
.LBB107_165:
	v_cmp_eq_u32_e64 s[6:7], 0, v0
	s_branch .LBB107_224
.LBB107_166:
	s_cmp_gt_i32 s33, 1
	s_cbranch_scc0 .LBB107_175
; %bb.167:
	s_cmp_gt_i32 s33, 3
	s_cbranch_scc0 .LBB107_176
; %bb.168:
	s_cmp_eq_u32 s33, 4
	s_cbranch_scc0 .LBB107_177
; %bb.169:
	s_mov_b32 s3, 0
	s_lshl_b32 s4, s2, 10
	s_mov_b32 s5, s3
	s_lshr_b64 s[6:7], s[38:39], 10
	s_lshl_b64 s[8:9], s[4:5], 2
	s_add_u32 s8, s36, s8
	s_addc_u32 s9, s37, s9
	s_cmp_lg_u64 s[6:7], s[2:3]
	s_cbranch_scc0 .LBB107_179
; %bb.170:
	v_lshlrev_b32_e32 v1, 2, v0
	global_load_dword v3, v1, s[8:9]
	global_load_dword v4, v1, s[8:9] offset:1024
	global_load_dword v5, v1, s[8:9] offset:2048
	global_load_dword v6, v1, s[8:9] offset:3072
	v_mbcnt_lo_u32_b32 v1, -1, 0
	v_mbcnt_hi_u32_b32 v2, -1, v1
	v_bfrev_b32_e32 v7, 0.5
	v_cmp_eq_u32_e32 vcc, 0, v2
	s_waitcnt vmcnt(2)
	v_add_u32_e32 v1, v4, v3
	v_lshl_or_b32 v3, v2, 2, v7
	s_waitcnt vmcnt(0)
	v_add3_u32 v1, v1, v5, v6
	s_nop 1
	v_add_u32_dpp v1, v1, v1 quad_perm:[1,0,3,2] row_mask:0xf bank_mask:0xf bound_ctrl:1
	s_nop 1
	v_add_u32_dpp v1, v1, v1 quad_perm:[2,3,0,1] row_mask:0xf bank_mask:0xf bound_ctrl:1
	s_nop 1
	v_add_u32_dpp v1, v1, v1 row_ror:4 row_mask:0xf bank_mask:0xf bound_ctrl:1
	s_nop 1
	v_add_u32_dpp v1, v1, v1 row_ror:8 row_mask:0xf bank_mask:0xf bound_ctrl:1
	s_nop 1
	v_add_u32_dpp v1, v1, v1 row_bcast:15 row_mask:0xf bank_mask:0xf bound_ctrl:1
	s_nop 1
	v_add_u32_dpp v1, v1, v1 row_bcast:31 row_mask:0xf bank_mask:0xf bound_ctrl:1
	ds_bpermute_b32 v1, v3, v1
	s_and_saveexec_b64 s[6:7], vcc
	s_cbranch_execz .LBB107_172
; %bb.171:
	v_lshrrev_b32_e32 v3, 4, v0
	v_and_b32_e32 v3, 12, v3
	s_waitcnt lgkmcnt(0)
	ds_write_b32 v3, v1 offset:64
.LBB107_172:
	s_or_b64 exec, exec, s[6:7]
	v_cmp_gt_u32_e32 vcc, 64, v0
	s_waitcnt lgkmcnt(0)
	s_barrier
	s_and_saveexec_b64 s[6:7], vcc
	s_cbranch_execz .LBB107_174
; %bb.173:
	v_and_b32_e32 v1, 3, v2
	v_lshlrev_b32_e32 v3, 2, v1
	ds_read_b32 v3, v3 offset:64
	v_cmp_ne_u32_e32 vcc, 3, v1
	s_nop 1
	v_addc_co_u32_e32 v4, vcc, 0, v2, vcc
	v_lshlrev_b32_e32 v4, 2, v4
	s_waitcnt lgkmcnt(0)
	ds_bpermute_b32 v4, v4, v3
	v_cmp_gt_u32_e32 vcc, 2, v1
	s_waitcnt lgkmcnt(0)
	v_add_u32_e32 v3, v4, v3
	v_cndmask_b32_e64 v1, 0, 1, vcc
	v_lshlrev_b32_e32 v1, 1, v1
	v_add_lshl_u32 v1, v1, v2, 2
	ds_bpermute_b32 v1, v1, v3
	s_waitcnt lgkmcnt(0)
	v_add_u32_e32 v1, v1, v3
.LBB107_174:
	s_or_b64 exec, exec, s[6:7]
	s_mov_b64 s[6:7], 0
	s_branch .LBB107_180
.LBB107_175:
                                        ; implicit-def: $vgpr1
	s_cbranch_execnz .LBB107_215
	s_branch .LBB107_224
.LBB107_176:
                                        ; implicit-def: $vgpr1
	s_cbranch_execz .LBB107_178
	s_branch .LBB107_195
.LBB107_177:
                                        ; implicit-def: $vgpr1
.LBB107_178:
	s_branch .LBB107_224
.LBB107_179:
	s_mov_b64 s[6:7], -1
                                        ; implicit-def: $vgpr1
.LBB107_180:
	s_and_b64 vcc, exec, s[6:7]
	s_cbranch_vccz .LBB107_194
; %bb.181:
	s_sub_i32 s12, s38, s4
	v_cmp_gt_u32_e32 vcc, s12, v0
                                        ; implicit-def: $vgpr2_vgpr3_vgpr4_vgpr5
	s_and_saveexec_b64 s[4:5], vcc
	s_cbranch_execz .LBB107_183
; %bb.182:
	v_lshlrev_b32_e32 v1, 2, v0
	global_load_dword v2, v1, s[8:9]
.LBB107_183:
	s_or_b64 exec, exec, s[4:5]
	v_or_b32_e32 v1, 0x100, v0
	v_cmp_gt_u32_e32 vcc, s12, v1
	s_and_saveexec_b64 s[4:5], vcc
	s_cbranch_execz .LBB107_185
; %bb.184:
	v_lshlrev_b32_e32 v1, 2, v0
	global_load_dword v3, v1, s[8:9] offset:1024
.LBB107_185:
	s_or_b64 exec, exec, s[4:5]
	v_or_b32_e32 v1, 0x200, v0
	v_cmp_gt_u32_e64 s[4:5], s12, v1
	s_and_saveexec_b64 s[6:7], s[4:5]
	s_cbranch_execz .LBB107_187
; %bb.186:
	v_lshlrev_b32_e32 v1, 2, v0
	global_load_dword v4, v1, s[8:9] offset:2048
.LBB107_187:
	s_or_b64 exec, exec, s[6:7]
	v_or_b32_e32 v1, 0x300, v0
	v_cmp_gt_u32_e64 s[6:7], s12, v1
	s_and_saveexec_b64 s[10:11], s[6:7]
	s_cbranch_execz .LBB107_189
; %bb.188:
	v_lshlrev_b32_e32 v1, 2, v0
	global_load_dword v5, v1, s[8:9] offset:3072
.LBB107_189:
	s_or_b64 exec, exec, s[10:11]
	s_waitcnt vmcnt(0)
	v_cndmask_b32_e32 v1, 0, v3, vcc
	v_add_u32_e32 v1, v1, v2
	v_cndmask_b32_e64 v2, 0, v4, s[4:5]
	v_cndmask_b32_e64 v3, 0, v5, s[6:7]
	v_add3_u32 v1, v1, v2, v3
	v_mbcnt_lo_u32_b32 v2, -1, 0
	v_mbcnt_hi_u32_b32 v2, -1, v2
	v_and_b32_e32 v3, 63, v2
	v_cmp_ne_u32_e32 vcc, 63, v3
	s_min_u32 s6, s12, 0x100
	v_and_b32_e32 v5, 0xc0, v0
	v_addc_co_u32_e32 v4, vcc, 0, v2, vcc
	v_lshlrev_b32_e32 v4, 2, v4
	ds_bpermute_b32 v4, v4, v1
	v_sub_u32_e64 v5, s6, v5 clamp
	v_add_u32_e32 v6, 1, v3
	v_cmp_lt_u32_e32 vcc, v6, v5
	v_add_u32_e32 v6, 2, v3
	s_waitcnt lgkmcnt(0)
	v_cndmask_b32_e32 v4, 0, v4, vcc
	v_cmp_gt_u32_e32 vcc, 62, v3
	v_add_u32_e32 v1, v4, v1
	s_nop 0
	v_cndmask_b32_e64 v4, 0, 1, vcc
	v_lshlrev_b32_e32 v4, 1, v4
	v_add_lshl_u32 v4, v4, v2, 2
	ds_bpermute_b32 v4, v4, v1
	v_cmp_lt_u32_e32 vcc, v6, v5
	v_add_u32_e32 v6, 4, v3
	s_waitcnt lgkmcnt(0)
	v_cndmask_b32_e32 v4, 0, v4, vcc
	v_cmp_gt_u32_e32 vcc, 60, v3
	v_add_u32_e32 v1, v1, v4
	s_nop 0
	v_cndmask_b32_e64 v4, 0, 1, vcc
	v_lshlrev_b32_e32 v4, 2, v4
	v_add_lshl_u32 v4, v4, v2, 2
	ds_bpermute_b32 v4, v4, v1
	;; [unrolled: 11-line block ×4, first 2 shown]
	v_cmp_lt_u32_e32 vcc, v6, v5
	s_waitcnt lgkmcnt(0)
	s_nop 0
	v_cndmask_b32_e32 v4, 0, v4, vcc
	v_cmp_gt_u32_e32 vcc, 32, v3
	v_add_u32_e32 v1, v1, v4
	v_add_u32_e32 v3, 32, v3
	v_cndmask_b32_e64 v4, 0, 1, vcc
	v_lshlrev_b32_e32 v4, 5, v4
	v_add_lshl_u32 v4, v4, v2, 2
	ds_bpermute_b32 v4, v4, v1
	v_cmp_lt_u32_e32 vcc, v3, v5
	s_waitcnt lgkmcnt(0)
	s_nop 0
	v_cndmask_b32_e32 v3, 0, v4, vcc
	v_add_u32_e32 v1, v1, v3
	v_cmp_eq_u32_e32 vcc, 0, v2
	s_and_saveexec_b64 s[4:5], vcc
	s_cbranch_execz .LBB107_191
; %bb.190:
	v_lshrrev_b32_e32 v3, 4, v0
	v_and_b32_e32 v3, 12, v3
	ds_write_b32 v3, v1 offset:96
.LBB107_191:
	s_or_b64 exec, exec, s[4:5]
	v_cmp_gt_u32_e32 vcc, 4, v0
	s_waitcnt lgkmcnt(0)
	s_barrier
	s_and_saveexec_b64 s[4:5], vcc
	s_cbranch_execz .LBB107_193
; %bb.192:
	v_lshlrev_b32_e32 v1, 2, v2
	ds_read_b32 v1, v1 offset:96
	v_and_b32_e32 v3, 3, v2
	v_cmp_ne_u32_e32 vcc, 3, v3
	s_add_i32 s6, s6, 63
	s_lshr_b32 s6, s6, 6
	v_addc_co_u32_e32 v4, vcc, 0, v2, vcc
	v_lshlrev_b32_e32 v4, 2, v4
	s_waitcnt lgkmcnt(0)
	ds_bpermute_b32 v4, v4, v1
	v_add_u32_e32 v5, 1, v3
	v_cmp_gt_u32_e32 vcc, s6, v5
	s_waitcnt lgkmcnt(0)
	s_nop 0
	v_cndmask_b32_e32 v4, 0, v4, vcc
	v_cmp_gt_u32_e32 vcc, 2, v3
	v_add_u32_e32 v1, v4, v1
	v_add_u32_e32 v3, 2, v3
	v_cndmask_b32_e64 v4, 0, 1, vcc
	v_lshlrev_b32_e32 v4, 1, v4
	v_add_lshl_u32 v2, v4, v2, 2
	ds_bpermute_b32 v2, v2, v1
	v_cmp_gt_u32_e32 vcc, s6, v3
	s_waitcnt lgkmcnt(0)
	s_nop 0
	v_cndmask_b32_e32 v2, 0, v2, vcc
	v_add_u32_e32 v1, v1, v2
.LBB107_193:
	s_or_b64 exec, exec, s[4:5]
.LBB107_194:
	v_cmp_eq_u32_e64 s[6:7], 0, v0
	s_branch .LBB107_178
.LBB107_195:
	s_cmp_eq_u32 s33, 2
	s_cbranch_scc0 .LBB107_202
; %bb.196:
	s_mov_b32 s3, 0
	s_lshl_b32 s6, s2, 9
	s_mov_b32 s7, s3
	s_lshr_b64 s[8:9], s[38:39], 9
	s_lshl_b64 s[4:5], s[6:7], 2
	s_add_u32 s4, s36, s4
	s_addc_u32 s5, s37, s5
	s_cmp_lg_u64 s[8:9], s[2:3]
	s_cbranch_scc0 .LBB107_203
; %bb.197:
	v_lshlrev_b32_e32 v1, 2, v0
	global_load_dword v3, v1, s[4:5]
	global_load_dword v4, v1, s[4:5] offset:1024
	v_mbcnt_lo_u32_b32 v1, -1, 0
	v_mbcnt_hi_u32_b32 v2, -1, v1
	v_bfrev_b32_e32 v5, 0.5
	v_cmp_eq_u32_e32 vcc, 0, v2
	s_waitcnt vmcnt(0)
	v_add_u32_e32 v1, v4, v3
	s_nop 1
	v_add_u32_dpp v1, v1, v1 quad_perm:[1,0,3,2] row_mask:0xf bank_mask:0xf bound_ctrl:1
	v_lshl_or_b32 v3, v2, 2, v5
	s_nop 0
	v_add_u32_dpp v1, v1, v1 quad_perm:[2,3,0,1] row_mask:0xf bank_mask:0xf bound_ctrl:1
	s_nop 1
	v_add_u32_dpp v1, v1, v1 row_ror:4 row_mask:0xf bank_mask:0xf bound_ctrl:1
	s_nop 1
	v_add_u32_dpp v1, v1, v1 row_ror:8 row_mask:0xf bank_mask:0xf bound_ctrl:1
	s_nop 1
	v_add_u32_dpp v1, v1, v1 row_bcast:15 row_mask:0xf bank_mask:0xf bound_ctrl:1
	s_nop 1
	v_add_u32_dpp v1, v1, v1 row_bcast:31 row_mask:0xf bank_mask:0xf bound_ctrl:1
	ds_bpermute_b32 v1, v3, v1
	s_and_saveexec_b64 s[8:9], vcc
	s_cbranch_execz .LBB107_199
; %bb.198:
	v_lshrrev_b32_e32 v3, 4, v0
	v_and_b32_e32 v3, 12, v3
	s_waitcnt lgkmcnt(0)
	ds_write_b32 v3, v1 offset:32
.LBB107_199:
	s_or_b64 exec, exec, s[8:9]
	v_cmp_gt_u32_e32 vcc, 64, v0
	s_waitcnt lgkmcnt(0)
	s_barrier
	s_and_saveexec_b64 s[8:9], vcc
	s_cbranch_execz .LBB107_201
; %bb.200:
	v_and_b32_e32 v1, 3, v2
	v_lshlrev_b32_e32 v3, 2, v1
	ds_read_b32 v3, v3 offset:32
	v_cmp_ne_u32_e32 vcc, 3, v1
	s_nop 1
	v_addc_co_u32_e32 v4, vcc, 0, v2, vcc
	v_lshlrev_b32_e32 v4, 2, v4
	s_waitcnt lgkmcnt(0)
	ds_bpermute_b32 v4, v4, v3
	v_cmp_gt_u32_e32 vcc, 2, v1
	s_waitcnt lgkmcnt(0)
	v_add_u32_e32 v3, v4, v3
	v_cndmask_b32_e64 v1, 0, 1, vcc
	v_lshlrev_b32_e32 v1, 1, v1
	v_add_lshl_u32 v1, v1, v2, 2
	ds_bpermute_b32 v1, v1, v3
	s_waitcnt lgkmcnt(0)
	v_add_u32_e32 v1, v1, v3
.LBB107_201:
	s_or_b64 exec, exec, s[8:9]
	s_mov_b64 s[8:9], 0
	s_branch .LBB107_204
.LBB107_202:
                                        ; implicit-def: $vgpr1
	s_branch .LBB107_224
.LBB107_203:
	s_mov_b64 s[8:9], -1
                                        ; implicit-def: $vgpr1
.LBB107_204:
	s_and_b64 vcc, exec, s[8:9]
	s_cbranch_vccz .LBB107_214
; %bb.205:
	s_sub_i32 s8, s38, s6
	v_cmp_gt_u32_e32 vcc, s8, v0
                                        ; implicit-def: $vgpr2_vgpr3
	s_and_saveexec_b64 s[6:7], vcc
	s_cbranch_execz .LBB107_207
; %bb.206:
	v_lshlrev_b32_e32 v1, 2, v0
	global_load_dword v2, v1, s[4:5]
.LBB107_207:
	s_or_b64 exec, exec, s[6:7]
	v_or_b32_e32 v1, 0x100, v0
	v_cmp_gt_u32_e32 vcc, s8, v1
	s_and_saveexec_b64 s[6:7], vcc
	s_cbranch_execz .LBB107_209
; %bb.208:
	v_lshlrev_b32_e32 v1, 2, v0
	global_load_dword v3, v1, s[4:5] offset:1024
.LBB107_209:
	s_or_b64 exec, exec, s[6:7]
	s_waitcnt vmcnt(0)
	v_cndmask_b32_e32 v1, 0, v3, vcc
	v_add_u32_e32 v1, v1, v2
	v_mbcnt_lo_u32_b32 v2, -1, 0
	v_mbcnt_hi_u32_b32 v2, -1, v2
	v_and_b32_e32 v3, 63, v2
	v_cmp_ne_u32_e32 vcc, 63, v3
	s_min_u32 s6, s8, 0x100
	v_and_b32_e32 v5, 0xc0, v0
	v_addc_co_u32_e32 v4, vcc, 0, v2, vcc
	v_lshlrev_b32_e32 v4, 2, v4
	ds_bpermute_b32 v4, v4, v1
	v_sub_u32_e64 v5, s6, v5 clamp
	v_add_u32_e32 v6, 1, v3
	v_cmp_lt_u32_e32 vcc, v6, v5
	v_add_u32_e32 v6, 2, v3
	s_waitcnt lgkmcnt(0)
	v_cndmask_b32_e32 v4, 0, v4, vcc
	v_cmp_gt_u32_e32 vcc, 62, v3
	v_add_u32_e32 v1, v4, v1
	s_nop 0
	v_cndmask_b32_e64 v4, 0, 1, vcc
	v_lshlrev_b32_e32 v4, 1, v4
	v_add_lshl_u32 v4, v4, v2, 2
	ds_bpermute_b32 v4, v4, v1
	v_cmp_lt_u32_e32 vcc, v6, v5
	v_add_u32_e32 v6, 4, v3
	s_waitcnt lgkmcnt(0)
	v_cndmask_b32_e32 v4, 0, v4, vcc
	v_cmp_gt_u32_e32 vcc, 60, v3
	v_add_u32_e32 v1, v1, v4
	s_nop 0
	v_cndmask_b32_e64 v4, 0, 1, vcc
	v_lshlrev_b32_e32 v4, 2, v4
	v_add_lshl_u32 v4, v4, v2, 2
	ds_bpermute_b32 v4, v4, v1
	;; [unrolled: 11-line block ×4, first 2 shown]
	v_cmp_lt_u32_e32 vcc, v6, v5
	s_waitcnt lgkmcnt(0)
	s_nop 0
	v_cndmask_b32_e32 v4, 0, v4, vcc
	v_cmp_gt_u32_e32 vcc, 32, v3
	v_add_u32_e32 v1, v1, v4
	v_add_u32_e32 v3, 32, v3
	v_cndmask_b32_e64 v4, 0, 1, vcc
	v_lshlrev_b32_e32 v4, 5, v4
	v_add_lshl_u32 v4, v4, v2, 2
	ds_bpermute_b32 v4, v4, v1
	v_cmp_lt_u32_e32 vcc, v3, v5
	s_waitcnt lgkmcnt(0)
	s_nop 0
	v_cndmask_b32_e32 v3, 0, v4, vcc
	v_add_u32_e32 v1, v1, v3
	v_cmp_eq_u32_e32 vcc, 0, v2
	s_and_saveexec_b64 s[4:5], vcc
	s_cbranch_execz .LBB107_211
; %bb.210:
	v_lshrrev_b32_e32 v3, 4, v0
	v_and_b32_e32 v3, 12, v3
	ds_write_b32 v3, v1 offset:96
.LBB107_211:
	s_or_b64 exec, exec, s[4:5]
	v_cmp_gt_u32_e32 vcc, 4, v0
	s_waitcnt lgkmcnt(0)
	s_barrier
	s_and_saveexec_b64 s[4:5], vcc
	s_cbranch_execz .LBB107_213
; %bb.212:
	v_lshlrev_b32_e32 v1, 2, v2
	ds_read_b32 v1, v1 offset:96
	v_and_b32_e32 v3, 3, v2
	v_cmp_ne_u32_e32 vcc, 3, v3
	s_add_i32 s6, s6, 63
	s_lshr_b32 s6, s6, 6
	v_addc_co_u32_e32 v4, vcc, 0, v2, vcc
	v_lshlrev_b32_e32 v4, 2, v4
	s_waitcnt lgkmcnt(0)
	ds_bpermute_b32 v4, v4, v1
	v_add_u32_e32 v5, 1, v3
	v_cmp_gt_u32_e32 vcc, s6, v5
	s_waitcnt lgkmcnt(0)
	s_nop 0
	v_cndmask_b32_e32 v4, 0, v4, vcc
	v_cmp_gt_u32_e32 vcc, 2, v3
	v_add_u32_e32 v1, v4, v1
	v_add_u32_e32 v3, 2, v3
	v_cndmask_b32_e64 v4, 0, 1, vcc
	v_lshlrev_b32_e32 v4, 1, v4
	v_add_lshl_u32 v2, v4, v2, 2
	ds_bpermute_b32 v2, v2, v1
	v_cmp_gt_u32_e32 vcc, s6, v3
	s_waitcnt lgkmcnt(0)
	s_nop 0
	v_cndmask_b32_e32 v2, 0, v2, vcc
	v_add_u32_e32 v1, v1, v2
.LBB107_213:
	s_or_b64 exec, exec, s[4:5]
.LBB107_214:
	v_cmp_eq_u32_e64 s[6:7], 0, v0
	s_branch .LBB107_224
.LBB107_215:
	s_cmp_eq_u32 s33, 1
	s_cbranch_scc0 .LBB107_223
; %bb.216:
	s_mov_b32 s5, 0
	s_lshl_b32 s4, s2, 8
	s_mov_b32 s3, s5
	s_lshr_b64 s[6:7], s[38:39], 8
	s_cmp_lg_u64 s[6:7], s[2:3]
	v_mbcnt_lo_u32_b32 v2, -1, 0
	s_cbranch_scc0 .LBB107_227
; %bb.217:
	s_lshl_b64 s[6:7], s[4:5], 2
	s_add_u32 s6, s36, s6
	s_addc_u32 s7, s37, s7
	v_lshlrev_b32_e32 v1, 2, v0
	global_load_dword v1, v1, s[6:7]
	v_mbcnt_hi_u32_b32 v3, -1, v2
	v_bfrev_b32_e32 v4, 0.5
	v_lshl_or_b32 v4, v3, 2, v4
	v_cmp_eq_u32_e32 vcc, 0, v3
	s_waitcnt vmcnt(0)
	v_add_u32_dpp v1, v1, v1 quad_perm:[1,0,3,2] row_mask:0xf bank_mask:0xf bound_ctrl:1
	s_nop 1
	v_add_u32_dpp v1, v1, v1 quad_perm:[2,3,0,1] row_mask:0xf bank_mask:0xf bound_ctrl:1
	s_nop 1
	v_add_u32_dpp v1, v1, v1 row_ror:4 row_mask:0xf bank_mask:0xf bound_ctrl:1
	s_nop 1
	v_add_u32_dpp v1, v1, v1 row_ror:8 row_mask:0xf bank_mask:0xf bound_ctrl:1
	s_nop 1
	v_add_u32_dpp v1, v1, v1 row_bcast:15 row_mask:0xf bank_mask:0xf bound_ctrl:1
	s_nop 1
	v_add_u32_dpp v1, v1, v1 row_bcast:31 row_mask:0xf bank_mask:0xf bound_ctrl:1
	ds_bpermute_b32 v1, v4, v1
	s_and_saveexec_b64 s[6:7], vcc
	s_cbranch_execz .LBB107_219
; %bb.218:
	v_lshrrev_b32_e32 v4, 4, v0
	v_and_b32_e32 v4, 12, v4
	s_waitcnt lgkmcnt(0)
	ds_write_b32 v4, v1 offset:16
.LBB107_219:
	s_or_b64 exec, exec, s[6:7]
	v_cmp_gt_u32_e32 vcc, 64, v0
	s_waitcnt lgkmcnt(0)
	s_barrier
	s_and_saveexec_b64 s[6:7], vcc
	s_cbranch_execz .LBB107_221
; %bb.220:
	v_and_b32_e32 v1, 3, v3
	v_lshlrev_b32_e32 v4, 2, v1
	ds_read_b32 v4, v4 offset:16
	v_cmp_ne_u32_e32 vcc, 3, v1
	s_nop 1
	v_addc_co_u32_e32 v5, vcc, 0, v3, vcc
	v_lshlrev_b32_e32 v5, 2, v5
	s_waitcnt lgkmcnt(0)
	ds_bpermute_b32 v5, v5, v4
	v_cmp_gt_u32_e32 vcc, 2, v1
	s_waitcnt lgkmcnt(0)
	v_add_u32_e32 v4, v5, v4
	v_cndmask_b32_e64 v1, 0, 1, vcc
	v_lshlrev_b32_e32 v1, 1, v1
	v_add_lshl_u32 v1, v1, v3, 2
	ds_bpermute_b32 v1, v1, v4
	s_waitcnt lgkmcnt(0)
	v_add_u32_e32 v1, v1, v4
.LBB107_221:
	s_or_b64 exec, exec, s[6:7]
.LBB107_222:
	v_cmp_eq_u32_e64 s[6:7], 0, v0
	s_and_saveexec_b64 s[4:5], s[6:7]
	s_cbranch_execnz .LBB107_225
	s_branch .LBB107_226
.LBB107_223:
                                        ; implicit-def: $vgpr1
                                        ; implicit-def: $sgpr2_sgpr3
.LBB107_224:
	s_and_saveexec_b64 s[4:5], s[6:7]
	s_cbranch_execz .LBB107_226
.LBB107_225:
	s_load_dwordx2 s[4:5], s[0:1], 0x18
	s_load_dword s6, s[0:1], 0x20
	s_lshl_b64 s[0:1], s[2:3], 2
	v_mov_b32_e32 v0, 0
	s_waitcnt lgkmcnt(0)
	s_add_u32 s0, s4, s0
	s_addc_u32 s1, s5, s1
	s_cmp_lg_u64 s[38:39], 0
	s_cselect_b64 vcc, -1, 0
	v_cndmask_b32_e32 v1, 0, v1, vcc
	v_add_u32_e32 v1, s6, v1
	global_store_dword v0, v1, s[0:1]
.LBB107_226:
	s_endpgm
.LBB107_227:
                                        ; implicit-def: $vgpr1
	s_cbranch_execz .LBB107_222
; %bb.228:
	s_sub_i32 s8, s38, s4
	v_cmp_gt_u32_e32 vcc, s8, v0
                                        ; implicit-def: $vgpr1
	s_and_saveexec_b64 s[6:7], vcc
	s_cbranch_execz .LBB107_230
; %bb.229:
	s_lshl_b64 s[4:5], s[4:5], 2
	s_add_u32 s4, s36, s4
	s_addc_u32 s5, s37, s5
	v_lshlrev_b32_e32 v1, 2, v0
	global_load_dword v1, v1, s[4:5]
.LBB107_230:
	s_or_b64 exec, exec, s[6:7]
	v_mbcnt_hi_u32_b32 v2, -1, v2
	v_and_b32_e32 v3, 63, v2
	v_cmp_ne_u32_e32 vcc, 63, v3
	s_min_u32 s6, s8, 0x100
	v_and_b32_e32 v5, 0xc0, v0
	v_addc_co_u32_e32 v4, vcc, 0, v2, vcc
	v_lshlrev_b32_e32 v4, 2, v4
	s_waitcnt vmcnt(0)
	ds_bpermute_b32 v4, v4, v1
	v_sub_u32_e64 v5, s6, v5 clamp
	v_add_u32_e32 v6, 1, v3
	v_cmp_lt_u32_e32 vcc, v6, v5
	v_add_u32_e32 v6, 2, v3
	s_waitcnt lgkmcnt(0)
	v_cndmask_b32_e32 v4, 0, v4, vcc
	v_cmp_gt_u32_e32 vcc, 62, v3
	v_add_u32_e32 v1, v4, v1
	s_nop 0
	v_cndmask_b32_e64 v4, 0, 1, vcc
	v_lshlrev_b32_e32 v4, 1, v4
	v_add_lshl_u32 v4, v4, v2, 2
	ds_bpermute_b32 v4, v4, v1
	v_cmp_lt_u32_e32 vcc, v6, v5
	v_add_u32_e32 v6, 4, v3
	s_waitcnt lgkmcnt(0)
	v_cndmask_b32_e32 v4, 0, v4, vcc
	v_cmp_gt_u32_e32 vcc, 60, v3
	v_add_u32_e32 v1, v1, v4
	s_nop 0
	v_cndmask_b32_e64 v4, 0, 1, vcc
	v_lshlrev_b32_e32 v4, 2, v4
	v_add_lshl_u32 v4, v4, v2, 2
	ds_bpermute_b32 v4, v4, v1
	;; [unrolled: 11-line block ×4, first 2 shown]
	v_cmp_lt_u32_e32 vcc, v6, v5
	s_waitcnt lgkmcnt(0)
	s_nop 0
	v_cndmask_b32_e32 v4, 0, v4, vcc
	v_cmp_gt_u32_e32 vcc, 32, v3
	v_add_u32_e32 v1, v1, v4
	v_add_u32_e32 v3, 32, v3
	v_cndmask_b32_e64 v4, 0, 1, vcc
	v_lshlrev_b32_e32 v4, 5, v4
	v_add_lshl_u32 v4, v4, v2, 2
	ds_bpermute_b32 v4, v4, v1
	v_cmp_lt_u32_e32 vcc, v3, v5
	s_waitcnt lgkmcnt(0)
	s_nop 0
	v_cndmask_b32_e32 v3, 0, v4, vcc
	v_add_u32_e32 v1, v1, v3
	v_cmp_eq_u32_e32 vcc, 0, v2
	s_and_saveexec_b64 s[4:5], vcc
	s_cbranch_execz .LBB107_232
; %bb.231:
	v_lshrrev_b32_e32 v3, 4, v0
	v_and_b32_e32 v3, 12, v3
	ds_write_b32 v3, v1 offset:96
.LBB107_232:
	s_or_b64 exec, exec, s[4:5]
	v_cmp_gt_u32_e32 vcc, 4, v0
	s_waitcnt lgkmcnt(0)
	s_barrier
	s_and_saveexec_b64 s[4:5], vcc
	s_cbranch_execz .LBB107_234
; %bb.233:
	v_lshlrev_b32_e32 v1, 2, v2
	ds_read_b32 v1, v1 offset:96
	v_and_b32_e32 v3, 3, v2
	v_cmp_ne_u32_e32 vcc, 3, v3
	s_add_i32 s6, s6, 63
	s_lshr_b32 s6, s6, 6
	v_addc_co_u32_e32 v4, vcc, 0, v2, vcc
	v_lshlrev_b32_e32 v4, 2, v4
	s_waitcnt lgkmcnt(0)
	ds_bpermute_b32 v4, v4, v1
	v_add_u32_e32 v5, 1, v3
	v_cmp_gt_u32_e32 vcc, s6, v5
	s_waitcnt lgkmcnt(0)
	s_nop 0
	v_cndmask_b32_e32 v4, 0, v4, vcc
	v_cmp_gt_u32_e32 vcc, 2, v3
	v_add_u32_e32 v1, v4, v1
	v_add_u32_e32 v3, 2, v3
	v_cndmask_b32_e64 v4, 0, 1, vcc
	v_lshlrev_b32_e32 v4, 1, v4
	v_add_lshl_u32 v2, v4, v2, 2
	ds_bpermute_b32 v2, v2, v1
	v_cmp_gt_u32_e32 vcc, s6, v3
	s_waitcnt lgkmcnt(0)
	s_nop 0
	v_cndmask_b32_e32 v2, 0, v2, vcc
	v_add_u32_e32 v1, v1, v2
.LBB107_234:
	s_or_b64 exec, exec, s[4:5]
	v_cmp_eq_u32_e64 s[6:7], 0, v0
	s_and_saveexec_b64 s[4:5], s[6:7]
	s_cbranch_execnz .LBB107_225
	s_branch .LBB107_226
	.section	.rodata,"a",@progbits
	.p2align	6, 0x0
	.amdhsa_kernel _ZN7rocprim17ROCPRIM_400000_NS6detail17trampoline_kernelINS0_14default_configENS1_22reduce_config_selectorIiEEZNS1_11reduce_implILb1ES3_PiS7_iN6hipcub16HIPCUB_304000_NS6detail34convert_binary_result_type_wrapperISt4plusIvENS9_22TransformInputIteratorIiN2at6native8internal21MapNumberOfTrueValuesEPKhlEEiEEEE10hipError_tPvRmT1_T2_T3_mT4_P12ihipStream_tbEUlT_E1_NS1_11comp_targetILNS1_3genE5ELNS1_11target_archE942ELNS1_3gpuE9ELNS1_3repE0EEENS1_30default_config_static_selectorELNS0_4arch9wavefront6targetE1EEEvSQ_
		.amdhsa_group_segment_fixed_size 112
		.amdhsa_private_segment_fixed_size 0
		.amdhsa_kernarg_size 40
		.amdhsa_user_sgpr_count 2
		.amdhsa_user_sgpr_dispatch_ptr 0
		.amdhsa_user_sgpr_queue_ptr 0
		.amdhsa_user_sgpr_kernarg_segment_ptr 1
		.amdhsa_user_sgpr_dispatch_id 0
		.amdhsa_user_sgpr_kernarg_preload_length 0
		.amdhsa_user_sgpr_kernarg_preload_offset 0
		.amdhsa_user_sgpr_private_segment_size 0
		.amdhsa_uses_dynamic_stack 0
		.amdhsa_enable_private_segment 0
		.amdhsa_system_sgpr_workgroup_id_x 1
		.amdhsa_system_sgpr_workgroup_id_y 0
		.amdhsa_system_sgpr_workgroup_id_z 0
		.amdhsa_system_sgpr_workgroup_info 0
		.amdhsa_system_vgpr_workitem_id 0
		.amdhsa_next_free_vgpr 35
		.amdhsa_next_free_sgpr 43
		.amdhsa_accum_offset 36
		.amdhsa_reserve_vcc 1
		.amdhsa_float_round_mode_32 0
		.amdhsa_float_round_mode_16_64 0
		.amdhsa_float_denorm_mode_32 3
		.amdhsa_float_denorm_mode_16_64 3
		.amdhsa_dx10_clamp 1
		.amdhsa_ieee_mode 1
		.amdhsa_fp16_overflow 0
		.amdhsa_tg_split 0
		.amdhsa_exception_fp_ieee_invalid_op 0
		.amdhsa_exception_fp_denorm_src 0
		.amdhsa_exception_fp_ieee_div_zero 0
		.amdhsa_exception_fp_ieee_overflow 0
		.amdhsa_exception_fp_ieee_underflow 0
		.amdhsa_exception_fp_ieee_inexact 0
		.amdhsa_exception_int_div_zero 0
	.end_amdhsa_kernel
	.section	.text._ZN7rocprim17ROCPRIM_400000_NS6detail17trampoline_kernelINS0_14default_configENS1_22reduce_config_selectorIiEEZNS1_11reduce_implILb1ES3_PiS7_iN6hipcub16HIPCUB_304000_NS6detail34convert_binary_result_type_wrapperISt4plusIvENS9_22TransformInputIteratorIiN2at6native8internal21MapNumberOfTrueValuesEPKhlEEiEEEE10hipError_tPvRmT1_T2_T3_mT4_P12ihipStream_tbEUlT_E1_NS1_11comp_targetILNS1_3genE5ELNS1_11target_archE942ELNS1_3gpuE9ELNS1_3repE0EEENS1_30default_config_static_selectorELNS0_4arch9wavefront6targetE1EEEvSQ_,"axG",@progbits,_ZN7rocprim17ROCPRIM_400000_NS6detail17trampoline_kernelINS0_14default_configENS1_22reduce_config_selectorIiEEZNS1_11reduce_implILb1ES3_PiS7_iN6hipcub16HIPCUB_304000_NS6detail34convert_binary_result_type_wrapperISt4plusIvENS9_22TransformInputIteratorIiN2at6native8internal21MapNumberOfTrueValuesEPKhlEEiEEEE10hipError_tPvRmT1_T2_T3_mT4_P12ihipStream_tbEUlT_E1_NS1_11comp_targetILNS1_3genE5ELNS1_11target_archE942ELNS1_3gpuE9ELNS1_3repE0EEENS1_30default_config_static_selectorELNS0_4arch9wavefront6targetE1EEEvSQ_,comdat
.Lfunc_end107:
	.size	_ZN7rocprim17ROCPRIM_400000_NS6detail17trampoline_kernelINS0_14default_configENS1_22reduce_config_selectorIiEEZNS1_11reduce_implILb1ES3_PiS7_iN6hipcub16HIPCUB_304000_NS6detail34convert_binary_result_type_wrapperISt4plusIvENS9_22TransformInputIteratorIiN2at6native8internal21MapNumberOfTrueValuesEPKhlEEiEEEE10hipError_tPvRmT1_T2_T3_mT4_P12ihipStream_tbEUlT_E1_NS1_11comp_targetILNS1_3genE5ELNS1_11target_archE942ELNS1_3gpuE9ELNS1_3repE0EEENS1_30default_config_static_selectorELNS0_4arch9wavefront6targetE1EEEvSQ_, .Lfunc_end107-_ZN7rocprim17ROCPRIM_400000_NS6detail17trampoline_kernelINS0_14default_configENS1_22reduce_config_selectorIiEEZNS1_11reduce_implILb1ES3_PiS7_iN6hipcub16HIPCUB_304000_NS6detail34convert_binary_result_type_wrapperISt4plusIvENS9_22TransformInputIteratorIiN2at6native8internal21MapNumberOfTrueValuesEPKhlEEiEEEE10hipError_tPvRmT1_T2_T3_mT4_P12ihipStream_tbEUlT_E1_NS1_11comp_targetILNS1_3genE5ELNS1_11target_archE942ELNS1_3gpuE9ELNS1_3repE0EEENS1_30default_config_static_selectorELNS0_4arch9wavefront6targetE1EEEvSQ_
                                        ; -- End function
	.section	.AMDGPU.csdata,"",@progbits
; Kernel info:
; codeLenInByte = 9500
; NumSgprs: 49
; NumVgprs: 35
; NumAgprs: 0
; TotalNumVgprs: 35
; ScratchSize: 0
; MemoryBound: 0
; FloatMode: 240
; IeeeMode: 1
; LDSByteSize: 112 bytes/workgroup (compile time only)
; SGPRBlocks: 6
; VGPRBlocks: 4
; NumSGPRsForWavesPerEU: 49
; NumVGPRsForWavesPerEU: 35
; AccumOffset: 36
; Occupancy: 8
; WaveLimiterHint : 1
; COMPUTE_PGM_RSRC2:SCRATCH_EN: 0
; COMPUTE_PGM_RSRC2:USER_SGPR: 2
; COMPUTE_PGM_RSRC2:TRAP_HANDLER: 0
; COMPUTE_PGM_RSRC2:TGID_X_EN: 1
; COMPUTE_PGM_RSRC2:TGID_Y_EN: 0
; COMPUTE_PGM_RSRC2:TGID_Z_EN: 0
; COMPUTE_PGM_RSRC2:TIDIG_COMP_CNT: 0
; COMPUTE_PGM_RSRC3_GFX90A:ACCUM_OFFSET: 8
; COMPUTE_PGM_RSRC3_GFX90A:TG_SPLIT: 0
	.section	.text._ZN7rocprim17ROCPRIM_400000_NS6detail17trampoline_kernelINS0_14default_configENS1_22reduce_config_selectorIiEEZNS1_11reduce_implILb1ES3_PiS7_iN6hipcub16HIPCUB_304000_NS6detail34convert_binary_result_type_wrapperISt4plusIvENS9_22TransformInputIteratorIiN2at6native8internal21MapNumberOfTrueValuesEPKhlEEiEEEE10hipError_tPvRmT1_T2_T3_mT4_P12ihipStream_tbEUlT_E1_NS1_11comp_targetILNS1_3genE4ELNS1_11target_archE910ELNS1_3gpuE8ELNS1_3repE0EEENS1_30default_config_static_selectorELNS0_4arch9wavefront6targetE1EEEvSQ_,"axG",@progbits,_ZN7rocprim17ROCPRIM_400000_NS6detail17trampoline_kernelINS0_14default_configENS1_22reduce_config_selectorIiEEZNS1_11reduce_implILb1ES3_PiS7_iN6hipcub16HIPCUB_304000_NS6detail34convert_binary_result_type_wrapperISt4plusIvENS9_22TransformInputIteratorIiN2at6native8internal21MapNumberOfTrueValuesEPKhlEEiEEEE10hipError_tPvRmT1_T2_T3_mT4_P12ihipStream_tbEUlT_E1_NS1_11comp_targetILNS1_3genE4ELNS1_11target_archE910ELNS1_3gpuE8ELNS1_3repE0EEENS1_30default_config_static_selectorELNS0_4arch9wavefront6targetE1EEEvSQ_,comdat
	.protected	_ZN7rocprim17ROCPRIM_400000_NS6detail17trampoline_kernelINS0_14default_configENS1_22reduce_config_selectorIiEEZNS1_11reduce_implILb1ES3_PiS7_iN6hipcub16HIPCUB_304000_NS6detail34convert_binary_result_type_wrapperISt4plusIvENS9_22TransformInputIteratorIiN2at6native8internal21MapNumberOfTrueValuesEPKhlEEiEEEE10hipError_tPvRmT1_T2_T3_mT4_P12ihipStream_tbEUlT_E1_NS1_11comp_targetILNS1_3genE4ELNS1_11target_archE910ELNS1_3gpuE8ELNS1_3repE0EEENS1_30default_config_static_selectorELNS0_4arch9wavefront6targetE1EEEvSQ_ ; -- Begin function _ZN7rocprim17ROCPRIM_400000_NS6detail17trampoline_kernelINS0_14default_configENS1_22reduce_config_selectorIiEEZNS1_11reduce_implILb1ES3_PiS7_iN6hipcub16HIPCUB_304000_NS6detail34convert_binary_result_type_wrapperISt4plusIvENS9_22TransformInputIteratorIiN2at6native8internal21MapNumberOfTrueValuesEPKhlEEiEEEE10hipError_tPvRmT1_T2_T3_mT4_P12ihipStream_tbEUlT_E1_NS1_11comp_targetILNS1_3genE4ELNS1_11target_archE910ELNS1_3gpuE8ELNS1_3repE0EEENS1_30default_config_static_selectorELNS0_4arch9wavefront6targetE1EEEvSQ_
	.globl	_ZN7rocprim17ROCPRIM_400000_NS6detail17trampoline_kernelINS0_14default_configENS1_22reduce_config_selectorIiEEZNS1_11reduce_implILb1ES3_PiS7_iN6hipcub16HIPCUB_304000_NS6detail34convert_binary_result_type_wrapperISt4plusIvENS9_22TransformInputIteratorIiN2at6native8internal21MapNumberOfTrueValuesEPKhlEEiEEEE10hipError_tPvRmT1_T2_T3_mT4_P12ihipStream_tbEUlT_E1_NS1_11comp_targetILNS1_3genE4ELNS1_11target_archE910ELNS1_3gpuE8ELNS1_3repE0EEENS1_30default_config_static_selectorELNS0_4arch9wavefront6targetE1EEEvSQ_
	.p2align	8
	.type	_ZN7rocprim17ROCPRIM_400000_NS6detail17trampoline_kernelINS0_14default_configENS1_22reduce_config_selectorIiEEZNS1_11reduce_implILb1ES3_PiS7_iN6hipcub16HIPCUB_304000_NS6detail34convert_binary_result_type_wrapperISt4plusIvENS9_22TransformInputIteratorIiN2at6native8internal21MapNumberOfTrueValuesEPKhlEEiEEEE10hipError_tPvRmT1_T2_T3_mT4_P12ihipStream_tbEUlT_E1_NS1_11comp_targetILNS1_3genE4ELNS1_11target_archE910ELNS1_3gpuE8ELNS1_3repE0EEENS1_30default_config_static_selectorELNS0_4arch9wavefront6targetE1EEEvSQ_,@function
_ZN7rocprim17ROCPRIM_400000_NS6detail17trampoline_kernelINS0_14default_configENS1_22reduce_config_selectorIiEEZNS1_11reduce_implILb1ES3_PiS7_iN6hipcub16HIPCUB_304000_NS6detail34convert_binary_result_type_wrapperISt4plusIvENS9_22TransformInputIteratorIiN2at6native8internal21MapNumberOfTrueValuesEPKhlEEiEEEE10hipError_tPvRmT1_T2_T3_mT4_P12ihipStream_tbEUlT_E1_NS1_11comp_targetILNS1_3genE4ELNS1_11target_archE910ELNS1_3gpuE8ELNS1_3repE0EEENS1_30default_config_static_selectorELNS0_4arch9wavefront6targetE1EEEvSQ_: ; @_ZN7rocprim17ROCPRIM_400000_NS6detail17trampoline_kernelINS0_14default_configENS1_22reduce_config_selectorIiEEZNS1_11reduce_implILb1ES3_PiS7_iN6hipcub16HIPCUB_304000_NS6detail34convert_binary_result_type_wrapperISt4plusIvENS9_22TransformInputIteratorIiN2at6native8internal21MapNumberOfTrueValuesEPKhlEEiEEEE10hipError_tPvRmT1_T2_T3_mT4_P12ihipStream_tbEUlT_E1_NS1_11comp_targetILNS1_3genE4ELNS1_11target_archE910ELNS1_3gpuE8ELNS1_3repE0EEENS1_30default_config_static_selectorELNS0_4arch9wavefront6targetE1EEEvSQ_
; %bb.0:
	.section	.rodata,"a",@progbits
	.p2align	6, 0x0
	.amdhsa_kernel _ZN7rocprim17ROCPRIM_400000_NS6detail17trampoline_kernelINS0_14default_configENS1_22reduce_config_selectorIiEEZNS1_11reduce_implILb1ES3_PiS7_iN6hipcub16HIPCUB_304000_NS6detail34convert_binary_result_type_wrapperISt4plusIvENS9_22TransformInputIteratorIiN2at6native8internal21MapNumberOfTrueValuesEPKhlEEiEEEE10hipError_tPvRmT1_T2_T3_mT4_P12ihipStream_tbEUlT_E1_NS1_11comp_targetILNS1_3genE4ELNS1_11target_archE910ELNS1_3gpuE8ELNS1_3repE0EEENS1_30default_config_static_selectorELNS0_4arch9wavefront6targetE1EEEvSQ_
		.amdhsa_group_segment_fixed_size 0
		.amdhsa_private_segment_fixed_size 0
		.amdhsa_kernarg_size 40
		.amdhsa_user_sgpr_count 2
		.amdhsa_user_sgpr_dispatch_ptr 0
		.amdhsa_user_sgpr_queue_ptr 0
		.amdhsa_user_sgpr_kernarg_segment_ptr 1
		.amdhsa_user_sgpr_dispatch_id 0
		.amdhsa_user_sgpr_kernarg_preload_length 0
		.amdhsa_user_sgpr_kernarg_preload_offset 0
		.amdhsa_user_sgpr_private_segment_size 0
		.amdhsa_uses_dynamic_stack 0
		.amdhsa_enable_private_segment 0
		.amdhsa_system_sgpr_workgroup_id_x 1
		.amdhsa_system_sgpr_workgroup_id_y 0
		.amdhsa_system_sgpr_workgroup_id_z 0
		.amdhsa_system_sgpr_workgroup_info 0
		.amdhsa_system_vgpr_workitem_id 0
		.amdhsa_next_free_vgpr 1
		.amdhsa_next_free_sgpr 0
		.amdhsa_accum_offset 4
		.amdhsa_reserve_vcc 0
		.amdhsa_float_round_mode_32 0
		.amdhsa_float_round_mode_16_64 0
		.amdhsa_float_denorm_mode_32 3
		.amdhsa_float_denorm_mode_16_64 3
		.amdhsa_dx10_clamp 1
		.amdhsa_ieee_mode 1
		.amdhsa_fp16_overflow 0
		.amdhsa_tg_split 0
		.amdhsa_exception_fp_ieee_invalid_op 0
		.amdhsa_exception_fp_denorm_src 0
		.amdhsa_exception_fp_ieee_div_zero 0
		.amdhsa_exception_fp_ieee_overflow 0
		.amdhsa_exception_fp_ieee_underflow 0
		.amdhsa_exception_fp_ieee_inexact 0
		.amdhsa_exception_int_div_zero 0
	.end_amdhsa_kernel
	.section	.text._ZN7rocprim17ROCPRIM_400000_NS6detail17trampoline_kernelINS0_14default_configENS1_22reduce_config_selectorIiEEZNS1_11reduce_implILb1ES3_PiS7_iN6hipcub16HIPCUB_304000_NS6detail34convert_binary_result_type_wrapperISt4plusIvENS9_22TransformInputIteratorIiN2at6native8internal21MapNumberOfTrueValuesEPKhlEEiEEEE10hipError_tPvRmT1_T2_T3_mT4_P12ihipStream_tbEUlT_E1_NS1_11comp_targetILNS1_3genE4ELNS1_11target_archE910ELNS1_3gpuE8ELNS1_3repE0EEENS1_30default_config_static_selectorELNS0_4arch9wavefront6targetE1EEEvSQ_,"axG",@progbits,_ZN7rocprim17ROCPRIM_400000_NS6detail17trampoline_kernelINS0_14default_configENS1_22reduce_config_selectorIiEEZNS1_11reduce_implILb1ES3_PiS7_iN6hipcub16HIPCUB_304000_NS6detail34convert_binary_result_type_wrapperISt4plusIvENS9_22TransformInputIteratorIiN2at6native8internal21MapNumberOfTrueValuesEPKhlEEiEEEE10hipError_tPvRmT1_T2_T3_mT4_P12ihipStream_tbEUlT_E1_NS1_11comp_targetILNS1_3genE4ELNS1_11target_archE910ELNS1_3gpuE8ELNS1_3repE0EEENS1_30default_config_static_selectorELNS0_4arch9wavefront6targetE1EEEvSQ_,comdat
.Lfunc_end108:
	.size	_ZN7rocprim17ROCPRIM_400000_NS6detail17trampoline_kernelINS0_14default_configENS1_22reduce_config_selectorIiEEZNS1_11reduce_implILb1ES3_PiS7_iN6hipcub16HIPCUB_304000_NS6detail34convert_binary_result_type_wrapperISt4plusIvENS9_22TransformInputIteratorIiN2at6native8internal21MapNumberOfTrueValuesEPKhlEEiEEEE10hipError_tPvRmT1_T2_T3_mT4_P12ihipStream_tbEUlT_E1_NS1_11comp_targetILNS1_3genE4ELNS1_11target_archE910ELNS1_3gpuE8ELNS1_3repE0EEENS1_30default_config_static_selectorELNS0_4arch9wavefront6targetE1EEEvSQ_, .Lfunc_end108-_ZN7rocprim17ROCPRIM_400000_NS6detail17trampoline_kernelINS0_14default_configENS1_22reduce_config_selectorIiEEZNS1_11reduce_implILb1ES3_PiS7_iN6hipcub16HIPCUB_304000_NS6detail34convert_binary_result_type_wrapperISt4plusIvENS9_22TransformInputIteratorIiN2at6native8internal21MapNumberOfTrueValuesEPKhlEEiEEEE10hipError_tPvRmT1_T2_T3_mT4_P12ihipStream_tbEUlT_E1_NS1_11comp_targetILNS1_3genE4ELNS1_11target_archE910ELNS1_3gpuE8ELNS1_3repE0EEENS1_30default_config_static_selectorELNS0_4arch9wavefront6targetE1EEEvSQ_
                                        ; -- End function
	.section	.AMDGPU.csdata,"",@progbits
; Kernel info:
; codeLenInByte = 0
; NumSgprs: 6
; NumVgprs: 0
; NumAgprs: 0
; TotalNumVgprs: 0
; ScratchSize: 0
; MemoryBound: 0
; FloatMode: 240
; IeeeMode: 1
; LDSByteSize: 0 bytes/workgroup (compile time only)
; SGPRBlocks: 0
; VGPRBlocks: 0
; NumSGPRsForWavesPerEU: 6
; NumVGPRsForWavesPerEU: 1
; AccumOffset: 4
; Occupancy: 8
; WaveLimiterHint : 0
; COMPUTE_PGM_RSRC2:SCRATCH_EN: 0
; COMPUTE_PGM_RSRC2:USER_SGPR: 2
; COMPUTE_PGM_RSRC2:TRAP_HANDLER: 0
; COMPUTE_PGM_RSRC2:TGID_X_EN: 1
; COMPUTE_PGM_RSRC2:TGID_Y_EN: 0
; COMPUTE_PGM_RSRC2:TGID_Z_EN: 0
; COMPUTE_PGM_RSRC2:TIDIG_COMP_CNT: 0
; COMPUTE_PGM_RSRC3_GFX90A:ACCUM_OFFSET: 0
; COMPUTE_PGM_RSRC3_GFX90A:TG_SPLIT: 0
	.section	.text._ZN7rocprim17ROCPRIM_400000_NS6detail17trampoline_kernelINS0_14default_configENS1_22reduce_config_selectorIiEEZNS1_11reduce_implILb1ES3_PiS7_iN6hipcub16HIPCUB_304000_NS6detail34convert_binary_result_type_wrapperISt4plusIvENS9_22TransformInputIteratorIiN2at6native8internal21MapNumberOfTrueValuesEPKhlEEiEEEE10hipError_tPvRmT1_T2_T3_mT4_P12ihipStream_tbEUlT_E1_NS1_11comp_targetILNS1_3genE3ELNS1_11target_archE908ELNS1_3gpuE7ELNS1_3repE0EEENS1_30default_config_static_selectorELNS0_4arch9wavefront6targetE1EEEvSQ_,"axG",@progbits,_ZN7rocprim17ROCPRIM_400000_NS6detail17trampoline_kernelINS0_14default_configENS1_22reduce_config_selectorIiEEZNS1_11reduce_implILb1ES3_PiS7_iN6hipcub16HIPCUB_304000_NS6detail34convert_binary_result_type_wrapperISt4plusIvENS9_22TransformInputIteratorIiN2at6native8internal21MapNumberOfTrueValuesEPKhlEEiEEEE10hipError_tPvRmT1_T2_T3_mT4_P12ihipStream_tbEUlT_E1_NS1_11comp_targetILNS1_3genE3ELNS1_11target_archE908ELNS1_3gpuE7ELNS1_3repE0EEENS1_30default_config_static_selectorELNS0_4arch9wavefront6targetE1EEEvSQ_,comdat
	.protected	_ZN7rocprim17ROCPRIM_400000_NS6detail17trampoline_kernelINS0_14default_configENS1_22reduce_config_selectorIiEEZNS1_11reduce_implILb1ES3_PiS7_iN6hipcub16HIPCUB_304000_NS6detail34convert_binary_result_type_wrapperISt4plusIvENS9_22TransformInputIteratorIiN2at6native8internal21MapNumberOfTrueValuesEPKhlEEiEEEE10hipError_tPvRmT1_T2_T3_mT4_P12ihipStream_tbEUlT_E1_NS1_11comp_targetILNS1_3genE3ELNS1_11target_archE908ELNS1_3gpuE7ELNS1_3repE0EEENS1_30default_config_static_selectorELNS0_4arch9wavefront6targetE1EEEvSQ_ ; -- Begin function _ZN7rocprim17ROCPRIM_400000_NS6detail17trampoline_kernelINS0_14default_configENS1_22reduce_config_selectorIiEEZNS1_11reduce_implILb1ES3_PiS7_iN6hipcub16HIPCUB_304000_NS6detail34convert_binary_result_type_wrapperISt4plusIvENS9_22TransformInputIteratorIiN2at6native8internal21MapNumberOfTrueValuesEPKhlEEiEEEE10hipError_tPvRmT1_T2_T3_mT4_P12ihipStream_tbEUlT_E1_NS1_11comp_targetILNS1_3genE3ELNS1_11target_archE908ELNS1_3gpuE7ELNS1_3repE0EEENS1_30default_config_static_selectorELNS0_4arch9wavefront6targetE1EEEvSQ_
	.globl	_ZN7rocprim17ROCPRIM_400000_NS6detail17trampoline_kernelINS0_14default_configENS1_22reduce_config_selectorIiEEZNS1_11reduce_implILb1ES3_PiS7_iN6hipcub16HIPCUB_304000_NS6detail34convert_binary_result_type_wrapperISt4plusIvENS9_22TransformInputIteratorIiN2at6native8internal21MapNumberOfTrueValuesEPKhlEEiEEEE10hipError_tPvRmT1_T2_T3_mT4_P12ihipStream_tbEUlT_E1_NS1_11comp_targetILNS1_3genE3ELNS1_11target_archE908ELNS1_3gpuE7ELNS1_3repE0EEENS1_30default_config_static_selectorELNS0_4arch9wavefront6targetE1EEEvSQ_
	.p2align	8
	.type	_ZN7rocprim17ROCPRIM_400000_NS6detail17trampoline_kernelINS0_14default_configENS1_22reduce_config_selectorIiEEZNS1_11reduce_implILb1ES3_PiS7_iN6hipcub16HIPCUB_304000_NS6detail34convert_binary_result_type_wrapperISt4plusIvENS9_22TransformInputIteratorIiN2at6native8internal21MapNumberOfTrueValuesEPKhlEEiEEEE10hipError_tPvRmT1_T2_T3_mT4_P12ihipStream_tbEUlT_E1_NS1_11comp_targetILNS1_3genE3ELNS1_11target_archE908ELNS1_3gpuE7ELNS1_3repE0EEENS1_30default_config_static_selectorELNS0_4arch9wavefront6targetE1EEEvSQ_,@function
_ZN7rocprim17ROCPRIM_400000_NS6detail17trampoline_kernelINS0_14default_configENS1_22reduce_config_selectorIiEEZNS1_11reduce_implILb1ES3_PiS7_iN6hipcub16HIPCUB_304000_NS6detail34convert_binary_result_type_wrapperISt4plusIvENS9_22TransformInputIteratorIiN2at6native8internal21MapNumberOfTrueValuesEPKhlEEiEEEE10hipError_tPvRmT1_T2_T3_mT4_P12ihipStream_tbEUlT_E1_NS1_11comp_targetILNS1_3genE3ELNS1_11target_archE908ELNS1_3gpuE7ELNS1_3repE0EEENS1_30default_config_static_selectorELNS0_4arch9wavefront6targetE1EEEvSQ_: ; @_ZN7rocprim17ROCPRIM_400000_NS6detail17trampoline_kernelINS0_14default_configENS1_22reduce_config_selectorIiEEZNS1_11reduce_implILb1ES3_PiS7_iN6hipcub16HIPCUB_304000_NS6detail34convert_binary_result_type_wrapperISt4plusIvENS9_22TransformInputIteratorIiN2at6native8internal21MapNumberOfTrueValuesEPKhlEEiEEEE10hipError_tPvRmT1_T2_T3_mT4_P12ihipStream_tbEUlT_E1_NS1_11comp_targetILNS1_3genE3ELNS1_11target_archE908ELNS1_3gpuE7ELNS1_3repE0EEENS1_30default_config_static_selectorELNS0_4arch9wavefront6targetE1EEEvSQ_
; %bb.0:
	.section	.rodata,"a",@progbits
	.p2align	6, 0x0
	.amdhsa_kernel _ZN7rocprim17ROCPRIM_400000_NS6detail17trampoline_kernelINS0_14default_configENS1_22reduce_config_selectorIiEEZNS1_11reduce_implILb1ES3_PiS7_iN6hipcub16HIPCUB_304000_NS6detail34convert_binary_result_type_wrapperISt4plusIvENS9_22TransformInputIteratorIiN2at6native8internal21MapNumberOfTrueValuesEPKhlEEiEEEE10hipError_tPvRmT1_T2_T3_mT4_P12ihipStream_tbEUlT_E1_NS1_11comp_targetILNS1_3genE3ELNS1_11target_archE908ELNS1_3gpuE7ELNS1_3repE0EEENS1_30default_config_static_selectorELNS0_4arch9wavefront6targetE1EEEvSQ_
		.amdhsa_group_segment_fixed_size 0
		.amdhsa_private_segment_fixed_size 0
		.amdhsa_kernarg_size 40
		.amdhsa_user_sgpr_count 2
		.amdhsa_user_sgpr_dispatch_ptr 0
		.amdhsa_user_sgpr_queue_ptr 0
		.amdhsa_user_sgpr_kernarg_segment_ptr 1
		.amdhsa_user_sgpr_dispatch_id 0
		.amdhsa_user_sgpr_kernarg_preload_length 0
		.amdhsa_user_sgpr_kernarg_preload_offset 0
		.amdhsa_user_sgpr_private_segment_size 0
		.amdhsa_uses_dynamic_stack 0
		.amdhsa_enable_private_segment 0
		.amdhsa_system_sgpr_workgroup_id_x 1
		.amdhsa_system_sgpr_workgroup_id_y 0
		.amdhsa_system_sgpr_workgroup_id_z 0
		.amdhsa_system_sgpr_workgroup_info 0
		.amdhsa_system_vgpr_workitem_id 0
		.amdhsa_next_free_vgpr 1
		.amdhsa_next_free_sgpr 0
		.amdhsa_accum_offset 4
		.amdhsa_reserve_vcc 0
		.amdhsa_float_round_mode_32 0
		.amdhsa_float_round_mode_16_64 0
		.amdhsa_float_denorm_mode_32 3
		.amdhsa_float_denorm_mode_16_64 3
		.amdhsa_dx10_clamp 1
		.amdhsa_ieee_mode 1
		.amdhsa_fp16_overflow 0
		.amdhsa_tg_split 0
		.amdhsa_exception_fp_ieee_invalid_op 0
		.amdhsa_exception_fp_denorm_src 0
		.amdhsa_exception_fp_ieee_div_zero 0
		.amdhsa_exception_fp_ieee_overflow 0
		.amdhsa_exception_fp_ieee_underflow 0
		.amdhsa_exception_fp_ieee_inexact 0
		.amdhsa_exception_int_div_zero 0
	.end_amdhsa_kernel
	.section	.text._ZN7rocprim17ROCPRIM_400000_NS6detail17trampoline_kernelINS0_14default_configENS1_22reduce_config_selectorIiEEZNS1_11reduce_implILb1ES3_PiS7_iN6hipcub16HIPCUB_304000_NS6detail34convert_binary_result_type_wrapperISt4plusIvENS9_22TransformInputIteratorIiN2at6native8internal21MapNumberOfTrueValuesEPKhlEEiEEEE10hipError_tPvRmT1_T2_T3_mT4_P12ihipStream_tbEUlT_E1_NS1_11comp_targetILNS1_3genE3ELNS1_11target_archE908ELNS1_3gpuE7ELNS1_3repE0EEENS1_30default_config_static_selectorELNS0_4arch9wavefront6targetE1EEEvSQ_,"axG",@progbits,_ZN7rocprim17ROCPRIM_400000_NS6detail17trampoline_kernelINS0_14default_configENS1_22reduce_config_selectorIiEEZNS1_11reduce_implILb1ES3_PiS7_iN6hipcub16HIPCUB_304000_NS6detail34convert_binary_result_type_wrapperISt4plusIvENS9_22TransformInputIteratorIiN2at6native8internal21MapNumberOfTrueValuesEPKhlEEiEEEE10hipError_tPvRmT1_T2_T3_mT4_P12ihipStream_tbEUlT_E1_NS1_11comp_targetILNS1_3genE3ELNS1_11target_archE908ELNS1_3gpuE7ELNS1_3repE0EEENS1_30default_config_static_selectorELNS0_4arch9wavefront6targetE1EEEvSQ_,comdat
.Lfunc_end109:
	.size	_ZN7rocprim17ROCPRIM_400000_NS6detail17trampoline_kernelINS0_14default_configENS1_22reduce_config_selectorIiEEZNS1_11reduce_implILb1ES3_PiS7_iN6hipcub16HIPCUB_304000_NS6detail34convert_binary_result_type_wrapperISt4plusIvENS9_22TransformInputIteratorIiN2at6native8internal21MapNumberOfTrueValuesEPKhlEEiEEEE10hipError_tPvRmT1_T2_T3_mT4_P12ihipStream_tbEUlT_E1_NS1_11comp_targetILNS1_3genE3ELNS1_11target_archE908ELNS1_3gpuE7ELNS1_3repE0EEENS1_30default_config_static_selectorELNS0_4arch9wavefront6targetE1EEEvSQ_, .Lfunc_end109-_ZN7rocprim17ROCPRIM_400000_NS6detail17trampoline_kernelINS0_14default_configENS1_22reduce_config_selectorIiEEZNS1_11reduce_implILb1ES3_PiS7_iN6hipcub16HIPCUB_304000_NS6detail34convert_binary_result_type_wrapperISt4plusIvENS9_22TransformInputIteratorIiN2at6native8internal21MapNumberOfTrueValuesEPKhlEEiEEEE10hipError_tPvRmT1_T2_T3_mT4_P12ihipStream_tbEUlT_E1_NS1_11comp_targetILNS1_3genE3ELNS1_11target_archE908ELNS1_3gpuE7ELNS1_3repE0EEENS1_30default_config_static_selectorELNS0_4arch9wavefront6targetE1EEEvSQ_
                                        ; -- End function
	.section	.AMDGPU.csdata,"",@progbits
; Kernel info:
; codeLenInByte = 0
; NumSgprs: 6
; NumVgprs: 0
; NumAgprs: 0
; TotalNumVgprs: 0
; ScratchSize: 0
; MemoryBound: 0
; FloatMode: 240
; IeeeMode: 1
; LDSByteSize: 0 bytes/workgroup (compile time only)
; SGPRBlocks: 0
; VGPRBlocks: 0
; NumSGPRsForWavesPerEU: 6
; NumVGPRsForWavesPerEU: 1
; AccumOffset: 4
; Occupancy: 8
; WaveLimiterHint : 0
; COMPUTE_PGM_RSRC2:SCRATCH_EN: 0
; COMPUTE_PGM_RSRC2:USER_SGPR: 2
; COMPUTE_PGM_RSRC2:TRAP_HANDLER: 0
; COMPUTE_PGM_RSRC2:TGID_X_EN: 1
; COMPUTE_PGM_RSRC2:TGID_Y_EN: 0
; COMPUTE_PGM_RSRC2:TGID_Z_EN: 0
; COMPUTE_PGM_RSRC2:TIDIG_COMP_CNT: 0
; COMPUTE_PGM_RSRC3_GFX90A:ACCUM_OFFSET: 0
; COMPUTE_PGM_RSRC3_GFX90A:TG_SPLIT: 0
	.section	.text._ZN7rocprim17ROCPRIM_400000_NS6detail17trampoline_kernelINS0_14default_configENS1_22reduce_config_selectorIiEEZNS1_11reduce_implILb1ES3_PiS7_iN6hipcub16HIPCUB_304000_NS6detail34convert_binary_result_type_wrapperISt4plusIvENS9_22TransformInputIteratorIiN2at6native8internal21MapNumberOfTrueValuesEPKhlEEiEEEE10hipError_tPvRmT1_T2_T3_mT4_P12ihipStream_tbEUlT_E1_NS1_11comp_targetILNS1_3genE2ELNS1_11target_archE906ELNS1_3gpuE6ELNS1_3repE0EEENS1_30default_config_static_selectorELNS0_4arch9wavefront6targetE1EEEvSQ_,"axG",@progbits,_ZN7rocprim17ROCPRIM_400000_NS6detail17trampoline_kernelINS0_14default_configENS1_22reduce_config_selectorIiEEZNS1_11reduce_implILb1ES3_PiS7_iN6hipcub16HIPCUB_304000_NS6detail34convert_binary_result_type_wrapperISt4plusIvENS9_22TransformInputIteratorIiN2at6native8internal21MapNumberOfTrueValuesEPKhlEEiEEEE10hipError_tPvRmT1_T2_T3_mT4_P12ihipStream_tbEUlT_E1_NS1_11comp_targetILNS1_3genE2ELNS1_11target_archE906ELNS1_3gpuE6ELNS1_3repE0EEENS1_30default_config_static_selectorELNS0_4arch9wavefront6targetE1EEEvSQ_,comdat
	.protected	_ZN7rocprim17ROCPRIM_400000_NS6detail17trampoline_kernelINS0_14default_configENS1_22reduce_config_selectorIiEEZNS1_11reduce_implILb1ES3_PiS7_iN6hipcub16HIPCUB_304000_NS6detail34convert_binary_result_type_wrapperISt4plusIvENS9_22TransformInputIteratorIiN2at6native8internal21MapNumberOfTrueValuesEPKhlEEiEEEE10hipError_tPvRmT1_T2_T3_mT4_P12ihipStream_tbEUlT_E1_NS1_11comp_targetILNS1_3genE2ELNS1_11target_archE906ELNS1_3gpuE6ELNS1_3repE0EEENS1_30default_config_static_selectorELNS0_4arch9wavefront6targetE1EEEvSQ_ ; -- Begin function _ZN7rocprim17ROCPRIM_400000_NS6detail17trampoline_kernelINS0_14default_configENS1_22reduce_config_selectorIiEEZNS1_11reduce_implILb1ES3_PiS7_iN6hipcub16HIPCUB_304000_NS6detail34convert_binary_result_type_wrapperISt4plusIvENS9_22TransformInputIteratorIiN2at6native8internal21MapNumberOfTrueValuesEPKhlEEiEEEE10hipError_tPvRmT1_T2_T3_mT4_P12ihipStream_tbEUlT_E1_NS1_11comp_targetILNS1_3genE2ELNS1_11target_archE906ELNS1_3gpuE6ELNS1_3repE0EEENS1_30default_config_static_selectorELNS0_4arch9wavefront6targetE1EEEvSQ_
	.globl	_ZN7rocprim17ROCPRIM_400000_NS6detail17trampoline_kernelINS0_14default_configENS1_22reduce_config_selectorIiEEZNS1_11reduce_implILb1ES3_PiS7_iN6hipcub16HIPCUB_304000_NS6detail34convert_binary_result_type_wrapperISt4plusIvENS9_22TransformInputIteratorIiN2at6native8internal21MapNumberOfTrueValuesEPKhlEEiEEEE10hipError_tPvRmT1_T2_T3_mT4_P12ihipStream_tbEUlT_E1_NS1_11comp_targetILNS1_3genE2ELNS1_11target_archE906ELNS1_3gpuE6ELNS1_3repE0EEENS1_30default_config_static_selectorELNS0_4arch9wavefront6targetE1EEEvSQ_
	.p2align	8
	.type	_ZN7rocprim17ROCPRIM_400000_NS6detail17trampoline_kernelINS0_14default_configENS1_22reduce_config_selectorIiEEZNS1_11reduce_implILb1ES3_PiS7_iN6hipcub16HIPCUB_304000_NS6detail34convert_binary_result_type_wrapperISt4plusIvENS9_22TransformInputIteratorIiN2at6native8internal21MapNumberOfTrueValuesEPKhlEEiEEEE10hipError_tPvRmT1_T2_T3_mT4_P12ihipStream_tbEUlT_E1_NS1_11comp_targetILNS1_3genE2ELNS1_11target_archE906ELNS1_3gpuE6ELNS1_3repE0EEENS1_30default_config_static_selectorELNS0_4arch9wavefront6targetE1EEEvSQ_,@function
_ZN7rocprim17ROCPRIM_400000_NS6detail17trampoline_kernelINS0_14default_configENS1_22reduce_config_selectorIiEEZNS1_11reduce_implILb1ES3_PiS7_iN6hipcub16HIPCUB_304000_NS6detail34convert_binary_result_type_wrapperISt4plusIvENS9_22TransformInputIteratorIiN2at6native8internal21MapNumberOfTrueValuesEPKhlEEiEEEE10hipError_tPvRmT1_T2_T3_mT4_P12ihipStream_tbEUlT_E1_NS1_11comp_targetILNS1_3genE2ELNS1_11target_archE906ELNS1_3gpuE6ELNS1_3repE0EEENS1_30default_config_static_selectorELNS0_4arch9wavefront6targetE1EEEvSQ_: ; @_ZN7rocprim17ROCPRIM_400000_NS6detail17trampoline_kernelINS0_14default_configENS1_22reduce_config_selectorIiEEZNS1_11reduce_implILb1ES3_PiS7_iN6hipcub16HIPCUB_304000_NS6detail34convert_binary_result_type_wrapperISt4plusIvENS9_22TransformInputIteratorIiN2at6native8internal21MapNumberOfTrueValuesEPKhlEEiEEEE10hipError_tPvRmT1_T2_T3_mT4_P12ihipStream_tbEUlT_E1_NS1_11comp_targetILNS1_3genE2ELNS1_11target_archE906ELNS1_3gpuE6ELNS1_3repE0EEENS1_30default_config_static_selectorELNS0_4arch9wavefront6targetE1EEEvSQ_
; %bb.0:
	.section	.rodata,"a",@progbits
	.p2align	6, 0x0
	.amdhsa_kernel _ZN7rocprim17ROCPRIM_400000_NS6detail17trampoline_kernelINS0_14default_configENS1_22reduce_config_selectorIiEEZNS1_11reduce_implILb1ES3_PiS7_iN6hipcub16HIPCUB_304000_NS6detail34convert_binary_result_type_wrapperISt4plusIvENS9_22TransformInputIteratorIiN2at6native8internal21MapNumberOfTrueValuesEPKhlEEiEEEE10hipError_tPvRmT1_T2_T3_mT4_P12ihipStream_tbEUlT_E1_NS1_11comp_targetILNS1_3genE2ELNS1_11target_archE906ELNS1_3gpuE6ELNS1_3repE0EEENS1_30default_config_static_selectorELNS0_4arch9wavefront6targetE1EEEvSQ_
		.amdhsa_group_segment_fixed_size 0
		.amdhsa_private_segment_fixed_size 0
		.amdhsa_kernarg_size 40
		.amdhsa_user_sgpr_count 2
		.amdhsa_user_sgpr_dispatch_ptr 0
		.amdhsa_user_sgpr_queue_ptr 0
		.amdhsa_user_sgpr_kernarg_segment_ptr 1
		.amdhsa_user_sgpr_dispatch_id 0
		.amdhsa_user_sgpr_kernarg_preload_length 0
		.amdhsa_user_sgpr_kernarg_preload_offset 0
		.amdhsa_user_sgpr_private_segment_size 0
		.amdhsa_uses_dynamic_stack 0
		.amdhsa_enable_private_segment 0
		.amdhsa_system_sgpr_workgroup_id_x 1
		.amdhsa_system_sgpr_workgroup_id_y 0
		.amdhsa_system_sgpr_workgroup_id_z 0
		.amdhsa_system_sgpr_workgroup_info 0
		.amdhsa_system_vgpr_workitem_id 0
		.amdhsa_next_free_vgpr 1
		.amdhsa_next_free_sgpr 0
		.amdhsa_accum_offset 4
		.amdhsa_reserve_vcc 0
		.amdhsa_float_round_mode_32 0
		.amdhsa_float_round_mode_16_64 0
		.amdhsa_float_denorm_mode_32 3
		.amdhsa_float_denorm_mode_16_64 3
		.amdhsa_dx10_clamp 1
		.amdhsa_ieee_mode 1
		.amdhsa_fp16_overflow 0
		.amdhsa_tg_split 0
		.amdhsa_exception_fp_ieee_invalid_op 0
		.amdhsa_exception_fp_denorm_src 0
		.amdhsa_exception_fp_ieee_div_zero 0
		.amdhsa_exception_fp_ieee_overflow 0
		.amdhsa_exception_fp_ieee_underflow 0
		.amdhsa_exception_fp_ieee_inexact 0
		.amdhsa_exception_int_div_zero 0
	.end_amdhsa_kernel
	.section	.text._ZN7rocprim17ROCPRIM_400000_NS6detail17trampoline_kernelINS0_14default_configENS1_22reduce_config_selectorIiEEZNS1_11reduce_implILb1ES3_PiS7_iN6hipcub16HIPCUB_304000_NS6detail34convert_binary_result_type_wrapperISt4plusIvENS9_22TransformInputIteratorIiN2at6native8internal21MapNumberOfTrueValuesEPKhlEEiEEEE10hipError_tPvRmT1_T2_T3_mT4_P12ihipStream_tbEUlT_E1_NS1_11comp_targetILNS1_3genE2ELNS1_11target_archE906ELNS1_3gpuE6ELNS1_3repE0EEENS1_30default_config_static_selectorELNS0_4arch9wavefront6targetE1EEEvSQ_,"axG",@progbits,_ZN7rocprim17ROCPRIM_400000_NS6detail17trampoline_kernelINS0_14default_configENS1_22reduce_config_selectorIiEEZNS1_11reduce_implILb1ES3_PiS7_iN6hipcub16HIPCUB_304000_NS6detail34convert_binary_result_type_wrapperISt4plusIvENS9_22TransformInputIteratorIiN2at6native8internal21MapNumberOfTrueValuesEPKhlEEiEEEE10hipError_tPvRmT1_T2_T3_mT4_P12ihipStream_tbEUlT_E1_NS1_11comp_targetILNS1_3genE2ELNS1_11target_archE906ELNS1_3gpuE6ELNS1_3repE0EEENS1_30default_config_static_selectorELNS0_4arch9wavefront6targetE1EEEvSQ_,comdat
.Lfunc_end110:
	.size	_ZN7rocprim17ROCPRIM_400000_NS6detail17trampoline_kernelINS0_14default_configENS1_22reduce_config_selectorIiEEZNS1_11reduce_implILb1ES3_PiS7_iN6hipcub16HIPCUB_304000_NS6detail34convert_binary_result_type_wrapperISt4plusIvENS9_22TransformInputIteratorIiN2at6native8internal21MapNumberOfTrueValuesEPKhlEEiEEEE10hipError_tPvRmT1_T2_T3_mT4_P12ihipStream_tbEUlT_E1_NS1_11comp_targetILNS1_3genE2ELNS1_11target_archE906ELNS1_3gpuE6ELNS1_3repE0EEENS1_30default_config_static_selectorELNS0_4arch9wavefront6targetE1EEEvSQ_, .Lfunc_end110-_ZN7rocprim17ROCPRIM_400000_NS6detail17trampoline_kernelINS0_14default_configENS1_22reduce_config_selectorIiEEZNS1_11reduce_implILb1ES3_PiS7_iN6hipcub16HIPCUB_304000_NS6detail34convert_binary_result_type_wrapperISt4plusIvENS9_22TransformInputIteratorIiN2at6native8internal21MapNumberOfTrueValuesEPKhlEEiEEEE10hipError_tPvRmT1_T2_T3_mT4_P12ihipStream_tbEUlT_E1_NS1_11comp_targetILNS1_3genE2ELNS1_11target_archE906ELNS1_3gpuE6ELNS1_3repE0EEENS1_30default_config_static_selectorELNS0_4arch9wavefront6targetE1EEEvSQ_
                                        ; -- End function
	.section	.AMDGPU.csdata,"",@progbits
; Kernel info:
; codeLenInByte = 0
; NumSgprs: 6
; NumVgprs: 0
; NumAgprs: 0
; TotalNumVgprs: 0
; ScratchSize: 0
; MemoryBound: 0
; FloatMode: 240
; IeeeMode: 1
; LDSByteSize: 0 bytes/workgroup (compile time only)
; SGPRBlocks: 0
; VGPRBlocks: 0
; NumSGPRsForWavesPerEU: 6
; NumVGPRsForWavesPerEU: 1
; AccumOffset: 4
; Occupancy: 8
; WaveLimiterHint : 0
; COMPUTE_PGM_RSRC2:SCRATCH_EN: 0
; COMPUTE_PGM_RSRC2:USER_SGPR: 2
; COMPUTE_PGM_RSRC2:TRAP_HANDLER: 0
; COMPUTE_PGM_RSRC2:TGID_X_EN: 1
; COMPUTE_PGM_RSRC2:TGID_Y_EN: 0
; COMPUTE_PGM_RSRC2:TGID_Z_EN: 0
; COMPUTE_PGM_RSRC2:TIDIG_COMP_CNT: 0
; COMPUTE_PGM_RSRC3_GFX90A:ACCUM_OFFSET: 0
; COMPUTE_PGM_RSRC3_GFX90A:TG_SPLIT: 0
	.section	.text._ZN7rocprim17ROCPRIM_400000_NS6detail17trampoline_kernelINS0_14default_configENS1_22reduce_config_selectorIiEEZNS1_11reduce_implILb1ES3_PiS7_iN6hipcub16HIPCUB_304000_NS6detail34convert_binary_result_type_wrapperISt4plusIvENS9_22TransformInputIteratorIiN2at6native8internal21MapNumberOfTrueValuesEPKhlEEiEEEE10hipError_tPvRmT1_T2_T3_mT4_P12ihipStream_tbEUlT_E1_NS1_11comp_targetILNS1_3genE10ELNS1_11target_archE1201ELNS1_3gpuE5ELNS1_3repE0EEENS1_30default_config_static_selectorELNS0_4arch9wavefront6targetE1EEEvSQ_,"axG",@progbits,_ZN7rocprim17ROCPRIM_400000_NS6detail17trampoline_kernelINS0_14default_configENS1_22reduce_config_selectorIiEEZNS1_11reduce_implILb1ES3_PiS7_iN6hipcub16HIPCUB_304000_NS6detail34convert_binary_result_type_wrapperISt4plusIvENS9_22TransformInputIteratorIiN2at6native8internal21MapNumberOfTrueValuesEPKhlEEiEEEE10hipError_tPvRmT1_T2_T3_mT4_P12ihipStream_tbEUlT_E1_NS1_11comp_targetILNS1_3genE10ELNS1_11target_archE1201ELNS1_3gpuE5ELNS1_3repE0EEENS1_30default_config_static_selectorELNS0_4arch9wavefront6targetE1EEEvSQ_,comdat
	.protected	_ZN7rocprim17ROCPRIM_400000_NS6detail17trampoline_kernelINS0_14default_configENS1_22reduce_config_selectorIiEEZNS1_11reduce_implILb1ES3_PiS7_iN6hipcub16HIPCUB_304000_NS6detail34convert_binary_result_type_wrapperISt4plusIvENS9_22TransformInputIteratorIiN2at6native8internal21MapNumberOfTrueValuesEPKhlEEiEEEE10hipError_tPvRmT1_T2_T3_mT4_P12ihipStream_tbEUlT_E1_NS1_11comp_targetILNS1_3genE10ELNS1_11target_archE1201ELNS1_3gpuE5ELNS1_3repE0EEENS1_30default_config_static_selectorELNS0_4arch9wavefront6targetE1EEEvSQ_ ; -- Begin function _ZN7rocprim17ROCPRIM_400000_NS6detail17trampoline_kernelINS0_14default_configENS1_22reduce_config_selectorIiEEZNS1_11reduce_implILb1ES3_PiS7_iN6hipcub16HIPCUB_304000_NS6detail34convert_binary_result_type_wrapperISt4plusIvENS9_22TransformInputIteratorIiN2at6native8internal21MapNumberOfTrueValuesEPKhlEEiEEEE10hipError_tPvRmT1_T2_T3_mT4_P12ihipStream_tbEUlT_E1_NS1_11comp_targetILNS1_3genE10ELNS1_11target_archE1201ELNS1_3gpuE5ELNS1_3repE0EEENS1_30default_config_static_selectorELNS0_4arch9wavefront6targetE1EEEvSQ_
	.globl	_ZN7rocprim17ROCPRIM_400000_NS6detail17trampoline_kernelINS0_14default_configENS1_22reduce_config_selectorIiEEZNS1_11reduce_implILb1ES3_PiS7_iN6hipcub16HIPCUB_304000_NS6detail34convert_binary_result_type_wrapperISt4plusIvENS9_22TransformInputIteratorIiN2at6native8internal21MapNumberOfTrueValuesEPKhlEEiEEEE10hipError_tPvRmT1_T2_T3_mT4_P12ihipStream_tbEUlT_E1_NS1_11comp_targetILNS1_3genE10ELNS1_11target_archE1201ELNS1_3gpuE5ELNS1_3repE0EEENS1_30default_config_static_selectorELNS0_4arch9wavefront6targetE1EEEvSQ_
	.p2align	8
	.type	_ZN7rocprim17ROCPRIM_400000_NS6detail17trampoline_kernelINS0_14default_configENS1_22reduce_config_selectorIiEEZNS1_11reduce_implILb1ES3_PiS7_iN6hipcub16HIPCUB_304000_NS6detail34convert_binary_result_type_wrapperISt4plusIvENS9_22TransformInputIteratorIiN2at6native8internal21MapNumberOfTrueValuesEPKhlEEiEEEE10hipError_tPvRmT1_T2_T3_mT4_P12ihipStream_tbEUlT_E1_NS1_11comp_targetILNS1_3genE10ELNS1_11target_archE1201ELNS1_3gpuE5ELNS1_3repE0EEENS1_30default_config_static_selectorELNS0_4arch9wavefront6targetE1EEEvSQ_,@function
_ZN7rocprim17ROCPRIM_400000_NS6detail17trampoline_kernelINS0_14default_configENS1_22reduce_config_selectorIiEEZNS1_11reduce_implILb1ES3_PiS7_iN6hipcub16HIPCUB_304000_NS6detail34convert_binary_result_type_wrapperISt4plusIvENS9_22TransformInputIteratorIiN2at6native8internal21MapNumberOfTrueValuesEPKhlEEiEEEE10hipError_tPvRmT1_T2_T3_mT4_P12ihipStream_tbEUlT_E1_NS1_11comp_targetILNS1_3genE10ELNS1_11target_archE1201ELNS1_3gpuE5ELNS1_3repE0EEENS1_30default_config_static_selectorELNS0_4arch9wavefront6targetE1EEEvSQ_: ; @_ZN7rocprim17ROCPRIM_400000_NS6detail17trampoline_kernelINS0_14default_configENS1_22reduce_config_selectorIiEEZNS1_11reduce_implILb1ES3_PiS7_iN6hipcub16HIPCUB_304000_NS6detail34convert_binary_result_type_wrapperISt4plusIvENS9_22TransformInputIteratorIiN2at6native8internal21MapNumberOfTrueValuesEPKhlEEiEEEE10hipError_tPvRmT1_T2_T3_mT4_P12ihipStream_tbEUlT_E1_NS1_11comp_targetILNS1_3genE10ELNS1_11target_archE1201ELNS1_3gpuE5ELNS1_3repE0EEENS1_30default_config_static_selectorELNS0_4arch9wavefront6targetE1EEEvSQ_
; %bb.0:
	.section	.rodata,"a",@progbits
	.p2align	6, 0x0
	.amdhsa_kernel _ZN7rocprim17ROCPRIM_400000_NS6detail17trampoline_kernelINS0_14default_configENS1_22reduce_config_selectorIiEEZNS1_11reduce_implILb1ES3_PiS7_iN6hipcub16HIPCUB_304000_NS6detail34convert_binary_result_type_wrapperISt4plusIvENS9_22TransformInputIteratorIiN2at6native8internal21MapNumberOfTrueValuesEPKhlEEiEEEE10hipError_tPvRmT1_T2_T3_mT4_P12ihipStream_tbEUlT_E1_NS1_11comp_targetILNS1_3genE10ELNS1_11target_archE1201ELNS1_3gpuE5ELNS1_3repE0EEENS1_30default_config_static_selectorELNS0_4arch9wavefront6targetE1EEEvSQ_
		.amdhsa_group_segment_fixed_size 0
		.amdhsa_private_segment_fixed_size 0
		.amdhsa_kernarg_size 40
		.amdhsa_user_sgpr_count 2
		.amdhsa_user_sgpr_dispatch_ptr 0
		.amdhsa_user_sgpr_queue_ptr 0
		.amdhsa_user_sgpr_kernarg_segment_ptr 1
		.amdhsa_user_sgpr_dispatch_id 0
		.amdhsa_user_sgpr_kernarg_preload_length 0
		.amdhsa_user_sgpr_kernarg_preload_offset 0
		.amdhsa_user_sgpr_private_segment_size 0
		.amdhsa_uses_dynamic_stack 0
		.amdhsa_enable_private_segment 0
		.amdhsa_system_sgpr_workgroup_id_x 1
		.amdhsa_system_sgpr_workgroup_id_y 0
		.amdhsa_system_sgpr_workgroup_id_z 0
		.amdhsa_system_sgpr_workgroup_info 0
		.amdhsa_system_vgpr_workitem_id 0
		.amdhsa_next_free_vgpr 1
		.amdhsa_next_free_sgpr 0
		.amdhsa_accum_offset 4
		.amdhsa_reserve_vcc 0
		.amdhsa_float_round_mode_32 0
		.amdhsa_float_round_mode_16_64 0
		.amdhsa_float_denorm_mode_32 3
		.amdhsa_float_denorm_mode_16_64 3
		.amdhsa_dx10_clamp 1
		.amdhsa_ieee_mode 1
		.amdhsa_fp16_overflow 0
		.amdhsa_tg_split 0
		.amdhsa_exception_fp_ieee_invalid_op 0
		.amdhsa_exception_fp_denorm_src 0
		.amdhsa_exception_fp_ieee_div_zero 0
		.amdhsa_exception_fp_ieee_overflow 0
		.amdhsa_exception_fp_ieee_underflow 0
		.amdhsa_exception_fp_ieee_inexact 0
		.amdhsa_exception_int_div_zero 0
	.end_amdhsa_kernel
	.section	.text._ZN7rocprim17ROCPRIM_400000_NS6detail17trampoline_kernelINS0_14default_configENS1_22reduce_config_selectorIiEEZNS1_11reduce_implILb1ES3_PiS7_iN6hipcub16HIPCUB_304000_NS6detail34convert_binary_result_type_wrapperISt4plusIvENS9_22TransformInputIteratorIiN2at6native8internal21MapNumberOfTrueValuesEPKhlEEiEEEE10hipError_tPvRmT1_T2_T3_mT4_P12ihipStream_tbEUlT_E1_NS1_11comp_targetILNS1_3genE10ELNS1_11target_archE1201ELNS1_3gpuE5ELNS1_3repE0EEENS1_30default_config_static_selectorELNS0_4arch9wavefront6targetE1EEEvSQ_,"axG",@progbits,_ZN7rocprim17ROCPRIM_400000_NS6detail17trampoline_kernelINS0_14default_configENS1_22reduce_config_selectorIiEEZNS1_11reduce_implILb1ES3_PiS7_iN6hipcub16HIPCUB_304000_NS6detail34convert_binary_result_type_wrapperISt4plusIvENS9_22TransformInputIteratorIiN2at6native8internal21MapNumberOfTrueValuesEPKhlEEiEEEE10hipError_tPvRmT1_T2_T3_mT4_P12ihipStream_tbEUlT_E1_NS1_11comp_targetILNS1_3genE10ELNS1_11target_archE1201ELNS1_3gpuE5ELNS1_3repE0EEENS1_30default_config_static_selectorELNS0_4arch9wavefront6targetE1EEEvSQ_,comdat
.Lfunc_end111:
	.size	_ZN7rocprim17ROCPRIM_400000_NS6detail17trampoline_kernelINS0_14default_configENS1_22reduce_config_selectorIiEEZNS1_11reduce_implILb1ES3_PiS7_iN6hipcub16HIPCUB_304000_NS6detail34convert_binary_result_type_wrapperISt4plusIvENS9_22TransformInputIteratorIiN2at6native8internal21MapNumberOfTrueValuesEPKhlEEiEEEE10hipError_tPvRmT1_T2_T3_mT4_P12ihipStream_tbEUlT_E1_NS1_11comp_targetILNS1_3genE10ELNS1_11target_archE1201ELNS1_3gpuE5ELNS1_3repE0EEENS1_30default_config_static_selectorELNS0_4arch9wavefront6targetE1EEEvSQ_, .Lfunc_end111-_ZN7rocprim17ROCPRIM_400000_NS6detail17trampoline_kernelINS0_14default_configENS1_22reduce_config_selectorIiEEZNS1_11reduce_implILb1ES3_PiS7_iN6hipcub16HIPCUB_304000_NS6detail34convert_binary_result_type_wrapperISt4plusIvENS9_22TransformInputIteratorIiN2at6native8internal21MapNumberOfTrueValuesEPKhlEEiEEEE10hipError_tPvRmT1_T2_T3_mT4_P12ihipStream_tbEUlT_E1_NS1_11comp_targetILNS1_3genE10ELNS1_11target_archE1201ELNS1_3gpuE5ELNS1_3repE0EEENS1_30default_config_static_selectorELNS0_4arch9wavefront6targetE1EEEvSQ_
                                        ; -- End function
	.section	.AMDGPU.csdata,"",@progbits
; Kernel info:
; codeLenInByte = 0
; NumSgprs: 6
; NumVgprs: 0
; NumAgprs: 0
; TotalNumVgprs: 0
; ScratchSize: 0
; MemoryBound: 0
; FloatMode: 240
; IeeeMode: 1
; LDSByteSize: 0 bytes/workgroup (compile time only)
; SGPRBlocks: 0
; VGPRBlocks: 0
; NumSGPRsForWavesPerEU: 6
; NumVGPRsForWavesPerEU: 1
; AccumOffset: 4
; Occupancy: 8
; WaveLimiterHint : 0
; COMPUTE_PGM_RSRC2:SCRATCH_EN: 0
; COMPUTE_PGM_RSRC2:USER_SGPR: 2
; COMPUTE_PGM_RSRC2:TRAP_HANDLER: 0
; COMPUTE_PGM_RSRC2:TGID_X_EN: 1
; COMPUTE_PGM_RSRC2:TGID_Y_EN: 0
; COMPUTE_PGM_RSRC2:TGID_Z_EN: 0
; COMPUTE_PGM_RSRC2:TIDIG_COMP_CNT: 0
; COMPUTE_PGM_RSRC3_GFX90A:ACCUM_OFFSET: 0
; COMPUTE_PGM_RSRC3_GFX90A:TG_SPLIT: 0
	.section	.text._ZN7rocprim17ROCPRIM_400000_NS6detail17trampoline_kernelINS0_14default_configENS1_22reduce_config_selectorIiEEZNS1_11reduce_implILb1ES3_PiS7_iN6hipcub16HIPCUB_304000_NS6detail34convert_binary_result_type_wrapperISt4plusIvENS9_22TransformInputIteratorIiN2at6native8internal21MapNumberOfTrueValuesEPKhlEEiEEEE10hipError_tPvRmT1_T2_T3_mT4_P12ihipStream_tbEUlT_E1_NS1_11comp_targetILNS1_3genE10ELNS1_11target_archE1200ELNS1_3gpuE4ELNS1_3repE0EEENS1_30default_config_static_selectorELNS0_4arch9wavefront6targetE1EEEvSQ_,"axG",@progbits,_ZN7rocprim17ROCPRIM_400000_NS6detail17trampoline_kernelINS0_14default_configENS1_22reduce_config_selectorIiEEZNS1_11reduce_implILb1ES3_PiS7_iN6hipcub16HIPCUB_304000_NS6detail34convert_binary_result_type_wrapperISt4plusIvENS9_22TransformInputIteratorIiN2at6native8internal21MapNumberOfTrueValuesEPKhlEEiEEEE10hipError_tPvRmT1_T2_T3_mT4_P12ihipStream_tbEUlT_E1_NS1_11comp_targetILNS1_3genE10ELNS1_11target_archE1200ELNS1_3gpuE4ELNS1_3repE0EEENS1_30default_config_static_selectorELNS0_4arch9wavefront6targetE1EEEvSQ_,comdat
	.protected	_ZN7rocprim17ROCPRIM_400000_NS6detail17trampoline_kernelINS0_14default_configENS1_22reduce_config_selectorIiEEZNS1_11reduce_implILb1ES3_PiS7_iN6hipcub16HIPCUB_304000_NS6detail34convert_binary_result_type_wrapperISt4plusIvENS9_22TransformInputIteratorIiN2at6native8internal21MapNumberOfTrueValuesEPKhlEEiEEEE10hipError_tPvRmT1_T2_T3_mT4_P12ihipStream_tbEUlT_E1_NS1_11comp_targetILNS1_3genE10ELNS1_11target_archE1200ELNS1_3gpuE4ELNS1_3repE0EEENS1_30default_config_static_selectorELNS0_4arch9wavefront6targetE1EEEvSQ_ ; -- Begin function _ZN7rocprim17ROCPRIM_400000_NS6detail17trampoline_kernelINS0_14default_configENS1_22reduce_config_selectorIiEEZNS1_11reduce_implILb1ES3_PiS7_iN6hipcub16HIPCUB_304000_NS6detail34convert_binary_result_type_wrapperISt4plusIvENS9_22TransformInputIteratorIiN2at6native8internal21MapNumberOfTrueValuesEPKhlEEiEEEE10hipError_tPvRmT1_T2_T3_mT4_P12ihipStream_tbEUlT_E1_NS1_11comp_targetILNS1_3genE10ELNS1_11target_archE1200ELNS1_3gpuE4ELNS1_3repE0EEENS1_30default_config_static_selectorELNS0_4arch9wavefront6targetE1EEEvSQ_
	.globl	_ZN7rocprim17ROCPRIM_400000_NS6detail17trampoline_kernelINS0_14default_configENS1_22reduce_config_selectorIiEEZNS1_11reduce_implILb1ES3_PiS7_iN6hipcub16HIPCUB_304000_NS6detail34convert_binary_result_type_wrapperISt4plusIvENS9_22TransformInputIteratorIiN2at6native8internal21MapNumberOfTrueValuesEPKhlEEiEEEE10hipError_tPvRmT1_T2_T3_mT4_P12ihipStream_tbEUlT_E1_NS1_11comp_targetILNS1_3genE10ELNS1_11target_archE1200ELNS1_3gpuE4ELNS1_3repE0EEENS1_30default_config_static_selectorELNS0_4arch9wavefront6targetE1EEEvSQ_
	.p2align	8
	.type	_ZN7rocprim17ROCPRIM_400000_NS6detail17trampoline_kernelINS0_14default_configENS1_22reduce_config_selectorIiEEZNS1_11reduce_implILb1ES3_PiS7_iN6hipcub16HIPCUB_304000_NS6detail34convert_binary_result_type_wrapperISt4plusIvENS9_22TransformInputIteratorIiN2at6native8internal21MapNumberOfTrueValuesEPKhlEEiEEEE10hipError_tPvRmT1_T2_T3_mT4_P12ihipStream_tbEUlT_E1_NS1_11comp_targetILNS1_3genE10ELNS1_11target_archE1200ELNS1_3gpuE4ELNS1_3repE0EEENS1_30default_config_static_selectorELNS0_4arch9wavefront6targetE1EEEvSQ_,@function
_ZN7rocprim17ROCPRIM_400000_NS6detail17trampoline_kernelINS0_14default_configENS1_22reduce_config_selectorIiEEZNS1_11reduce_implILb1ES3_PiS7_iN6hipcub16HIPCUB_304000_NS6detail34convert_binary_result_type_wrapperISt4plusIvENS9_22TransformInputIteratorIiN2at6native8internal21MapNumberOfTrueValuesEPKhlEEiEEEE10hipError_tPvRmT1_T2_T3_mT4_P12ihipStream_tbEUlT_E1_NS1_11comp_targetILNS1_3genE10ELNS1_11target_archE1200ELNS1_3gpuE4ELNS1_3repE0EEENS1_30default_config_static_selectorELNS0_4arch9wavefront6targetE1EEEvSQ_: ; @_ZN7rocprim17ROCPRIM_400000_NS6detail17trampoline_kernelINS0_14default_configENS1_22reduce_config_selectorIiEEZNS1_11reduce_implILb1ES3_PiS7_iN6hipcub16HIPCUB_304000_NS6detail34convert_binary_result_type_wrapperISt4plusIvENS9_22TransformInputIteratorIiN2at6native8internal21MapNumberOfTrueValuesEPKhlEEiEEEE10hipError_tPvRmT1_T2_T3_mT4_P12ihipStream_tbEUlT_E1_NS1_11comp_targetILNS1_3genE10ELNS1_11target_archE1200ELNS1_3gpuE4ELNS1_3repE0EEENS1_30default_config_static_selectorELNS0_4arch9wavefront6targetE1EEEvSQ_
; %bb.0:
	.section	.rodata,"a",@progbits
	.p2align	6, 0x0
	.amdhsa_kernel _ZN7rocprim17ROCPRIM_400000_NS6detail17trampoline_kernelINS0_14default_configENS1_22reduce_config_selectorIiEEZNS1_11reduce_implILb1ES3_PiS7_iN6hipcub16HIPCUB_304000_NS6detail34convert_binary_result_type_wrapperISt4plusIvENS9_22TransformInputIteratorIiN2at6native8internal21MapNumberOfTrueValuesEPKhlEEiEEEE10hipError_tPvRmT1_T2_T3_mT4_P12ihipStream_tbEUlT_E1_NS1_11comp_targetILNS1_3genE10ELNS1_11target_archE1200ELNS1_3gpuE4ELNS1_3repE0EEENS1_30default_config_static_selectorELNS0_4arch9wavefront6targetE1EEEvSQ_
		.amdhsa_group_segment_fixed_size 0
		.amdhsa_private_segment_fixed_size 0
		.amdhsa_kernarg_size 40
		.amdhsa_user_sgpr_count 2
		.amdhsa_user_sgpr_dispatch_ptr 0
		.amdhsa_user_sgpr_queue_ptr 0
		.amdhsa_user_sgpr_kernarg_segment_ptr 1
		.amdhsa_user_sgpr_dispatch_id 0
		.amdhsa_user_sgpr_kernarg_preload_length 0
		.amdhsa_user_sgpr_kernarg_preload_offset 0
		.amdhsa_user_sgpr_private_segment_size 0
		.amdhsa_uses_dynamic_stack 0
		.amdhsa_enable_private_segment 0
		.amdhsa_system_sgpr_workgroup_id_x 1
		.amdhsa_system_sgpr_workgroup_id_y 0
		.amdhsa_system_sgpr_workgroup_id_z 0
		.amdhsa_system_sgpr_workgroup_info 0
		.amdhsa_system_vgpr_workitem_id 0
		.amdhsa_next_free_vgpr 1
		.amdhsa_next_free_sgpr 0
		.amdhsa_accum_offset 4
		.amdhsa_reserve_vcc 0
		.amdhsa_float_round_mode_32 0
		.amdhsa_float_round_mode_16_64 0
		.amdhsa_float_denorm_mode_32 3
		.amdhsa_float_denorm_mode_16_64 3
		.amdhsa_dx10_clamp 1
		.amdhsa_ieee_mode 1
		.amdhsa_fp16_overflow 0
		.amdhsa_tg_split 0
		.amdhsa_exception_fp_ieee_invalid_op 0
		.amdhsa_exception_fp_denorm_src 0
		.amdhsa_exception_fp_ieee_div_zero 0
		.amdhsa_exception_fp_ieee_overflow 0
		.amdhsa_exception_fp_ieee_underflow 0
		.amdhsa_exception_fp_ieee_inexact 0
		.amdhsa_exception_int_div_zero 0
	.end_amdhsa_kernel
	.section	.text._ZN7rocprim17ROCPRIM_400000_NS6detail17trampoline_kernelINS0_14default_configENS1_22reduce_config_selectorIiEEZNS1_11reduce_implILb1ES3_PiS7_iN6hipcub16HIPCUB_304000_NS6detail34convert_binary_result_type_wrapperISt4plusIvENS9_22TransformInputIteratorIiN2at6native8internal21MapNumberOfTrueValuesEPKhlEEiEEEE10hipError_tPvRmT1_T2_T3_mT4_P12ihipStream_tbEUlT_E1_NS1_11comp_targetILNS1_3genE10ELNS1_11target_archE1200ELNS1_3gpuE4ELNS1_3repE0EEENS1_30default_config_static_selectorELNS0_4arch9wavefront6targetE1EEEvSQ_,"axG",@progbits,_ZN7rocprim17ROCPRIM_400000_NS6detail17trampoline_kernelINS0_14default_configENS1_22reduce_config_selectorIiEEZNS1_11reduce_implILb1ES3_PiS7_iN6hipcub16HIPCUB_304000_NS6detail34convert_binary_result_type_wrapperISt4plusIvENS9_22TransformInputIteratorIiN2at6native8internal21MapNumberOfTrueValuesEPKhlEEiEEEE10hipError_tPvRmT1_T2_T3_mT4_P12ihipStream_tbEUlT_E1_NS1_11comp_targetILNS1_3genE10ELNS1_11target_archE1200ELNS1_3gpuE4ELNS1_3repE0EEENS1_30default_config_static_selectorELNS0_4arch9wavefront6targetE1EEEvSQ_,comdat
.Lfunc_end112:
	.size	_ZN7rocprim17ROCPRIM_400000_NS6detail17trampoline_kernelINS0_14default_configENS1_22reduce_config_selectorIiEEZNS1_11reduce_implILb1ES3_PiS7_iN6hipcub16HIPCUB_304000_NS6detail34convert_binary_result_type_wrapperISt4plusIvENS9_22TransformInputIteratorIiN2at6native8internal21MapNumberOfTrueValuesEPKhlEEiEEEE10hipError_tPvRmT1_T2_T3_mT4_P12ihipStream_tbEUlT_E1_NS1_11comp_targetILNS1_3genE10ELNS1_11target_archE1200ELNS1_3gpuE4ELNS1_3repE0EEENS1_30default_config_static_selectorELNS0_4arch9wavefront6targetE1EEEvSQ_, .Lfunc_end112-_ZN7rocprim17ROCPRIM_400000_NS6detail17trampoline_kernelINS0_14default_configENS1_22reduce_config_selectorIiEEZNS1_11reduce_implILb1ES3_PiS7_iN6hipcub16HIPCUB_304000_NS6detail34convert_binary_result_type_wrapperISt4plusIvENS9_22TransformInputIteratorIiN2at6native8internal21MapNumberOfTrueValuesEPKhlEEiEEEE10hipError_tPvRmT1_T2_T3_mT4_P12ihipStream_tbEUlT_E1_NS1_11comp_targetILNS1_3genE10ELNS1_11target_archE1200ELNS1_3gpuE4ELNS1_3repE0EEENS1_30default_config_static_selectorELNS0_4arch9wavefront6targetE1EEEvSQ_
                                        ; -- End function
	.section	.AMDGPU.csdata,"",@progbits
; Kernel info:
; codeLenInByte = 0
; NumSgprs: 6
; NumVgprs: 0
; NumAgprs: 0
; TotalNumVgprs: 0
; ScratchSize: 0
; MemoryBound: 0
; FloatMode: 240
; IeeeMode: 1
; LDSByteSize: 0 bytes/workgroup (compile time only)
; SGPRBlocks: 0
; VGPRBlocks: 0
; NumSGPRsForWavesPerEU: 6
; NumVGPRsForWavesPerEU: 1
; AccumOffset: 4
; Occupancy: 8
; WaveLimiterHint : 0
; COMPUTE_PGM_RSRC2:SCRATCH_EN: 0
; COMPUTE_PGM_RSRC2:USER_SGPR: 2
; COMPUTE_PGM_RSRC2:TRAP_HANDLER: 0
; COMPUTE_PGM_RSRC2:TGID_X_EN: 1
; COMPUTE_PGM_RSRC2:TGID_Y_EN: 0
; COMPUTE_PGM_RSRC2:TGID_Z_EN: 0
; COMPUTE_PGM_RSRC2:TIDIG_COMP_CNT: 0
; COMPUTE_PGM_RSRC3_GFX90A:ACCUM_OFFSET: 0
; COMPUTE_PGM_RSRC3_GFX90A:TG_SPLIT: 0
	.section	.text._ZN7rocprim17ROCPRIM_400000_NS6detail17trampoline_kernelINS0_14default_configENS1_22reduce_config_selectorIiEEZNS1_11reduce_implILb1ES3_PiS7_iN6hipcub16HIPCUB_304000_NS6detail34convert_binary_result_type_wrapperISt4plusIvENS9_22TransformInputIteratorIiN2at6native8internal21MapNumberOfTrueValuesEPKhlEEiEEEE10hipError_tPvRmT1_T2_T3_mT4_P12ihipStream_tbEUlT_E1_NS1_11comp_targetILNS1_3genE9ELNS1_11target_archE1100ELNS1_3gpuE3ELNS1_3repE0EEENS1_30default_config_static_selectorELNS0_4arch9wavefront6targetE1EEEvSQ_,"axG",@progbits,_ZN7rocprim17ROCPRIM_400000_NS6detail17trampoline_kernelINS0_14default_configENS1_22reduce_config_selectorIiEEZNS1_11reduce_implILb1ES3_PiS7_iN6hipcub16HIPCUB_304000_NS6detail34convert_binary_result_type_wrapperISt4plusIvENS9_22TransformInputIteratorIiN2at6native8internal21MapNumberOfTrueValuesEPKhlEEiEEEE10hipError_tPvRmT1_T2_T3_mT4_P12ihipStream_tbEUlT_E1_NS1_11comp_targetILNS1_3genE9ELNS1_11target_archE1100ELNS1_3gpuE3ELNS1_3repE0EEENS1_30default_config_static_selectorELNS0_4arch9wavefront6targetE1EEEvSQ_,comdat
	.protected	_ZN7rocprim17ROCPRIM_400000_NS6detail17trampoline_kernelINS0_14default_configENS1_22reduce_config_selectorIiEEZNS1_11reduce_implILb1ES3_PiS7_iN6hipcub16HIPCUB_304000_NS6detail34convert_binary_result_type_wrapperISt4plusIvENS9_22TransformInputIteratorIiN2at6native8internal21MapNumberOfTrueValuesEPKhlEEiEEEE10hipError_tPvRmT1_T2_T3_mT4_P12ihipStream_tbEUlT_E1_NS1_11comp_targetILNS1_3genE9ELNS1_11target_archE1100ELNS1_3gpuE3ELNS1_3repE0EEENS1_30default_config_static_selectorELNS0_4arch9wavefront6targetE1EEEvSQ_ ; -- Begin function _ZN7rocprim17ROCPRIM_400000_NS6detail17trampoline_kernelINS0_14default_configENS1_22reduce_config_selectorIiEEZNS1_11reduce_implILb1ES3_PiS7_iN6hipcub16HIPCUB_304000_NS6detail34convert_binary_result_type_wrapperISt4plusIvENS9_22TransformInputIteratorIiN2at6native8internal21MapNumberOfTrueValuesEPKhlEEiEEEE10hipError_tPvRmT1_T2_T3_mT4_P12ihipStream_tbEUlT_E1_NS1_11comp_targetILNS1_3genE9ELNS1_11target_archE1100ELNS1_3gpuE3ELNS1_3repE0EEENS1_30default_config_static_selectorELNS0_4arch9wavefront6targetE1EEEvSQ_
	.globl	_ZN7rocprim17ROCPRIM_400000_NS6detail17trampoline_kernelINS0_14default_configENS1_22reduce_config_selectorIiEEZNS1_11reduce_implILb1ES3_PiS7_iN6hipcub16HIPCUB_304000_NS6detail34convert_binary_result_type_wrapperISt4plusIvENS9_22TransformInputIteratorIiN2at6native8internal21MapNumberOfTrueValuesEPKhlEEiEEEE10hipError_tPvRmT1_T2_T3_mT4_P12ihipStream_tbEUlT_E1_NS1_11comp_targetILNS1_3genE9ELNS1_11target_archE1100ELNS1_3gpuE3ELNS1_3repE0EEENS1_30default_config_static_selectorELNS0_4arch9wavefront6targetE1EEEvSQ_
	.p2align	8
	.type	_ZN7rocprim17ROCPRIM_400000_NS6detail17trampoline_kernelINS0_14default_configENS1_22reduce_config_selectorIiEEZNS1_11reduce_implILb1ES3_PiS7_iN6hipcub16HIPCUB_304000_NS6detail34convert_binary_result_type_wrapperISt4plusIvENS9_22TransformInputIteratorIiN2at6native8internal21MapNumberOfTrueValuesEPKhlEEiEEEE10hipError_tPvRmT1_T2_T3_mT4_P12ihipStream_tbEUlT_E1_NS1_11comp_targetILNS1_3genE9ELNS1_11target_archE1100ELNS1_3gpuE3ELNS1_3repE0EEENS1_30default_config_static_selectorELNS0_4arch9wavefront6targetE1EEEvSQ_,@function
_ZN7rocprim17ROCPRIM_400000_NS6detail17trampoline_kernelINS0_14default_configENS1_22reduce_config_selectorIiEEZNS1_11reduce_implILb1ES3_PiS7_iN6hipcub16HIPCUB_304000_NS6detail34convert_binary_result_type_wrapperISt4plusIvENS9_22TransformInputIteratorIiN2at6native8internal21MapNumberOfTrueValuesEPKhlEEiEEEE10hipError_tPvRmT1_T2_T3_mT4_P12ihipStream_tbEUlT_E1_NS1_11comp_targetILNS1_3genE9ELNS1_11target_archE1100ELNS1_3gpuE3ELNS1_3repE0EEENS1_30default_config_static_selectorELNS0_4arch9wavefront6targetE1EEEvSQ_: ; @_ZN7rocprim17ROCPRIM_400000_NS6detail17trampoline_kernelINS0_14default_configENS1_22reduce_config_selectorIiEEZNS1_11reduce_implILb1ES3_PiS7_iN6hipcub16HIPCUB_304000_NS6detail34convert_binary_result_type_wrapperISt4plusIvENS9_22TransformInputIteratorIiN2at6native8internal21MapNumberOfTrueValuesEPKhlEEiEEEE10hipError_tPvRmT1_T2_T3_mT4_P12ihipStream_tbEUlT_E1_NS1_11comp_targetILNS1_3genE9ELNS1_11target_archE1100ELNS1_3gpuE3ELNS1_3repE0EEENS1_30default_config_static_selectorELNS0_4arch9wavefront6targetE1EEEvSQ_
; %bb.0:
	.section	.rodata,"a",@progbits
	.p2align	6, 0x0
	.amdhsa_kernel _ZN7rocprim17ROCPRIM_400000_NS6detail17trampoline_kernelINS0_14default_configENS1_22reduce_config_selectorIiEEZNS1_11reduce_implILb1ES3_PiS7_iN6hipcub16HIPCUB_304000_NS6detail34convert_binary_result_type_wrapperISt4plusIvENS9_22TransformInputIteratorIiN2at6native8internal21MapNumberOfTrueValuesEPKhlEEiEEEE10hipError_tPvRmT1_T2_T3_mT4_P12ihipStream_tbEUlT_E1_NS1_11comp_targetILNS1_3genE9ELNS1_11target_archE1100ELNS1_3gpuE3ELNS1_3repE0EEENS1_30default_config_static_selectorELNS0_4arch9wavefront6targetE1EEEvSQ_
		.amdhsa_group_segment_fixed_size 0
		.amdhsa_private_segment_fixed_size 0
		.amdhsa_kernarg_size 40
		.amdhsa_user_sgpr_count 2
		.amdhsa_user_sgpr_dispatch_ptr 0
		.amdhsa_user_sgpr_queue_ptr 0
		.amdhsa_user_sgpr_kernarg_segment_ptr 1
		.amdhsa_user_sgpr_dispatch_id 0
		.amdhsa_user_sgpr_kernarg_preload_length 0
		.amdhsa_user_sgpr_kernarg_preload_offset 0
		.amdhsa_user_sgpr_private_segment_size 0
		.amdhsa_uses_dynamic_stack 0
		.amdhsa_enable_private_segment 0
		.amdhsa_system_sgpr_workgroup_id_x 1
		.amdhsa_system_sgpr_workgroup_id_y 0
		.amdhsa_system_sgpr_workgroup_id_z 0
		.amdhsa_system_sgpr_workgroup_info 0
		.amdhsa_system_vgpr_workitem_id 0
		.amdhsa_next_free_vgpr 1
		.amdhsa_next_free_sgpr 0
		.amdhsa_accum_offset 4
		.amdhsa_reserve_vcc 0
		.amdhsa_float_round_mode_32 0
		.amdhsa_float_round_mode_16_64 0
		.amdhsa_float_denorm_mode_32 3
		.amdhsa_float_denorm_mode_16_64 3
		.amdhsa_dx10_clamp 1
		.amdhsa_ieee_mode 1
		.amdhsa_fp16_overflow 0
		.amdhsa_tg_split 0
		.amdhsa_exception_fp_ieee_invalid_op 0
		.amdhsa_exception_fp_denorm_src 0
		.amdhsa_exception_fp_ieee_div_zero 0
		.amdhsa_exception_fp_ieee_overflow 0
		.amdhsa_exception_fp_ieee_underflow 0
		.amdhsa_exception_fp_ieee_inexact 0
		.amdhsa_exception_int_div_zero 0
	.end_amdhsa_kernel
	.section	.text._ZN7rocprim17ROCPRIM_400000_NS6detail17trampoline_kernelINS0_14default_configENS1_22reduce_config_selectorIiEEZNS1_11reduce_implILb1ES3_PiS7_iN6hipcub16HIPCUB_304000_NS6detail34convert_binary_result_type_wrapperISt4plusIvENS9_22TransformInputIteratorIiN2at6native8internal21MapNumberOfTrueValuesEPKhlEEiEEEE10hipError_tPvRmT1_T2_T3_mT4_P12ihipStream_tbEUlT_E1_NS1_11comp_targetILNS1_3genE9ELNS1_11target_archE1100ELNS1_3gpuE3ELNS1_3repE0EEENS1_30default_config_static_selectorELNS0_4arch9wavefront6targetE1EEEvSQ_,"axG",@progbits,_ZN7rocprim17ROCPRIM_400000_NS6detail17trampoline_kernelINS0_14default_configENS1_22reduce_config_selectorIiEEZNS1_11reduce_implILb1ES3_PiS7_iN6hipcub16HIPCUB_304000_NS6detail34convert_binary_result_type_wrapperISt4plusIvENS9_22TransformInputIteratorIiN2at6native8internal21MapNumberOfTrueValuesEPKhlEEiEEEE10hipError_tPvRmT1_T2_T3_mT4_P12ihipStream_tbEUlT_E1_NS1_11comp_targetILNS1_3genE9ELNS1_11target_archE1100ELNS1_3gpuE3ELNS1_3repE0EEENS1_30default_config_static_selectorELNS0_4arch9wavefront6targetE1EEEvSQ_,comdat
.Lfunc_end113:
	.size	_ZN7rocprim17ROCPRIM_400000_NS6detail17trampoline_kernelINS0_14default_configENS1_22reduce_config_selectorIiEEZNS1_11reduce_implILb1ES3_PiS7_iN6hipcub16HIPCUB_304000_NS6detail34convert_binary_result_type_wrapperISt4plusIvENS9_22TransformInputIteratorIiN2at6native8internal21MapNumberOfTrueValuesEPKhlEEiEEEE10hipError_tPvRmT1_T2_T3_mT4_P12ihipStream_tbEUlT_E1_NS1_11comp_targetILNS1_3genE9ELNS1_11target_archE1100ELNS1_3gpuE3ELNS1_3repE0EEENS1_30default_config_static_selectorELNS0_4arch9wavefront6targetE1EEEvSQ_, .Lfunc_end113-_ZN7rocprim17ROCPRIM_400000_NS6detail17trampoline_kernelINS0_14default_configENS1_22reduce_config_selectorIiEEZNS1_11reduce_implILb1ES3_PiS7_iN6hipcub16HIPCUB_304000_NS6detail34convert_binary_result_type_wrapperISt4plusIvENS9_22TransformInputIteratorIiN2at6native8internal21MapNumberOfTrueValuesEPKhlEEiEEEE10hipError_tPvRmT1_T2_T3_mT4_P12ihipStream_tbEUlT_E1_NS1_11comp_targetILNS1_3genE9ELNS1_11target_archE1100ELNS1_3gpuE3ELNS1_3repE0EEENS1_30default_config_static_selectorELNS0_4arch9wavefront6targetE1EEEvSQ_
                                        ; -- End function
	.section	.AMDGPU.csdata,"",@progbits
; Kernel info:
; codeLenInByte = 0
; NumSgprs: 6
; NumVgprs: 0
; NumAgprs: 0
; TotalNumVgprs: 0
; ScratchSize: 0
; MemoryBound: 0
; FloatMode: 240
; IeeeMode: 1
; LDSByteSize: 0 bytes/workgroup (compile time only)
; SGPRBlocks: 0
; VGPRBlocks: 0
; NumSGPRsForWavesPerEU: 6
; NumVGPRsForWavesPerEU: 1
; AccumOffset: 4
; Occupancy: 8
; WaveLimiterHint : 0
; COMPUTE_PGM_RSRC2:SCRATCH_EN: 0
; COMPUTE_PGM_RSRC2:USER_SGPR: 2
; COMPUTE_PGM_RSRC2:TRAP_HANDLER: 0
; COMPUTE_PGM_RSRC2:TGID_X_EN: 1
; COMPUTE_PGM_RSRC2:TGID_Y_EN: 0
; COMPUTE_PGM_RSRC2:TGID_Z_EN: 0
; COMPUTE_PGM_RSRC2:TIDIG_COMP_CNT: 0
; COMPUTE_PGM_RSRC3_GFX90A:ACCUM_OFFSET: 0
; COMPUTE_PGM_RSRC3_GFX90A:TG_SPLIT: 0
	.section	.text._ZN7rocprim17ROCPRIM_400000_NS6detail17trampoline_kernelINS0_14default_configENS1_22reduce_config_selectorIiEEZNS1_11reduce_implILb1ES3_PiS7_iN6hipcub16HIPCUB_304000_NS6detail34convert_binary_result_type_wrapperISt4plusIvENS9_22TransformInputIteratorIiN2at6native8internal21MapNumberOfTrueValuesEPKhlEEiEEEE10hipError_tPvRmT1_T2_T3_mT4_P12ihipStream_tbEUlT_E1_NS1_11comp_targetILNS1_3genE8ELNS1_11target_archE1030ELNS1_3gpuE2ELNS1_3repE0EEENS1_30default_config_static_selectorELNS0_4arch9wavefront6targetE1EEEvSQ_,"axG",@progbits,_ZN7rocprim17ROCPRIM_400000_NS6detail17trampoline_kernelINS0_14default_configENS1_22reduce_config_selectorIiEEZNS1_11reduce_implILb1ES3_PiS7_iN6hipcub16HIPCUB_304000_NS6detail34convert_binary_result_type_wrapperISt4plusIvENS9_22TransformInputIteratorIiN2at6native8internal21MapNumberOfTrueValuesEPKhlEEiEEEE10hipError_tPvRmT1_T2_T3_mT4_P12ihipStream_tbEUlT_E1_NS1_11comp_targetILNS1_3genE8ELNS1_11target_archE1030ELNS1_3gpuE2ELNS1_3repE0EEENS1_30default_config_static_selectorELNS0_4arch9wavefront6targetE1EEEvSQ_,comdat
	.protected	_ZN7rocprim17ROCPRIM_400000_NS6detail17trampoline_kernelINS0_14default_configENS1_22reduce_config_selectorIiEEZNS1_11reduce_implILb1ES3_PiS7_iN6hipcub16HIPCUB_304000_NS6detail34convert_binary_result_type_wrapperISt4plusIvENS9_22TransformInputIteratorIiN2at6native8internal21MapNumberOfTrueValuesEPKhlEEiEEEE10hipError_tPvRmT1_T2_T3_mT4_P12ihipStream_tbEUlT_E1_NS1_11comp_targetILNS1_3genE8ELNS1_11target_archE1030ELNS1_3gpuE2ELNS1_3repE0EEENS1_30default_config_static_selectorELNS0_4arch9wavefront6targetE1EEEvSQ_ ; -- Begin function _ZN7rocprim17ROCPRIM_400000_NS6detail17trampoline_kernelINS0_14default_configENS1_22reduce_config_selectorIiEEZNS1_11reduce_implILb1ES3_PiS7_iN6hipcub16HIPCUB_304000_NS6detail34convert_binary_result_type_wrapperISt4plusIvENS9_22TransformInputIteratorIiN2at6native8internal21MapNumberOfTrueValuesEPKhlEEiEEEE10hipError_tPvRmT1_T2_T3_mT4_P12ihipStream_tbEUlT_E1_NS1_11comp_targetILNS1_3genE8ELNS1_11target_archE1030ELNS1_3gpuE2ELNS1_3repE0EEENS1_30default_config_static_selectorELNS0_4arch9wavefront6targetE1EEEvSQ_
	.globl	_ZN7rocprim17ROCPRIM_400000_NS6detail17trampoline_kernelINS0_14default_configENS1_22reduce_config_selectorIiEEZNS1_11reduce_implILb1ES3_PiS7_iN6hipcub16HIPCUB_304000_NS6detail34convert_binary_result_type_wrapperISt4plusIvENS9_22TransformInputIteratorIiN2at6native8internal21MapNumberOfTrueValuesEPKhlEEiEEEE10hipError_tPvRmT1_T2_T3_mT4_P12ihipStream_tbEUlT_E1_NS1_11comp_targetILNS1_3genE8ELNS1_11target_archE1030ELNS1_3gpuE2ELNS1_3repE0EEENS1_30default_config_static_selectorELNS0_4arch9wavefront6targetE1EEEvSQ_
	.p2align	8
	.type	_ZN7rocprim17ROCPRIM_400000_NS6detail17trampoline_kernelINS0_14default_configENS1_22reduce_config_selectorIiEEZNS1_11reduce_implILb1ES3_PiS7_iN6hipcub16HIPCUB_304000_NS6detail34convert_binary_result_type_wrapperISt4plusIvENS9_22TransformInputIteratorIiN2at6native8internal21MapNumberOfTrueValuesEPKhlEEiEEEE10hipError_tPvRmT1_T2_T3_mT4_P12ihipStream_tbEUlT_E1_NS1_11comp_targetILNS1_3genE8ELNS1_11target_archE1030ELNS1_3gpuE2ELNS1_3repE0EEENS1_30default_config_static_selectorELNS0_4arch9wavefront6targetE1EEEvSQ_,@function
_ZN7rocprim17ROCPRIM_400000_NS6detail17trampoline_kernelINS0_14default_configENS1_22reduce_config_selectorIiEEZNS1_11reduce_implILb1ES3_PiS7_iN6hipcub16HIPCUB_304000_NS6detail34convert_binary_result_type_wrapperISt4plusIvENS9_22TransformInputIteratorIiN2at6native8internal21MapNumberOfTrueValuesEPKhlEEiEEEE10hipError_tPvRmT1_T2_T3_mT4_P12ihipStream_tbEUlT_E1_NS1_11comp_targetILNS1_3genE8ELNS1_11target_archE1030ELNS1_3gpuE2ELNS1_3repE0EEENS1_30default_config_static_selectorELNS0_4arch9wavefront6targetE1EEEvSQ_: ; @_ZN7rocprim17ROCPRIM_400000_NS6detail17trampoline_kernelINS0_14default_configENS1_22reduce_config_selectorIiEEZNS1_11reduce_implILb1ES3_PiS7_iN6hipcub16HIPCUB_304000_NS6detail34convert_binary_result_type_wrapperISt4plusIvENS9_22TransformInputIteratorIiN2at6native8internal21MapNumberOfTrueValuesEPKhlEEiEEEE10hipError_tPvRmT1_T2_T3_mT4_P12ihipStream_tbEUlT_E1_NS1_11comp_targetILNS1_3genE8ELNS1_11target_archE1030ELNS1_3gpuE2ELNS1_3repE0EEENS1_30default_config_static_selectorELNS0_4arch9wavefront6targetE1EEEvSQ_
; %bb.0:
	.section	.rodata,"a",@progbits
	.p2align	6, 0x0
	.amdhsa_kernel _ZN7rocprim17ROCPRIM_400000_NS6detail17trampoline_kernelINS0_14default_configENS1_22reduce_config_selectorIiEEZNS1_11reduce_implILb1ES3_PiS7_iN6hipcub16HIPCUB_304000_NS6detail34convert_binary_result_type_wrapperISt4plusIvENS9_22TransformInputIteratorIiN2at6native8internal21MapNumberOfTrueValuesEPKhlEEiEEEE10hipError_tPvRmT1_T2_T3_mT4_P12ihipStream_tbEUlT_E1_NS1_11comp_targetILNS1_3genE8ELNS1_11target_archE1030ELNS1_3gpuE2ELNS1_3repE0EEENS1_30default_config_static_selectorELNS0_4arch9wavefront6targetE1EEEvSQ_
		.amdhsa_group_segment_fixed_size 0
		.amdhsa_private_segment_fixed_size 0
		.amdhsa_kernarg_size 40
		.amdhsa_user_sgpr_count 2
		.amdhsa_user_sgpr_dispatch_ptr 0
		.amdhsa_user_sgpr_queue_ptr 0
		.amdhsa_user_sgpr_kernarg_segment_ptr 1
		.amdhsa_user_sgpr_dispatch_id 0
		.amdhsa_user_sgpr_kernarg_preload_length 0
		.amdhsa_user_sgpr_kernarg_preload_offset 0
		.amdhsa_user_sgpr_private_segment_size 0
		.amdhsa_uses_dynamic_stack 0
		.amdhsa_enable_private_segment 0
		.amdhsa_system_sgpr_workgroup_id_x 1
		.amdhsa_system_sgpr_workgroup_id_y 0
		.amdhsa_system_sgpr_workgroup_id_z 0
		.amdhsa_system_sgpr_workgroup_info 0
		.amdhsa_system_vgpr_workitem_id 0
		.amdhsa_next_free_vgpr 1
		.amdhsa_next_free_sgpr 0
		.amdhsa_accum_offset 4
		.amdhsa_reserve_vcc 0
		.amdhsa_float_round_mode_32 0
		.amdhsa_float_round_mode_16_64 0
		.amdhsa_float_denorm_mode_32 3
		.amdhsa_float_denorm_mode_16_64 3
		.amdhsa_dx10_clamp 1
		.amdhsa_ieee_mode 1
		.amdhsa_fp16_overflow 0
		.amdhsa_tg_split 0
		.amdhsa_exception_fp_ieee_invalid_op 0
		.amdhsa_exception_fp_denorm_src 0
		.amdhsa_exception_fp_ieee_div_zero 0
		.amdhsa_exception_fp_ieee_overflow 0
		.amdhsa_exception_fp_ieee_underflow 0
		.amdhsa_exception_fp_ieee_inexact 0
		.amdhsa_exception_int_div_zero 0
	.end_amdhsa_kernel
	.section	.text._ZN7rocprim17ROCPRIM_400000_NS6detail17trampoline_kernelINS0_14default_configENS1_22reduce_config_selectorIiEEZNS1_11reduce_implILb1ES3_PiS7_iN6hipcub16HIPCUB_304000_NS6detail34convert_binary_result_type_wrapperISt4plusIvENS9_22TransformInputIteratorIiN2at6native8internal21MapNumberOfTrueValuesEPKhlEEiEEEE10hipError_tPvRmT1_T2_T3_mT4_P12ihipStream_tbEUlT_E1_NS1_11comp_targetILNS1_3genE8ELNS1_11target_archE1030ELNS1_3gpuE2ELNS1_3repE0EEENS1_30default_config_static_selectorELNS0_4arch9wavefront6targetE1EEEvSQ_,"axG",@progbits,_ZN7rocprim17ROCPRIM_400000_NS6detail17trampoline_kernelINS0_14default_configENS1_22reduce_config_selectorIiEEZNS1_11reduce_implILb1ES3_PiS7_iN6hipcub16HIPCUB_304000_NS6detail34convert_binary_result_type_wrapperISt4plusIvENS9_22TransformInputIteratorIiN2at6native8internal21MapNumberOfTrueValuesEPKhlEEiEEEE10hipError_tPvRmT1_T2_T3_mT4_P12ihipStream_tbEUlT_E1_NS1_11comp_targetILNS1_3genE8ELNS1_11target_archE1030ELNS1_3gpuE2ELNS1_3repE0EEENS1_30default_config_static_selectorELNS0_4arch9wavefront6targetE1EEEvSQ_,comdat
.Lfunc_end114:
	.size	_ZN7rocprim17ROCPRIM_400000_NS6detail17trampoline_kernelINS0_14default_configENS1_22reduce_config_selectorIiEEZNS1_11reduce_implILb1ES3_PiS7_iN6hipcub16HIPCUB_304000_NS6detail34convert_binary_result_type_wrapperISt4plusIvENS9_22TransformInputIteratorIiN2at6native8internal21MapNumberOfTrueValuesEPKhlEEiEEEE10hipError_tPvRmT1_T2_T3_mT4_P12ihipStream_tbEUlT_E1_NS1_11comp_targetILNS1_3genE8ELNS1_11target_archE1030ELNS1_3gpuE2ELNS1_3repE0EEENS1_30default_config_static_selectorELNS0_4arch9wavefront6targetE1EEEvSQ_, .Lfunc_end114-_ZN7rocprim17ROCPRIM_400000_NS6detail17trampoline_kernelINS0_14default_configENS1_22reduce_config_selectorIiEEZNS1_11reduce_implILb1ES3_PiS7_iN6hipcub16HIPCUB_304000_NS6detail34convert_binary_result_type_wrapperISt4plusIvENS9_22TransformInputIteratorIiN2at6native8internal21MapNumberOfTrueValuesEPKhlEEiEEEE10hipError_tPvRmT1_T2_T3_mT4_P12ihipStream_tbEUlT_E1_NS1_11comp_targetILNS1_3genE8ELNS1_11target_archE1030ELNS1_3gpuE2ELNS1_3repE0EEENS1_30default_config_static_selectorELNS0_4arch9wavefront6targetE1EEEvSQ_
                                        ; -- End function
	.section	.AMDGPU.csdata,"",@progbits
; Kernel info:
; codeLenInByte = 0
; NumSgprs: 6
; NumVgprs: 0
; NumAgprs: 0
; TotalNumVgprs: 0
; ScratchSize: 0
; MemoryBound: 0
; FloatMode: 240
; IeeeMode: 1
; LDSByteSize: 0 bytes/workgroup (compile time only)
; SGPRBlocks: 0
; VGPRBlocks: 0
; NumSGPRsForWavesPerEU: 6
; NumVGPRsForWavesPerEU: 1
; AccumOffset: 4
; Occupancy: 8
; WaveLimiterHint : 0
; COMPUTE_PGM_RSRC2:SCRATCH_EN: 0
; COMPUTE_PGM_RSRC2:USER_SGPR: 2
; COMPUTE_PGM_RSRC2:TRAP_HANDLER: 0
; COMPUTE_PGM_RSRC2:TGID_X_EN: 1
; COMPUTE_PGM_RSRC2:TGID_Y_EN: 0
; COMPUTE_PGM_RSRC2:TGID_Z_EN: 0
; COMPUTE_PGM_RSRC2:TIDIG_COMP_CNT: 0
; COMPUTE_PGM_RSRC3_GFX90A:ACCUM_OFFSET: 0
; COMPUTE_PGM_RSRC3_GFX90A:TG_SPLIT: 0
	.section	.text._ZN7rocprim17ROCPRIM_400000_NS6detail17trampoline_kernelINS0_14default_configENS1_22reduce_config_selectorIiEEZNS1_11reduce_implILb1ES3_N6hipcub16HIPCUB_304000_NS22TransformInputIteratorIiN2at6native8internal21MapNumberOfTrueValuesEPKhlEEPiiNS8_6detail34convert_binary_result_type_wrapperISt4plusIvESG_iEEEE10hipError_tPvRmT1_T2_T3_mT4_P12ihipStream_tbEUlT_E0_NS1_11comp_targetILNS1_3genE0ELNS1_11target_archE4294967295ELNS1_3gpuE0ELNS1_3repE0EEENS1_30default_config_static_selectorELNS0_4arch9wavefront6targetE1EEEvSQ_,"axG",@progbits,_ZN7rocprim17ROCPRIM_400000_NS6detail17trampoline_kernelINS0_14default_configENS1_22reduce_config_selectorIiEEZNS1_11reduce_implILb1ES3_N6hipcub16HIPCUB_304000_NS22TransformInputIteratorIiN2at6native8internal21MapNumberOfTrueValuesEPKhlEEPiiNS8_6detail34convert_binary_result_type_wrapperISt4plusIvESG_iEEEE10hipError_tPvRmT1_T2_T3_mT4_P12ihipStream_tbEUlT_E0_NS1_11comp_targetILNS1_3genE0ELNS1_11target_archE4294967295ELNS1_3gpuE0ELNS1_3repE0EEENS1_30default_config_static_selectorELNS0_4arch9wavefront6targetE1EEEvSQ_,comdat
	.protected	_ZN7rocprim17ROCPRIM_400000_NS6detail17trampoline_kernelINS0_14default_configENS1_22reduce_config_selectorIiEEZNS1_11reduce_implILb1ES3_N6hipcub16HIPCUB_304000_NS22TransformInputIteratorIiN2at6native8internal21MapNumberOfTrueValuesEPKhlEEPiiNS8_6detail34convert_binary_result_type_wrapperISt4plusIvESG_iEEEE10hipError_tPvRmT1_T2_T3_mT4_P12ihipStream_tbEUlT_E0_NS1_11comp_targetILNS1_3genE0ELNS1_11target_archE4294967295ELNS1_3gpuE0ELNS1_3repE0EEENS1_30default_config_static_selectorELNS0_4arch9wavefront6targetE1EEEvSQ_ ; -- Begin function _ZN7rocprim17ROCPRIM_400000_NS6detail17trampoline_kernelINS0_14default_configENS1_22reduce_config_selectorIiEEZNS1_11reduce_implILb1ES3_N6hipcub16HIPCUB_304000_NS22TransformInputIteratorIiN2at6native8internal21MapNumberOfTrueValuesEPKhlEEPiiNS8_6detail34convert_binary_result_type_wrapperISt4plusIvESG_iEEEE10hipError_tPvRmT1_T2_T3_mT4_P12ihipStream_tbEUlT_E0_NS1_11comp_targetILNS1_3genE0ELNS1_11target_archE4294967295ELNS1_3gpuE0ELNS1_3repE0EEENS1_30default_config_static_selectorELNS0_4arch9wavefront6targetE1EEEvSQ_
	.globl	_ZN7rocprim17ROCPRIM_400000_NS6detail17trampoline_kernelINS0_14default_configENS1_22reduce_config_selectorIiEEZNS1_11reduce_implILb1ES3_N6hipcub16HIPCUB_304000_NS22TransformInputIteratorIiN2at6native8internal21MapNumberOfTrueValuesEPKhlEEPiiNS8_6detail34convert_binary_result_type_wrapperISt4plusIvESG_iEEEE10hipError_tPvRmT1_T2_T3_mT4_P12ihipStream_tbEUlT_E0_NS1_11comp_targetILNS1_3genE0ELNS1_11target_archE4294967295ELNS1_3gpuE0ELNS1_3repE0EEENS1_30default_config_static_selectorELNS0_4arch9wavefront6targetE1EEEvSQ_
	.p2align	8
	.type	_ZN7rocprim17ROCPRIM_400000_NS6detail17trampoline_kernelINS0_14default_configENS1_22reduce_config_selectorIiEEZNS1_11reduce_implILb1ES3_N6hipcub16HIPCUB_304000_NS22TransformInputIteratorIiN2at6native8internal21MapNumberOfTrueValuesEPKhlEEPiiNS8_6detail34convert_binary_result_type_wrapperISt4plusIvESG_iEEEE10hipError_tPvRmT1_T2_T3_mT4_P12ihipStream_tbEUlT_E0_NS1_11comp_targetILNS1_3genE0ELNS1_11target_archE4294967295ELNS1_3gpuE0ELNS1_3repE0EEENS1_30default_config_static_selectorELNS0_4arch9wavefront6targetE1EEEvSQ_,@function
_ZN7rocprim17ROCPRIM_400000_NS6detail17trampoline_kernelINS0_14default_configENS1_22reduce_config_selectorIiEEZNS1_11reduce_implILb1ES3_N6hipcub16HIPCUB_304000_NS22TransformInputIteratorIiN2at6native8internal21MapNumberOfTrueValuesEPKhlEEPiiNS8_6detail34convert_binary_result_type_wrapperISt4plusIvESG_iEEEE10hipError_tPvRmT1_T2_T3_mT4_P12ihipStream_tbEUlT_E0_NS1_11comp_targetILNS1_3genE0ELNS1_11target_archE4294967295ELNS1_3gpuE0ELNS1_3repE0EEENS1_30default_config_static_selectorELNS0_4arch9wavefront6targetE1EEEvSQ_: ; @_ZN7rocprim17ROCPRIM_400000_NS6detail17trampoline_kernelINS0_14default_configENS1_22reduce_config_selectorIiEEZNS1_11reduce_implILb1ES3_N6hipcub16HIPCUB_304000_NS22TransformInputIteratorIiN2at6native8internal21MapNumberOfTrueValuesEPKhlEEPiiNS8_6detail34convert_binary_result_type_wrapperISt4plusIvESG_iEEEE10hipError_tPvRmT1_T2_T3_mT4_P12ihipStream_tbEUlT_E0_NS1_11comp_targetILNS1_3genE0ELNS1_11target_archE4294967295ELNS1_3gpuE0ELNS1_3repE0EEENS1_30default_config_static_selectorELNS0_4arch9wavefront6targetE1EEEvSQ_
; %bb.0:
	.section	.rodata,"a",@progbits
	.p2align	6, 0x0
	.amdhsa_kernel _ZN7rocprim17ROCPRIM_400000_NS6detail17trampoline_kernelINS0_14default_configENS1_22reduce_config_selectorIiEEZNS1_11reduce_implILb1ES3_N6hipcub16HIPCUB_304000_NS22TransformInputIteratorIiN2at6native8internal21MapNumberOfTrueValuesEPKhlEEPiiNS8_6detail34convert_binary_result_type_wrapperISt4plusIvESG_iEEEE10hipError_tPvRmT1_T2_T3_mT4_P12ihipStream_tbEUlT_E0_NS1_11comp_targetILNS1_3genE0ELNS1_11target_archE4294967295ELNS1_3gpuE0ELNS1_3repE0EEENS1_30default_config_static_selectorELNS0_4arch9wavefront6targetE1EEEvSQ_
		.amdhsa_group_segment_fixed_size 0
		.amdhsa_private_segment_fixed_size 0
		.amdhsa_kernarg_size 64
		.amdhsa_user_sgpr_count 2
		.amdhsa_user_sgpr_dispatch_ptr 0
		.amdhsa_user_sgpr_queue_ptr 0
		.amdhsa_user_sgpr_kernarg_segment_ptr 1
		.amdhsa_user_sgpr_dispatch_id 0
		.amdhsa_user_sgpr_kernarg_preload_length 0
		.amdhsa_user_sgpr_kernarg_preload_offset 0
		.amdhsa_user_sgpr_private_segment_size 0
		.amdhsa_uses_dynamic_stack 0
		.amdhsa_enable_private_segment 0
		.amdhsa_system_sgpr_workgroup_id_x 1
		.amdhsa_system_sgpr_workgroup_id_y 0
		.amdhsa_system_sgpr_workgroup_id_z 0
		.amdhsa_system_sgpr_workgroup_info 0
		.amdhsa_system_vgpr_workitem_id 0
		.amdhsa_next_free_vgpr 1
		.amdhsa_next_free_sgpr 0
		.amdhsa_accum_offset 4
		.amdhsa_reserve_vcc 0
		.amdhsa_float_round_mode_32 0
		.amdhsa_float_round_mode_16_64 0
		.amdhsa_float_denorm_mode_32 3
		.amdhsa_float_denorm_mode_16_64 3
		.amdhsa_dx10_clamp 1
		.amdhsa_ieee_mode 1
		.amdhsa_fp16_overflow 0
		.amdhsa_tg_split 0
		.amdhsa_exception_fp_ieee_invalid_op 0
		.amdhsa_exception_fp_denorm_src 0
		.amdhsa_exception_fp_ieee_div_zero 0
		.amdhsa_exception_fp_ieee_overflow 0
		.amdhsa_exception_fp_ieee_underflow 0
		.amdhsa_exception_fp_ieee_inexact 0
		.amdhsa_exception_int_div_zero 0
	.end_amdhsa_kernel
	.section	.text._ZN7rocprim17ROCPRIM_400000_NS6detail17trampoline_kernelINS0_14default_configENS1_22reduce_config_selectorIiEEZNS1_11reduce_implILb1ES3_N6hipcub16HIPCUB_304000_NS22TransformInputIteratorIiN2at6native8internal21MapNumberOfTrueValuesEPKhlEEPiiNS8_6detail34convert_binary_result_type_wrapperISt4plusIvESG_iEEEE10hipError_tPvRmT1_T2_T3_mT4_P12ihipStream_tbEUlT_E0_NS1_11comp_targetILNS1_3genE0ELNS1_11target_archE4294967295ELNS1_3gpuE0ELNS1_3repE0EEENS1_30default_config_static_selectorELNS0_4arch9wavefront6targetE1EEEvSQ_,"axG",@progbits,_ZN7rocprim17ROCPRIM_400000_NS6detail17trampoline_kernelINS0_14default_configENS1_22reduce_config_selectorIiEEZNS1_11reduce_implILb1ES3_N6hipcub16HIPCUB_304000_NS22TransformInputIteratorIiN2at6native8internal21MapNumberOfTrueValuesEPKhlEEPiiNS8_6detail34convert_binary_result_type_wrapperISt4plusIvESG_iEEEE10hipError_tPvRmT1_T2_T3_mT4_P12ihipStream_tbEUlT_E0_NS1_11comp_targetILNS1_3genE0ELNS1_11target_archE4294967295ELNS1_3gpuE0ELNS1_3repE0EEENS1_30default_config_static_selectorELNS0_4arch9wavefront6targetE1EEEvSQ_,comdat
.Lfunc_end115:
	.size	_ZN7rocprim17ROCPRIM_400000_NS6detail17trampoline_kernelINS0_14default_configENS1_22reduce_config_selectorIiEEZNS1_11reduce_implILb1ES3_N6hipcub16HIPCUB_304000_NS22TransformInputIteratorIiN2at6native8internal21MapNumberOfTrueValuesEPKhlEEPiiNS8_6detail34convert_binary_result_type_wrapperISt4plusIvESG_iEEEE10hipError_tPvRmT1_T2_T3_mT4_P12ihipStream_tbEUlT_E0_NS1_11comp_targetILNS1_3genE0ELNS1_11target_archE4294967295ELNS1_3gpuE0ELNS1_3repE0EEENS1_30default_config_static_selectorELNS0_4arch9wavefront6targetE1EEEvSQ_, .Lfunc_end115-_ZN7rocprim17ROCPRIM_400000_NS6detail17trampoline_kernelINS0_14default_configENS1_22reduce_config_selectorIiEEZNS1_11reduce_implILb1ES3_N6hipcub16HIPCUB_304000_NS22TransformInputIteratorIiN2at6native8internal21MapNumberOfTrueValuesEPKhlEEPiiNS8_6detail34convert_binary_result_type_wrapperISt4plusIvESG_iEEEE10hipError_tPvRmT1_T2_T3_mT4_P12ihipStream_tbEUlT_E0_NS1_11comp_targetILNS1_3genE0ELNS1_11target_archE4294967295ELNS1_3gpuE0ELNS1_3repE0EEENS1_30default_config_static_selectorELNS0_4arch9wavefront6targetE1EEEvSQ_
                                        ; -- End function
	.section	.AMDGPU.csdata,"",@progbits
; Kernel info:
; codeLenInByte = 0
; NumSgprs: 6
; NumVgprs: 0
; NumAgprs: 0
; TotalNumVgprs: 0
; ScratchSize: 0
; MemoryBound: 0
; FloatMode: 240
; IeeeMode: 1
; LDSByteSize: 0 bytes/workgroup (compile time only)
; SGPRBlocks: 0
; VGPRBlocks: 0
; NumSGPRsForWavesPerEU: 6
; NumVGPRsForWavesPerEU: 1
; AccumOffset: 4
; Occupancy: 8
; WaveLimiterHint : 0
; COMPUTE_PGM_RSRC2:SCRATCH_EN: 0
; COMPUTE_PGM_RSRC2:USER_SGPR: 2
; COMPUTE_PGM_RSRC2:TRAP_HANDLER: 0
; COMPUTE_PGM_RSRC2:TGID_X_EN: 1
; COMPUTE_PGM_RSRC2:TGID_Y_EN: 0
; COMPUTE_PGM_RSRC2:TGID_Z_EN: 0
; COMPUTE_PGM_RSRC2:TIDIG_COMP_CNT: 0
; COMPUTE_PGM_RSRC3_GFX90A:ACCUM_OFFSET: 0
; COMPUTE_PGM_RSRC3_GFX90A:TG_SPLIT: 0
	.section	.text._ZN7rocprim17ROCPRIM_400000_NS6detail17trampoline_kernelINS0_14default_configENS1_22reduce_config_selectorIiEEZNS1_11reduce_implILb1ES3_N6hipcub16HIPCUB_304000_NS22TransformInputIteratorIiN2at6native8internal21MapNumberOfTrueValuesEPKhlEEPiiNS8_6detail34convert_binary_result_type_wrapperISt4plusIvESG_iEEEE10hipError_tPvRmT1_T2_T3_mT4_P12ihipStream_tbEUlT_E0_NS1_11comp_targetILNS1_3genE5ELNS1_11target_archE942ELNS1_3gpuE9ELNS1_3repE0EEENS1_30default_config_static_selectorELNS0_4arch9wavefront6targetE1EEEvSQ_,"axG",@progbits,_ZN7rocprim17ROCPRIM_400000_NS6detail17trampoline_kernelINS0_14default_configENS1_22reduce_config_selectorIiEEZNS1_11reduce_implILb1ES3_N6hipcub16HIPCUB_304000_NS22TransformInputIteratorIiN2at6native8internal21MapNumberOfTrueValuesEPKhlEEPiiNS8_6detail34convert_binary_result_type_wrapperISt4plusIvESG_iEEEE10hipError_tPvRmT1_T2_T3_mT4_P12ihipStream_tbEUlT_E0_NS1_11comp_targetILNS1_3genE5ELNS1_11target_archE942ELNS1_3gpuE9ELNS1_3repE0EEENS1_30default_config_static_selectorELNS0_4arch9wavefront6targetE1EEEvSQ_,comdat
	.protected	_ZN7rocprim17ROCPRIM_400000_NS6detail17trampoline_kernelINS0_14default_configENS1_22reduce_config_selectorIiEEZNS1_11reduce_implILb1ES3_N6hipcub16HIPCUB_304000_NS22TransformInputIteratorIiN2at6native8internal21MapNumberOfTrueValuesEPKhlEEPiiNS8_6detail34convert_binary_result_type_wrapperISt4plusIvESG_iEEEE10hipError_tPvRmT1_T2_T3_mT4_P12ihipStream_tbEUlT_E0_NS1_11comp_targetILNS1_3genE5ELNS1_11target_archE942ELNS1_3gpuE9ELNS1_3repE0EEENS1_30default_config_static_selectorELNS0_4arch9wavefront6targetE1EEEvSQ_ ; -- Begin function _ZN7rocprim17ROCPRIM_400000_NS6detail17trampoline_kernelINS0_14default_configENS1_22reduce_config_selectorIiEEZNS1_11reduce_implILb1ES3_N6hipcub16HIPCUB_304000_NS22TransformInputIteratorIiN2at6native8internal21MapNumberOfTrueValuesEPKhlEEPiiNS8_6detail34convert_binary_result_type_wrapperISt4plusIvESG_iEEEE10hipError_tPvRmT1_T2_T3_mT4_P12ihipStream_tbEUlT_E0_NS1_11comp_targetILNS1_3genE5ELNS1_11target_archE942ELNS1_3gpuE9ELNS1_3repE0EEENS1_30default_config_static_selectorELNS0_4arch9wavefront6targetE1EEEvSQ_
	.globl	_ZN7rocprim17ROCPRIM_400000_NS6detail17trampoline_kernelINS0_14default_configENS1_22reduce_config_selectorIiEEZNS1_11reduce_implILb1ES3_N6hipcub16HIPCUB_304000_NS22TransformInputIteratorIiN2at6native8internal21MapNumberOfTrueValuesEPKhlEEPiiNS8_6detail34convert_binary_result_type_wrapperISt4plusIvESG_iEEEE10hipError_tPvRmT1_T2_T3_mT4_P12ihipStream_tbEUlT_E0_NS1_11comp_targetILNS1_3genE5ELNS1_11target_archE942ELNS1_3gpuE9ELNS1_3repE0EEENS1_30default_config_static_selectorELNS0_4arch9wavefront6targetE1EEEvSQ_
	.p2align	8
	.type	_ZN7rocprim17ROCPRIM_400000_NS6detail17trampoline_kernelINS0_14default_configENS1_22reduce_config_selectorIiEEZNS1_11reduce_implILb1ES3_N6hipcub16HIPCUB_304000_NS22TransformInputIteratorIiN2at6native8internal21MapNumberOfTrueValuesEPKhlEEPiiNS8_6detail34convert_binary_result_type_wrapperISt4plusIvESG_iEEEE10hipError_tPvRmT1_T2_T3_mT4_P12ihipStream_tbEUlT_E0_NS1_11comp_targetILNS1_3genE5ELNS1_11target_archE942ELNS1_3gpuE9ELNS1_3repE0EEENS1_30default_config_static_selectorELNS0_4arch9wavefront6targetE1EEEvSQ_,@function
_ZN7rocprim17ROCPRIM_400000_NS6detail17trampoline_kernelINS0_14default_configENS1_22reduce_config_selectorIiEEZNS1_11reduce_implILb1ES3_N6hipcub16HIPCUB_304000_NS22TransformInputIteratorIiN2at6native8internal21MapNumberOfTrueValuesEPKhlEEPiiNS8_6detail34convert_binary_result_type_wrapperISt4plusIvESG_iEEEE10hipError_tPvRmT1_T2_T3_mT4_P12ihipStream_tbEUlT_E0_NS1_11comp_targetILNS1_3genE5ELNS1_11target_archE942ELNS1_3gpuE9ELNS1_3repE0EEENS1_30default_config_static_selectorELNS0_4arch9wavefront6targetE1EEEvSQ_: ; @_ZN7rocprim17ROCPRIM_400000_NS6detail17trampoline_kernelINS0_14default_configENS1_22reduce_config_selectorIiEEZNS1_11reduce_implILb1ES3_N6hipcub16HIPCUB_304000_NS22TransformInputIteratorIiN2at6native8internal21MapNumberOfTrueValuesEPKhlEEPiiNS8_6detail34convert_binary_result_type_wrapperISt4plusIvESG_iEEEE10hipError_tPvRmT1_T2_T3_mT4_P12ihipStream_tbEUlT_E0_NS1_11comp_targetILNS1_3genE5ELNS1_11target_archE942ELNS1_3gpuE9ELNS1_3repE0EEENS1_30default_config_static_selectorELNS0_4arch9wavefront6targetE1EEEvSQ_
; %bb.0:
	s_load_dwordx2 s[4:5], s[0:1], 0x0
	s_load_dwordx8 s[16:23], s[0:1], 0x10
	s_load_dwordx2 s[24:25], s[0:1], 0x30
	s_mov_b32 s3, 0
	v_mbcnt_lo_u32_b32 v1, -1, 0
	s_waitcnt lgkmcnt(0)
	s_add_u32 s7, s4, s16
	s_addc_u32 s8, s5, s17
	s_lshl_b32 s6, s2, 11
	s_lshr_b64 s[4:5], s[18:19], 11
	s_add_u32 s14, s7, s6
	s_addc_u32 s15, s8, 0
	s_cmp_lg_u64 s[4:5], s[2:3]
	s_cbranch_scc0 .LBB116_6
; %bb.1:
	global_load_ubyte v2, v0, s[14:15]
	global_load_ubyte v4, v0, s[14:15] offset:512
	global_load_ubyte v5, v0, s[14:15] offset:1024
	;; [unrolled: 1-line block ×7, first 2 shown]
	v_mbcnt_hi_u32_b32 v3, -1, v1
	v_bfrev_b32_e32 v11, 0.5
	s_waitcnt vmcnt(7)
	v_cmp_ne_u16_e32 vcc, 0, v2
	s_nop 1
	v_cndmask_b32_e64 v2, 0, 1, vcc
	s_waitcnt vmcnt(6)
	v_cmp_ne_u16_e32 vcc, 0, v4
	s_nop 1
	v_cndmask_b32_e64 v4, 0, 1, vcc
	;; [unrolled: 4-line block ×4, first 2 shown]
	s_waitcnt vmcnt(3)
	v_cmp_ne_u16_e32 vcc, 0, v7
	s_nop 1
	v_addc_co_u32_e32 v2, vcc, 0, v2, vcc
	s_waitcnt vmcnt(2)
	v_cmp_ne_u16_e32 vcc, 0, v8
	s_nop 1
	v_addc_co_u32_e32 v2, vcc, v2, v4, vcc
	s_waitcnt vmcnt(1)
	v_cmp_ne_u16_e32 vcc, 0, v9
	v_lshl_or_b32 v4, v3, 2, v11
	s_nop 0
	v_addc_co_u32_e32 v2, vcc, v2, v5, vcc
	s_waitcnt vmcnt(0)
	v_cmp_ne_u16_e32 vcc, 0, v10
	s_nop 1
	v_addc_co_u32_e32 v2, vcc, v2, v6, vcc
	v_cmp_eq_u32_e32 vcc, 0, v3
	s_nop 0
	v_add_u32_dpp v2, v2, v2 quad_perm:[1,0,3,2] row_mask:0xf bank_mask:0xf bound_ctrl:1
	s_nop 1
	v_add_u32_dpp v2, v2, v2 quad_perm:[2,3,0,1] row_mask:0xf bank_mask:0xf bound_ctrl:1
	s_nop 1
	v_add_u32_dpp v2, v2, v2 row_ror:4 row_mask:0xf bank_mask:0xf bound_ctrl:1
	s_nop 1
	v_add_u32_dpp v2, v2, v2 row_ror:8 row_mask:0xf bank_mask:0xf bound_ctrl:1
	s_nop 1
	v_add_u32_dpp v2, v2, v2 row_bcast:15 row_mask:0xf bank_mask:0xf bound_ctrl:1
	s_nop 1
	v_add_u32_dpp v2, v2, v2 row_bcast:31 row_mask:0xf bank_mask:0xf bound_ctrl:1
	ds_bpermute_b32 v2, v4, v2
	s_and_saveexec_b64 s[4:5], vcc
	s_cbranch_execz .LBB116_3
; %bb.2:
	v_lshrrev_b32_e32 v4, 4, v0
	v_and_b32_e32 v4, 12, v4
	s_waitcnt lgkmcnt(0)
	ds_write_b32 v4, v2
.LBB116_3:
	s_or_b64 exec, exec, s[4:5]
	v_cmp_gt_u32_e32 vcc, 64, v0
	s_waitcnt lgkmcnt(0)
	s_barrier
	s_and_saveexec_b64 s[4:5], vcc
	s_cbranch_execz .LBB116_5
; %bb.4:
	v_and_b32_e32 v2, 3, v3
	v_lshlrev_b32_e32 v4, 2, v2
	ds_read_b32 v4, v4
	v_cmp_ne_u32_e32 vcc, 3, v2
	s_nop 1
	v_addc_co_u32_e32 v5, vcc, 0, v3, vcc
	v_lshlrev_b32_e32 v5, 2, v5
	s_waitcnt lgkmcnt(0)
	ds_bpermute_b32 v5, v5, v4
	v_cmp_gt_u32_e32 vcc, 2, v2
	s_waitcnt lgkmcnt(0)
	v_add_u32_e32 v4, v5, v4
	v_cndmask_b32_e64 v2, 0, 1, vcc
	v_lshlrev_b32_e32 v2, 1, v2
	v_add_lshl_u32 v2, v2, v3, 2
	ds_bpermute_b32 v2, v2, v4
	s_waitcnt lgkmcnt(0)
	v_add_u32_e32 v2, v2, v4
.LBB116_5:
	s_or_b64 exec, exec, s[4:5]
	s_load_dword s26, s[0:1], 0x38
	s_branch .LBB116_28
.LBB116_6:
                                        ; implicit-def: $vgpr2
	s_load_dword s26, s[0:1], 0x38
	s_cbranch_execz .LBB116_28
; %bb.7:
	s_sub_i32 s27, s18, s6
	v_cmp_gt_u32_e32 vcc, s27, v0
                                        ; implicit-def: $vgpr2_vgpr3_vgpr4_vgpr5_vgpr6_vgpr7_vgpr8_vgpr9
	s_and_saveexec_b64 s[0:1], vcc
	s_cbranch_execz .LBB116_9
; %bb.8:
	global_load_ubyte v2, v0, s[14:15]
	s_waitcnt vmcnt(0)
	v_cmp_ne_u16_e32 vcc, 0, v2
	s_nop 1
	v_cndmask_b32_e64 v2, 0, 1, vcc
.LBB116_9:
	s_or_b64 exec, exec, s[0:1]
	v_or_b32_e32 v10, 0x100, v0
	v_cmp_gt_u32_e32 vcc, s27, v10
	s_and_saveexec_b64 s[4:5], vcc
	s_cbranch_execz .LBB116_11
; %bb.10:
	global_load_ubyte v3, v0, s[14:15] offset:256
	s_waitcnt vmcnt(0)
	v_cmp_ne_u16_e64 s[0:1], 0, v3
	s_nop 1
	v_cndmask_b32_e64 v3, 0, 1, s[0:1]
.LBB116_11:
	s_or_b64 exec, exec, s[4:5]
	v_or_b32_e32 v10, 0x200, v0
	v_cmp_gt_u32_e64 s[0:1], s27, v10
	s_and_saveexec_b64 s[6:7], s[0:1]
	s_cbranch_execz .LBB116_13
; %bb.12:
	global_load_ubyte v4, v0, s[14:15] offset:512
	s_waitcnt vmcnt(0)
	v_cmp_ne_u16_e64 s[4:5], 0, v4
	s_nop 1
	v_cndmask_b32_e64 v4, 0, 1, s[4:5]
.LBB116_13:
	s_or_b64 exec, exec, s[6:7]
	v_or_b32_e32 v10, 0x300, v0
	v_cmp_gt_u32_e64 s[4:5], s27, v10
	s_and_saveexec_b64 s[8:9], s[4:5]
	;; [unrolled: 12-line block ×6, first 2 shown]
	s_cbranch_execz .LBB116_23
; %bb.22:
	global_load_ubyte v9, v0, s[14:15] offset:1792
	s_waitcnt vmcnt(0)
	v_cmp_ne_u16_e64 s[14:15], 0, v9
	s_nop 1
	v_cndmask_b32_e64 v9, 0, 1, s[14:15]
.LBB116_23:
	s_or_b64 exec, exec, s[16:17]
	v_cndmask_b32_e32 v3, 0, v3, vcc
	v_add_u32_e32 v2, v3, v2
	v_cndmask_b32_e64 v3, 0, v4, s[0:1]
	v_cndmask_b32_e64 v4, 0, v5, s[4:5]
	v_add3_u32 v2, v2, v3, v4
	v_cndmask_b32_e64 v3, 0, v6, s[6:7]
	v_cndmask_b32_e64 v4, 0, v7, s[8:9]
	v_add3_u32 v2, v2, v3, v4
	v_cndmask_b32_e64 v3, 0, v8, s[10:11]
	v_cndmask_b32_e64 v4, 0, v9, s[12:13]
	v_mbcnt_hi_u32_b32 v1, -1, v1
	v_add3_u32 v2, v2, v3, v4
	v_and_b32_e32 v3, 63, v1
	v_cmp_ne_u32_e32 vcc, 63, v3
	s_min_u32 s4, s27, 0x100
	v_and_b32_e32 v5, 0xc0, v0
	v_addc_co_u32_e32 v4, vcc, 0, v1, vcc
	v_lshlrev_b32_e32 v4, 2, v4
	ds_bpermute_b32 v4, v4, v2
	v_sub_u32_e64 v5, s4, v5 clamp
	v_add_u32_e32 v6, 1, v3
	v_cmp_lt_u32_e32 vcc, v6, v5
	v_add_u32_e32 v6, 2, v3
	s_waitcnt lgkmcnt(0)
	v_cndmask_b32_e32 v4, 0, v4, vcc
	v_cmp_gt_u32_e32 vcc, 62, v3
	v_add_u32_e32 v2, v2, v4
	s_nop 0
	v_cndmask_b32_e64 v4, 0, 1, vcc
	v_lshlrev_b32_e32 v4, 1, v4
	v_add_lshl_u32 v4, v4, v1, 2
	ds_bpermute_b32 v4, v4, v2
	v_cmp_lt_u32_e32 vcc, v6, v5
	v_add_u32_e32 v6, 4, v3
	s_waitcnt lgkmcnt(0)
	v_cndmask_b32_e32 v4, 0, v4, vcc
	v_cmp_gt_u32_e32 vcc, 60, v3
	v_add_u32_e32 v2, v2, v4
	s_nop 0
	v_cndmask_b32_e64 v4, 0, 1, vcc
	v_lshlrev_b32_e32 v4, 2, v4
	v_add_lshl_u32 v4, v4, v1, 2
	ds_bpermute_b32 v4, v4, v2
	;; [unrolled: 11-line block ×4, first 2 shown]
	v_cmp_lt_u32_e32 vcc, v6, v5
	s_waitcnt lgkmcnt(0)
	s_nop 0
	v_cndmask_b32_e32 v4, 0, v4, vcc
	v_cmp_gt_u32_e32 vcc, 32, v3
	v_add_u32_e32 v2, v2, v4
	v_add_u32_e32 v3, 32, v3
	v_cndmask_b32_e64 v4, 0, 1, vcc
	v_lshlrev_b32_e32 v4, 5, v4
	v_add_lshl_u32 v4, v4, v1, 2
	ds_bpermute_b32 v4, v4, v2
	v_cmp_lt_u32_e32 vcc, v3, v5
	s_waitcnt lgkmcnt(0)
	s_nop 0
	v_cndmask_b32_e32 v3, 0, v4, vcc
	v_add_u32_e32 v2, v2, v3
	v_cmp_eq_u32_e32 vcc, 0, v1
	s_and_saveexec_b64 s[0:1], vcc
	s_cbranch_execz .LBB116_25
; %bb.24:
	v_lshrrev_b32_e32 v3, 4, v0
	v_and_b32_e32 v3, 12, v3
	ds_write_b32 v3, v2 offset:16
.LBB116_25:
	s_or_b64 exec, exec, s[0:1]
	v_cmp_gt_u32_e32 vcc, 4, v0
	s_waitcnt lgkmcnt(0)
	s_barrier
	s_and_saveexec_b64 s[0:1], vcc
	s_cbranch_execz .LBB116_27
; %bb.26:
	v_lshlrev_b32_e32 v2, 2, v1
	ds_read_b32 v2, v2 offset:16
	v_and_b32_e32 v3, 3, v1
	v_cmp_ne_u32_e32 vcc, 3, v3
	s_add_i32 s4, s4, 63
	s_lshr_b32 s4, s4, 6
	v_addc_co_u32_e32 v4, vcc, 0, v1, vcc
	v_lshlrev_b32_e32 v4, 2, v4
	s_waitcnt lgkmcnt(0)
	ds_bpermute_b32 v4, v4, v2
	v_add_u32_e32 v5, 1, v3
	v_cmp_gt_u32_e32 vcc, s4, v5
	s_waitcnt lgkmcnt(0)
	s_nop 0
	v_cndmask_b32_e32 v4, 0, v4, vcc
	v_cmp_gt_u32_e32 vcc, 2, v3
	v_add_u32_e32 v2, v4, v2
	v_add_u32_e32 v3, 2, v3
	v_cndmask_b32_e64 v4, 0, 1, vcc
	v_lshlrev_b32_e32 v4, 1, v4
	v_add_lshl_u32 v1, v4, v1, 2
	ds_bpermute_b32 v1, v1, v2
	v_cmp_gt_u32_e32 vcc, s4, v3
	s_waitcnt lgkmcnt(0)
	s_nop 0
	v_cndmask_b32_e32 v1, 0, v1, vcc
	v_add_u32_e32 v2, v2, v1
.LBB116_27:
	s_or_b64 exec, exec, s[0:1]
.LBB116_28:
	v_cmp_eq_u32_e32 vcc, 0, v0
	s_and_saveexec_b64 s[0:1], vcc
	s_cbranch_execnz .LBB116_30
; %bb.29:
	s_endpgm
.LBB116_30:
	s_mul_i32 s0, s24, s23
	s_mul_hi_u32 s1, s24, s22
	s_add_i32 s0, s1, s0
	s_mul_i32 s1, s25, s22
	s_add_i32 s1, s0, s1
	s_mul_i32 s0, s24, s22
	s_lshl_b64 s[0:1], s[0:1], 2
	s_add_u32 s4, s20, s0
	s_addc_u32 s5, s21, s1
	s_cmp_eq_u64 s[18:19], 0
	s_cselect_b64 vcc, -1, 0
	s_lshl_b64 s[0:1], s[2:3], 2
	s_waitcnt lgkmcnt(0)
	v_mov_b32_e32 v0, s26
	s_add_u32 s0, s4, s0
	v_cndmask_b32_e32 v0, v2, v0, vcc
	s_addc_u32 s1, s5, s1
	v_mov_b32_e32 v1, 0
	global_store_dword v1, v0, s[0:1]
	s_endpgm
	.section	.rodata,"a",@progbits
	.p2align	6, 0x0
	.amdhsa_kernel _ZN7rocprim17ROCPRIM_400000_NS6detail17trampoline_kernelINS0_14default_configENS1_22reduce_config_selectorIiEEZNS1_11reduce_implILb1ES3_N6hipcub16HIPCUB_304000_NS22TransformInputIteratorIiN2at6native8internal21MapNumberOfTrueValuesEPKhlEEPiiNS8_6detail34convert_binary_result_type_wrapperISt4plusIvESG_iEEEE10hipError_tPvRmT1_T2_T3_mT4_P12ihipStream_tbEUlT_E0_NS1_11comp_targetILNS1_3genE5ELNS1_11target_archE942ELNS1_3gpuE9ELNS1_3repE0EEENS1_30default_config_static_selectorELNS0_4arch9wavefront6targetE1EEEvSQ_
		.amdhsa_group_segment_fixed_size 32
		.amdhsa_private_segment_fixed_size 0
		.amdhsa_kernarg_size 64
		.amdhsa_user_sgpr_count 2
		.amdhsa_user_sgpr_dispatch_ptr 0
		.amdhsa_user_sgpr_queue_ptr 0
		.amdhsa_user_sgpr_kernarg_segment_ptr 1
		.amdhsa_user_sgpr_dispatch_id 0
		.amdhsa_user_sgpr_kernarg_preload_length 0
		.amdhsa_user_sgpr_kernarg_preload_offset 0
		.amdhsa_user_sgpr_private_segment_size 0
		.amdhsa_uses_dynamic_stack 0
		.amdhsa_enable_private_segment 0
		.amdhsa_system_sgpr_workgroup_id_x 1
		.amdhsa_system_sgpr_workgroup_id_y 0
		.amdhsa_system_sgpr_workgroup_id_z 0
		.amdhsa_system_sgpr_workgroup_info 0
		.amdhsa_system_vgpr_workitem_id 0
		.amdhsa_next_free_vgpr 12
		.amdhsa_next_free_sgpr 28
		.amdhsa_accum_offset 12
		.amdhsa_reserve_vcc 1
		.amdhsa_float_round_mode_32 0
		.amdhsa_float_round_mode_16_64 0
		.amdhsa_float_denorm_mode_32 3
		.amdhsa_float_denorm_mode_16_64 3
		.amdhsa_dx10_clamp 1
		.amdhsa_ieee_mode 1
		.amdhsa_fp16_overflow 0
		.amdhsa_tg_split 0
		.amdhsa_exception_fp_ieee_invalid_op 0
		.amdhsa_exception_fp_denorm_src 0
		.amdhsa_exception_fp_ieee_div_zero 0
		.amdhsa_exception_fp_ieee_overflow 0
		.amdhsa_exception_fp_ieee_underflow 0
		.amdhsa_exception_fp_ieee_inexact 0
		.amdhsa_exception_int_div_zero 0
	.end_amdhsa_kernel
	.section	.text._ZN7rocprim17ROCPRIM_400000_NS6detail17trampoline_kernelINS0_14default_configENS1_22reduce_config_selectorIiEEZNS1_11reduce_implILb1ES3_N6hipcub16HIPCUB_304000_NS22TransformInputIteratorIiN2at6native8internal21MapNumberOfTrueValuesEPKhlEEPiiNS8_6detail34convert_binary_result_type_wrapperISt4plusIvESG_iEEEE10hipError_tPvRmT1_T2_T3_mT4_P12ihipStream_tbEUlT_E0_NS1_11comp_targetILNS1_3genE5ELNS1_11target_archE942ELNS1_3gpuE9ELNS1_3repE0EEENS1_30default_config_static_selectorELNS0_4arch9wavefront6targetE1EEEvSQ_,"axG",@progbits,_ZN7rocprim17ROCPRIM_400000_NS6detail17trampoline_kernelINS0_14default_configENS1_22reduce_config_selectorIiEEZNS1_11reduce_implILb1ES3_N6hipcub16HIPCUB_304000_NS22TransformInputIteratorIiN2at6native8internal21MapNumberOfTrueValuesEPKhlEEPiiNS8_6detail34convert_binary_result_type_wrapperISt4plusIvESG_iEEEE10hipError_tPvRmT1_T2_T3_mT4_P12ihipStream_tbEUlT_E0_NS1_11comp_targetILNS1_3genE5ELNS1_11target_archE942ELNS1_3gpuE9ELNS1_3repE0EEENS1_30default_config_static_selectorELNS0_4arch9wavefront6targetE1EEEvSQ_,comdat
.Lfunc_end116:
	.size	_ZN7rocprim17ROCPRIM_400000_NS6detail17trampoline_kernelINS0_14default_configENS1_22reduce_config_selectorIiEEZNS1_11reduce_implILb1ES3_N6hipcub16HIPCUB_304000_NS22TransformInputIteratorIiN2at6native8internal21MapNumberOfTrueValuesEPKhlEEPiiNS8_6detail34convert_binary_result_type_wrapperISt4plusIvESG_iEEEE10hipError_tPvRmT1_T2_T3_mT4_P12ihipStream_tbEUlT_E0_NS1_11comp_targetILNS1_3genE5ELNS1_11target_archE942ELNS1_3gpuE9ELNS1_3repE0EEENS1_30default_config_static_selectorELNS0_4arch9wavefront6targetE1EEEvSQ_, .Lfunc_end116-_ZN7rocprim17ROCPRIM_400000_NS6detail17trampoline_kernelINS0_14default_configENS1_22reduce_config_selectorIiEEZNS1_11reduce_implILb1ES3_N6hipcub16HIPCUB_304000_NS22TransformInputIteratorIiN2at6native8internal21MapNumberOfTrueValuesEPKhlEEPiiNS8_6detail34convert_binary_result_type_wrapperISt4plusIvESG_iEEEE10hipError_tPvRmT1_T2_T3_mT4_P12ihipStream_tbEUlT_E0_NS1_11comp_targetILNS1_3genE5ELNS1_11target_archE942ELNS1_3gpuE9ELNS1_3repE0EEENS1_30default_config_static_selectorELNS0_4arch9wavefront6targetE1EEEvSQ_
                                        ; -- End function
	.section	.AMDGPU.csdata,"",@progbits
; Kernel info:
; codeLenInByte = 1744
; NumSgprs: 34
; NumVgprs: 12
; NumAgprs: 0
; TotalNumVgprs: 12
; ScratchSize: 0
; MemoryBound: 0
; FloatMode: 240
; IeeeMode: 1
; LDSByteSize: 32 bytes/workgroup (compile time only)
; SGPRBlocks: 4
; VGPRBlocks: 1
; NumSGPRsForWavesPerEU: 34
; NumVGPRsForWavesPerEU: 12
; AccumOffset: 12
; Occupancy: 8
; WaveLimiterHint : 1
; COMPUTE_PGM_RSRC2:SCRATCH_EN: 0
; COMPUTE_PGM_RSRC2:USER_SGPR: 2
; COMPUTE_PGM_RSRC2:TRAP_HANDLER: 0
; COMPUTE_PGM_RSRC2:TGID_X_EN: 1
; COMPUTE_PGM_RSRC2:TGID_Y_EN: 0
; COMPUTE_PGM_RSRC2:TGID_Z_EN: 0
; COMPUTE_PGM_RSRC2:TIDIG_COMP_CNT: 0
; COMPUTE_PGM_RSRC3_GFX90A:ACCUM_OFFSET: 2
; COMPUTE_PGM_RSRC3_GFX90A:TG_SPLIT: 0
	.section	.text._ZN7rocprim17ROCPRIM_400000_NS6detail17trampoline_kernelINS0_14default_configENS1_22reduce_config_selectorIiEEZNS1_11reduce_implILb1ES3_N6hipcub16HIPCUB_304000_NS22TransformInputIteratorIiN2at6native8internal21MapNumberOfTrueValuesEPKhlEEPiiNS8_6detail34convert_binary_result_type_wrapperISt4plusIvESG_iEEEE10hipError_tPvRmT1_T2_T3_mT4_P12ihipStream_tbEUlT_E0_NS1_11comp_targetILNS1_3genE4ELNS1_11target_archE910ELNS1_3gpuE8ELNS1_3repE0EEENS1_30default_config_static_selectorELNS0_4arch9wavefront6targetE1EEEvSQ_,"axG",@progbits,_ZN7rocprim17ROCPRIM_400000_NS6detail17trampoline_kernelINS0_14default_configENS1_22reduce_config_selectorIiEEZNS1_11reduce_implILb1ES3_N6hipcub16HIPCUB_304000_NS22TransformInputIteratorIiN2at6native8internal21MapNumberOfTrueValuesEPKhlEEPiiNS8_6detail34convert_binary_result_type_wrapperISt4plusIvESG_iEEEE10hipError_tPvRmT1_T2_T3_mT4_P12ihipStream_tbEUlT_E0_NS1_11comp_targetILNS1_3genE4ELNS1_11target_archE910ELNS1_3gpuE8ELNS1_3repE0EEENS1_30default_config_static_selectorELNS0_4arch9wavefront6targetE1EEEvSQ_,comdat
	.protected	_ZN7rocprim17ROCPRIM_400000_NS6detail17trampoline_kernelINS0_14default_configENS1_22reduce_config_selectorIiEEZNS1_11reduce_implILb1ES3_N6hipcub16HIPCUB_304000_NS22TransformInputIteratorIiN2at6native8internal21MapNumberOfTrueValuesEPKhlEEPiiNS8_6detail34convert_binary_result_type_wrapperISt4plusIvESG_iEEEE10hipError_tPvRmT1_T2_T3_mT4_P12ihipStream_tbEUlT_E0_NS1_11comp_targetILNS1_3genE4ELNS1_11target_archE910ELNS1_3gpuE8ELNS1_3repE0EEENS1_30default_config_static_selectorELNS0_4arch9wavefront6targetE1EEEvSQ_ ; -- Begin function _ZN7rocprim17ROCPRIM_400000_NS6detail17trampoline_kernelINS0_14default_configENS1_22reduce_config_selectorIiEEZNS1_11reduce_implILb1ES3_N6hipcub16HIPCUB_304000_NS22TransformInputIteratorIiN2at6native8internal21MapNumberOfTrueValuesEPKhlEEPiiNS8_6detail34convert_binary_result_type_wrapperISt4plusIvESG_iEEEE10hipError_tPvRmT1_T2_T3_mT4_P12ihipStream_tbEUlT_E0_NS1_11comp_targetILNS1_3genE4ELNS1_11target_archE910ELNS1_3gpuE8ELNS1_3repE0EEENS1_30default_config_static_selectorELNS0_4arch9wavefront6targetE1EEEvSQ_
	.globl	_ZN7rocprim17ROCPRIM_400000_NS6detail17trampoline_kernelINS0_14default_configENS1_22reduce_config_selectorIiEEZNS1_11reduce_implILb1ES3_N6hipcub16HIPCUB_304000_NS22TransformInputIteratorIiN2at6native8internal21MapNumberOfTrueValuesEPKhlEEPiiNS8_6detail34convert_binary_result_type_wrapperISt4plusIvESG_iEEEE10hipError_tPvRmT1_T2_T3_mT4_P12ihipStream_tbEUlT_E0_NS1_11comp_targetILNS1_3genE4ELNS1_11target_archE910ELNS1_3gpuE8ELNS1_3repE0EEENS1_30default_config_static_selectorELNS0_4arch9wavefront6targetE1EEEvSQ_
	.p2align	8
	.type	_ZN7rocprim17ROCPRIM_400000_NS6detail17trampoline_kernelINS0_14default_configENS1_22reduce_config_selectorIiEEZNS1_11reduce_implILb1ES3_N6hipcub16HIPCUB_304000_NS22TransformInputIteratorIiN2at6native8internal21MapNumberOfTrueValuesEPKhlEEPiiNS8_6detail34convert_binary_result_type_wrapperISt4plusIvESG_iEEEE10hipError_tPvRmT1_T2_T3_mT4_P12ihipStream_tbEUlT_E0_NS1_11comp_targetILNS1_3genE4ELNS1_11target_archE910ELNS1_3gpuE8ELNS1_3repE0EEENS1_30default_config_static_selectorELNS0_4arch9wavefront6targetE1EEEvSQ_,@function
_ZN7rocprim17ROCPRIM_400000_NS6detail17trampoline_kernelINS0_14default_configENS1_22reduce_config_selectorIiEEZNS1_11reduce_implILb1ES3_N6hipcub16HIPCUB_304000_NS22TransformInputIteratorIiN2at6native8internal21MapNumberOfTrueValuesEPKhlEEPiiNS8_6detail34convert_binary_result_type_wrapperISt4plusIvESG_iEEEE10hipError_tPvRmT1_T2_T3_mT4_P12ihipStream_tbEUlT_E0_NS1_11comp_targetILNS1_3genE4ELNS1_11target_archE910ELNS1_3gpuE8ELNS1_3repE0EEENS1_30default_config_static_selectorELNS0_4arch9wavefront6targetE1EEEvSQ_: ; @_ZN7rocprim17ROCPRIM_400000_NS6detail17trampoline_kernelINS0_14default_configENS1_22reduce_config_selectorIiEEZNS1_11reduce_implILb1ES3_N6hipcub16HIPCUB_304000_NS22TransformInputIteratorIiN2at6native8internal21MapNumberOfTrueValuesEPKhlEEPiiNS8_6detail34convert_binary_result_type_wrapperISt4plusIvESG_iEEEE10hipError_tPvRmT1_T2_T3_mT4_P12ihipStream_tbEUlT_E0_NS1_11comp_targetILNS1_3genE4ELNS1_11target_archE910ELNS1_3gpuE8ELNS1_3repE0EEENS1_30default_config_static_selectorELNS0_4arch9wavefront6targetE1EEEvSQ_
; %bb.0:
	.section	.rodata,"a",@progbits
	.p2align	6, 0x0
	.amdhsa_kernel _ZN7rocprim17ROCPRIM_400000_NS6detail17trampoline_kernelINS0_14default_configENS1_22reduce_config_selectorIiEEZNS1_11reduce_implILb1ES3_N6hipcub16HIPCUB_304000_NS22TransformInputIteratorIiN2at6native8internal21MapNumberOfTrueValuesEPKhlEEPiiNS8_6detail34convert_binary_result_type_wrapperISt4plusIvESG_iEEEE10hipError_tPvRmT1_T2_T3_mT4_P12ihipStream_tbEUlT_E0_NS1_11comp_targetILNS1_3genE4ELNS1_11target_archE910ELNS1_3gpuE8ELNS1_3repE0EEENS1_30default_config_static_selectorELNS0_4arch9wavefront6targetE1EEEvSQ_
		.amdhsa_group_segment_fixed_size 0
		.amdhsa_private_segment_fixed_size 0
		.amdhsa_kernarg_size 64
		.amdhsa_user_sgpr_count 2
		.amdhsa_user_sgpr_dispatch_ptr 0
		.amdhsa_user_sgpr_queue_ptr 0
		.amdhsa_user_sgpr_kernarg_segment_ptr 1
		.amdhsa_user_sgpr_dispatch_id 0
		.amdhsa_user_sgpr_kernarg_preload_length 0
		.amdhsa_user_sgpr_kernarg_preload_offset 0
		.amdhsa_user_sgpr_private_segment_size 0
		.amdhsa_uses_dynamic_stack 0
		.amdhsa_enable_private_segment 0
		.amdhsa_system_sgpr_workgroup_id_x 1
		.amdhsa_system_sgpr_workgroup_id_y 0
		.amdhsa_system_sgpr_workgroup_id_z 0
		.amdhsa_system_sgpr_workgroup_info 0
		.amdhsa_system_vgpr_workitem_id 0
		.amdhsa_next_free_vgpr 1
		.amdhsa_next_free_sgpr 0
		.amdhsa_accum_offset 4
		.amdhsa_reserve_vcc 0
		.amdhsa_float_round_mode_32 0
		.amdhsa_float_round_mode_16_64 0
		.amdhsa_float_denorm_mode_32 3
		.amdhsa_float_denorm_mode_16_64 3
		.amdhsa_dx10_clamp 1
		.amdhsa_ieee_mode 1
		.amdhsa_fp16_overflow 0
		.amdhsa_tg_split 0
		.amdhsa_exception_fp_ieee_invalid_op 0
		.amdhsa_exception_fp_denorm_src 0
		.amdhsa_exception_fp_ieee_div_zero 0
		.amdhsa_exception_fp_ieee_overflow 0
		.amdhsa_exception_fp_ieee_underflow 0
		.amdhsa_exception_fp_ieee_inexact 0
		.amdhsa_exception_int_div_zero 0
	.end_amdhsa_kernel
	.section	.text._ZN7rocprim17ROCPRIM_400000_NS6detail17trampoline_kernelINS0_14default_configENS1_22reduce_config_selectorIiEEZNS1_11reduce_implILb1ES3_N6hipcub16HIPCUB_304000_NS22TransformInputIteratorIiN2at6native8internal21MapNumberOfTrueValuesEPKhlEEPiiNS8_6detail34convert_binary_result_type_wrapperISt4plusIvESG_iEEEE10hipError_tPvRmT1_T2_T3_mT4_P12ihipStream_tbEUlT_E0_NS1_11comp_targetILNS1_3genE4ELNS1_11target_archE910ELNS1_3gpuE8ELNS1_3repE0EEENS1_30default_config_static_selectorELNS0_4arch9wavefront6targetE1EEEvSQ_,"axG",@progbits,_ZN7rocprim17ROCPRIM_400000_NS6detail17trampoline_kernelINS0_14default_configENS1_22reduce_config_selectorIiEEZNS1_11reduce_implILb1ES3_N6hipcub16HIPCUB_304000_NS22TransformInputIteratorIiN2at6native8internal21MapNumberOfTrueValuesEPKhlEEPiiNS8_6detail34convert_binary_result_type_wrapperISt4plusIvESG_iEEEE10hipError_tPvRmT1_T2_T3_mT4_P12ihipStream_tbEUlT_E0_NS1_11comp_targetILNS1_3genE4ELNS1_11target_archE910ELNS1_3gpuE8ELNS1_3repE0EEENS1_30default_config_static_selectorELNS0_4arch9wavefront6targetE1EEEvSQ_,comdat
.Lfunc_end117:
	.size	_ZN7rocprim17ROCPRIM_400000_NS6detail17trampoline_kernelINS0_14default_configENS1_22reduce_config_selectorIiEEZNS1_11reduce_implILb1ES3_N6hipcub16HIPCUB_304000_NS22TransformInputIteratorIiN2at6native8internal21MapNumberOfTrueValuesEPKhlEEPiiNS8_6detail34convert_binary_result_type_wrapperISt4plusIvESG_iEEEE10hipError_tPvRmT1_T2_T3_mT4_P12ihipStream_tbEUlT_E0_NS1_11comp_targetILNS1_3genE4ELNS1_11target_archE910ELNS1_3gpuE8ELNS1_3repE0EEENS1_30default_config_static_selectorELNS0_4arch9wavefront6targetE1EEEvSQ_, .Lfunc_end117-_ZN7rocprim17ROCPRIM_400000_NS6detail17trampoline_kernelINS0_14default_configENS1_22reduce_config_selectorIiEEZNS1_11reduce_implILb1ES3_N6hipcub16HIPCUB_304000_NS22TransformInputIteratorIiN2at6native8internal21MapNumberOfTrueValuesEPKhlEEPiiNS8_6detail34convert_binary_result_type_wrapperISt4plusIvESG_iEEEE10hipError_tPvRmT1_T2_T3_mT4_P12ihipStream_tbEUlT_E0_NS1_11comp_targetILNS1_3genE4ELNS1_11target_archE910ELNS1_3gpuE8ELNS1_3repE0EEENS1_30default_config_static_selectorELNS0_4arch9wavefront6targetE1EEEvSQ_
                                        ; -- End function
	.section	.AMDGPU.csdata,"",@progbits
; Kernel info:
; codeLenInByte = 0
; NumSgprs: 6
; NumVgprs: 0
; NumAgprs: 0
; TotalNumVgprs: 0
; ScratchSize: 0
; MemoryBound: 0
; FloatMode: 240
; IeeeMode: 1
; LDSByteSize: 0 bytes/workgroup (compile time only)
; SGPRBlocks: 0
; VGPRBlocks: 0
; NumSGPRsForWavesPerEU: 6
; NumVGPRsForWavesPerEU: 1
; AccumOffset: 4
; Occupancy: 8
; WaveLimiterHint : 0
; COMPUTE_PGM_RSRC2:SCRATCH_EN: 0
; COMPUTE_PGM_RSRC2:USER_SGPR: 2
; COMPUTE_PGM_RSRC2:TRAP_HANDLER: 0
; COMPUTE_PGM_RSRC2:TGID_X_EN: 1
; COMPUTE_PGM_RSRC2:TGID_Y_EN: 0
; COMPUTE_PGM_RSRC2:TGID_Z_EN: 0
; COMPUTE_PGM_RSRC2:TIDIG_COMP_CNT: 0
; COMPUTE_PGM_RSRC3_GFX90A:ACCUM_OFFSET: 0
; COMPUTE_PGM_RSRC3_GFX90A:TG_SPLIT: 0
	.section	.text._ZN7rocprim17ROCPRIM_400000_NS6detail17trampoline_kernelINS0_14default_configENS1_22reduce_config_selectorIiEEZNS1_11reduce_implILb1ES3_N6hipcub16HIPCUB_304000_NS22TransformInputIteratorIiN2at6native8internal21MapNumberOfTrueValuesEPKhlEEPiiNS8_6detail34convert_binary_result_type_wrapperISt4plusIvESG_iEEEE10hipError_tPvRmT1_T2_T3_mT4_P12ihipStream_tbEUlT_E0_NS1_11comp_targetILNS1_3genE3ELNS1_11target_archE908ELNS1_3gpuE7ELNS1_3repE0EEENS1_30default_config_static_selectorELNS0_4arch9wavefront6targetE1EEEvSQ_,"axG",@progbits,_ZN7rocprim17ROCPRIM_400000_NS6detail17trampoline_kernelINS0_14default_configENS1_22reduce_config_selectorIiEEZNS1_11reduce_implILb1ES3_N6hipcub16HIPCUB_304000_NS22TransformInputIteratorIiN2at6native8internal21MapNumberOfTrueValuesEPKhlEEPiiNS8_6detail34convert_binary_result_type_wrapperISt4plusIvESG_iEEEE10hipError_tPvRmT1_T2_T3_mT4_P12ihipStream_tbEUlT_E0_NS1_11comp_targetILNS1_3genE3ELNS1_11target_archE908ELNS1_3gpuE7ELNS1_3repE0EEENS1_30default_config_static_selectorELNS0_4arch9wavefront6targetE1EEEvSQ_,comdat
	.protected	_ZN7rocprim17ROCPRIM_400000_NS6detail17trampoline_kernelINS0_14default_configENS1_22reduce_config_selectorIiEEZNS1_11reduce_implILb1ES3_N6hipcub16HIPCUB_304000_NS22TransformInputIteratorIiN2at6native8internal21MapNumberOfTrueValuesEPKhlEEPiiNS8_6detail34convert_binary_result_type_wrapperISt4plusIvESG_iEEEE10hipError_tPvRmT1_T2_T3_mT4_P12ihipStream_tbEUlT_E0_NS1_11comp_targetILNS1_3genE3ELNS1_11target_archE908ELNS1_3gpuE7ELNS1_3repE0EEENS1_30default_config_static_selectorELNS0_4arch9wavefront6targetE1EEEvSQ_ ; -- Begin function _ZN7rocprim17ROCPRIM_400000_NS6detail17trampoline_kernelINS0_14default_configENS1_22reduce_config_selectorIiEEZNS1_11reduce_implILb1ES3_N6hipcub16HIPCUB_304000_NS22TransformInputIteratorIiN2at6native8internal21MapNumberOfTrueValuesEPKhlEEPiiNS8_6detail34convert_binary_result_type_wrapperISt4plusIvESG_iEEEE10hipError_tPvRmT1_T2_T3_mT4_P12ihipStream_tbEUlT_E0_NS1_11comp_targetILNS1_3genE3ELNS1_11target_archE908ELNS1_3gpuE7ELNS1_3repE0EEENS1_30default_config_static_selectorELNS0_4arch9wavefront6targetE1EEEvSQ_
	.globl	_ZN7rocprim17ROCPRIM_400000_NS6detail17trampoline_kernelINS0_14default_configENS1_22reduce_config_selectorIiEEZNS1_11reduce_implILb1ES3_N6hipcub16HIPCUB_304000_NS22TransformInputIteratorIiN2at6native8internal21MapNumberOfTrueValuesEPKhlEEPiiNS8_6detail34convert_binary_result_type_wrapperISt4plusIvESG_iEEEE10hipError_tPvRmT1_T2_T3_mT4_P12ihipStream_tbEUlT_E0_NS1_11comp_targetILNS1_3genE3ELNS1_11target_archE908ELNS1_3gpuE7ELNS1_3repE0EEENS1_30default_config_static_selectorELNS0_4arch9wavefront6targetE1EEEvSQ_
	.p2align	8
	.type	_ZN7rocprim17ROCPRIM_400000_NS6detail17trampoline_kernelINS0_14default_configENS1_22reduce_config_selectorIiEEZNS1_11reduce_implILb1ES3_N6hipcub16HIPCUB_304000_NS22TransformInputIteratorIiN2at6native8internal21MapNumberOfTrueValuesEPKhlEEPiiNS8_6detail34convert_binary_result_type_wrapperISt4plusIvESG_iEEEE10hipError_tPvRmT1_T2_T3_mT4_P12ihipStream_tbEUlT_E0_NS1_11comp_targetILNS1_3genE3ELNS1_11target_archE908ELNS1_3gpuE7ELNS1_3repE0EEENS1_30default_config_static_selectorELNS0_4arch9wavefront6targetE1EEEvSQ_,@function
_ZN7rocprim17ROCPRIM_400000_NS6detail17trampoline_kernelINS0_14default_configENS1_22reduce_config_selectorIiEEZNS1_11reduce_implILb1ES3_N6hipcub16HIPCUB_304000_NS22TransformInputIteratorIiN2at6native8internal21MapNumberOfTrueValuesEPKhlEEPiiNS8_6detail34convert_binary_result_type_wrapperISt4plusIvESG_iEEEE10hipError_tPvRmT1_T2_T3_mT4_P12ihipStream_tbEUlT_E0_NS1_11comp_targetILNS1_3genE3ELNS1_11target_archE908ELNS1_3gpuE7ELNS1_3repE0EEENS1_30default_config_static_selectorELNS0_4arch9wavefront6targetE1EEEvSQ_: ; @_ZN7rocprim17ROCPRIM_400000_NS6detail17trampoline_kernelINS0_14default_configENS1_22reduce_config_selectorIiEEZNS1_11reduce_implILb1ES3_N6hipcub16HIPCUB_304000_NS22TransformInputIteratorIiN2at6native8internal21MapNumberOfTrueValuesEPKhlEEPiiNS8_6detail34convert_binary_result_type_wrapperISt4plusIvESG_iEEEE10hipError_tPvRmT1_T2_T3_mT4_P12ihipStream_tbEUlT_E0_NS1_11comp_targetILNS1_3genE3ELNS1_11target_archE908ELNS1_3gpuE7ELNS1_3repE0EEENS1_30default_config_static_selectorELNS0_4arch9wavefront6targetE1EEEvSQ_
; %bb.0:
	.section	.rodata,"a",@progbits
	.p2align	6, 0x0
	.amdhsa_kernel _ZN7rocprim17ROCPRIM_400000_NS6detail17trampoline_kernelINS0_14default_configENS1_22reduce_config_selectorIiEEZNS1_11reduce_implILb1ES3_N6hipcub16HIPCUB_304000_NS22TransformInputIteratorIiN2at6native8internal21MapNumberOfTrueValuesEPKhlEEPiiNS8_6detail34convert_binary_result_type_wrapperISt4plusIvESG_iEEEE10hipError_tPvRmT1_T2_T3_mT4_P12ihipStream_tbEUlT_E0_NS1_11comp_targetILNS1_3genE3ELNS1_11target_archE908ELNS1_3gpuE7ELNS1_3repE0EEENS1_30default_config_static_selectorELNS0_4arch9wavefront6targetE1EEEvSQ_
		.amdhsa_group_segment_fixed_size 0
		.amdhsa_private_segment_fixed_size 0
		.amdhsa_kernarg_size 64
		.amdhsa_user_sgpr_count 2
		.amdhsa_user_sgpr_dispatch_ptr 0
		.amdhsa_user_sgpr_queue_ptr 0
		.amdhsa_user_sgpr_kernarg_segment_ptr 1
		.amdhsa_user_sgpr_dispatch_id 0
		.amdhsa_user_sgpr_kernarg_preload_length 0
		.amdhsa_user_sgpr_kernarg_preload_offset 0
		.amdhsa_user_sgpr_private_segment_size 0
		.amdhsa_uses_dynamic_stack 0
		.amdhsa_enable_private_segment 0
		.amdhsa_system_sgpr_workgroup_id_x 1
		.amdhsa_system_sgpr_workgroup_id_y 0
		.amdhsa_system_sgpr_workgroup_id_z 0
		.amdhsa_system_sgpr_workgroup_info 0
		.amdhsa_system_vgpr_workitem_id 0
		.amdhsa_next_free_vgpr 1
		.amdhsa_next_free_sgpr 0
		.amdhsa_accum_offset 4
		.amdhsa_reserve_vcc 0
		.amdhsa_float_round_mode_32 0
		.amdhsa_float_round_mode_16_64 0
		.amdhsa_float_denorm_mode_32 3
		.amdhsa_float_denorm_mode_16_64 3
		.amdhsa_dx10_clamp 1
		.amdhsa_ieee_mode 1
		.amdhsa_fp16_overflow 0
		.amdhsa_tg_split 0
		.amdhsa_exception_fp_ieee_invalid_op 0
		.amdhsa_exception_fp_denorm_src 0
		.amdhsa_exception_fp_ieee_div_zero 0
		.amdhsa_exception_fp_ieee_overflow 0
		.amdhsa_exception_fp_ieee_underflow 0
		.amdhsa_exception_fp_ieee_inexact 0
		.amdhsa_exception_int_div_zero 0
	.end_amdhsa_kernel
	.section	.text._ZN7rocprim17ROCPRIM_400000_NS6detail17trampoline_kernelINS0_14default_configENS1_22reduce_config_selectorIiEEZNS1_11reduce_implILb1ES3_N6hipcub16HIPCUB_304000_NS22TransformInputIteratorIiN2at6native8internal21MapNumberOfTrueValuesEPKhlEEPiiNS8_6detail34convert_binary_result_type_wrapperISt4plusIvESG_iEEEE10hipError_tPvRmT1_T2_T3_mT4_P12ihipStream_tbEUlT_E0_NS1_11comp_targetILNS1_3genE3ELNS1_11target_archE908ELNS1_3gpuE7ELNS1_3repE0EEENS1_30default_config_static_selectorELNS0_4arch9wavefront6targetE1EEEvSQ_,"axG",@progbits,_ZN7rocprim17ROCPRIM_400000_NS6detail17trampoline_kernelINS0_14default_configENS1_22reduce_config_selectorIiEEZNS1_11reduce_implILb1ES3_N6hipcub16HIPCUB_304000_NS22TransformInputIteratorIiN2at6native8internal21MapNumberOfTrueValuesEPKhlEEPiiNS8_6detail34convert_binary_result_type_wrapperISt4plusIvESG_iEEEE10hipError_tPvRmT1_T2_T3_mT4_P12ihipStream_tbEUlT_E0_NS1_11comp_targetILNS1_3genE3ELNS1_11target_archE908ELNS1_3gpuE7ELNS1_3repE0EEENS1_30default_config_static_selectorELNS0_4arch9wavefront6targetE1EEEvSQ_,comdat
.Lfunc_end118:
	.size	_ZN7rocprim17ROCPRIM_400000_NS6detail17trampoline_kernelINS0_14default_configENS1_22reduce_config_selectorIiEEZNS1_11reduce_implILb1ES3_N6hipcub16HIPCUB_304000_NS22TransformInputIteratorIiN2at6native8internal21MapNumberOfTrueValuesEPKhlEEPiiNS8_6detail34convert_binary_result_type_wrapperISt4plusIvESG_iEEEE10hipError_tPvRmT1_T2_T3_mT4_P12ihipStream_tbEUlT_E0_NS1_11comp_targetILNS1_3genE3ELNS1_11target_archE908ELNS1_3gpuE7ELNS1_3repE0EEENS1_30default_config_static_selectorELNS0_4arch9wavefront6targetE1EEEvSQ_, .Lfunc_end118-_ZN7rocprim17ROCPRIM_400000_NS6detail17trampoline_kernelINS0_14default_configENS1_22reduce_config_selectorIiEEZNS1_11reduce_implILb1ES3_N6hipcub16HIPCUB_304000_NS22TransformInputIteratorIiN2at6native8internal21MapNumberOfTrueValuesEPKhlEEPiiNS8_6detail34convert_binary_result_type_wrapperISt4plusIvESG_iEEEE10hipError_tPvRmT1_T2_T3_mT4_P12ihipStream_tbEUlT_E0_NS1_11comp_targetILNS1_3genE3ELNS1_11target_archE908ELNS1_3gpuE7ELNS1_3repE0EEENS1_30default_config_static_selectorELNS0_4arch9wavefront6targetE1EEEvSQ_
                                        ; -- End function
	.section	.AMDGPU.csdata,"",@progbits
; Kernel info:
; codeLenInByte = 0
; NumSgprs: 6
; NumVgprs: 0
; NumAgprs: 0
; TotalNumVgprs: 0
; ScratchSize: 0
; MemoryBound: 0
; FloatMode: 240
; IeeeMode: 1
; LDSByteSize: 0 bytes/workgroup (compile time only)
; SGPRBlocks: 0
; VGPRBlocks: 0
; NumSGPRsForWavesPerEU: 6
; NumVGPRsForWavesPerEU: 1
; AccumOffset: 4
; Occupancy: 8
; WaveLimiterHint : 0
; COMPUTE_PGM_RSRC2:SCRATCH_EN: 0
; COMPUTE_PGM_RSRC2:USER_SGPR: 2
; COMPUTE_PGM_RSRC2:TRAP_HANDLER: 0
; COMPUTE_PGM_RSRC2:TGID_X_EN: 1
; COMPUTE_PGM_RSRC2:TGID_Y_EN: 0
; COMPUTE_PGM_RSRC2:TGID_Z_EN: 0
; COMPUTE_PGM_RSRC2:TIDIG_COMP_CNT: 0
; COMPUTE_PGM_RSRC3_GFX90A:ACCUM_OFFSET: 0
; COMPUTE_PGM_RSRC3_GFX90A:TG_SPLIT: 0
	.section	.text._ZN7rocprim17ROCPRIM_400000_NS6detail17trampoline_kernelINS0_14default_configENS1_22reduce_config_selectorIiEEZNS1_11reduce_implILb1ES3_N6hipcub16HIPCUB_304000_NS22TransformInputIteratorIiN2at6native8internal21MapNumberOfTrueValuesEPKhlEEPiiNS8_6detail34convert_binary_result_type_wrapperISt4plusIvESG_iEEEE10hipError_tPvRmT1_T2_T3_mT4_P12ihipStream_tbEUlT_E0_NS1_11comp_targetILNS1_3genE2ELNS1_11target_archE906ELNS1_3gpuE6ELNS1_3repE0EEENS1_30default_config_static_selectorELNS0_4arch9wavefront6targetE1EEEvSQ_,"axG",@progbits,_ZN7rocprim17ROCPRIM_400000_NS6detail17trampoline_kernelINS0_14default_configENS1_22reduce_config_selectorIiEEZNS1_11reduce_implILb1ES3_N6hipcub16HIPCUB_304000_NS22TransformInputIteratorIiN2at6native8internal21MapNumberOfTrueValuesEPKhlEEPiiNS8_6detail34convert_binary_result_type_wrapperISt4plusIvESG_iEEEE10hipError_tPvRmT1_T2_T3_mT4_P12ihipStream_tbEUlT_E0_NS1_11comp_targetILNS1_3genE2ELNS1_11target_archE906ELNS1_3gpuE6ELNS1_3repE0EEENS1_30default_config_static_selectorELNS0_4arch9wavefront6targetE1EEEvSQ_,comdat
	.protected	_ZN7rocprim17ROCPRIM_400000_NS6detail17trampoline_kernelINS0_14default_configENS1_22reduce_config_selectorIiEEZNS1_11reduce_implILb1ES3_N6hipcub16HIPCUB_304000_NS22TransformInputIteratorIiN2at6native8internal21MapNumberOfTrueValuesEPKhlEEPiiNS8_6detail34convert_binary_result_type_wrapperISt4plusIvESG_iEEEE10hipError_tPvRmT1_T2_T3_mT4_P12ihipStream_tbEUlT_E0_NS1_11comp_targetILNS1_3genE2ELNS1_11target_archE906ELNS1_3gpuE6ELNS1_3repE0EEENS1_30default_config_static_selectorELNS0_4arch9wavefront6targetE1EEEvSQ_ ; -- Begin function _ZN7rocprim17ROCPRIM_400000_NS6detail17trampoline_kernelINS0_14default_configENS1_22reduce_config_selectorIiEEZNS1_11reduce_implILb1ES3_N6hipcub16HIPCUB_304000_NS22TransformInputIteratorIiN2at6native8internal21MapNumberOfTrueValuesEPKhlEEPiiNS8_6detail34convert_binary_result_type_wrapperISt4plusIvESG_iEEEE10hipError_tPvRmT1_T2_T3_mT4_P12ihipStream_tbEUlT_E0_NS1_11comp_targetILNS1_3genE2ELNS1_11target_archE906ELNS1_3gpuE6ELNS1_3repE0EEENS1_30default_config_static_selectorELNS0_4arch9wavefront6targetE1EEEvSQ_
	.globl	_ZN7rocprim17ROCPRIM_400000_NS6detail17trampoline_kernelINS0_14default_configENS1_22reduce_config_selectorIiEEZNS1_11reduce_implILb1ES3_N6hipcub16HIPCUB_304000_NS22TransformInputIteratorIiN2at6native8internal21MapNumberOfTrueValuesEPKhlEEPiiNS8_6detail34convert_binary_result_type_wrapperISt4plusIvESG_iEEEE10hipError_tPvRmT1_T2_T3_mT4_P12ihipStream_tbEUlT_E0_NS1_11comp_targetILNS1_3genE2ELNS1_11target_archE906ELNS1_3gpuE6ELNS1_3repE0EEENS1_30default_config_static_selectorELNS0_4arch9wavefront6targetE1EEEvSQ_
	.p2align	8
	.type	_ZN7rocprim17ROCPRIM_400000_NS6detail17trampoline_kernelINS0_14default_configENS1_22reduce_config_selectorIiEEZNS1_11reduce_implILb1ES3_N6hipcub16HIPCUB_304000_NS22TransformInputIteratorIiN2at6native8internal21MapNumberOfTrueValuesEPKhlEEPiiNS8_6detail34convert_binary_result_type_wrapperISt4plusIvESG_iEEEE10hipError_tPvRmT1_T2_T3_mT4_P12ihipStream_tbEUlT_E0_NS1_11comp_targetILNS1_3genE2ELNS1_11target_archE906ELNS1_3gpuE6ELNS1_3repE0EEENS1_30default_config_static_selectorELNS0_4arch9wavefront6targetE1EEEvSQ_,@function
_ZN7rocprim17ROCPRIM_400000_NS6detail17trampoline_kernelINS0_14default_configENS1_22reduce_config_selectorIiEEZNS1_11reduce_implILb1ES3_N6hipcub16HIPCUB_304000_NS22TransformInputIteratorIiN2at6native8internal21MapNumberOfTrueValuesEPKhlEEPiiNS8_6detail34convert_binary_result_type_wrapperISt4plusIvESG_iEEEE10hipError_tPvRmT1_T2_T3_mT4_P12ihipStream_tbEUlT_E0_NS1_11comp_targetILNS1_3genE2ELNS1_11target_archE906ELNS1_3gpuE6ELNS1_3repE0EEENS1_30default_config_static_selectorELNS0_4arch9wavefront6targetE1EEEvSQ_: ; @_ZN7rocprim17ROCPRIM_400000_NS6detail17trampoline_kernelINS0_14default_configENS1_22reduce_config_selectorIiEEZNS1_11reduce_implILb1ES3_N6hipcub16HIPCUB_304000_NS22TransformInputIteratorIiN2at6native8internal21MapNumberOfTrueValuesEPKhlEEPiiNS8_6detail34convert_binary_result_type_wrapperISt4plusIvESG_iEEEE10hipError_tPvRmT1_T2_T3_mT4_P12ihipStream_tbEUlT_E0_NS1_11comp_targetILNS1_3genE2ELNS1_11target_archE906ELNS1_3gpuE6ELNS1_3repE0EEENS1_30default_config_static_selectorELNS0_4arch9wavefront6targetE1EEEvSQ_
; %bb.0:
	.section	.rodata,"a",@progbits
	.p2align	6, 0x0
	.amdhsa_kernel _ZN7rocprim17ROCPRIM_400000_NS6detail17trampoline_kernelINS0_14default_configENS1_22reduce_config_selectorIiEEZNS1_11reduce_implILb1ES3_N6hipcub16HIPCUB_304000_NS22TransformInputIteratorIiN2at6native8internal21MapNumberOfTrueValuesEPKhlEEPiiNS8_6detail34convert_binary_result_type_wrapperISt4plusIvESG_iEEEE10hipError_tPvRmT1_T2_T3_mT4_P12ihipStream_tbEUlT_E0_NS1_11comp_targetILNS1_3genE2ELNS1_11target_archE906ELNS1_3gpuE6ELNS1_3repE0EEENS1_30default_config_static_selectorELNS0_4arch9wavefront6targetE1EEEvSQ_
		.amdhsa_group_segment_fixed_size 0
		.amdhsa_private_segment_fixed_size 0
		.amdhsa_kernarg_size 64
		.amdhsa_user_sgpr_count 2
		.amdhsa_user_sgpr_dispatch_ptr 0
		.amdhsa_user_sgpr_queue_ptr 0
		.amdhsa_user_sgpr_kernarg_segment_ptr 1
		.amdhsa_user_sgpr_dispatch_id 0
		.amdhsa_user_sgpr_kernarg_preload_length 0
		.amdhsa_user_sgpr_kernarg_preload_offset 0
		.amdhsa_user_sgpr_private_segment_size 0
		.amdhsa_uses_dynamic_stack 0
		.amdhsa_enable_private_segment 0
		.amdhsa_system_sgpr_workgroup_id_x 1
		.amdhsa_system_sgpr_workgroup_id_y 0
		.amdhsa_system_sgpr_workgroup_id_z 0
		.amdhsa_system_sgpr_workgroup_info 0
		.amdhsa_system_vgpr_workitem_id 0
		.amdhsa_next_free_vgpr 1
		.amdhsa_next_free_sgpr 0
		.amdhsa_accum_offset 4
		.amdhsa_reserve_vcc 0
		.amdhsa_float_round_mode_32 0
		.amdhsa_float_round_mode_16_64 0
		.amdhsa_float_denorm_mode_32 3
		.amdhsa_float_denorm_mode_16_64 3
		.amdhsa_dx10_clamp 1
		.amdhsa_ieee_mode 1
		.amdhsa_fp16_overflow 0
		.amdhsa_tg_split 0
		.amdhsa_exception_fp_ieee_invalid_op 0
		.amdhsa_exception_fp_denorm_src 0
		.amdhsa_exception_fp_ieee_div_zero 0
		.amdhsa_exception_fp_ieee_overflow 0
		.amdhsa_exception_fp_ieee_underflow 0
		.amdhsa_exception_fp_ieee_inexact 0
		.amdhsa_exception_int_div_zero 0
	.end_amdhsa_kernel
	.section	.text._ZN7rocprim17ROCPRIM_400000_NS6detail17trampoline_kernelINS0_14default_configENS1_22reduce_config_selectorIiEEZNS1_11reduce_implILb1ES3_N6hipcub16HIPCUB_304000_NS22TransformInputIteratorIiN2at6native8internal21MapNumberOfTrueValuesEPKhlEEPiiNS8_6detail34convert_binary_result_type_wrapperISt4plusIvESG_iEEEE10hipError_tPvRmT1_T2_T3_mT4_P12ihipStream_tbEUlT_E0_NS1_11comp_targetILNS1_3genE2ELNS1_11target_archE906ELNS1_3gpuE6ELNS1_3repE0EEENS1_30default_config_static_selectorELNS0_4arch9wavefront6targetE1EEEvSQ_,"axG",@progbits,_ZN7rocprim17ROCPRIM_400000_NS6detail17trampoline_kernelINS0_14default_configENS1_22reduce_config_selectorIiEEZNS1_11reduce_implILb1ES3_N6hipcub16HIPCUB_304000_NS22TransformInputIteratorIiN2at6native8internal21MapNumberOfTrueValuesEPKhlEEPiiNS8_6detail34convert_binary_result_type_wrapperISt4plusIvESG_iEEEE10hipError_tPvRmT1_T2_T3_mT4_P12ihipStream_tbEUlT_E0_NS1_11comp_targetILNS1_3genE2ELNS1_11target_archE906ELNS1_3gpuE6ELNS1_3repE0EEENS1_30default_config_static_selectorELNS0_4arch9wavefront6targetE1EEEvSQ_,comdat
.Lfunc_end119:
	.size	_ZN7rocprim17ROCPRIM_400000_NS6detail17trampoline_kernelINS0_14default_configENS1_22reduce_config_selectorIiEEZNS1_11reduce_implILb1ES3_N6hipcub16HIPCUB_304000_NS22TransformInputIteratorIiN2at6native8internal21MapNumberOfTrueValuesEPKhlEEPiiNS8_6detail34convert_binary_result_type_wrapperISt4plusIvESG_iEEEE10hipError_tPvRmT1_T2_T3_mT4_P12ihipStream_tbEUlT_E0_NS1_11comp_targetILNS1_3genE2ELNS1_11target_archE906ELNS1_3gpuE6ELNS1_3repE0EEENS1_30default_config_static_selectorELNS0_4arch9wavefront6targetE1EEEvSQ_, .Lfunc_end119-_ZN7rocprim17ROCPRIM_400000_NS6detail17trampoline_kernelINS0_14default_configENS1_22reduce_config_selectorIiEEZNS1_11reduce_implILb1ES3_N6hipcub16HIPCUB_304000_NS22TransformInputIteratorIiN2at6native8internal21MapNumberOfTrueValuesEPKhlEEPiiNS8_6detail34convert_binary_result_type_wrapperISt4plusIvESG_iEEEE10hipError_tPvRmT1_T2_T3_mT4_P12ihipStream_tbEUlT_E0_NS1_11comp_targetILNS1_3genE2ELNS1_11target_archE906ELNS1_3gpuE6ELNS1_3repE0EEENS1_30default_config_static_selectorELNS0_4arch9wavefront6targetE1EEEvSQ_
                                        ; -- End function
	.section	.AMDGPU.csdata,"",@progbits
; Kernel info:
; codeLenInByte = 0
; NumSgprs: 6
; NumVgprs: 0
; NumAgprs: 0
; TotalNumVgprs: 0
; ScratchSize: 0
; MemoryBound: 0
; FloatMode: 240
; IeeeMode: 1
; LDSByteSize: 0 bytes/workgroup (compile time only)
; SGPRBlocks: 0
; VGPRBlocks: 0
; NumSGPRsForWavesPerEU: 6
; NumVGPRsForWavesPerEU: 1
; AccumOffset: 4
; Occupancy: 8
; WaveLimiterHint : 0
; COMPUTE_PGM_RSRC2:SCRATCH_EN: 0
; COMPUTE_PGM_RSRC2:USER_SGPR: 2
; COMPUTE_PGM_RSRC2:TRAP_HANDLER: 0
; COMPUTE_PGM_RSRC2:TGID_X_EN: 1
; COMPUTE_PGM_RSRC2:TGID_Y_EN: 0
; COMPUTE_PGM_RSRC2:TGID_Z_EN: 0
; COMPUTE_PGM_RSRC2:TIDIG_COMP_CNT: 0
; COMPUTE_PGM_RSRC3_GFX90A:ACCUM_OFFSET: 0
; COMPUTE_PGM_RSRC3_GFX90A:TG_SPLIT: 0
	.section	.text._ZN7rocprim17ROCPRIM_400000_NS6detail17trampoline_kernelINS0_14default_configENS1_22reduce_config_selectorIiEEZNS1_11reduce_implILb1ES3_N6hipcub16HIPCUB_304000_NS22TransformInputIteratorIiN2at6native8internal21MapNumberOfTrueValuesEPKhlEEPiiNS8_6detail34convert_binary_result_type_wrapperISt4plusIvESG_iEEEE10hipError_tPvRmT1_T2_T3_mT4_P12ihipStream_tbEUlT_E0_NS1_11comp_targetILNS1_3genE10ELNS1_11target_archE1201ELNS1_3gpuE5ELNS1_3repE0EEENS1_30default_config_static_selectorELNS0_4arch9wavefront6targetE1EEEvSQ_,"axG",@progbits,_ZN7rocprim17ROCPRIM_400000_NS6detail17trampoline_kernelINS0_14default_configENS1_22reduce_config_selectorIiEEZNS1_11reduce_implILb1ES3_N6hipcub16HIPCUB_304000_NS22TransformInputIteratorIiN2at6native8internal21MapNumberOfTrueValuesEPKhlEEPiiNS8_6detail34convert_binary_result_type_wrapperISt4plusIvESG_iEEEE10hipError_tPvRmT1_T2_T3_mT4_P12ihipStream_tbEUlT_E0_NS1_11comp_targetILNS1_3genE10ELNS1_11target_archE1201ELNS1_3gpuE5ELNS1_3repE0EEENS1_30default_config_static_selectorELNS0_4arch9wavefront6targetE1EEEvSQ_,comdat
	.protected	_ZN7rocprim17ROCPRIM_400000_NS6detail17trampoline_kernelINS0_14default_configENS1_22reduce_config_selectorIiEEZNS1_11reduce_implILb1ES3_N6hipcub16HIPCUB_304000_NS22TransformInputIteratorIiN2at6native8internal21MapNumberOfTrueValuesEPKhlEEPiiNS8_6detail34convert_binary_result_type_wrapperISt4plusIvESG_iEEEE10hipError_tPvRmT1_T2_T3_mT4_P12ihipStream_tbEUlT_E0_NS1_11comp_targetILNS1_3genE10ELNS1_11target_archE1201ELNS1_3gpuE5ELNS1_3repE0EEENS1_30default_config_static_selectorELNS0_4arch9wavefront6targetE1EEEvSQ_ ; -- Begin function _ZN7rocprim17ROCPRIM_400000_NS6detail17trampoline_kernelINS0_14default_configENS1_22reduce_config_selectorIiEEZNS1_11reduce_implILb1ES3_N6hipcub16HIPCUB_304000_NS22TransformInputIteratorIiN2at6native8internal21MapNumberOfTrueValuesEPKhlEEPiiNS8_6detail34convert_binary_result_type_wrapperISt4plusIvESG_iEEEE10hipError_tPvRmT1_T2_T3_mT4_P12ihipStream_tbEUlT_E0_NS1_11comp_targetILNS1_3genE10ELNS1_11target_archE1201ELNS1_3gpuE5ELNS1_3repE0EEENS1_30default_config_static_selectorELNS0_4arch9wavefront6targetE1EEEvSQ_
	.globl	_ZN7rocprim17ROCPRIM_400000_NS6detail17trampoline_kernelINS0_14default_configENS1_22reduce_config_selectorIiEEZNS1_11reduce_implILb1ES3_N6hipcub16HIPCUB_304000_NS22TransformInputIteratorIiN2at6native8internal21MapNumberOfTrueValuesEPKhlEEPiiNS8_6detail34convert_binary_result_type_wrapperISt4plusIvESG_iEEEE10hipError_tPvRmT1_T2_T3_mT4_P12ihipStream_tbEUlT_E0_NS1_11comp_targetILNS1_3genE10ELNS1_11target_archE1201ELNS1_3gpuE5ELNS1_3repE0EEENS1_30default_config_static_selectorELNS0_4arch9wavefront6targetE1EEEvSQ_
	.p2align	8
	.type	_ZN7rocprim17ROCPRIM_400000_NS6detail17trampoline_kernelINS0_14default_configENS1_22reduce_config_selectorIiEEZNS1_11reduce_implILb1ES3_N6hipcub16HIPCUB_304000_NS22TransformInputIteratorIiN2at6native8internal21MapNumberOfTrueValuesEPKhlEEPiiNS8_6detail34convert_binary_result_type_wrapperISt4plusIvESG_iEEEE10hipError_tPvRmT1_T2_T3_mT4_P12ihipStream_tbEUlT_E0_NS1_11comp_targetILNS1_3genE10ELNS1_11target_archE1201ELNS1_3gpuE5ELNS1_3repE0EEENS1_30default_config_static_selectorELNS0_4arch9wavefront6targetE1EEEvSQ_,@function
_ZN7rocprim17ROCPRIM_400000_NS6detail17trampoline_kernelINS0_14default_configENS1_22reduce_config_selectorIiEEZNS1_11reduce_implILb1ES3_N6hipcub16HIPCUB_304000_NS22TransformInputIteratorIiN2at6native8internal21MapNumberOfTrueValuesEPKhlEEPiiNS8_6detail34convert_binary_result_type_wrapperISt4plusIvESG_iEEEE10hipError_tPvRmT1_T2_T3_mT4_P12ihipStream_tbEUlT_E0_NS1_11comp_targetILNS1_3genE10ELNS1_11target_archE1201ELNS1_3gpuE5ELNS1_3repE0EEENS1_30default_config_static_selectorELNS0_4arch9wavefront6targetE1EEEvSQ_: ; @_ZN7rocprim17ROCPRIM_400000_NS6detail17trampoline_kernelINS0_14default_configENS1_22reduce_config_selectorIiEEZNS1_11reduce_implILb1ES3_N6hipcub16HIPCUB_304000_NS22TransformInputIteratorIiN2at6native8internal21MapNumberOfTrueValuesEPKhlEEPiiNS8_6detail34convert_binary_result_type_wrapperISt4plusIvESG_iEEEE10hipError_tPvRmT1_T2_T3_mT4_P12ihipStream_tbEUlT_E0_NS1_11comp_targetILNS1_3genE10ELNS1_11target_archE1201ELNS1_3gpuE5ELNS1_3repE0EEENS1_30default_config_static_selectorELNS0_4arch9wavefront6targetE1EEEvSQ_
; %bb.0:
	.section	.rodata,"a",@progbits
	.p2align	6, 0x0
	.amdhsa_kernel _ZN7rocprim17ROCPRIM_400000_NS6detail17trampoline_kernelINS0_14default_configENS1_22reduce_config_selectorIiEEZNS1_11reduce_implILb1ES3_N6hipcub16HIPCUB_304000_NS22TransformInputIteratorIiN2at6native8internal21MapNumberOfTrueValuesEPKhlEEPiiNS8_6detail34convert_binary_result_type_wrapperISt4plusIvESG_iEEEE10hipError_tPvRmT1_T2_T3_mT4_P12ihipStream_tbEUlT_E0_NS1_11comp_targetILNS1_3genE10ELNS1_11target_archE1201ELNS1_3gpuE5ELNS1_3repE0EEENS1_30default_config_static_selectorELNS0_4arch9wavefront6targetE1EEEvSQ_
		.amdhsa_group_segment_fixed_size 0
		.amdhsa_private_segment_fixed_size 0
		.amdhsa_kernarg_size 64
		.amdhsa_user_sgpr_count 2
		.amdhsa_user_sgpr_dispatch_ptr 0
		.amdhsa_user_sgpr_queue_ptr 0
		.amdhsa_user_sgpr_kernarg_segment_ptr 1
		.amdhsa_user_sgpr_dispatch_id 0
		.amdhsa_user_sgpr_kernarg_preload_length 0
		.amdhsa_user_sgpr_kernarg_preload_offset 0
		.amdhsa_user_sgpr_private_segment_size 0
		.amdhsa_uses_dynamic_stack 0
		.amdhsa_enable_private_segment 0
		.amdhsa_system_sgpr_workgroup_id_x 1
		.amdhsa_system_sgpr_workgroup_id_y 0
		.amdhsa_system_sgpr_workgroup_id_z 0
		.amdhsa_system_sgpr_workgroup_info 0
		.amdhsa_system_vgpr_workitem_id 0
		.amdhsa_next_free_vgpr 1
		.amdhsa_next_free_sgpr 0
		.amdhsa_accum_offset 4
		.amdhsa_reserve_vcc 0
		.amdhsa_float_round_mode_32 0
		.amdhsa_float_round_mode_16_64 0
		.amdhsa_float_denorm_mode_32 3
		.amdhsa_float_denorm_mode_16_64 3
		.amdhsa_dx10_clamp 1
		.amdhsa_ieee_mode 1
		.amdhsa_fp16_overflow 0
		.amdhsa_tg_split 0
		.amdhsa_exception_fp_ieee_invalid_op 0
		.amdhsa_exception_fp_denorm_src 0
		.amdhsa_exception_fp_ieee_div_zero 0
		.amdhsa_exception_fp_ieee_overflow 0
		.amdhsa_exception_fp_ieee_underflow 0
		.amdhsa_exception_fp_ieee_inexact 0
		.amdhsa_exception_int_div_zero 0
	.end_amdhsa_kernel
	.section	.text._ZN7rocprim17ROCPRIM_400000_NS6detail17trampoline_kernelINS0_14default_configENS1_22reduce_config_selectorIiEEZNS1_11reduce_implILb1ES3_N6hipcub16HIPCUB_304000_NS22TransformInputIteratorIiN2at6native8internal21MapNumberOfTrueValuesEPKhlEEPiiNS8_6detail34convert_binary_result_type_wrapperISt4plusIvESG_iEEEE10hipError_tPvRmT1_T2_T3_mT4_P12ihipStream_tbEUlT_E0_NS1_11comp_targetILNS1_3genE10ELNS1_11target_archE1201ELNS1_3gpuE5ELNS1_3repE0EEENS1_30default_config_static_selectorELNS0_4arch9wavefront6targetE1EEEvSQ_,"axG",@progbits,_ZN7rocprim17ROCPRIM_400000_NS6detail17trampoline_kernelINS0_14default_configENS1_22reduce_config_selectorIiEEZNS1_11reduce_implILb1ES3_N6hipcub16HIPCUB_304000_NS22TransformInputIteratorIiN2at6native8internal21MapNumberOfTrueValuesEPKhlEEPiiNS8_6detail34convert_binary_result_type_wrapperISt4plusIvESG_iEEEE10hipError_tPvRmT1_T2_T3_mT4_P12ihipStream_tbEUlT_E0_NS1_11comp_targetILNS1_3genE10ELNS1_11target_archE1201ELNS1_3gpuE5ELNS1_3repE0EEENS1_30default_config_static_selectorELNS0_4arch9wavefront6targetE1EEEvSQ_,comdat
.Lfunc_end120:
	.size	_ZN7rocprim17ROCPRIM_400000_NS6detail17trampoline_kernelINS0_14default_configENS1_22reduce_config_selectorIiEEZNS1_11reduce_implILb1ES3_N6hipcub16HIPCUB_304000_NS22TransformInputIteratorIiN2at6native8internal21MapNumberOfTrueValuesEPKhlEEPiiNS8_6detail34convert_binary_result_type_wrapperISt4plusIvESG_iEEEE10hipError_tPvRmT1_T2_T3_mT4_P12ihipStream_tbEUlT_E0_NS1_11comp_targetILNS1_3genE10ELNS1_11target_archE1201ELNS1_3gpuE5ELNS1_3repE0EEENS1_30default_config_static_selectorELNS0_4arch9wavefront6targetE1EEEvSQ_, .Lfunc_end120-_ZN7rocprim17ROCPRIM_400000_NS6detail17trampoline_kernelINS0_14default_configENS1_22reduce_config_selectorIiEEZNS1_11reduce_implILb1ES3_N6hipcub16HIPCUB_304000_NS22TransformInputIteratorIiN2at6native8internal21MapNumberOfTrueValuesEPKhlEEPiiNS8_6detail34convert_binary_result_type_wrapperISt4plusIvESG_iEEEE10hipError_tPvRmT1_T2_T3_mT4_P12ihipStream_tbEUlT_E0_NS1_11comp_targetILNS1_3genE10ELNS1_11target_archE1201ELNS1_3gpuE5ELNS1_3repE0EEENS1_30default_config_static_selectorELNS0_4arch9wavefront6targetE1EEEvSQ_
                                        ; -- End function
	.section	.AMDGPU.csdata,"",@progbits
; Kernel info:
; codeLenInByte = 0
; NumSgprs: 6
; NumVgprs: 0
; NumAgprs: 0
; TotalNumVgprs: 0
; ScratchSize: 0
; MemoryBound: 0
; FloatMode: 240
; IeeeMode: 1
; LDSByteSize: 0 bytes/workgroup (compile time only)
; SGPRBlocks: 0
; VGPRBlocks: 0
; NumSGPRsForWavesPerEU: 6
; NumVGPRsForWavesPerEU: 1
; AccumOffset: 4
; Occupancy: 8
; WaveLimiterHint : 0
; COMPUTE_PGM_RSRC2:SCRATCH_EN: 0
; COMPUTE_PGM_RSRC2:USER_SGPR: 2
; COMPUTE_PGM_RSRC2:TRAP_HANDLER: 0
; COMPUTE_PGM_RSRC2:TGID_X_EN: 1
; COMPUTE_PGM_RSRC2:TGID_Y_EN: 0
; COMPUTE_PGM_RSRC2:TGID_Z_EN: 0
; COMPUTE_PGM_RSRC2:TIDIG_COMP_CNT: 0
; COMPUTE_PGM_RSRC3_GFX90A:ACCUM_OFFSET: 0
; COMPUTE_PGM_RSRC3_GFX90A:TG_SPLIT: 0
	.section	.text._ZN7rocprim17ROCPRIM_400000_NS6detail17trampoline_kernelINS0_14default_configENS1_22reduce_config_selectorIiEEZNS1_11reduce_implILb1ES3_N6hipcub16HIPCUB_304000_NS22TransformInputIteratorIiN2at6native8internal21MapNumberOfTrueValuesEPKhlEEPiiNS8_6detail34convert_binary_result_type_wrapperISt4plusIvESG_iEEEE10hipError_tPvRmT1_T2_T3_mT4_P12ihipStream_tbEUlT_E0_NS1_11comp_targetILNS1_3genE10ELNS1_11target_archE1200ELNS1_3gpuE4ELNS1_3repE0EEENS1_30default_config_static_selectorELNS0_4arch9wavefront6targetE1EEEvSQ_,"axG",@progbits,_ZN7rocprim17ROCPRIM_400000_NS6detail17trampoline_kernelINS0_14default_configENS1_22reduce_config_selectorIiEEZNS1_11reduce_implILb1ES3_N6hipcub16HIPCUB_304000_NS22TransformInputIteratorIiN2at6native8internal21MapNumberOfTrueValuesEPKhlEEPiiNS8_6detail34convert_binary_result_type_wrapperISt4plusIvESG_iEEEE10hipError_tPvRmT1_T2_T3_mT4_P12ihipStream_tbEUlT_E0_NS1_11comp_targetILNS1_3genE10ELNS1_11target_archE1200ELNS1_3gpuE4ELNS1_3repE0EEENS1_30default_config_static_selectorELNS0_4arch9wavefront6targetE1EEEvSQ_,comdat
	.protected	_ZN7rocprim17ROCPRIM_400000_NS6detail17trampoline_kernelINS0_14default_configENS1_22reduce_config_selectorIiEEZNS1_11reduce_implILb1ES3_N6hipcub16HIPCUB_304000_NS22TransformInputIteratorIiN2at6native8internal21MapNumberOfTrueValuesEPKhlEEPiiNS8_6detail34convert_binary_result_type_wrapperISt4plusIvESG_iEEEE10hipError_tPvRmT1_T2_T3_mT4_P12ihipStream_tbEUlT_E0_NS1_11comp_targetILNS1_3genE10ELNS1_11target_archE1200ELNS1_3gpuE4ELNS1_3repE0EEENS1_30default_config_static_selectorELNS0_4arch9wavefront6targetE1EEEvSQ_ ; -- Begin function _ZN7rocprim17ROCPRIM_400000_NS6detail17trampoline_kernelINS0_14default_configENS1_22reduce_config_selectorIiEEZNS1_11reduce_implILb1ES3_N6hipcub16HIPCUB_304000_NS22TransformInputIteratorIiN2at6native8internal21MapNumberOfTrueValuesEPKhlEEPiiNS8_6detail34convert_binary_result_type_wrapperISt4plusIvESG_iEEEE10hipError_tPvRmT1_T2_T3_mT4_P12ihipStream_tbEUlT_E0_NS1_11comp_targetILNS1_3genE10ELNS1_11target_archE1200ELNS1_3gpuE4ELNS1_3repE0EEENS1_30default_config_static_selectorELNS0_4arch9wavefront6targetE1EEEvSQ_
	.globl	_ZN7rocprim17ROCPRIM_400000_NS6detail17trampoline_kernelINS0_14default_configENS1_22reduce_config_selectorIiEEZNS1_11reduce_implILb1ES3_N6hipcub16HIPCUB_304000_NS22TransformInputIteratorIiN2at6native8internal21MapNumberOfTrueValuesEPKhlEEPiiNS8_6detail34convert_binary_result_type_wrapperISt4plusIvESG_iEEEE10hipError_tPvRmT1_T2_T3_mT4_P12ihipStream_tbEUlT_E0_NS1_11comp_targetILNS1_3genE10ELNS1_11target_archE1200ELNS1_3gpuE4ELNS1_3repE0EEENS1_30default_config_static_selectorELNS0_4arch9wavefront6targetE1EEEvSQ_
	.p2align	8
	.type	_ZN7rocprim17ROCPRIM_400000_NS6detail17trampoline_kernelINS0_14default_configENS1_22reduce_config_selectorIiEEZNS1_11reduce_implILb1ES3_N6hipcub16HIPCUB_304000_NS22TransformInputIteratorIiN2at6native8internal21MapNumberOfTrueValuesEPKhlEEPiiNS8_6detail34convert_binary_result_type_wrapperISt4plusIvESG_iEEEE10hipError_tPvRmT1_T2_T3_mT4_P12ihipStream_tbEUlT_E0_NS1_11comp_targetILNS1_3genE10ELNS1_11target_archE1200ELNS1_3gpuE4ELNS1_3repE0EEENS1_30default_config_static_selectorELNS0_4arch9wavefront6targetE1EEEvSQ_,@function
_ZN7rocprim17ROCPRIM_400000_NS6detail17trampoline_kernelINS0_14default_configENS1_22reduce_config_selectorIiEEZNS1_11reduce_implILb1ES3_N6hipcub16HIPCUB_304000_NS22TransformInputIteratorIiN2at6native8internal21MapNumberOfTrueValuesEPKhlEEPiiNS8_6detail34convert_binary_result_type_wrapperISt4plusIvESG_iEEEE10hipError_tPvRmT1_T2_T3_mT4_P12ihipStream_tbEUlT_E0_NS1_11comp_targetILNS1_3genE10ELNS1_11target_archE1200ELNS1_3gpuE4ELNS1_3repE0EEENS1_30default_config_static_selectorELNS0_4arch9wavefront6targetE1EEEvSQ_: ; @_ZN7rocprim17ROCPRIM_400000_NS6detail17trampoline_kernelINS0_14default_configENS1_22reduce_config_selectorIiEEZNS1_11reduce_implILb1ES3_N6hipcub16HIPCUB_304000_NS22TransformInputIteratorIiN2at6native8internal21MapNumberOfTrueValuesEPKhlEEPiiNS8_6detail34convert_binary_result_type_wrapperISt4plusIvESG_iEEEE10hipError_tPvRmT1_T2_T3_mT4_P12ihipStream_tbEUlT_E0_NS1_11comp_targetILNS1_3genE10ELNS1_11target_archE1200ELNS1_3gpuE4ELNS1_3repE0EEENS1_30default_config_static_selectorELNS0_4arch9wavefront6targetE1EEEvSQ_
; %bb.0:
	.section	.rodata,"a",@progbits
	.p2align	6, 0x0
	.amdhsa_kernel _ZN7rocprim17ROCPRIM_400000_NS6detail17trampoline_kernelINS0_14default_configENS1_22reduce_config_selectorIiEEZNS1_11reduce_implILb1ES3_N6hipcub16HIPCUB_304000_NS22TransformInputIteratorIiN2at6native8internal21MapNumberOfTrueValuesEPKhlEEPiiNS8_6detail34convert_binary_result_type_wrapperISt4plusIvESG_iEEEE10hipError_tPvRmT1_T2_T3_mT4_P12ihipStream_tbEUlT_E0_NS1_11comp_targetILNS1_3genE10ELNS1_11target_archE1200ELNS1_3gpuE4ELNS1_3repE0EEENS1_30default_config_static_selectorELNS0_4arch9wavefront6targetE1EEEvSQ_
		.amdhsa_group_segment_fixed_size 0
		.amdhsa_private_segment_fixed_size 0
		.amdhsa_kernarg_size 64
		.amdhsa_user_sgpr_count 2
		.amdhsa_user_sgpr_dispatch_ptr 0
		.amdhsa_user_sgpr_queue_ptr 0
		.amdhsa_user_sgpr_kernarg_segment_ptr 1
		.amdhsa_user_sgpr_dispatch_id 0
		.amdhsa_user_sgpr_kernarg_preload_length 0
		.amdhsa_user_sgpr_kernarg_preload_offset 0
		.amdhsa_user_sgpr_private_segment_size 0
		.amdhsa_uses_dynamic_stack 0
		.amdhsa_enable_private_segment 0
		.amdhsa_system_sgpr_workgroup_id_x 1
		.amdhsa_system_sgpr_workgroup_id_y 0
		.amdhsa_system_sgpr_workgroup_id_z 0
		.amdhsa_system_sgpr_workgroup_info 0
		.amdhsa_system_vgpr_workitem_id 0
		.amdhsa_next_free_vgpr 1
		.amdhsa_next_free_sgpr 0
		.amdhsa_accum_offset 4
		.amdhsa_reserve_vcc 0
		.amdhsa_float_round_mode_32 0
		.amdhsa_float_round_mode_16_64 0
		.amdhsa_float_denorm_mode_32 3
		.amdhsa_float_denorm_mode_16_64 3
		.amdhsa_dx10_clamp 1
		.amdhsa_ieee_mode 1
		.amdhsa_fp16_overflow 0
		.amdhsa_tg_split 0
		.amdhsa_exception_fp_ieee_invalid_op 0
		.amdhsa_exception_fp_denorm_src 0
		.amdhsa_exception_fp_ieee_div_zero 0
		.amdhsa_exception_fp_ieee_overflow 0
		.amdhsa_exception_fp_ieee_underflow 0
		.amdhsa_exception_fp_ieee_inexact 0
		.amdhsa_exception_int_div_zero 0
	.end_amdhsa_kernel
	.section	.text._ZN7rocprim17ROCPRIM_400000_NS6detail17trampoline_kernelINS0_14default_configENS1_22reduce_config_selectorIiEEZNS1_11reduce_implILb1ES3_N6hipcub16HIPCUB_304000_NS22TransformInputIteratorIiN2at6native8internal21MapNumberOfTrueValuesEPKhlEEPiiNS8_6detail34convert_binary_result_type_wrapperISt4plusIvESG_iEEEE10hipError_tPvRmT1_T2_T3_mT4_P12ihipStream_tbEUlT_E0_NS1_11comp_targetILNS1_3genE10ELNS1_11target_archE1200ELNS1_3gpuE4ELNS1_3repE0EEENS1_30default_config_static_selectorELNS0_4arch9wavefront6targetE1EEEvSQ_,"axG",@progbits,_ZN7rocprim17ROCPRIM_400000_NS6detail17trampoline_kernelINS0_14default_configENS1_22reduce_config_selectorIiEEZNS1_11reduce_implILb1ES3_N6hipcub16HIPCUB_304000_NS22TransformInputIteratorIiN2at6native8internal21MapNumberOfTrueValuesEPKhlEEPiiNS8_6detail34convert_binary_result_type_wrapperISt4plusIvESG_iEEEE10hipError_tPvRmT1_T2_T3_mT4_P12ihipStream_tbEUlT_E0_NS1_11comp_targetILNS1_3genE10ELNS1_11target_archE1200ELNS1_3gpuE4ELNS1_3repE0EEENS1_30default_config_static_selectorELNS0_4arch9wavefront6targetE1EEEvSQ_,comdat
.Lfunc_end121:
	.size	_ZN7rocprim17ROCPRIM_400000_NS6detail17trampoline_kernelINS0_14default_configENS1_22reduce_config_selectorIiEEZNS1_11reduce_implILb1ES3_N6hipcub16HIPCUB_304000_NS22TransformInputIteratorIiN2at6native8internal21MapNumberOfTrueValuesEPKhlEEPiiNS8_6detail34convert_binary_result_type_wrapperISt4plusIvESG_iEEEE10hipError_tPvRmT1_T2_T3_mT4_P12ihipStream_tbEUlT_E0_NS1_11comp_targetILNS1_3genE10ELNS1_11target_archE1200ELNS1_3gpuE4ELNS1_3repE0EEENS1_30default_config_static_selectorELNS0_4arch9wavefront6targetE1EEEvSQ_, .Lfunc_end121-_ZN7rocprim17ROCPRIM_400000_NS6detail17trampoline_kernelINS0_14default_configENS1_22reduce_config_selectorIiEEZNS1_11reduce_implILb1ES3_N6hipcub16HIPCUB_304000_NS22TransformInputIteratorIiN2at6native8internal21MapNumberOfTrueValuesEPKhlEEPiiNS8_6detail34convert_binary_result_type_wrapperISt4plusIvESG_iEEEE10hipError_tPvRmT1_T2_T3_mT4_P12ihipStream_tbEUlT_E0_NS1_11comp_targetILNS1_3genE10ELNS1_11target_archE1200ELNS1_3gpuE4ELNS1_3repE0EEENS1_30default_config_static_selectorELNS0_4arch9wavefront6targetE1EEEvSQ_
                                        ; -- End function
	.section	.AMDGPU.csdata,"",@progbits
; Kernel info:
; codeLenInByte = 0
; NumSgprs: 6
; NumVgprs: 0
; NumAgprs: 0
; TotalNumVgprs: 0
; ScratchSize: 0
; MemoryBound: 0
; FloatMode: 240
; IeeeMode: 1
; LDSByteSize: 0 bytes/workgroup (compile time only)
; SGPRBlocks: 0
; VGPRBlocks: 0
; NumSGPRsForWavesPerEU: 6
; NumVGPRsForWavesPerEU: 1
; AccumOffset: 4
; Occupancy: 8
; WaveLimiterHint : 0
; COMPUTE_PGM_RSRC2:SCRATCH_EN: 0
; COMPUTE_PGM_RSRC2:USER_SGPR: 2
; COMPUTE_PGM_RSRC2:TRAP_HANDLER: 0
; COMPUTE_PGM_RSRC2:TGID_X_EN: 1
; COMPUTE_PGM_RSRC2:TGID_Y_EN: 0
; COMPUTE_PGM_RSRC2:TGID_Z_EN: 0
; COMPUTE_PGM_RSRC2:TIDIG_COMP_CNT: 0
; COMPUTE_PGM_RSRC3_GFX90A:ACCUM_OFFSET: 0
; COMPUTE_PGM_RSRC3_GFX90A:TG_SPLIT: 0
	.section	.text._ZN7rocprim17ROCPRIM_400000_NS6detail17trampoline_kernelINS0_14default_configENS1_22reduce_config_selectorIiEEZNS1_11reduce_implILb1ES3_N6hipcub16HIPCUB_304000_NS22TransformInputIteratorIiN2at6native8internal21MapNumberOfTrueValuesEPKhlEEPiiNS8_6detail34convert_binary_result_type_wrapperISt4plusIvESG_iEEEE10hipError_tPvRmT1_T2_T3_mT4_P12ihipStream_tbEUlT_E0_NS1_11comp_targetILNS1_3genE9ELNS1_11target_archE1100ELNS1_3gpuE3ELNS1_3repE0EEENS1_30default_config_static_selectorELNS0_4arch9wavefront6targetE1EEEvSQ_,"axG",@progbits,_ZN7rocprim17ROCPRIM_400000_NS6detail17trampoline_kernelINS0_14default_configENS1_22reduce_config_selectorIiEEZNS1_11reduce_implILb1ES3_N6hipcub16HIPCUB_304000_NS22TransformInputIteratorIiN2at6native8internal21MapNumberOfTrueValuesEPKhlEEPiiNS8_6detail34convert_binary_result_type_wrapperISt4plusIvESG_iEEEE10hipError_tPvRmT1_T2_T3_mT4_P12ihipStream_tbEUlT_E0_NS1_11comp_targetILNS1_3genE9ELNS1_11target_archE1100ELNS1_3gpuE3ELNS1_3repE0EEENS1_30default_config_static_selectorELNS0_4arch9wavefront6targetE1EEEvSQ_,comdat
	.protected	_ZN7rocprim17ROCPRIM_400000_NS6detail17trampoline_kernelINS0_14default_configENS1_22reduce_config_selectorIiEEZNS1_11reduce_implILb1ES3_N6hipcub16HIPCUB_304000_NS22TransformInputIteratorIiN2at6native8internal21MapNumberOfTrueValuesEPKhlEEPiiNS8_6detail34convert_binary_result_type_wrapperISt4plusIvESG_iEEEE10hipError_tPvRmT1_T2_T3_mT4_P12ihipStream_tbEUlT_E0_NS1_11comp_targetILNS1_3genE9ELNS1_11target_archE1100ELNS1_3gpuE3ELNS1_3repE0EEENS1_30default_config_static_selectorELNS0_4arch9wavefront6targetE1EEEvSQ_ ; -- Begin function _ZN7rocprim17ROCPRIM_400000_NS6detail17trampoline_kernelINS0_14default_configENS1_22reduce_config_selectorIiEEZNS1_11reduce_implILb1ES3_N6hipcub16HIPCUB_304000_NS22TransformInputIteratorIiN2at6native8internal21MapNumberOfTrueValuesEPKhlEEPiiNS8_6detail34convert_binary_result_type_wrapperISt4plusIvESG_iEEEE10hipError_tPvRmT1_T2_T3_mT4_P12ihipStream_tbEUlT_E0_NS1_11comp_targetILNS1_3genE9ELNS1_11target_archE1100ELNS1_3gpuE3ELNS1_3repE0EEENS1_30default_config_static_selectorELNS0_4arch9wavefront6targetE1EEEvSQ_
	.globl	_ZN7rocprim17ROCPRIM_400000_NS6detail17trampoline_kernelINS0_14default_configENS1_22reduce_config_selectorIiEEZNS1_11reduce_implILb1ES3_N6hipcub16HIPCUB_304000_NS22TransformInputIteratorIiN2at6native8internal21MapNumberOfTrueValuesEPKhlEEPiiNS8_6detail34convert_binary_result_type_wrapperISt4plusIvESG_iEEEE10hipError_tPvRmT1_T2_T3_mT4_P12ihipStream_tbEUlT_E0_NS1_11comp_targetILNS1_3genE9ELNS1_11target_archE1100ELNS1_3gpuE3ELNS1_3repE0EEENS1_30default_config_static_selectorELNS0_4arch9wavefront6targetE1EEEvSQ_
	.p2align	8
	.type	_ZN7rocprim17ROCPRIM_400000_NS6detail17trampoline_kernelINS0_14default_configENS1_22reduce_config_selectorIiEEZNS1_11reduce_implILb1ES3_N6hipcub16HIPCUB_304000_NS22TransformInputIteratorIiN2at6native8internal21MapNumberOfTrueValuesEPKhlEEPiiNS8_6detail34convert_binary_result_type_wrapperISt4plusIvESG_iEEEE10hipError_tPvRmT1_T2_T3_mT4_P12ihipStream_tbEUlT_E0_NS1_11comp_targetILNS1_3genE9ELNS1_11target_archE1100ELNS1_3gpuE3ELNS1_3repE0EEENS1_30default_config_static_selectorELNS0_4arch9wavefront6targetE1EEEvSQ_,@function
_ZN7rocprim17ROCPRIM_400000_NS6detail17trampoline_kernelINS0_14default_configENS1_22reduce_config_selectorIiEEZNS1_11reduce_implILb1ES3_N6hipcub16HIPCUB_304000_NS22TransformInputIteratorIiN2at6native8internal21MapNumberOfTrueValuesEPKhlEEPiiNS8_6detail34convert_binary_result_type_wrapperISt4plusIvESG_iEEEE10hipError_tPvRmT1_T2_T3_mT4_P12ihipStream_tbEUlT_E0_NS1_11comp_targetILNS1_3genE9ELNS1_11target_archE1100ELNS1_3gpuE3ELNS1_3repE0EEENS1_30default_config_static_selectorELNS0_4arch9wavefront6targetE1EEEvSQ_: ; @_ZN7rocprim17ROCPRIM_400000_NS6detail17trampoline_kernelINS0_14default_configENS1_22reduce_config_selectorIiEEZNS1_11reduce_implILb1ES3_N6hipcub16HIPCUB_304000_NS22TransformInputIteratorIiN2at6native8internal21MapNumberOfTrueValuesEPKhlEEPiiNS8_6detail34convert_binary_result_type_wrapperISt4plusIvESG_iEEEE10hipError_tPvRmT1_T2_T3_mT4_P12ihipStream_tbEUlT_E0_NS1_11comp_targetILNS1_3genE9ELNS1_11target_archE1100ELNS1_3gpuE3ELNS1_3repE0EEENS1_30default_config_static_selectorELNS0_4arch9wavefront6targetE1EEEvSQ_
; %bb.0:
	.section	.rodata,"a",@progbits
	.p2align	6, 0x0
	.amdhsa_kernel _ZN7rocprim17ROCPRIM_400000_NS6detail17trampoline_kernelINS0_14default_configENS1_22reduce_config_selectorIiEEZNS1_11reduce_implILb1ES3_N6hipcub16HIPCUB_304000_NS22TransformInputIteratorIiN2at6native8internal21MapNumberOfTrueValuesEPKhlEEPiiNS8_6detail34convert_binary_result_type_wrapperISt4plusIvESG_iEEEE10hipError_tPvRmT1_T2_T3_mT4_P12ihipStream_tbEUlT_E0_NS1_11comp_targetILNS1_3genE9ELNS1_11target_archE1100ELNS1_3gpuE3ELNS1_3repE0EEENS1_30default_config_static_selectorELNS0_4arch9wavefront6targetE1EEEvSQ_
		.amdhsa_group_segment_fixed_size 0
		.amdhsa_private_segment_fixed_size 0
		.amdhsa_kernarg_size 64
		.amdhsa_user_sgpr_count 2
		.amdhsa_user_sgpr_dispatch_ptr 0
		.amdhsa_user_sgpr_queue_ptr 0
		.amdhsa_user_sgpr_kernarg_segment_ptr 1
		.amdhsa_user_sgpr_dispatch_id 0
		.amdhsa_user_sgpr_kernarg_preload_length 0
		.amdhsa_user_sgpr_kernarg_preload_offset 0
		.amdhsa_user_sgpr_private_segment_size 0
		.amdhsa_uses_dynamic_stack 0
		.amdhsa_enable_private_segment 0
		.amdhsa_system_sgpr_workgroup_id_x 1
		.amdhsa_system_sgpr_workgroup_id_y 0
		.amdhsa_system_sgpr_workgroup_id_z 0
		.amdhsa_system_sgpr_workgroup_info 0
		.amdhsa_system_vgpr_workitem_id 0
		.amdhsa_next_free_vgpr 1
		.amdhsa_next_free_sgpr 0
		.amdhsa_accum_offset 4
		.amdhsa_reserve_vcc 0
		.amdhsa_float_round_mode_32 0
		.amdhsa_float_round_mode_16_64 0
		.amdhsa_float_denorm_mode_32 3
		.amdhsa_float_denorm_mode_16_64 3
		.amdhsa_dx10_clamp 1
		.amdhsa_ieee_mode 1
		.amdhsa_fp16_overflow 0
		.amdhsa_tg_split 0
		.amdhsa_exception_fp_ieee_invalid_op 0
		.amdhsa_exception_fp_denorm_src 0
		.amdhsa_exception_fp_ieee_div_zero 0
		.amdhsa_exception_fp_ieee_overflow 0
		.amdhsa_exception_fp_ieee_underflow 0
		.amdhsa_exception_fp_ieee_inexact 0
		.amdhsa_exception_int_div_zero 0
	.end_amdhsa_kernel
	.section	.text._ZN7rocprim17ROCPRIM_400000_NS6detail17trampoline_kernelINS0_14default_configENS1_22reduce_config_selectorIiEEZNS1_11reduce_implILb1ES3_N6hipcub16HIPCUB_304000_NS22TransformInputIteratorIiN2at6native8internal21MapNumberOfTrueValuesEPKhlEEPiiNS8_6detail34convert_binary_result_type_wrapperISt4plusIvESG_iEEEE10hipError_tPvRmT1_T2_T3_mT4_P12ihipStream_tbEUlT_E0_NS1_11comp_targetILNS1_3genE9ELNS1_11target_archE1100ELNS1_3gpuE3ELNS1_3repE0EEENS1_30default_config_static_selectorELNS0_4arch9wavefront6targetE1EEEvSQ_,"axG",@progbits,_ZN7rocprim17ROCPRIM_400000_NS6detail17trampoline_kernelINS0_14default_configENS1_22reduce_config_selectorIiEEZNS1_11reduce_implILb1ES3_N6hipcub16HIPCUB_304000_NS22TransformInputIteratorIiN2at6native8internal21MapNumberOfTrueValuesEPKhlEEPiiNS8_6detail34convert_binary_result_type_wrapperISt4plusIvESG_iEEEE10hipError_tPvRmT1_T2_T3_mT4_P12ihipStream_tbEUlT_E0_NS1_11comp_targetILNS1_3genE9ELNS1_11target_archE1100ELNS1_3gpuE3ELNS1_3repE0EEENS1_30default_config_static_selectorELNS0_4arch9wavefront6targetE1EEEvSQ_,comdat
.Lfunc_end122:
	.size	_ZN7rocprim17ROCPRIM_400000_NS6detail17trampoline_kernelINS0_14default_configENS1_22reduce_config_selectorIiEEZNS1_11reduce_implILb1ES3_N6hipcub16HIPCUB_304000_NS22TransformInputIteratorIiN2at6native8internal21MapNumberOfTrueValuesEPKhlEEPiiNS8_6detail34convert_binary_result_type_wrapperISt4plusIvESG_iEEEE10hipError_tPvRmT1_T2_T3_mT4_P12ihipStream_tbEUlT_E0_NS1_11comp_targetILNS1_3genE9ELNS1_11target_archE1100ELNS1_3gpuE3ELNS1_3repE0EEENS1_30default_config_static_selectorELNS0_4arch9wavefront6targetE1EEEvSQ_, .Lfunc_end122-_ZN7rocprim17ROCPRIM_400000_NS6detail17trampoline_kernelINS0_14default_configENS1_22reduce_config_selectorIiEEZNS1_11reduce_implILb1ES3_N6hipcub16HIPCUB_304000_NS22TransformInputIteratorIiN2at6native8internal21MapNumberOfTrueValuesEPKhlEEPiiNS8_6detail34convert_binary_result_type_wrapperISt4plusIvESG_iEEEE10hipError_tPvRmT1_T2_T3_mT4_P12ihipStream_tbEUlT_E0_NS1_11comp_targetILNS1_3genE9ELNS1_11target_archE1100ELNS1_3gpuE3ELNS1_3repE0EEENS1_30default_config_static_selectorELNS0_4arch9wavefront6targetE1EEEvSQ_
                                        ; -- End function
	.section	.AMDGPU.csdata,"",@progbits
; Kernel info:
; codeLenInByte = 0
; NumSgprs: 6
; NumVgprs: 0
; NumAgprs: 0
; TotalNumVgprs: 0
; ScratchSize: 0
; MemoryBound: 0
; FloatMode: 240
; IeeeMode: 1
; LDSByteSize: 0 bytes/workgroup (compile time only)
; SGPRBlocks: 0
; VGPRBlocks: 0
; NumSGPRsForWavesPerEU: 6
; NumVGPRsForWavesPerEU: 1
; AccumOffset: 4
; Occupancy: 8
; WaveLimiterHint : 0
; COMPUTE_PGM_RSRC2:SCRATCH_EN: 0
; COMPUTE_PGM_RSRC2:USER_SGPR: 2
; COMPUTE_PGM_RSRC2:TRAP_HANDLER: 0
; COMPUTE_PGM_RSRC2:TGID_X_EN: 1
; COMPUTE_PGM_RSRC2:TGID_Y_EN: 0
; COMPUTE_PGM_RSRC2:TGID_Z_EN: 0
; COMPUTE_PGM_RSRC2:TIDIG_COMP_CNT: 0
; COMPUTE_PGM_RSRC3_GFX90A:ACCUM_OFFSET: 0
; COMPUTE_PGM_RSRC3_GFX90A:TG_SPLIT: 0
	.section	.text._ZN7rocprim17ROCPRIM_400000_NS6detail17trampoline_kernelINS0_14default_configENS1_22reduce_config_selectorIiEEZNS1_11reduce_implILb1ES3_N6hipcub16HIPCUB_304000_NS22TransformInputIteratorIiN2at6native8internal21MapNumberOfTrueValuesEPKhlEEPiiNS8_6detail34convert_binary_result_type_wrapperISt4plusIvESG_iEEEE10hipError_tPvRmT1_T2_T3_mT4_P12ihipStream_tbEUlT_E0_NS1_11comp_targetILNS1_3genE8ELNS1_11target_archE1030ELNS1_3gpuE2ELNS1_3repE0EEENS1_30default_config_static_selectorELNS0_4arch9wavefront6targetE1EEEvSQ_,"axG",@progbits,_ZN7rocprim17ROCPRIM_400000_NS6detail17trampoline_kernelINS0_14default_configENS1_22reduce_config_selectorIiEEZNS1_11reduce_implILb1ES3_N6hipcub16HIPCUB_304000_NS22TransformInputIteratorIiN2at6native8internal21MapNumberOfTrueValuesEPKhlEEPiiNS8_6detail34convert_binary_result_type_wrapperISt4plusIvESG_iEEEE10hipError_tPvRmT1_T2_T3_mT4_P12ihipStream_tbEUlT_E0_NS1_11comp_targetILNS1_3genE8ELNS1_11target_archE1030ELNS1_3gpuE2ELNS1_3repE0EEENS1_30default_config_static_selectorELNS0_4arch9wavefront6targetE1EEEvSQ_,comdat
	.protected	_ZN7rocprim17ROCPRIM_400000_NS6detail17trampoline_kernelINS0_14default_configENS1_22reduce_config_selectorIiEEZNS1_11reduce_implILb1ES3_N6hipcub16HIPCUB_304000_NS22TransformInputIteratorIiN2at6native8internal21MapNumberOfTrueValuesEPKhlEEPiiNS8_6detail34convert_binary_result_type_wrapperISt4plusIvESG_iEEEE10hipError_tPvRmT1_T2_T3_mT4_P12ihipStream_tbEUlT_E0_NS1_11comp_targetILNS1_3genE8ELNS1_11target_archE1030ELNS1_3gpuE2ELNS1_3repE0EEENS1_30default_config_static_selectorELNS0_4arch9wavefront6targetE1EEEvSQ_ ; -- Begin function _ZN7rocprim17ROCPRIM_400000_NS6detail17trampoline_kernelINS0_14default_configENS1_22reduce_config_selectorIiEEZNS1_11reduce_implILb1ES3_N6hipcub16HIPCUB_304000_NS22TransformInputIteratorIiN2at6native8internal21MapNumberOfTrueValuesEPKhlEEPiiNS8_6detail34convert_binary_result_type_wrapperISt4plusIvESG_iEEEE10hipError_tPvRmT1_T2_T3_mT4_P12ihipStream_tbEUlT_E0_NS1_11comp_targetILNS1_3genE8ELNS1_11target_archE1030ELNS1_3gpuE2ELNS1_3repE0EEENS1_30default_config_static_selectorELNS0_4arch9wavefront6targetE1EEEvSQ_
	.globl	_ZN7rocprim17ROCPRIM_400000_NS6detail17trampoline_kernelINS0_14default_configENS1_22reduce_config_selectorIiEEZNS1_11reduce_implILb1ES3_N6hipcub16HIPCUB_304000_NS22TransformInputIteratorIiN2at6native8internal21MapNumberOfTrueValuesEPKhlEEPiiNS8_6detail34convert_binary_result_type_wrapperISt4plusIvESG_iEEEE10hipError_tPvRmT1_T2_T3_mT4_P12ihipStream_tbEUlT_E0_NS1_11comp_targetILNS1_3genE8ELNS1_11target_archE1030ELNS1_3gpuE2ELNS1_3repE0EEENS1_30default_config_static_selectorELNS0_4arch9wavefront6targetE1EEEvSQ_
	.p2align	8
	.type	_ZN7rocprim17ROCPRIM_400000_NS6detail17trampoline_kernelINS0_14default_configENS1_22reduce_config_selectorIiEEZNS1_11reduce_implILb1ES3_N6hipcub16HIPCUB_304000_NS22TransformInputIteratorIiN2at6native8internal21MapNumberOfTrueValuesEPKhlEEPiiNS8_6detail34convert_binary_result_type_wrapperISt4plusIvESG_iEEEE10hipError_tPvRmT1_T2_T3_mT4_P12ihipStream_tbEUlT_E0_NS1_11comp_targetILNS1_3genE8ELNS1_11target_archE1030ELNS1_3gpuE2ELNS1_3repE0EEENS1_30default_config_static_selectorELNS0_4arch9wavefront6targetE1EEEvSQ_,@function
_ZN7rocprim17ROCPRIM_400000_NS6detail17trampoline_kernelINS0_14default_configENS1_22reduce_config_selectorIiEEZNS1_11reduce_implILb1ES3_N6hipcub16HIPCUB_304000_NS22TransformInputIteratorIiN2at6native8internal21MapNumberOfTrueValuesEPKhlEEPiiNS8_6detail34convert_binary_result_type_wrapperISt4plusIvESG_iEEEE10hipError_tPvRmT1_T2_T3_mT4_P12ihipStream_tbEUlT_E0_NS1_11comp_targetILNS1_3genE8ELNS1_11target_archE1030ELNS1_3gpuE2ELNS1_3repE0EEENS1_30default_config_static_selectorELNS0_4arch9wavefront6targetE1EEEvSQ_: ; @_ZN7rocprim17ROCPRIM_400000_NS6detail17trampoline_kernelINS0_14default_configENS1_22reduce_config_selectorIiEEZNS1_11reduce_implILb1ES3_N6hipcub16HIPCUB_304000_NS22TransformInputIteratorIiN2at6native8internal21MapNumberOfTrueValuesEPKhlEEPiiNS8_6detail34convert_binary_result_type_wrapperISt4plusIvESG_iEEEE10hipError_tPvRmT1_T2_T3_mT4_P12ihipStream_tbEUlT_E0_NS1_11comp_targetILNS1_3genE8ELNS1_11target_archE1030ELNS1_3gpuE2ELNS1_3repE0EEENS1_30default_config_static_selectorELNS0_4arch9wavefront6targetE1EEEvSQ_
; %bb.0:
	.section	.rodata,"a",@progbits
	.p2align	6, 0x0
	.amdhsa_kernel _ZN7rocprim17ROCPRIM_400000_NS6detail17trampoline_kernelINS0_14default_configENS1_22reduce_config_selectorIiEEZNS1_11reduce_implILb1ES3_N6hipcub16HIPCUB_304000_NS22TransformInputIteratorIiN2at6native8internal21MapNumberOfTrueValuesEPKhlEEPiiNS8_6detail34convert_binary_result_type_wrapperISt4plusIvESG_iEEEE10hipError_tPvRmT1_T2_T3_mT4_P12ihipStream_tbEUlT_E0_NS1_11comp_targetILNS1_3genE8ELNS1_11target_archE1030ELNS1_3gpuE2ELNS1_3repE0EEENS1_30default_config_static_selectorELNS0_4arch9wavefront6targetE1EEEvSQ_
		.amdhsa_group_segment_fixed_size 0
		.amdhsa_private_segment_fixed_size 0
		.amdhsa_kernarg_size 64
		.amdhsa_user_sgpr_count 2
		.amdhsa_user_sgpr_dispatch_ptr 0
		.amdhsa_user_sgpr_queue_ptr 0
		.amdhsa_user_sgpr_kernarg_segment_ptr 1
		.amdhsa_user_sgpr_dispatch_id 0
		.amdhsa_user_sgpr_kernarg_preload_length 0
		.amdhsa_user_sgpr_kernarg_preload_offset 0
		.amdhsa_user_sgpr_private_segment_size 0
		.amdhsa_uses_dynamic_stack 0
		.amdhsa_enable_private_segment 0
		.amdhsa_system_sgpr_workgroup_id_x 1
		.amdhsa_system_sgpr_workgroup_id_y 0
		.amdhsa_system_sgpr_workgroup_id_z 0
		.amdhsa_system_sgpr_workgroup_info 0
		.amdhsa_system_vgpr_workitem_id 0
		.amdhsa_next_free_vgpr 1
		.amdhsa_next_free_sgpr 0
		.amdhsa_accum_offset 4
		.amdhsa_reserve_vcc 0
		.amdhsa_float_round_mode_32 0
		.amdhsa_float_round_mode_16_64 0
		.amdhsa_float_denorm_mode_32 3
		.amdhsa_float_denorm_mode_16_64 3
		.amdhsa_dx10_clamp 1
		.amdhsa_ieee_mode 1
		.amdhsa_fp16_overflow 0
		.amdhsa_tg_split 0
		.amdhsa_exception_fp_ieee_invalid_op 0
		.amdhsa_exception_fp_denorm_src 0
		.amdhsa_exception_fp_ieee_div_zero 0
		.amdhsa_exception_fp_ieee_overflow 0
		.amdhsa_exception_fp_ieee_underflow 0
		.amdhsa_exception_fp_ieee_inexact 0
		.amdhsa_exception_int_div_zero 0
	.end_amdhsa_kernel
	.section	.text._ZN7rocprim17ROCPRIM_400000_NS6detail17trampoline_kernelINS0_14default_configENS1_22reduce_config_selectorIiEEZNS1_11reduce_implILb1ES3_N6hipcub16HIPCUB_304000_NS22TransformInputIteratorIiN2at6native8internal21MapNumberOfTrueValuesEPKhlEEPiiNS8_6detail34convert_binary_result_type_wrapperISt4plusIvESG_iEEEE10hipError_tPvRmT1_T2_T3_mT4_P12ihipStream_tbEUlT_E0_NS1_11comp_targetILNS1_3genE8ELNS1_11target_archE1030ELNS1_3gpuE2ELNS1_3repE0EEENS1_30default_config_static_selectorELNS0_4arch9wavefront6targetE1EEEvSQ_,"axG",@progbits,_ZN7rocprim17ROCPRIM_400000_NS6detail17trampoline_kernelINS0_14default_configENS1_22reduce_config_selectorIiEEZNS1_11reduce_implILb1ES3_N6hipcub16HIPCUB_304000_NS22TransformInputIteratorIiN2at6native8internal21MapNumberOfTrueValuesEPKhlEEPiiNS8_6detail34convert_binary_result_type_wrapperISt4plusIvESG_iEEEE10hipError_tPvRmT1_T2_T3_mT4_P12ihipStream_tbEUlT_E0_NS1_11comp_targetILNS1_3genE8ELNS1_11target_archE1030ELNS1_3gpuE2ELNS1_3repE0EEENS1_30default_config_static_selectorELNS0_4arch9wavefront6targetE1EEEvSQ_,comdat
.Lfunc_end123:
	.size	_ZN7rocprim17ROCPRIM_400000_NS6detail17trampoline_kernelINS0_14default_configENS1_22reduce_config_selectorIiEEZNS1_11reduce_implILb1ES3_N6hipcub16HIPCUB_304000_NS22TransformInputIteratorIiN2at6native8internal21MapNumberOfTrueValuesEPKhlEEPiiNS8_6detail34convert_binary_result_type_wrapperISt4plusIvESG_iEEEE10hipError_tPvRmT1_T2_T3_mT4_P12ihipStream_tbEUlT_E0_NS1_11comp_targetILNS1_3genE8ELNS1_11target_archE1030ELNS1_3gpuE2ELNS1_3repE0EEENS1_30default_config_static_selectorELNS0_4arch9wavefront6targetE1EEEvSQ_, .Lfunc_end123-_ZN7rocprim17ROCPRIM_400000_NS6detail17trampoline_kernelINS0_14default_configENS1_22reduce_config_selectorIiEEZNS1_11reduce_implILb1ES3_N6hipcub16HIPCUB_304000_NS22TransformInputIteratorIiN2at6native8internal21MapNumberOfTrueValuesEPKhlEEPiiNS8_6detail34convert_binary_result_type_wrapperISt4plusIvESG_iEEEE10hipError_tPvRmT1_T2_T3_mT4_P12ihipStream_tbEUlT_E0_NS1_11comp_targetILNS1_3genE8ELNS1_11target_archE1030ELNS1_3gpuE2ELNS1_3repE0EEENS1_30default_config_static_selectorELNS0_4arch9wavefront6targetE1EEEvSQ_
                                        ; -- End function
	.section	.AMDGPU.csdata,"",@progbits
; Kernel info:
; codeLenInByte = 0
; NumSgprs: 6
; NumVgprs: 0
; NumAgprs: 0
; TotalNumVgprs: 0
; ScratchSize: 0
; MemoryBound: 0
; FloatMode: 240
; IeeeMode: 1
; LDSByteSize: 0 bytes/workgroup (compile time only)
; SGPRBlocks: 0
; VGPRBlocks: 0
; NumSGPRsForWavesPerEU: 6
; NumVGPRsForWavesPerEU: 1
; AccumOffset: 4
; Occupancy: 8
; WaveLimiterHint : 0
; COMPUTE_PGM_RSRC2:SCRATCH_EN: 0
; COMPUTE_PGM_RSRC2:USER_SGPR: 2
; COMPUTE_PGM_RSRC2:TRAP_HANDLER: 0
; COMPUTE_PGM_RSRC2:TGID_X_EN: 1
; COMPUTE_PGM_RSRC2:TGID_Y_EN: 0
; COMPUTE_PGM_RSRC2:TGID_Z_EN: 0
; COMPUTE_PGM_RSRC2:TIDIG_COMP_CNT: 0
; COMPUTE_PGM_RSRC3_GFX90A:ACCUM_OFFSET: 0
; COMPUTE_PGM_RSRC3_GFX90A:TG_SPLIT: 0
	.section	.text._ZN7rocprim17ROCPRIM_400000_NS6detail17trampoline_kernelINS0_14default_configENS1_22reduce_config_selectorIiEEZNS1_11reduce_implILb1ES3_N6hipcub16HIPCUB_304000_NS22TransformInputIteratorIiN2at6native8internal21MapNumberOfTrueValuesEPKhlEEPiiNS8_6detail34convert_binary_result_type_wrapperISt4plusIvESG_iEEEE10hipError_tPvRmT1_T2_T3_mT4_P12ihipStream_tbEUlT_E1_NS1_11comp_targetILNS1_3genE0ELNS1_11target_archE4294967295ELNS1_3gpuE0ELNS1_3repE0EEENS1_30default_config_static_selectorELNS0_4arch9wavefront6targetE1EEEvSQ_,"axG",@progbits,_ZN7rocprim17ROCPRIM_400000_NS6detail17trampoline_kernelINS0_14default_configENS1_22reduce_config_selectorIiEEZNS1_11reduce_implILb1ES3_N6hipcub16HIPCUB_304000_NS22TransformInputIteratorIiN2at6native8internal21MapNumberOfTrueValuesEPKhlEEPiiNS8_6detail34convert_binary_result_type_wrapperISt4plusIvESG_iEEEE10hipError_tPvRmT1_T2_T3_mT4_P12ihipStream_tbEUlT_E1_NS1_11comp_targetILNS1_3genE0ELNS1_11target_archE4294967295ELNS1_3gpuE0ELNS1_3repE0EEENS1_30default_config_static_selectorELNS0_4arch9wavefront6targetE1EEEvSQ_,comdat
	.protected	_ZN7rocprim17ROCPRIM_400000_NS6detail17trampoline_kernelINS0_14default_configENS1_22reduce_config_selectorIiEEZNS1_11reduce_implILb1ES3_N6hipcub16HIPCUB_304000_NS22TransformInputIteratorIiN2at6native8internal21MapNumberOfTrueValuesEPKhlEEPiiNS8_6detail34convert_binary_result_type_wrapperISt4plusIvESG_iEEEE10hipError_tPvRmT1_T2_T3_mT4_P12ihipStream_tbEUlT_E1_NS1_11comp_targetILNS1_3genE0ELNS1_11target_archE4294967295ELNS1_3gpuE0ELNS1_3repE0EEENS1_30default_config_static_selectorELNS0_4arch9wavefront6targetE1EEEvSQ_ ; -- Begin function _ZN7rocprim17ROCPRIM_400000_NS6detail17trampoline_kernelINS0_14default_configENS1_22reduce_config_selectorIiEEZNS1_11reduce_implILb1ES3_N6hipcub16HIPCUB_304000_NS22TransformInputIteratorIiN2at6native8internal21MapNumberOfTrueValuesEPKhlEEPiiNS8_6detail34convert_binary_result_type_wrapperISt4plusIvESG_iEEEE10hipError_tPvRmT1_T2_T3_mT4_P12ihipStream_tbEUlT_E1_NS1_11comp_targetILNS1_3genE0ELNS1_11target_archE4294967295ELNS1_3gpuE0ELNS1_3repE0EEENS1_30default_config_static_selectorELNS0_4arch9wavefront6targetE1EEEvSQ_
	.globl	_ZN7rocprim17ROCPRIM_400000_NS6detail17trampoline_kernelINS0_14default_configENS1_22reduce_config_selectorIiEEZNS1_11reduce_implILb1ES3_N6hipcub16HIPCUB_304000_NS22TransformInputIteratorIiN2at6native8internal21MapNumberOfTrueValuesEPKhlEEPiiNS8_6detail34convert_binary_result_type_wrapperISt4plusIvESG_iEEEE10hipError_tPvRmT1_T2_T3_mT4_P12ihipStream_tbEUlT_E1_NS1_11comp_targetILNS1_3genE0ELNS1_11target_archE4294967295ELNS1_3gpuE0ELNS1_3repE0EEENS1_30default_config_static_selectorELNS0_4arch9wavefront6targetE1EEEvSQ_
	.p2align	8
	.type	_ZN7rocprim17ROCPRIM_400000_NS6detail17trampoline_kernelINS0_14default_configENS1_22reduce_config_selectorIiEEZNS1_11reduce_implILb1ES3_N6hipcub16HIPCUB_304000_NS22TransformInputIteratorIiN2at6native8internal21MapNumberOfTrueValuesEPKhlEEPiiNS8_6detail34convert_binary_result_type_wrapperISt4plusIvESG_iEEEE10hipError_tPvRmT1_T2_T3_mT4_P12ihipStream_tbEUlT_E1_NS1_11comp_targetILNS1_3genE0ELNS1_11target_archE4294967295ELNS1_3gpuE0ELNS1_3repE0EEENS1_30default_config_static_selectorELNS0_4arch9wavefront6targetE1EEEvSQ_,@function
_ZN7rocprim17ROCPRIM_400000_NS6detail17trampoline_kernelINS0_14default_configENS1_22reduce_config_selectorIiEEZNS1_11reduce_implILb1ES3_N6hipcub16HIPCUB_304000_NS22TransformInputIteratorIiN2at6native8internal21MapNumberOfTrueValuesEPKhlEEPiiNS8_6detail34convert_binary_result_type_wrapperISt4plusIvESG_iEEEE10hipError_tPvRmT1_T2_T3_mT4_P12ihipStream_tbEUlT_E1_NS1_11comp_targetILNS1_3genE0ELNS1_11target_archE4294967295ELNS1_3gpuE0ELNS1_3repE0EEENS1_30default_config_static_selectorELNS0_4arch9wavefront6targetE1EEEvSQ_: ; @_ZN7rocprim17ROCPRIM_400000_NS6detail17trampoline_kernelINS0_14default_configENS1_22reduce_config_selectorIiEEZNS1_11reduce_implILb1ES3_N6hipcub16HIPCUB_304000_NS22TransformInputIteratorIiN2at6native8internal21MapNumberOfTrueValuesEPKhlEEPiiNS8_6detail34convert_binary_result_type_wrapperISt4plusIvESG_iEEEE10hipError_tPvRmT1_T2_T3_mT4_P12ihipStream_tbEUlT_E1_NS1_11comp_targetILNS1_3genE0ELNS1_11target_archE4294967295ELNS1_3gpuE0ELNS1_3repE0EEENS1_30default_config_static_selectorELNS0_4arch9wavefront6targetE1EEEvSQ_
; %bb.0:
	.section	.rodata,"a",@progbits
	.p2align	6, 0x0
	.amdhsa_kernel _ZN7rocprim17ROCPRIM_400000_NS6detail17trampoline_kernelINS0_14default_configENS1_22reduce_config_selectorIiEEZNS1_11reduce_implILb1ES3_N6hipcub16HIPCUB_304000_NS22TransformInputIteratorIiN2at6native8internal21MapNumberOfTrueValuesEPKhlEEPiiNS8_6detail34convert_binary_result_type_wrapperISt4plusIvESG_iEEEE10hipError_tPvRmT1_T2_T3_mT4_P12ihipStream_tbEUlT_E1_NS1_11comp_targetILNS1_3genE0ELNS1_11target_archE4294967295ELNS1_3gpuE0ELNS1_3repE0EEENS1_30default_config_static_selectorELNS0_4arch9wavefront6targetE1EEEvSQ_
		.amdhsa_group_segment_fixed_size 0
		.amdhsa_private_segment_fixed_size 0
		.amdhsa_kernarg_size 48
		.amdhsa_user_sgpr_count 2
		.amdhsa_user_sgpr_dispatch_ptr 0
		.amdhsa_user_sgpr_queue_ptr 0
		.amdhsa_user_sgpr_kernarg_segment_ptr 1
		.amdhsa_user_sgpr_dispatch_id 0
		.amdhsa_user_sgpr_kernarg_preload_length 0
		.amdhsa_user_sgpr_kernarg_preload_offset 0
		.amdhsa_user_sgpr_private_segment_size 0
		.amdhsa_uses_dynamic_stack 0
		.amdhsa_enable_private_segment 0
		.amdhsa_system_sgpr_workgroup_id_x 1
		.amdhsa_system_sgpr_workgroup_id_y 0
		.amdhsa_system_sgpr_workgroup_id_z 0
		.amdhsa_system_sgpr_workgroup_info 0
		.amdhsa_system_vgpr_workitem_id 0
		.amdhsa_next_free_vgpr 1
		.amdhsa_next_free_sgpr 0
		.amdhsa_accum_offset 4
		.amdhsa_reserve_vcc 0
		.amdhsa_float_round_mode_32 0
		.amdhsa_float_round_mode_16_64 0
		.amdhsa_float_denorm_mode_32 3
		.amdhsa_float_denorm_mode_16_64 3
		.amdhsa_dx10_clamp 1
		.amdhsa_ieee_mode 1
		.amdhsa_fp16_overflow 0
		.amdhsa_tg_split 0
		.amdhsa_exception_fp_ieee_invalid_op 0
		.amdhsa_exception_fp_denorm_src 0
		.amdhsa_exception_fp_ieee_div_zero 0
		.amdhsa_exception_fp_ieee_overflow 0
		.amdhsa_exception_fp_ieee_underflow 0
		.amdhsa_exception_fp_ieee_inexact 0
		.amdhsa_exception_int_div_zero 0
	.end_amdhsa_kernel
	.section	.text._ZN7rocprim17ROCPRIM_400000_NS6detail17trampoline_kernelINS0_14default_configENS1_22reduce_config_selectorIiEEZNS1_11reduce_implILb1ES3_N6hipcub16HIPCUB_304000_NS22TransformInputIteratorIiN2at6native8internal21MapNumberOfTrueValuesEPKhlEEPiiNS8_6detail34convert_binary_result_type_wrapperISt4plusIvESG_iEEEE10hipError_tPvRmT1_T2_T3_mT4_P12ihipStream_tbEUlT_E1_NS1_11comp_targetILNS1_3genE0ELNS1_11target_archE4294967295ELNS1_3gpuE0ELNS1_3repE0EEENS1_30default_config_static_selectorELNS0_4arch9wavefront6targetE1EEEvSQ_,"axG",@progbits,_ZN7rocprim17ROCPRIM_400000_NS6detail17trampoline_kernelINS0_14default_configENS1_22reduce_config_selectorIiEEZNS1_11reduce_implILb1ES3_N6hipcub16HIPCUB_304000_NS22TransformInputIteratorIiN2at6native8internal21MapNumberOfTrueValuesEPKhlEEPiiNS8_6detail34convert_binary_result_type_wrapperISt4plusIvESG_iEEEE10hipError_tPvRmT1_T2_T3_mT4_P12ihipStream_tbEUlT_E1_NS1_11comp_targetILNS1_3genE0ELNS1_11target_archE4294967295ELNS1_3gpuE0ELNS1_3repE0EEENS1_30default_config_static_selectorELNS0_4arch9wavefront6targetE1EEEvSQ_,comdat
.Lfunc_end124:
	.size	_ZN7rocprim17ROCPRIM_400000_NS6detail17trampoline_kernelINS0_14default_configENS1_22reduce_config_selectorIiEEZNS1_11reduce_implILb1ES3_N6hipcub16HIPCUB_304000_NS22TransformInputIteratorIiN2at6native8internal21MapNumberOfTrueValuesEPKhlEEPiiNS8_6detail34convert_binary_result_type_wrapperISt4plusIvESG_iEEEE10hipError_tPvRmT1_T2_T3_mT4_P12ihipStream_tbEUlT_E1_NS1_11comp_targetILNS1_3genE0ELNS1_11target_archE4294967295ELNS1_3gpuE0ELNS1_3repE0EEENS1_30default_config_static_selectorELNS0_4arch9wavefront6targetE1EEEvSQ_, .Lfunc_end124-_ZN7rocprim17ROCPRIM_400000_NS6detail17trampoline_kernelINS0_14default_configENS1_22reduce_config_selectorIiEEZNS1_11reduce_implILb1ES3_N6hipcub16HIPCUB_304000_NS22TransformInputIteratorIiN2at6native8internal21MapNumberOfTrueValuesEPKhlEEPiiNS8_6detail34convert_binary_result_type_wrapperISt4plusIvESG_iEEEE10hipError_tPvRmT1_T2_T3_mT4_P12ihipStream_tbEUlT_E1_NS1_11comp_targetILNS1_3genE0ELNS1_11target_archE4294967295ELNS1_3gpuE0ELNS1_3repE0EEENS1_30default_config_static_selectorELNS0_4arch9wavefront6targetE1EEEvSQ_
                                        ; -- End function
	.section	.AMDGPU.csdata,"",@progbits
; Kernel info:
; codeLenInByte = 0
; NumSgprs: 6
; NumVgprs: 0
; NumAgprs: 0
; TotalNumVgprs: 0
; ScratchSize: 0
; MemoryBound: 0
; FloatMode: 240
; IeeeMode: 1
; LDSByteSize: 0 bytes/workgroup (compile time only)
; SGPRBlocks: 0
; VGPRBlocks: 0
; NumSGPRsForWavesPerEU: 6
; NumVGPRsForWavesPerEU: 1
; AccumOffset: 4
; Occupancy: 8
; WaveLimiterHint : 0
; COMPUTE_PGM_RSRC2:SCRATCH_EN: 0
; COMPUTE_PGM_RSRC2:USER_SGPR: 2
; COMPUTE_PGM_RSRC2:TRAP_HANDLER: 0
; COMPUTE_PGM_RSRC2:TGID_X_EN: 1
; COMPUTE_PGM_RSRC2:TGID_Y_EN: 0
; COMPUTE_PGM_RSRC2:TGID_Z_EN: 0
; COMPUTE_PGM_RSRC2:TIDIG_COMP_CNT: 0
; COMPUTE_PGM_RSRC3_GFX90A:ACCUM_OFFSET: 0
; COMPUTE_PGM_RSRC3_GFX90A:TG_SPLIT: 0
	.section	.text._ZN7rocprim17ROCPRIM_400000_NS6detail17trampoline_kernelINS0_14default_configENS1_22reduce_config_selectorIiEEZNS1_11reduce_implILb1ES3_N6hipcub16HIPCUB_304000_NS22TransformInputIteratorIiN2at6native8internal21MapNumberOfTrueValuesEPKhlEEPiiNS8_6detail34convert_binary_result_type_wrapperISt4plusIvESG_iEEEE10hipError_tPvRmT1_T2_T3_mT4_P12ihipStream_tbEUlT_E1_NS1_11comp_targetILNS1_3genE5ELNS1_11target_archE942ELNS1_3gpuE9ELNS1_3repE0EEENS1_30default_config_static_selectorELNS0_4arch9wavefront6targetE1EEEvSQ_,"axG",@progbits,_ZN7rocprim17ROCPRIM_400000_NS6detail17trampoline_kernelINS0_14default_configENS1_22reduce_config_selectorIiEEZNS1_11reduce_implILb1ES3_N6hipcub16HIPCUB_304000_NS22TransformInputIteratorIiN2at6native8internal21MapNumberOfTrueValuesEPKhlEEPiiNS8_6detail34convert_binary_result_type_wrapperISt4plusIvESG_iEEEE10hipError_tPvRmT1_T2_T3_mT4_P12ihipStream_tbEUlT_E1_NS1_11comp_targetILNS1_3genE5ELNS1_11target_archE942ELNS1_3gpuE9ELNS1_3repE0EEENS1_30default_config_static_selectorELNS0_4arch9wavefront6targetE1EEEvSQ_,comdat
	.protected	_ZN7rocprim17ROCPRIM_400000_NS6detail17trampoline_kernelINS0_14default_configENS1_22reduce_config_selectorIiEEZNS1_11reduce_implILb1ES3_N6hipcub16HIPCUB_304000_NS22TransformInputIteratorIiN2at6native8internal21MapNumberOfTrueValuesEPKhlEEPiiNS8_6detail34convert_binary_result_type_wrapperISt4plusIvESG_iEEEE10hipError_tPvRmT1_T2_T3_mT4_P12ihipStream_tbEUlT_E1_NS1_11comp_targetILNS1_3genE5ELNS1_11target_archE942ELNS1_3gpuE9ELNS1_3repE0EEENS1_30default_config_static_selectorELNS0_4arch9wavefront6targetE1EEEvSQ_ ; -- Begin function _ZN7rocprim17ROCPRIM_400000_NS6detail17trampoline_kernelINS0_14default_configENS1_22reduce_config_selectorIiEEZNS1_11reduce_implILb1ES3_N6hipcub16HIPCUB_304000_NS22TransformInputIteratorIiN2at6native8internal21MapNumberOfTrueValuesEPKhlEEPiiNS8_6detail34convert_binary_result_type_wrapperISt4plusIvESG_iEEEE10hipError_tPvRmT1_T2_T3_mT4_P12ihipStream_tbEUlT_E1_NS1_11comp_targetILNS1_3genE5ELNS1_11target_archE942ELNS1_3gpuE9ELNS1_3repE0EEENS1_30default_config_static_selectorELNS0_4arch9wavefront6targetE1EEEvSQ_
	.globl	_ZN7rocprim17ROCPRIM_400000_NS6detail17trampoline_kernelINS0_14default_configENS1_22reduce_config_selectorIiEEZNS1_11reduce_implILb1ES3_N6hipcub16HIPCUB_304000_NS22TransformInputIteratorIiN2at6native8internal21MapNumberOfTrueValuesEPKhlEEPiiNS8_6detail34convert_binary_result_type_wrapperISt4plusIvESG_iEEEE10hipError_tPvRmT1_T2_T3_mT4_P12ihipStream_tbEUlT_E1_NS1_11comp_targetILNS1_3genE5ELNS1_11target_archE942ELNS1_3gpuE9ELNS1_3repE0EEENS1_30default_config_static_selectorELNS0_4arch9wavefront6targetE1EEEvSQ_
	.p2align	8
	.type	_ZN7rocprim17ROCPRIM_400000_NS6detail17trampoline_kernelINS0_14default_configENS1_22reduce_config_selectorIiEEZNS1_11reduce_implILb1ES3_N6hipcub16HIPCUB_304000_NS22TransformInputIteratorIiN2at6native8internal21MapNumberOfTrueValuesEPKhlEEPiiNS8_6detail34convert_binary_result_type_wrapperISt4plusIvESG_iEEEE10hipError_tPvRmT1_T2_T3_mT4_P12ihipStream_tbEUlT_E1_NS1_11comp_targetILNS1_3genE5ELNS1_11target_archE942ELNS1_3gpuE9ELNS1_3repE0EEENS1_30default_config_static_selectorELNS0_4arch9wavefront6targetE1EEEvSQ_,@function
_ZN7rocprim17ROCPRIM_400000_NS6detail17trampoline_kernelINS0_14default_configENS1_22reduce_config_selectorIiEEZNS1_11reduce_implILb1ES3_N6hipcub16HIPCUB_304000_NS22TransformInputIteratorIiN2at6native8internal21MapNumberOfTrueValuesEPKhlEEPiiNS8_6detail34convert_binary_result_type_wrapperISt4plusIvESG_iEEEE10hipError_tPvRmT1_T2_T3_mT4_P12ihipStream_tbEUlT_E1_NS1_11comp_targetILNS1_3genE5ELNS1_11target_archE942ELNS1_3gpuE9ELNS1_3repE0EEENS1_30default_config_static_selectorELNS0_4arch9wavefront6targetE1EEEvSQ_: ; @_ZN7rocprim17ROCPRIM_400000_NS6detail17trampoline_kernelINS0_14default_configENS1_22reduce_config_selectorIiEEZNS1_11reduce_implILb1ES3_N6hipcub16HIPCUB_304000_NS22TransformInputIteratorIiN2at6native8internal21MapNumberOfTrueValuesEPKhlEEPiiNS8_6detail34convert_binary_result_type_wrapperISt4plusIvESG_iEEEE10hipError_tPvRmT1_T2_T3_mT4_P12ihipStream_tbEUlT_E1_NS1_11comp_targetILNS1_3genE5ELNS1_11target_archE942ELNS1_3gpuE9ELNS1_3repE0EEENS1_30default_config_static_selectorELNS0_4arch9wavefront6targetE1EEEvSQ_
; %bb.0:
	s_load_dword s33, s[0:1], 0x4
	s_load_dwordx2 s[40:41], s[0:1], 0x8
	s_load_dwordx4 s[36:39], s[0:1], 0x18
	s_waitcnt lgkmcnt(0)
	s_cmp_lt_i32 s33, 8
	s_cbranch_scc1 .LBB125_11
; %bb.1:
	s_cmp_gt_i32 s33, 15
	s_cbranch_scc0 .LBB125_12
; %bb.2:
	s_cmp_gt_i32 s33, 31
	s_cbranch_scc0 .LBB125_13
; %bb.3:
	s_cmp_eq_u32 s33, 32
	s_mov_b64 s[4:5], 0
	s_cbranch_scc0 .LBB125_14
; %bb.4:
	s_lshl_b32 s10, s2, 13
	s_lshr_b64 s[8:9], s[36:37], 13
	s_add_u32 s6, s40, s10
	s_mov_b32 s3, 0
	s_addc_u32 s7, s41, 0
	s_cmp_lg_u64 s[8:9], s[2:3]
	s_cbranch_scc0 .LBB125_23
; %bb.5:
	global_load_ubyte v4, v0, s[6:7]
	global_load_ubyte v5, v0, s[6:7] offset:512
	global_load_ubyte v6, v0, s[6:7] offset:1024
	;; [unrolled: 1-line block ×9, first 2 shown]
	v_mov_b32_e32 v1, 0
	s_movk_i32 s8, 0x1000
	v_lshl_add_u64 v[2:3], s[6:7], 0, v[0:1]
	v_add_co_u32_e32 v2, vcc, s8, v2
	s_nop 1
	v_addc_co_u32_e32 v3, vcc, 0, v3, vcc
	global_load_ubyte v1, v[2:3], off
	global_load_ubyte v14, v[2:3], off offset:512
	global_load_ubyte v15, v[2:3], off offset:1024
	;; [unrolled: 1-line block ×7, first 2 shown]
	global_load_ubyte v21, v0, s[6:7] offset:1280
	global_load_ubyte v22, v0, s[6:7] offset:1792
	;; [unrolled: 1-line block ×6, first 2 shown]
	global_load_ubyte v27, v[2:3], off offset:256
	global_load_ubyte v28, v[2:3], off offset:768
	;; [unrolled: 1-line block ×8, first 2 shown]
	s_waitcnt vmcnt(31)
	v_cmp_ne_u16_e32 vcc, 0, v4
	s_nop 1
	v_cndmask_b32_e64 v2, 0, 1, vcc
	s_waitcnt vmcnt(30)
	v_cmp_ne_u16_e32 vcc, 0, v5
	s_nop 1
	v_cndmask_b32_e64 v3, 0, 1, vcc
	;; [unrolled: 4-line block ×8, first 2 shown]
	v_cmp_ne_u16_e32 vcc, 0, v10
	s_nop 1
	v_addc_co_u32_e32 v2, vcc, 0, v2, vcc
	v_cmp_ne_u16_e32 vcc, 0, v12
	s_nop 1
	v_addc_co_u32_e32 v2, vcc, v2, v3, vcc
	s_waitcnt vmcnt(21)
	v_cmp_ne_u16_e32 vcc, 0, v1
	s_nop 1
	v_cndmask_b32_e64 v1, 0, 1, vcc
	s_waitcnt vmcnt(20)
	v_cmp_ne_u16_e32 vcc, 0, v14
	s_nop 1
	v_cndmask_b32_e64 v3, 0, 1, vcc
	;; [unrolled: 4-line block ×8, first 2 shown]
	s_waitcnt vmcnt(13)
	v_cmp_ne_u16_e32 vcc, 0, v21
	s_nop 1
	v_addc_co_u32_e32 v2, vcc, v2, v4, vcc
	s_waitcnt vmcnt(12)
	v_cmp_ne_u16_e32 vcc, 0, v22
	s_nop 1
	v_addc_co_u32_e32 v2, vcc, v2, v5, vcc
	;; [unrolled: 4-line block ×7, first 2 shown]
	s_waitcnt vmcnt(6)
	v_cmp_ne_u16_e32 vcc, 0, v28
	v_mbcnt_lo_u32_b32 v2, -1, 0
	v_mbcnt_hi_u32_b32 v2, -1, v2
	v_addc_co_u32_e32 v1, vcc, v1, v3, vcc
	s_waitcnt vmcnt(5)
	v_cmp_ne_u16_e32 vcc, 0, v29
	v_bfrev_b32_e32 v3, 0.5
	v_lshl_or_b32 v3, v2, 2, v3
	v_addc_co_u32_e32 v1, vcc, v1, v10, vcc
	s_waitcnt vmcnt(4)
	v_cmp_ne_u16_e32 vcc, 0, v30
	s_nop 1
	v_addc_co_u32_e32 v1, vcc, v1, v11, vcc
	s_waitcnt vmcnt(3)
	v_cmp_ne_u16_e32 vcc, 0, v31
	s_nop 1
	;; [unrolled: 4-line block ×5, first 2 shown]
	v_addc_co_u32_e32 v1, vcc, v1, v15, vcc
	v_cmp_eq_u32_e32 vcc, 0, v2
	s_nop 0
	v_add_u32_dpp v1, v1, v1 quad_perm:[1,0,3,2] row_mask:0xf bank_mask:0xf bound_ctrl:1
	s_nop 1
	v_add_u32_dpp v1, v1, v1 quad_perm:[2,3,0,1] row_mask:0xf bank_mask:0xf bound_ctrl:1
	s_nop 1
	v_add_u32_dpp v1, v1, v1 row_ror:4 row_mask:0xf bank_mask:0xf bound_ctrl:1
	s_nop 1
	v_add_u32_dpp v1, v1, v1 row_ror:8 row_mask:0xf bank_mask:0xf bound_ctrl:1
	s_nop 1
	v_add_u32_dpp v1, v1, v1 row_bcast:15 row_mask:0xf bank_mask:0xf bound_ctrl:1
	s_nop 1
	v_add_u32_dpp v1, v1, v1 row_bcast:31 row_mask:0xf bank_mask:0xf bound_ctrl:1
	ds_bpermute_b32 v1, v3, v1
	s_and_saveexec_b64 s[8:9], vcc
	s_cbranch_execz .LBB125_7
; %bb.6:
	v_lshrrev_b32_e32 v3, 4, v0
	v_and_b32_e32 v3, 12, v3
	s_waitcnt lgkmcnt(0)
	ds_write_b32 v3, v1 offset:48
.LBB125_7:
	s_or_b64 exec, exec, s[8:9]
	v_cmp_gt_u32_e32 vcc, 64, v0
	s_waitcnt lgkmcnt(0)
	s_barrier
	s_and_saveexec_b64 s[8:9], vcc
	s_cbranch_execz .LBB125_9
; %bb.8:
	v_and_b32_e32 v1, 3, v2
	v_lshlrev_b32_e32 v3, 2, v1
	ds_read_b32 v3, v3 offset:48
	v_cmp_ne_u32_e32 vcc, 3, v1
	s_nop 1
	v_addc_co_u32_e32 v4, vcc, 0, v2, vcc
	v_lshlrev_b32_e32 v4, 2, v4
	s_waitcnt lgkmcnt(0)
	ds_bpermute_b32 v4, v4, v3
	v_cmp_gt_u32_e32 vcc, 2, v1
	s_waitcnt lgkmcnt(0)
	v_add_u32_e32 v3, v4, v3
	v_cndmask_b32_e64 v1, 0, 1, vcc
	v_lshlrev_b32_e32 v1, 1, v1
	v_add_lshl_u32 v1, v1, v2, 2
	ds_bpermute_b32 v1, v1, v3
	s_waitcnt lgkmcnt(0)
	v_add_u32_e32 v1, v1, v3
.LBB125_9:
	s_or_b64 exec, exec, s[8:9]
.LBB125_10:
	v_cmp_eq_u32_e64 s[6:7], 0, v0
	s_and_b64 vcc, exec, s[4:5]
	s_cbranch_vccnz .LBB125_15
	s_branch .LBB125_93
.LBB125_11:
	s_mov_b64 s[6:7], 0
                                        ; implicit-def: $vgpr1
	s_cbranch_execnz .LBB125_166
	s_branch .LBB125_224
.LBB125_12:
	s_mov_b64 s[6:7], 0
                                        ; implicit-def: $vgpr1
	s_cbranch_execnz .LBB125_134
	s_branch .LBB125_142
.LBB125_13:
	s_mov_b64 s[4:5], -1
.LBB125_14:
	s_mov_b64 s[6:7], 0
                                        ; implicit-def: $vgpr1
	s_and_b64 vcc, exec, s[4:5]
	s_cbranch_vccz .LBB125_93
.LBB125_15:
	s_cmp_eq_u32 s33, 16
	s_cbranch_scc0 .LBB125_22
; %bb.16:
	s_lshl_b32 s6, s2, 12
	s_lshr_b64 s[4:5], s[36:37], 12
	s_add_u32 s34, s40, s6
	s_mov_b32 s3, 0
	s_addc_u32 s35, s41, 0
	s_cmp_lg_u64 s[4:5], s[2:3]
	s_cbranch_scc0 .LBB125_94
; %bb.17:
	global_load_ubyte v1, v0, s[34:35]
	global_load_ubyte v3, v0, s[34:35] offset:512
	global_load_ubyte v4, v0, s[34:35] offset:1024
	;; [unrolled: 1-line block ×15, first 2 shown]
	v_mbcnt_lo_u32_b32 v2, -1, 0
	v_bfrev_b32_e32 v18, 0.5
	v_mbcnt_hi_u32_b32 v2, -1, v2
	s_waitcnt vmcnt(15)
	v_cmp_ne_u16_e32 vcc, 0, v1
	s_nop 1
	v_cndmask_b32_e64 v1, 0, 1, vcc
	s_waitcnt vmcnt(14)
	v_cmp_ne_u16_e32 vcc, 0, v3
	s_nop 1
	v_cndmask_b32_e64 v3, 0, 1, vcc
	;; [unrolled: 4-line block ×8, first 2 shown]
	s_waitcnt vmcnt(7)
	v_cmp_ne_u16_e32 vcc, 0, v10
	s_nop 1
	v_addc_co_u32_e32 v1, vcc, 0, v1, vcc
	s_waitcnt vmcnt(6)
	v_cmp_ne_u16_e32 vcc, 0, v11
	s_nop 1
	v_addc_co_u32_e32 v1, vcc, v1, v3, vcc
	s_waitcnt vmcnt(5)
	v_cmp_ne_u16_e32 vcc, 0, v12
	v_lshl_or_b32 v3, v2, 2, v18
	s_nop 0
	v_addc_co_u32_e32 v1, vcc, v1, v4, vcc
	s_waitcnt vmcnt(4)
	v_cmp_ne_u16_e32 vcc, 0, v13
	s_nop 1
	v_addc_co_u32_e32 v1, vcc, v1, v5, vcc
	s_waitcnt vmcnt(3)
	v_cmp_ne_u16_e32 vcc, 0, v14
	;; [unrolled: 4-line block ×5, first 2 shown]
	s_nop 1
	v_addc_co_u32_e32 v1, vcc, v1, v9, vcc
	v_cmp_eq_u32_e32 vcc, 0, v2
	s_nop 0
	v_add_u32_dpp v1, v1, v1 quad_perm:[1,0,3,2] row_mask:0xf bank_mask:0xf bound_ctrl:1
	s_nop 1
	v_add_u32_dpp v1, v1, v1 quad_perm:[2,3,0,1] row_mask:0xf bank_mask:0xf bound_ctrl:1
	s_nop 1
	v_add_u32_dpp v1, v1, v1 row_ror:4 row_mask:0xf bank_mask:0xf bound_ctrl:1
	s_nop 1
	v_add_u32_dpp v1, v1, v1 row_ror:8 row_mask:0xf bank_mask:0xf bound_ctrl:1
	s_nop 1
	v_add_u32_dpp v1, v1, v1 row_bcast:15 row_mask:0xf bank_mask:0xf bound_ctrl:1
	s_nop 1
	v_add_u32_dpp v1, v1, v1 row_bcast:31 row_mask:0xf bank_mask:0xf bound_ctrl:1
	ds_bpermute_b32 v1, v3, v1
	s_and_saveexec_b64 s[4:5], vcc
	s_cbranch_execz .LBB125_19
; %bb.18:
	v_lshrrev_b32_e32 v3, 4, v0
	v_and_b32_e32 v3, 12, v3
	s_waitcnt lgkmcnt(0)
	ds_write_b32 v3, v1
.LBB125_19:
	s_or_b64 exec, exec, s[4:5]
	v_cmp_gt_u32_e32 vcc, 64, v0
	s_waitcnt lgkmcnt(0)
	s_barrier
	s_and_saveexec_b64 s[4:5], vcc
	s_cbranch_execz .LBB125_21
; %bb.20:
	v_and_b32_e32 v1, 3, v2
	v_lshlrev_b32_e32 v3, 2, v1
	ds_read_b32 v3, v3
	v_cmp_ne_u32_e32 vcc, 3, v1
	s_nop 1
	v_addc_co_u32_e32 v4, vcc, 0, v2, vcc
	v_lshlrev_b32_e32 v4, 2, v4
	s_waitcnt lgkmcnt(0)
	ds_bpermute_b32 v4, v4, v3
	v_cmp_gt_u32_e32 vcc, 2, v1
	s_waitcnt lgkmcnt(0)
	v_add_u32_e32 v3, v4, v3
	v_cndmask_b32_e64 v1, 0, 1, vcc
	v_lshlrev_b32_e32 v1, 1, v1
	v_add_lshl_u32 v1, v1, v2, 2
	ds_bpermute_b32 v1, v1, v3
	s_waitcnt lgkmcnt(0)
	v_add_u32_e32 v1, v1, v3
.LBB125_21:
	s_or_b64 exec, exec, s[4:5]
	s_mov_b64 s[4:5], 0
	s_branch .LBB125_95
.LBB125_22:
                                        ; implicit-def: $vgpr1
	s_branch .LBB125_142
.LBB125_23:
                                        ; implicit-def: $vgpr1
	s_cbranch_execz .LBB125_10
; %bb.24:
	s_sub_i32 s10, s36, s10
	v_cmp_gt_u32_e32 vcc, s10, v0
                                        ; implicit-def: $vgpr1
	s_and_saveexec_b64 s[8:9], vcc
	s_cbranch_execz .LBB125_26
; %bb.25:
	global_load_ubyte v1, v0, s[6:7]
	s_waitcnt vmcnt(0)
	v_cmp_ne_u16_e32 vcc, 0, v1
	s_nop 1
	v_cndmask_b32_e64 v1, 0, 1, vcc
.LBB125_26:
	s_or_b64 exec, exec, s[8:9]
	v_or_b32_e32 v2, 0x100, v0
	v_cmp_gt_u32_e32 vcc, s10, v2
	v_mov_b32_e32 v2, 0
	v_mov_b32_e32 v3, 0
	s_and_saveexec_b64 s[8:9], vcc
	s_cbranch_execz .LBB125_28
; %bb.27:
	global_load_ubyte v3, v0, s[6:7] offset:256
	s_waitcnt vmcnt(0)
	v_cmp_ne_u16_e32 vcc, 0, v3
	s_nop 1
	v_cndmask_b32_e64 v3, 0, 1, vcc
.LBB125_28:
	s_or_b64 exec, exec, s[8:9]
	v_or_b32_e32 v4, 0x200, v0
	v_cmp_gt_u32_e32 vcc, s10, v4
	s_and_saveexec_b64 s[8:9], vcc
	s_cbranch_execz .LBB125_30
; %bb.29:
	global_load_ubyte v2, v0, s[6:7] offset:512
	s_waitcnt vmcnt(0)
	v_cmp_ne_u16_e32 vcc, 0, v2
	s_nop 1
	v_cndmask_b32_e64 v2, 0, 1, vcc
.LBB125_30:
	s_or_b64 exec, exec, s[8:9]
	v_or_b32_e32 v4, 0x300, v0
	v_cmp_gt_u32_e32 vcc, s10, v4
	v_mov_b32_e32 v4, 0
	v_mov_b32_e32 v5, 0
	s_and_saveexec_b64 s[8:9], vcc
	s_cbranch_execz .LBB125_32
; %bb.31:
	global_load_ubyte v5, v0, s[6:7] offset:768
	s_waitcnt vmcnt(0)
	v_cmp_ne_u16_e32 vcc, 0, v5
	s_nop 1
	v_cndmask_b32_e64 v5, 0, 1, vcc
.LBB125_32:
	s_or_b64 exec, exec, s[8:9]
	v_or_b32_e32 v6, 0x400, v0
	v_cmp_gt_u32_e32 vcc, s10, v6
	s_and_saveexec_b64 s[8:9], vcc
	s_cbranch_execz .LBB125_34
; %bb.33:
	global_load_ubyte v4, v0, s[6:7] offset:1024
	s_waitcnt vmcnt(0)
	v_cmp_ne_u16_e32 vcc, 0, v4
	s_nop 1
	v_cndmask_b32_e64 v4, 0, 1, vcc
.LBB125_34:
	;; [unrolled: 26-line block ×7, first 2 shown]
	s_or_b64 exec, exec, s[8:9]
	v_or_b32_e32 v16, 0xf00, v0
	v_cmp_gt_u32_e32 vcc, s10, v16
	v_mov_b32_e32 v16, 0
	v_mov_b32_e32 v17, 0
	s_and_saveexec_b64 s[8:9], vcc
	s_cbranch_execz .LBB125_56
; %bb.55:
	global_load_ubyte v17, v0, s[6:7] offset:3840
	s_waitcnt vmcnt(0)
	v_cmp_ne_u16_e32 vcc, 0, v17
	s_nop 1
	v_cndmask_b32_e64 v17, 0, 1, vcc
.LBB125_56:
	s_or_b64 exec, exec, s[8:9]
	v_or_b32_e32 v18, 0x1000, v0
	v_cmp_gt_u32_e32 vcc, s10, v18
	s_and_saveexec_b64 s[8:9], vcc
	s_cbranch_execz .LBB125_58
; %bb.57:
	global_load_ubyte v16, v18, s[6:7]
	s_waitcnt vmcnt(0)
	v_cmp_ne_u16_e32 vcc, 0, v16
	s_nop 1
	v_cndmask_b32_e64 v16, 0, 1, vcc
.LBB125_58:
	s_or_b64 exec, exec, s[8:9]
	v_or_b32_e32 v20, 0x1100, v0
	v_cmp_gt_u32_e32 vcc, s10, v20
	v_mov_b32_e32 v18, 0
	v_mov_b32_e32 v19, 0
	s_and_saveexec_b64 s[8:9], vcc
	s_cbranch_execz .LBB125_60
; %bb.59:
	global_load_ubyte v19, v20, s[6:7]
	s_waitcnt vmcnt(0)
	v_cmp_ne_u16_e32 vcc, 0, v19
	s_nop 1
	v_cndmask_b32_e64 v19, 0, 1, vcc
.LBB125_60:
	s_or_b64 exec, exec, s[8:9]
	v_or_b32_e32 v20, 0x1200, v0
	v_cmp_gt_u32_e32 vcc, s10, v20
	s_and_saveexec_b64 s[8:9], vcc
	s_cbranch_execz .LBB125_62
; %bb.61:
	global_load_ubyte v18, v20, s[6:7]
	s_waitcnt vmcnt(0)
	v_cmp_ne_u16_e32 vcc, 0, v18
	s_nop 1
	v_cndmask_b32_e64 v18, 0, 1, vcc
.LBB125_62:
	s_or_b64 exec, exec, s[8:9]
	v_or_b32_e32 v22, 0x1300, v0
	v_cmp_gt_u32_e32 vcc, s10, v22
	v_mov_b32_e32 v20, 0
	v_mov_b32_e32 v21, 0
	s_and_saveexec_b64 s[8:9], vcc
	s_cbranch_execz .LBB125_64
; %bb.63:
	global_load_ubyte v21, v22, s[6:7]
	s_waitcnt vmcnt(0)
	v_cmp_ne_u16_e32 vcc, 0, v21
	s_nop 1
	v_cndmask_b32_e64 v21, 0, 1, vcc
.LBB125_64:
	;; [unrolled: 26-line block ×7, first 2 shown]
	s_or_b64 exec, exec, s[8:9]
	v_or_b32_e32 v32, 0x1e00, v0
	v_cmp_gt_u32_e32 vcc, s10, v32
	s_and_saveexec_b64 s[8:9], vcc
	s_cbranch_execz .LBB125_86
; %bb.85:
	global_load_ubyte v30, v32, s[6:7]
	s_waitcnt vmcnt(0)
	v_cmp_ne_u16_e32 vcc, 0, v30
	s_nop 1
	v_cndmask_b32_e64 v30, 0, 1, vcc
.LBB125_86:
	s_or_b64 exec, exec, s[8:9]
	v_or_b32_e32 v33, 0x1f00, v0
	v_cmp_gt_u32_e32 vcc, s10, v33
	v_mov_b32_e32 v32, 0
	s_and_saveexec_b64 s[8:9], vcc
	s_cbranch_execz .LBB125_88
; %bb.87:
	global_load_ubyte v32, v33, s[6:7]
	s_waitcnt vmcnt(0)
	v_cmp_ne_u16_e32 vcc, 0, v32
	s_nop 1
	v_cndmask_b32_e64 v32, 0, 1, vcc
.LBB125_88:
	s_or_b64 exec, exec, s[8:9]
	v_add_u32_e32 v1, v3, v1
	v_add3_u32 v1, v1, v2, v5
	v_add3_u32 v1, v1, v4, v7
	;; [unrolled: 1-line block ×10, first 2 shown]
	v_mbcnt_lo_u32_b32 v2, -1, 0
	v_add3_u32 v1, v1, v22, v25
	v_mbcnt_hi_u32_b32 v2, -1, v2
	v_add3_u32 v1, v1, v24, v27
	v_and_b32_e32 v3, 63, v2
	v_add3_u32 v1, v1, v26, v29
	v_cmp_ne_u32_e32 vcc, 63, v3
	v_add3_u32 v1, v1, v28, v31
	v_add3_u32 v1, v1, v30, v32
	v_addc_co_u32_e32 v4, vcc, 0, v2, vcc
	v_lshlrev_b32_e32 v4, 2, v4
	ds_bpermute_b32 v4, v4, v1
	s_min_u32 s8, s10, 0x100
	v_and_b32_e32 v5, 0xc0, v0
	v_sub_u32_e64 v5, s8, v5 clamp
	v_add_u32_e32 v6, 1, v3
	v_cmp_lt_u32_e32 vcc, v6, v5
	v_add_u32_e32 v6, 2, v3
	s_waitcnt lgkmcnt(0)
	v_cndmask_b32_e32 v4, 0, v4, vcc
	v_cmp_gt_u32_e32 vcc, 62, v3
	v_add_u32_e32 v1, v4, v1
	s_nop 0
	v_cndmask_b32_e64 v4, 0, 1, vcc
	v_lshlrev_b32_e32 v4, 1, v4
	v_add_lshl_u32 v4, v4, v2, 2
	ds_bpermute_b32 v4, v4, v1
	v_cmp_lt_u32_e32 vcc, v6, v5
	v_add_u32_e32 v6, 4, v3
	s_waitcnt lgkmcnt(0)
	v_cndmask_b32_e32 v4, 0, v4, vcc
	v_cmp_gt_u32_e32 vcc, 60, v3
	v_add_u32_e32 v1, v1, v4
	s_nop 0
	v_cndmask_b32_e64 v4, 0, 1, vcc
	v_lshlrev_b32_e32 v4, 2, v4
	v_add_lshl_u32 v4, v4, v2, 2
	ds_bpermute_b32 v4, v4, v1
	;; [unrolled: 11-line block ×4, first 2 shown]
	v_cmp_lt_u32_e32 vcc, v6, v5
	s_waitcnt lgkmcnt(0)
	s_nop 0
	v_cndmask_b32_e32 v4, 0, v4, vcc
	v_cmp_gt_u32_e32 vcc, 32, v3
	v_add_u32_e32 v1, v1, v4
	v_add_u32_e32 v3, 32, v3
	v_cndmask_b32_e64 v4, 0, 1, vcc
	v_lshlrev_b32_e32 v4, 5, v4
	v_add_lshl_u32 v4, v4, v2, 2
	ds_bpermute_b32 v4, v4, v1
	v_cmp_lt_u32_e32 vcc, v3, v5
	s_waitcnt lgkmcnt(0)
	s_nop 0
	v_cndmask_b32_e32 v3, 0, v4, vcc
	v_add_u32_e32 v1, v1, v3
	v_cmp_eq_u32_e32 vcc, 0, v2
	s_and_saveexec_b64 s[6:7], vcc
	s_cbranch_execz .LBB125_90
; %bb.89:
	v_lshrrev_b32_e32 v3, 4, v0
	v_and_b32_e32 v3, 12, v3
	ds_write_b32 v3, v1 offset:96
.LBB125_90:
	s_or_b64 exec, exec, s[6:7]
	v_cmp_gt_u32_e32 vcc, 4, v0
	s_waitcnt lgkmcnt(0)
	s_barrier
	s_and_saveexec_b64 s[6:7], vcc
	s_cbranch_execz .LBB125_92
; %bb.91:
	v_lshlrev_b32_e32 v1, 2, v2
	ds_read_b32 v1, v1 offset:96
	v_and_b32_e32 v3, 3, v2
	v_cmp_ne_u32_e32 vcc, 3, v3
	s_add_i32 s8, s8, 63
	s_lshr_b32 s8, s8, 6
	v_addc_co_u32_e32 v4, vcc, 0, v2, vcc
	v_lshlrev_b32_e32 v4, 2, v4
	s_waitcnt lgkmcnt(0)
	ds_bpermute_b32 v4, v4, v1
	v_add_u32_e32 v5, 1, v3
	v_cmp_gt_u32_e32 vcc, s8, v5
	s_waitcnt lgkmcnt(0)
	s_nop 0
	v_cndmask_b32_e32 v4, 0, v4, vcc
	v_cmp_gt_u32_e32 vcc, 2, v3
	v_add_u32_e32 v1, v4, v1
	v_add_u32_e32 v3, 2, v3
	v_cndmask_b32_e64 v4, 0, 1, vcc
	v_lshlrev_b32_e32 v4, 1, v4
	v_add_lshl_u32 v2, v4, v2, 2
	ds_bpermute_b32 v2, v2, v1
	v_cmp_gt_u32_e32 vcc, s8, v3
	s_waitcnt lgkmcnt(0)
	s_nop 0
	v_cndmask_b32_e32 v2, 0, v2, vcc
	v_add_u32_e32 v1, v1, v2
.LBB125_92:
	s_or_b64 exec, exec, s[6:7]
	v_cmp_eq_u32_e64 s[6:7], 0, v0
	s_and_b64 vcc, exec, s[4:5]
	s_cbranch_vccnz .LBB125_15
.LBB125_93:
	s_branch .LBB125_142
.LBB125_94:
	s_mov_b64 s[4:5], -1
                                        ; implicit-def: $vgpr1
.LBB125_95:
	s_and_b64 vcc, exec, s[4:5]
	s_cbranch_vccz .LBB125_133
; %bb.96:
	s_sub_i32 s44, s36, s6
	v_cmp_gt_u32_e32 vcc, s44, v0
                                        ; implicit-def: $vgpr2_vgpr3_vgpr4_vgpr5_vgpr6_vgpr7_vgpr8_vgpr9_vgpr10_vgpr11_vgpr12_vgpr13_vgpr14_vgpr15_vgpr16_vgpr17
	s_and_saveexec_b64 s[4:5], vcc
	s_cbranch_execz .LBB125_98
; %bb.97:
	global_load_ubyte v1, v0, s[34:35]
	s_waitcnt vmcnt(0)
	v_cmp_ne_u16_e32 vcc, 0, v1
	s_nop 1
	v_cndmask_b32_e64 v2, 0, 1, vcc
.LBB125_98:
	s_or_b64 exec, exec, s[4:5]
	v_or_b32_e32 v1, 0x100, v0
	v_cmp_gt_u32_e32 vcc, s44, v1
	s_and_saveexec_b64 s[6:7], vcc
	s_cbranch_execz .LBB125_100
; %bb.99:
	global_load_ubyte v1, v0, s[34:35] offset:256
	s_waitcnt vmcnt(0)
	v_cmp_ne_u16_e64 s[4:5], 0, v1
	s_nop 1
	v_cndmask_b32_e64 v3, 0, 1, s[4:5]
.LBB125_100:
	s_or_b64 exec, exec, s[6:7]
	v_or_b32_e32 v1, 0x200, v0
	v_cmp_gt_u32_e64 s[4:5], s44, v1
	s_and_saveexec_b64 s[8:9], s[4:5]
	s_cbranch_execz .LBB125_102
; %bb.101:
	global_load_ubyte v1, v0, s[34:35] offset:512
	s_waitcnt vmcnt(0)
	v_cmp_ne_u16_e64 s[6:7], 0, v1
	s_nop 1
	v_cndmask_b32_e64 v4, 0, 1, s[6:7]
.LBB125_102:
	s_or_b64 exec, exec, s[8:9]
	v_or_b32_e32 v1, 0x300, v0
	v_cmp_gt_u32_e64 s[6:7], s44, v1
	s_and_saveexec_b64 s[10:11], s[6:7]
	;; [unrolled: 12-line block ×14, first 2 shown]
	s_cbranch_execz .LBB125_128
; %bb.127:
	global_load_ubyte v1, v0, s[34:35] offset:3840
	s_waitcnt vmcnt(0)
	v_cmp_ne_u16_e64 s[34:35], 0, v1
	s_nop 1
	v_cndmask_b32_e64 v17, 0, 1, s[34:35]
.LBB125_128:
	s_or_b64 exec, exec, s[42:43]
	v_cndmask_b32_e32 v1, 0, v3, vcc
	v_add_u32_e32 v1, v1, v2
	v_cndmask_b32_e64 v2, 0, v4, s[4:5]
	v_cndmask_b32_e64 v3, 0, v5, s[6:7]
	v_add3_u32 v1, v1, v2, v3
	v_cndmask_b32_e64 v2, 0, v6, s[8:9]
	v_cndmask_b32_e64 v3, 0, v7, s[10:11]
	v_add3_u32 v1, v1, v2, v3
	;; [unrolled: 3-line block ×7, first 2 shown]
	v_mbcnt_lo_u32_b32 v2, -1, 0
	v_mbcnt_hi_u32_b32 v2, -1, v2
	v_and_b32_e32 v3, 63, v2
	v_cmp_ne_u32_e32 vcc, 63, v3
	s_min_u32 s6, s44, 0x100
	v_and_b32_e32 v5, 0xc0, v0
	v_addc_co_u32_e32 v4, vcc, 0, v2, vcc
	v_lshlrev_b32_e32 v4, 2, v4
	ds_bpermute_b32 v4, v4, v1
	v_sub_u32_e64 v5, s6, v5 clamp
	v_add_u32_e32 v6, 1, v3
	v_cmp_lt_u32_e32 vcc, v6, v5
	v_add_u32_e32 v6, 2, v3
	s_waitcnt lgkmcnt(0)
	v_cndmask_b32_e32 v4, 0, v4, vcc
	v_cmp_gt_u32_e32 vcc, 62, v3
	v_add_u32_e32 v1, v1, v4
	s_nop 0
	v_cndmask_b32_e64 v4, 0, 1, vcc
	v_lshlrev_b32_e32 v4, 1, v4
	v_add_lshl_u32 v4, v4, v2, 2
	ds_bpermute_b32 v4, v4, v1
	v_cmp_lt_u32_e32 vcc, v6, v5
	v_add_u32_e32 v6, 4, v3
	s_waitcnt lgkmcnt(0)
	v_cndmask_b32_e32 v4, 0, v4, vcc
	v_cmp_gt_u32_e32 vcc, 60, v3
	v_add_u32_e32 v1, v1, v4
	s_nop 0
	v_cndmask_b32_e64 v4, 0, 1, vcc
	v_lshlrev_b32_e32 v4, 2, v4
	v_add_lshl_u32 v4, v4, v2, 2
	ds_bpermute_b32 v4, v4, v1
	;; [unrolled: 11-line block ×4, first 2 shown]
	v_cmp_lt_u32_e32 vcc, v6, v5
	s_waitcnt lgkmcnt(0)
	s_nop 0
	v_cndmask_b32_e32 v4, 0, v4, vcc
	v_cmp_gt_u32_e32 vcc, 32, v3
	v_add_u32_e32 v1, v1, v4
	v_add_u32_e32 v3, 32, v3
	v_cndmask_b32_e64 v4, 0, 1, vcc
	v_lshlrev_b32_e32 v4, 5, v4
	v_add_lshl_u32 v4, v4, v2, 2
	ds_bpermute_b32 v4, v4, v1
	v_cmp_lt_u32_e32 vcc, v3, v5
	s_waitcnt lgkmcnt(0)
	s_nop 0
	v_cndmask_b32_e32 v3, 0, v4, vcc
	v_add_u32_e32 v1, v1, v3
	v_cmp_eq_u32_e32 vcc, 0, v2
	s_and_saveexec_b64 s[4:5], vcc
	s_cbranch_execz .LBB125_130
; %bb.129:
	v_lshrrev_b32_e32 v3, 4, v0
	v_and_b32_e32 v3, 12, v3
	ds_write_b32 v3, v1 offset:96
.LBB125_130:
	s_or_b64 exec, exec, s[4:5]
	v_cmp_gt_u32_e32 vcc, 4, v0
	s_waitcnt lgkmcnt(0)
	s_barrier
	s_and_saveexec_b64 s[4:5], vcc
	s_cbranch_execz .LBB125_132
; %bb.131:
	v_lshlrev_b32_e32 v1, 2, v2
	ds_read_b32 v1, v1 offset:96
	v_and_b32_e32 v3, 3, v2
	v_cmp_ne_u32_e32 vcc, 3, v3
	s_add_i32 s6, s6, 63
	s_lshr_b32 s6, s6, 6
	v_addc_co_u32_e32 v4, vcc, 0, v2, vcc
	v_lshlrev_b32_e32 v4, 2, v4
	s_waitcnt lgkmcnt(0)
	ds_bpermute_b32 v4, v4, v1
	v_add_u32_e32 v5, 1, v3
	v_cmp_gt_u32_e32 vcc, s6, v5
	s_waitcnt lgkmcnt(0)
	s_nop 0
	v_cndmask_b32_e32 v4, 0, v4, vcc
	v_cmp_gt_u32_e32 vcc, 2, v3
	v_add_u32_e32 v1, v4, v1
	v_add_u32_e32 v3, 2, v3
	v_cndmask_b32_e64 v4, 0, 1, vcc
	v_lshlrev_b32_e32 v4, 1, v4
	v_add_lshl_u32 v2, v4, v2, 2
	ds_bpermute_b32 v2, v2, v1
	v_cmp_gt_u32_e32 vcc, s6, v3
	s_waitcnt lgkmcnt(0)
	s_nop 0
	v_cndmask_b32_e32 v2, 0, v2, vcc
	v_add_u32_e32 v1, v1, v2
.LBB125_132:
	s_or_b64 exec, exec, s[4:5]
.LBB125_133:
	v_cmp_eq_u32_e64 s[6:7], 0, v0
	s_branch .LBB125_142
.LBB125_134:
	s_cmp_eq_u32 s33, 8
	s_cbranch_scc0 .LBB125_141
; %bb.135:
	s_lshl_b32 s6, s2, 11
	s_lshr_b64 s[4:5], s[36:37], 11
	s_add_u32 s16, s40, s6
	s_mov_b32 s3, 0
	s_addc_u32 s17, s41, 0
	s_cmp_lg_u64 s[4:5], s[2:3]
	s_cbranch_scc0 .LBB125_143
; %bb.136:
	global_load_ubyte v1, v0, s[16:17]
	global_load_ubyte v3, v0, s[16:17] offset:512
	global_load_ubyte v4, v0, s[16:17] offset:1024
	;; [unrolled: 1-line block ×7, first 2 shown]
	v_mbcnt_lo_u32_b32 v2, -1, 0
	v_bfrev_b32_e32 v10, 0.5
	v_mbcnt_hi_u32_b32 v2, -1, v2
	s_waitcnt vmcnt(7)
	v_cmp_ne_u16_e32 vcc, 0, v1
	s_nop 1
	v_cndmask_b32_e64 v1, 0, 1, vcc
	s_waitcnt vmcnt(6)
	v_cmp_ne_u16_e32 vcc, 0, v3
	s_nop 1
	v_cndmask_b32_e64 v3, 0, 1, vcc
	;; [unrolled: 4-line block ×4, first 2 shown]
	s_waitcnt vmcnt(3)
	v_cmp_ne_u16_e32 vcc, 0, v6
	s_nop 1
	v_addc_co_u32_e32 v1, vcc, 0, v1, vcc
	s_waitcnt vmcnt(2)
	v_cmp_ne_u16_e32 vcc, 0, v7
	s_nop 1
	v_addc_co_u32_e32 v1, vcc, v1, v3, vcc
	s_waitcnt vmcnt(1)
	v_cmp_ne_u16_e32 vcc, 0, v8
	v_lshl_or_b32 v3, v2, 2, v10
	s_nop 0
	v_addc_co_u32_e32 v1, vcc, v1, v4, vcc
	s_waitcnt vmcnt(0)
	v_cmp_ne_u16_e32 vcc, 0, v9
	s_nop 1
	v_addc_co_u32_e32 v1, vcc, v1, v5, vcc
	v_cmp_eq_u32_e32 vcc, 0, v2
	s_nop 0
	v_add_u32_dpp v1, v1, v1 quad_perm:[1,0,3,2] row_mask:0xf bank_mask:0xf bound_ctrl:1
	s_nop 1
	v_add_u32_dpp v1, v1, v1 quad_perm:[2,3,0,1] row_mask:0xf bank_mask:0xf bound_ctrl:1
	s_nop 1
	v_add_u32_dpp v1, v1, v1 row_ror:4 row_mask:0xf bank_mask:0xf bound_ctrl:1
	s_nop 1
	v_add_u32_dpp v1, v1, v1 row_ror:8 row_mask:0xf bank_mask:0xf bound_ctrl:1
	s_nop 1
	v_add_u32_dpp v1, v1, v1 row_bcast:15 row_mask:0xf bank_mask:0xf bound_ctrl:1
	s_nop 1
	v_add_u32_dpp v1, v1, v1 row_bcast:31 row_mask:0xf bank_mask:0xf bound_ctrl:1
	ds_bpermute_b32 v1, v3, v1
	s_and_saveexec_b64 s[4:5], vcc
	s_cbranch_execz .LBB125_138
; %bb.137:
	v_lshrrev_b32_e32 v3, 4, v0
	v_and_b32_e32 v3, 12, v3
	s_waitcnt lgkmcnt(0)
	ds_write_b32 v3, v1 offset:80
.LBB125_138:
	s_or_b64 exec, exec, s[4:5]
	v_cmp_gt_u32_e32 vcc, 64, v0
	s_waitcnt lgkmcnt(0)
	s_barrier
	s_and_saveexec_b64 s[4:5], vcc
	s_cbranch_execz .LBB125_140
; %bb.139:
	v_and_b32_e32 v1, 3, v2
	v_lshlrev_b32_e32 v3, 2, v1
	ds_read_b32 v3, v3 offset:80
	v_cmp_ne_u32_e32 vcc, 3, v1
	s_nop 1
	v_addc_co_u32_e32 v4, vcc, 0, v2, vcc
	v_lshlrev_b32_e32 v4, 2, v4
	s_waitcnt lgkmcnt(0)
	ds_bpermute_b32 v4, v4, v3
	v_cmp_gt_u32_e32 vcc, 2, v1
	s_waitcnt lgkmcnt(0)
	v_add_u32_e32 v3, v4, v3
	v_cndmask_b32_e64 v1, 0, 1, vcc
	v_lshlrev_b32_e32 v1, 1, v1
	v_add_lshl_u32 v1, v1, v2, 2
	ds_bpermute_b32 v1, v1, v3
	s_waitcnt lgkmcnt(0)
	v_add_u32_e32 v1, v1, v3
.LBB125_140:
	s_or_b64 exec, exec, s[4:5]
	s_branch .LBB125_165
.LBB125_141:
                                        ; implicit-def: $vgpr1
.LBB125_142:
	s_branch .LBB125_224
.LBB125_143:
                                        ; implicit-def: $vgpr1
	s_cbranch_execz .LBB125_165
; %bb.144:
	s_sub_i32 s20, s36, s6
	v_cmp_gt_u32_e32 vcc, s20, v0
                                        ; implicit-def: $vgpr2_vgpr3_vgpr4_vgpr5_vgpr6_vgpr7_vgpr8_vgpr9
	s_and_saveexec_b64 s[4:5], vcc
	s_cbranch_execz .LBB125_146
; %bb.145:
	global_load_ubyte v1, v0, s[16:17]
	s_waitcnt vmcnt(0)
	v_cmp_ne_u16_e32 vcc, 0, v1
	s_nop 1
	v_cndmask_b32_e64 v2, 0, 1, vcc
.LBB125_146:
	s_or_b64 exec, exec, s[4:5]
	v_or_b32_e32 v1, 0x100, v0
	v_cmp_gt_u32_e32 vcc, s20, v1
	s_and_saveexec_b64 s[6:7], vcc
	s_cbranch_execz .LBB125_148
; %bb.147:
	global_load_ubyte v1, v0, s[16:17] offset:256
	s_waitcnt vmcnt(0)
	v_cmp_ne_u16_e64 s[4:5], 0, v1
	s_nop 1
	v_cndmask_b32_e64 v3, 0, 1, s[4:5]
.LBB125_148:
	s_or_b64 exec, exec, s[6:7]
	v_or_b32_e32 v1, 0x200, v0
	v_cmp_gt_u32_e64 s[4:5], s20, v1
	s_and_saveexec_b64 s[8:9], s[4:5]
	s_cbranch_execz .LBB125_150
; %bb.149:
	global_load_ubyte v1, v0, s[16:17] offset:512
	s_waitcnt vmcnt(0)
	v_cmp_ne_u16_e64 s[6:7], 0, v1
	s_nop 1
	v_cndmask_b32_e64 v4, 0, 1, s[6:7]
.LBB125_150:
	s_or_b64 exec, exec, s[8:9]
	v_or_b32_e32 v1, 0x300, v0
	v_cmp_gt_u32_e64 s[6:7], s20, v1
	s_and_saveexec_b64 s[10:11], s[6:7]
	;; [unrolled: 12-line block ×6, first 2 shown]
	s_cbranch_execz .LBB125_160
; %bb.159:
	global_load_ubyte v1, v0, s[16:17] offset:1792
	s_waitcnt vmcnt(0)
	v_cmp_ne_u16_e64 s[16:17], 0, v1
	s_nop 1
	v_cndmask_b32_e64 v9, 0, 1, s[16:17]
.LBB125_160:
	s_or_b64 exec, exec, s[18:19]
	v_cndmask_b32_e32 v1, 0, v3, vcc
	v_add_u32_e32 v1, v1, v2
	v_cndmask_b32_e64 v2, 0, v4, s[4:5]
	v_cndmask_b32_e64 v3, 0, v5, s[6:7]
	v_add3_u32 v1, v1, v2, v3
	v_cndmask_b32_e64 v2, 0, v6, s[8:9]
	v_cndmask_b32_e64 v3, 0, v7, s[10:11]
	v_add3_u32 v1, v1, v2, v3
	;; [unrolled: 3-line block ×3, first 2 shown]
	v_mbcnt_lo_u32_b32 v2, -1, 0
	v_mbcnt_hi_u32_b32 v2, -1, v2
	v_and_b32_e32 v3, 63, v2
	v_cmp_ne_u32_e32 vcc, 63, v3
	s_min_u32 s6, s20, 0x100
	v_and_b32_e32 v5, 0xc0, v0
	v_addc_co_u32_e32 v4, vcc, 0, v2, vcc
	v_lshlrev_b32_e32 v4, 2, v4
	ds_bpermute_b32 v4, v4, v1
	v_sub_u32_e64 v5, s6, v5 clamp
	v_add_u32_e32 v6, 1, v3
	v_cmp_lt_u32_e32 vcc, v6, v5
	v_add_u32_e32 v6, 2, v3
	s_waitcnt lgkmcnt(0)
	v_cndmask_b32_e32 v4, 0, v4, vcc
	v_cmp_gt_u32_e32 vcc, 62, v3
	v_add_u32_e32 v1, v1, v4
	s_nop 0
	v_cndmask_b32_e64 v4, 0, 1, vcc
	v_lshlrev_b32_e32 v4, 1, v4
	v_add_lshl_u32 v4, v4, v2, 2
	ds_bpermute_b32 v4, v4, v1
	v_cmp_lt_u32_e32 vcc, v6, v5
	v_add_u32_e32 v6, 4, v3
	s_waitcnt lgkmcnt(0)
	v_cndmask_b32_e32 v4, 0, v4, vcc
	v_cmp_gt_u32_e32 vcc, 60, v3
	v_add_u32_e32 v1, v1, v4
	s_nop 0
	v_cndmask_b32_e64 v4, 0, 1, vcc
	v_lshlrev_b32_e32 v4, 2, v4
	v_add_lshl_u32 v4, v4, v2, 2
	ds_bpermute_b32 v4, v4, v1
	;; [unrolled: 11-line block ×4, first 2 shown]
	v_cmp_lt_u32_e32 vcc, v6, v5
	s_waitcnt lgkmcnt(0)
	s_nop 0
	v_cndmask_b32_e32 v4, 0, v4, vcc
	v_cmp_gt_u32_e32 vcc, 32, v3
	v_add_u32_e32 v1, v1, v4
	v_add_u32_e32 v3, 32, v3
	v_cndmask_b32_e64 v4, 0, 1, vcc
	v_lshlrev_b32_e32 v4, 5, v4
	v_add_lshl_u32 v4, v4, v2, 2
	ds_bpermute_b32 v4, v4, v1
	v_cmp_lt_u32_e32 vcc, v3, v5
	s_waitcnt lgkmcnt(0)
	s_nop 0
	v_cndmask_b32_e32 v3, 0, v4, vcc
	v_add_u32_e32 v1, v1, v3
	v_cmp_eq_u32_e32 vcc, 0, v2
	s_and_saveexec_b64 s[4:5], vcc
	s_cbranch_execz .LBB125_162
; %bb.161:
	v_lshrrev_b32_e32 v3, 4, v0
	v_and_b32_e32 v3, 12, v3
	ds_write_b32 v3, v1 offset:96
.LBB125_162:
	s_or_b64 exec, exec, s[4:5]
	v_cmp_gt_u32_e32 vcc, 4, v0
	s_waitcnt lgkmcnt(0)
	s_barrier
	s_and_saveexec_b64 s[4:5], vcc
	s_cbranch_execz .LBB125_164
; %bb.163:
	v_lshlrev_b32_e32 v1, 2, v2
	ds_read_b32 v1, v1 offset:96
	v_and_b32_e32 v3, 3, v2
	v_cmp_ne_u32_e32 vcc, 3, v3
	s_add_i32 s6, s6, 63
	s_lshr_b32 s6, s6, 6
	v_addc_co_u32_e32 v4, vcc, 0, v2, vcc
	v_lshlrev_b32_e32 v4, 2, v4
	s_waitcnt lgkmcnt(0)
	ds_bpermute_b32 v4, v4, v1
	v_add_u32_e32 v5, 1, v3
	v_cmp_gt_u32_e32 vcc, s6, v5
	s_waitcnt lgkmcnt(0)
	s_nop 0
	v_cndmask_b32_e32 v4, 0, v4, vcc
	v_cmp_gt_u32_e32 vcc, 2, v3
	v_add_u32_e32 v1, v4, v1
	v_add_u32_e32 v3, 2, v3
	v_cndmask_b32_e64 v4, 0, 1, vcc
	v_lshlrev_b32_e32 v4, 1, v4
	v_add_lshl_u32 v2, v4, v2, 2
	ds_bpermute_b32 v2, v2, v1
	v_cmp_gt_u32_e32 vcc, s6, v3
	s_waitcnt lgkmcnt(0)
	s_nop 0
	v_cndmask_b32_e32 v2, 0, v2, vcc
	v_add_u32_e32 v1, v1, v2
.LBB125_164:
	s_or_b64 exec, exec, s[4:5]
.LBB125_165:
	v_cmp_eq_u32_e64 s[6:7], 0, v0
	s_branch .LBB125_224
.LBB125_166:
	s_cmp_gt_i32 s33, 1
	s_cbranch_scc0 .LBB125_175
; %bb.167:
	s_cmp_gt_i32 s33, 3
	s_cbranch_scc0 .LBB125_176
; %bb.168:
	s_cmp_eq_u32 s33, 4
	s_cbranch_scc0 .LBB125_177
; %bb.169:
	s_lshl_b32 s6, s2, 10
	s_lshr_b64 s[4:5], s[36:37], 10
	s_add_u32 s8, s40, s6
	s_mov_b32 s3, 0
	s_addc_u32 s9, s41, 0
	s_cmp_lg_u64 s[4:5], s[2:3]
	s_cbranch_scc0 .LBB125_179
; %bb.170:
	global_load_ubyte v1, v0, s[8:9]
	global_load_ubyte v3, v0, s[8:9] offset:512
	global_load_ubyte v4, v0, s[8:9] offset:256
	;; [unrolled: 1-line block ×3, first 2 shown]
	v_mbcnt_lo_u32_b32 v2, -1, 0
	v_bfrev_b32_e32 v6, 0.5
	v_mbcnt_hi_u32_b32 v2, -1, v2
	s_waitcnt vmcnt(3)
	v_cmp_ne_u16_e32 vcc, 0, v1
	s_nop 1
	v_cndmask_b32_e64 v1, 0, 1, vcc
	s_waitcnt vmcnt(2)
	v_cmp_ne_u16_e32 vcc, 0, v3
	s_nop 1
	v_cndmask_b32_e64 v3, 0, 1, vcc
	s_waitcnt vmcnt(1)
	v_cmp_ne_u16_e32 vcc, 0, v4
	s_nop 1
	v_addc_co_u32_e32 v1, vcc, 0, v1, vcc
	s_waitcnt vmcnt(0)
	v_cmp_ne_u16_e32 vcc, 0, v5
	s_nop 1
	v_addc_co_u32_e32 v1, vcc, v1, v3, vcc
	v_lshl_or_b32 v3, v2, 2, v6
	s_nop 0
	v_add_u32_dpp v1, v1, v1 quad_perm:[1,0,3,2] row_mask:0xf bank_mask:0xf bound_ctrl:1
	v_cmp_eq_u32_e32 vcc, 0, v2
	s_nop 0
	v_add_u32_dpp v1, v1, v1 quad_perm:[2,3,0,1] row_mask:0xf bank_mask:0xf bound_ctrl:1
	s_nop 1
	v_add_u32_dpp v1, v1, v1 row_ror:4 row_mask:0xf bank_mask:0xf bound_ctrl:1
	s_nop 1
	v_add_u32_dpp v1, v1, v1 row_ror:8 row_mask:0xf bank_mask:0xf bound_ctrl:1
	s_nop 1
	v_add_u32_dpp v1, v1, v1 row_bcast:15 row_mask:0xf bank_mask:0xf bound_ctrl:1
	s_nop 1
	v_add_u32_dpp v1, v1, v1 row_bcast:31 row_mask:0xf bank_mask:0xf bound_ctrl:1
	ds_bpermute_b32 v1, v3, v1
	s_and_saveexec_b64 s[4:5], vcc
	s_cbranch_execz .LBB125_172
; %bb.171:
	v_lshrrev_b32_e32 v3, 4, v0
	v_and_b32_e32 v3, 12, v3
	s_waitcnt lgkmcnt(0)
	ds_write_b32 v3, v1 offset:64
.LBB125_172:
	s_or_b64 exec, exec, s[4:5]
	v_cmp_gt_u32_e32 vcc, 64, v0
	s_waitcnt lgkmcnt(0)
	s_barrier
	s_and_saveexec_b64 s[4:5], vcc
	s_cbranch_execz .LBB125_174
; %bb.173:
	v_and_b32_e32 v1, 3, v2
	v_lshlrev_b32_e32 v3, 2, v1
	ds_read_b32 v3, v3 offset:64
	v_cmp_ne_u32_e32 vcc, 3, v1
	s_nop 1
	v_addc_co_u32_e32 v4, vcc, 0, v2, vcc
	v_lshlrev_b32_e32 v4, 2, v4
	s_waitcnt lgkmcnt(0)
	ds_bpermute_b32 v4, v4, v3
	v_cmp_gt_u32_e32 vcc, 2, v1
	s_waitcnt lgkmcnt(0)
	v_add_u32_e32 v3, v4, v3
	v_cndmask_b32_e64 v1, 0, 1, vcc
	v_lshlrev_b32_e32 v1, 1, v1
	v_add_lshl_u32 v1, v1, v2, 2
	ds_bpermute_b32 v1, v1, v3
	s_waitcnt lgkmcnt(0)
	v_add_u32_e32 v1, v1, v3
.LBB125_174:
	s_or_b64 exec, exec, s[4:5]
	s_mov_b64 s[4:5], 0
	s_branch .LBB125_180
.LBB125_175:
                                        ; implicit-def: $vgpr1
	s_cbranch_execnz .LBB125_215
	s_branch .LBB125_224
.LBB125_176:
                                        ; implicit-def: $vgpr1
	s_cbranch_execz .LBB125_178
	s_branch .LBB125_195
.LBB125_177:
                                        ; implicit-def: $vgpr1
.LBB125_178:
	s_branch .LBB125_224
.LBB125_179:
	s_mov_b64 s[4:5], -1
                                        ; implicit-def: $vgpr1
.LBB125_180:
	s_and_b64 vcc, exec, s[4:5]
	s_cbranch_vccz .LBB125_194
; %bb.181:
	s_sub_i32 s12, s36, s6
	v_cmp_gt_u32_e32 vcc, s12, v0
                                        ; implicit-def: $vgpr2_vgpr3_vgpr4_vgpr5
	s_and_saveexec_b64 s[4:5], vcc
	s_cbranch_execz .LBB125_183
; %bb.182:
	global_load_ubyte v1, v0, s[8:9]
	s_waitcnt vmcnt(0)
	v_cmp_ne_u16_e32 vcc, 0, v1
	s_nop 1
	v_cndmask_b32_e64 v2, 0, 1, vcc
.LBB125_183:
	s_or_b64 exec, exec, s[4:5]
	v_or_b32_e32 v1, 0x100, v0
	v_cmp_gt_u32_e32 vcc, s12, v1
	s_and_saveexec_b64 s[6:7], vcc
	s_cbranch_execz .LBB125_185
; %bb.184:
	global_load_ubyte v1, v0, s[8:9] offset:256
	s_waitcnt vmcnt(0)
	v_cmp_ne_u16_e64 s[4:5], 0, v1
	s_nop 1
	v_cndmask_b32_e64 v3, 0, 1, s[4:5]
.LBB125_185:
	s_or_b64 exec, exec, s[6:7]
	v_or_b32_e32 v1, 0x200, v0
	v_cmp_gt_u32_e64 s[4:5], s12, v1
	s_and_saveexec_b64 s[10:11], s[4:5]
	s_cbranch_execz .LBB125_187
; %bb.186:
	global_load_ubyte v1, v0, s[8:9] offset:512
	s_waitcnt vmcnt(0)
	v_cmp_ne_u16_e64 s[6:7], 0, v1
	s_nop 1
	v_cndmask_b32_e64 v4, 0, 1, s[6:7]
.LBB125_187:
	s_or_b64 exec, exec, s[10:11]
	v_or_b32_e32 v1, 0x300, v0
	v_cmp_gt_u32_e64 s[6:7], s12, v1
	s_and_saveexec_b64 s[10:11], s[6:7]
	s_cbranch_execz .LBB125_189
; %bb.188:
	global_load_ubyte v1, v0, s[8:9] offset:768
	s_waitcnt vmcnt(0)
	v_cmp_ne_u16_e64 s[8:9], 0, v1
	s_nop 1
	v_cndmask_b32_e64 v5, 0, 1, s[8:9]
.LBB125_189:
	s_or_b64 exec, exec, s[10:11]
	v_cndmask_b32_e32 v1, 0, v3, vcc
	v_add_u32_e32 v1, v1, v2
	v_cndmask_b32_e64 v2, 0, v4, s[4:5]
	v_cndmask_b32_e64 v3, 0, v5, s[6:7]
	v_add3_u32 v1, v1, v2, v3
	v_mbcnt_lo_u32_b32 v2, -1, 0
	v_mbcnt_hi_u32_b32 v2, -1, v2
	v_and_b32_e32 v3, 63, v2
	v_cmp_ne_u32_e32 vcc, 63, v3
	s_min_u32 s6, s12, 0x100
	v_and_b32_e32 v5, 0xc0, v0
	v_addc_co_u32_e32 v4, vcc, 0, v2, vcc
	v_lshlrev_b32_e32 v4, 2, v4
	ds_bpermute_b32 v4, v4, v1
	v_sub_u32_e64 v5, s6, v5 clamp
	v_add_u32_e32 v6, 1, v3
	v_cmp_lt_u32_e32 vcc, v6, v5
	v_add_u32_e32 v6, 2, v3
	s_waitcnt lgkmcnt(0)
	v_cndmask_b32_e32 v4, 0, v4, vcc
	v_cmp_gt_u32_e32 vcc, 62, v3
	v_add_u32_e32 v1, v4, v1
	s_nop 0
	v_cndmask_b32_e64 v4, 0, 1, vcc
	v_lshlrev_b32_e32 v4, 1, v4
	v_add_lshl_u32 v4, v4, v2, 2
	ds_bpermute_b32 v4, v4, v1
	v_cmp_lt_u32_e32 vcc, v6, v5
	v_add_u32_e32 v6, 4, v3
	s_waitcnt lgkmcnt(0)
	v_cndmask_b32_e32 v4, 0, v4, vcc
	v_cmp_gt_u32_e32 vcc, 60, v3
	v_add_u32_e32 v1, v1, v4
	s_nop 0
	v_cndmask_b32_e64 v4, 0, 1, vcc
	v_lshlrev_b32_e32 v4, 2, v4
	v_add_lshl_u32 v4, v4, v2, 2
	ds_bpermute_b32 v4, v4, v1
	;; [unrolled: 11-line block ×4, first 2 shown]
	v_cmp_lt_u32_e32 vcc, v6, v5
	s_waitcnt lgkmcnt(0)
	s_nop 0
	v_cndmask_b32_e32 v4, 0, v4, vcc
	v_cmp_gt_u32_e32 vcc, 32, v3
	v_add_u32_e32 v1, v1, v4
	v_add_u32_e32 v3, 32, v3
	v_cndmask_b32_e64 v4, 0, 1, vcc
	v_lshlrev_b32_e32 v4, 5, v4
	v_add_lshl_u32 v4, v4, v2, 2
	ds_bpermute_b32 v4, v4, v1
	v_cmp_lt_u32_e32 vcc, v3, v5
	s_waitcnt lgkmcnt(0)
	s_nop 0
	v_cndmask_b32_e32 v3, 0, v4, vcc
	v_add_u32_e32 v1, v1, v3
	v_cmp_eq_u32_e32 vcc, 0, v2
	s_and_saveexec_b64 s[4:5], vcc
	s_cbranch_execz .LBB125_191
; %bb.190:
	v_lshrrev_b32_e32 v3, 4, v0
	v_and_b32_e32 v3, 12, v3
	ds_write_b32 v3, v1 offset:96
.LBB125_191:
	s_or_b64 exec, exec, s[4:5]
	v_cmp_gt_u32_e32 vcc, 4, v0
	s_waitcnt lgkmcnt(0)
	s_barrier
	s_and_saveexec_b64 s[4:5], vcc
	s_cbranch_execz .LBB125_193
; %bb.192:
	v_lshlrev_b32_e32 v1, 2, v2
	ds_read_b32 v1, v1 offset:96
	v_and_b32_e32 v3, 3, v2
	v_cmp_ne_u32_e32 vcc, 3, v3
	s_add_i32 s6, s6, 63
	s_lshr_b32 s6, s6, 6
	v_addc_co_u32_e32 v4, vcc, 0, v2, vcc
	v_lshlrev_b32_e32 v4, 2, v4
	s_waitcnt lgkmcnt(0)
	ds_bpermute_b32 v4, v4, v1
	v_add_u32_e32 v5, 1, v3
	v_cmp_gt_u32_e32 vcc, s6, v5
	s_waitcnt lgkmcnt(0)
	s_nop 0
	v_cndmask_b32_e32 v4, 0, v4, vcc
	v_cmp_gt_u32_e32 vcc, 2, v3
	v_add_u32_e32 v1, v4, v1
	v_add_u32_e32 v3, 2, v3
	v_cndmask_b32_e64 v4, 0, 1, vcc
	v_lshlrev_b32_e32 v4, 1, v4
	v_add_lshl_u32 v2, v4, v2, 2
	ds_bpermute_b32 v2, v2, v1
	v_cmp_gt_u32_e32 vcc, s6, v3
	s_waitcnt lgkmcnt(0)
	s_nop 0
	v_cndmask_b32_e32 v2, 0, v2, vcc
	v_add_u32_e32 v1, v1, v2
.LBB125_193:
	s_or_b64 exec, exec, s[4:5]
.LBB125_194:
	v_cmp_eq_u32_e64 s[6:7], 0, v0
	s_branch .LBB125_178
.LBB125_195:
	s_cmp_eq_u32 s33, 2
	s_cbranch_scc0 .LBB125_202
; %bb.196:
	s_lshl_b32 s8, s2, 9
	s_lshr_b64 s[4:5], s[36:37], 9
	s_add_u32 s6, s40, s8
	s_mov_b32 s3, 0
	s_addc_u32 s7, s41, 0
	s_cmp_lg_u64 s[4:5], s[2:3]
	s_cbranch_scc0 .LBB125_203
; %bb.197:
	global_load_ubyte v1, v0, s[6:7]
	global_load_ubyte v3, v0, s[6:7] offset:256
	v_mbcnt_lo_u32_b32 v2, -1, 0
	v_bfrev_b32_e32 v4, 0.5
	v_mbcnt_hi_u32_b32 v2, -1, v2
	s_waitcnt vmcnt(1)
	v_cmp_ne_u16_e32 vcc, 0, v1
	s_nop 1
	v_cndmask_b32_e64 v1, 0, 1, vcc
	s_waitcnt vmcnt(0)
	v_cmp_ne_u16_e32 vcc, 0, v3
	s_nop 1
	v_addc_co_u32_e64 v3, s[4:5], 0, v1, vcc
	s_nop 1
	v_mov_b32_dpp v3, v3 quad_perm:[1,0,3,2] row_mask:0xf bank_mask:0xf bound_ctrl:1
	v_addc_co_u32_e32 v1, vcc, v3, v1, vcc
	v_lshl_or_b32 v3, v2, 2, v4
	s_nop 0
	v_add_u32_dpp v1, v1, v1 quad_perm:[2,3,0,1] row_mask:0xf bank_mask:0xf bound_ctrl:1
	v_cmp_eq_u32_e32 vcc, 0, v2
	s_nop 0
	v_add_u32_dpp v1, v1, v1 row_ror:4 row_mask:0xf bank_mask:0xf bound_ctrl:1
	s_nop 1
	v_add_u32_dpp v1, v1, v1 row_ror:8 row_mask:0xf bank_mask:0xf bound_ctrl:1
	s_nop 1
	v_add_u32_dpp v1, v1, v1 row_bcast:15 row_mask:0xf bank_mask:0xf bound_ctrl:1
	s_nop 1
	v_add_u32_dpp v1, v1, v1 row_bcast:31 row_mask:0xf bank_mask:0xf bound_ctrl:1
	ds_bpermute_b32 v1, v3, v1
	s_and_saveexec_b64 s[4:5], vcc
	s_cbranch_execz .LBB125_199
; %bb.198:
	v_lshrrev_b32_e32 v3, 4, v0
	v_and_b32_e32 v3, 12, v3
	s_waitcnt lgkmcnt(0)
	ds_write_b32 v3, v1 offset:32
.LBB125_199:
	s_or_b64 exec, exec, s[4:5]
	v_cmp_gt_u32_e32 vcc, 64, v0
	s_waitcnt lgkmcnt(0)
	s_barrier
	s_and_saveexec_b64 s[4:5], vcc
	s_cbranch_execz .LBB125_201
; %bb.200:
	v_and_b32_e32 v1, 3, v2
	v_lshlrev_b32_e32 v3, 2, v1
	ds_read_b32 v3, v3 offset:32
	v_cmp_ne_u32_e32 vcc, 3, v1
	s_nop 1
	v_addc_co_u32_e32 v4, vcc, 0, v2, vcc
	v_lshlrev_b32_e32 v4, 2, v4
	s_waitcnt lgkmcnt(0)
	ds_bpermute_b32 v4, v4, v3
	v_cmp_gt_u32_e32 vcc, 2, v1
	s_waitcnt lgkmcnt(0)
	v_add_u32_e32 v3, v4, v3
	v_cndmask_b32_e64 v1, 0, 1, vcc
	v_lshlrev_b32_e32 v1, 1, v1
	v_add_lshl_u32 v1, v1, v2, 2
	ds_bpermute_b32 v1, v1, v3
	s_waitcnt lgkmcnt(0)
	v_add_u32_e32 v1, v1, v3
.LBB125_201:
	s_or_b64 exec, exec, s[4:5]
	s_mov_b64 s[4:5], 0
	s_branch .LBB125_204
.LBB125_202:
                                        ; implicit-def: $vgpr1
	s_branch .LBB125_224
.LBB125_203:
	s_mov_b64 s[4:5], -1
                                        ; implicit-def: $vgpr1
.LBB125_204:
	s_and_b64 vcc, exec, s[4:5]
	s_cbranch_vccz .LBB125_214
; %bb.205:
	s_sub_i32 s10, s36, s8
	v_cmp_gt_u32_e32 vcc, s10, v0
                                        ; implicit-def: $vgpr2_vgpr3
	s_and_saveexec_b64 s[4:5], vcc
	s_cbranch_execz .LBB125_207
; %bb.206:
	global_load_ubyte v1, v0, s[6:7]
	s_waitcnt vmcnt(0)
	v_cmp_ne_u16_e32 vcc, 0, v1
	s_nop 1
	v_cndmask_b32_e64 v2, 0, 1, vcc
.LBB125_207:
	s_or_b64 exec, exec, s[4:5]
	v_or_b32_e32 v1, 0x100, v0
	v_cmp_gt_u32_e32 vcc, s10, v1
	s_and_saveexec_b64 s[8:9], vcc
	s_cbranch_execz .LBB125_209
; %bb.208:
	global_load_ubyte v1, v0, s[6:7] offset:256
	s_waitcnt vmcnt(0)
	v_cmp_ne_u16_e64 s[4:5], 0, v1
	s_nop 1
	v_cndmask_b32_e64 v3, 0, 1, s[4:5]
.LBB125_209:
	s_or_b64 exec, exec, s[8:9]
	v_cndmask_b32_e32 v1, 0, v3, vcc
	v_add_u32_e32 v1, v1, v2
	v_mbcnt_lo_u32_b32 v2, -1, 0
	v_mbcnt_hi_u32_b32 v2, -1, v2
	v_and_b32_e32 v3, 63, v2
	v_cmp_ne_u32_e32 vcc, 63, v3
	s_min_u32 s6, s10, 0x100
	v_and_b32_e32 v5, 0xc0, v0
	v_addc_co_u32_e32 v4, vcc, 0, v2, vcc
	v_lshlrev_b32_e32 v4, 2, v4
	ds_bpermute_b32 v4, v4, v1
	v_sub_u32_e64 v5, s6, v5 clamp
	v_add_u32_e32 v6, 1, v3
	v_cmp_lt_u32_e32 vcc, v6, v5
	v_add_u32_e32 v6, 2, v3
	s_waitcnt lgkmcnt(0)
	v_cndmask_b32_e32 v4, 0, v4, vcc
	v_cmp_gt_u32_e32 vcc, 62, v3
	v_add_u32_e32 v1, v4, v1
	s_nop 0
	v_cndmask_b32_e64 v4, 0, 1, vcc
	v_lshlrev_b32_e32 v4, 1, v4
	v_add_lshl_u32 v4, v4, v2, 2
	ds_bpermute_b32 v4, v4, v1
	v_cmp_lt_u32_e32 vcc, v6, v5
	v_add_u32_e32 v6, 4, v3
	s_waitcnt lgkmcnt(0)
	v_cndmask_b32_e32 v4, 0, v4, vcc
	v_cmp_gt_u32_e32 vcc, 60, v3
	v_add_u32_e32 v1, v1, v4
	s_nop 0
	v_cndmask_b32_e64 v4, 0, 1, vcc
	v_lshlrev_b32_e32 v4, 2, v4
	v_add_lshl_u32 v4, v4, v2, 2
	ds_bpermute_b32 v4, v4, v1
	v_cmp_lt_u32_e32 vcc, v6, v5
	v_add_u32_e32 v6, 8, v3
	s_waitcnt lgkmcnt(0)
	v_cndmask_b32_e32 v4, 0, v4, vcc
	v_cmp_gt_u32_e32 vcc, 56, v3
	v_add_u32_e32 v1, v1, v4
	s_nop 0
	v_cndmask_b32_e64 v4, 0, 1, vcc
	v_lshlrev_b32_e32 v4, 3, v4
	v_add_lshl_u32 v4, v4, v2, 2
	ds_bpermute_b32 v4, v4, v1
	v_cmp_lt_u32_e32 vcc, v6, v5
	v_add_u32_e32 v6, 16, v3
	s_waitcnt lgkmcnt(0)
	v_cndmask_b32_e32 v4, 0, v4, vcc
	v_cmp_gt_u32_e32 vcc, 48, v3
	v_add_u32_e32 v1, v1, v4
	s_nop 0
	v_cndmask_b32_e64 v4, 0, 1, vcc
	v_lshlrev_b32_e32 v4, 4, v4
	v_add_lshl_u32 v4, v4, v2, 2
	ds_bpermute_b32 v4, v4, v1
	v_cmp_lt_u32_e32 vcc, v6, v5
	s_waitcnt lgkmcnt(0)
	s_nop 0
	v_cndmask_b32_e32 v4, 0, v4, vcc
	v_cmp_gt_u32_e32 vcc, 32, v3
	v_add_u32_e32 v1, v1, v4
	v_add_u32_e32 v3, 32, v3
	v_cndmask_b32_e64 v4, 0, 1, vcc
	v_lshlrev_b32_e32 v4, 5, v4
	v_add_lshl_u32 v4, v4, v2, 2
	ds_bpermute_b32 v4, v4, v1
	v_cmp_lt_u32_e32 vcc, v3, v5
	s_waitcnt lgkmcnt(0)
	s_nop 0
	v_cndmask_b32_e32 v3, 0, v4, vcc
	v_add_u32_e32 v1, v1, v3
	v_cmp_eq_u32_e32 vcc, 0, v2
	s_and_saveexec_b64 s[4:5], vcc
	s_cbranch_execz .LBB125_211
; %bb.210:
	v_lshrrev_b32_e32 v3, 4, v0
	v_and_b32_e32 v3, 12, v3
	ds_write_b32 v3, v1 offset:96
.LBB125_211:
	s_or_b64 exec, exec, s[4:5]
	v_cmp_gt_u32_e32 vcc, 4, v0
	s_waitcnt lgkmcnt(0)
	s_barrier
	s_and_saveexec_b64 s[4:5], vcc
	s_cbranch_execz .LBB125_213
; %bb.212:
	v_lshlrev_b32_e32 v1, 2, v2
	ds_read_b32 v1, v1 offset:96
	v_and_b32_e32 v3, 3, v2
	v_cmp_ne_u32_e32 vcc, 3, v3
	s_add_i32 s6, s6, 63
	s_lshr_b32 s6, s6, 6
	v_addc_co_u32_e32 v4, vcc, 0, v2, vcc
	v_lshlrev_b32_e32 v4, 2, v4
	s_waitcnt lgkmcnt(0)
	ds_bpermute_b32 v4, v4, v1
	v_add_u32_e32 v5, 1, v3
	v_cmp_gt_u32_e32 vcc, s6, v5
	s_waitcnt lgkmcnt(0)
	s_nop 0
	v_cndmask_b32_e32 v4, 0, v4, vcc
	v_cmp_gt_u32_e32 vcc, 2, v3
	v_add_u32_e32 v1, v4, v1
	v_add_u32_e32 v3, 2, v3
	v_cndmask_b32_e64 v4, 0, 1, vcc
	v_lshlrev_b32_e32 v4, 1, v4
	v_add_lshl_u32 v2, v4, v2, 2
	ds_bpermute_b32 v2, v2, v1
	v_cmp_gt_u32_e32 vcc, s6, v3
	s_waitcnt lgkmcnt(0)
	s_nop 0
	v_cndmask_b32_e32 v2, 0, v2, vcc
	v_add_u32_e32 v1, v1, v2
.LBB125_213:
	s_or_b64 exec, exec, s[4:5]
.LBB125_214:
	v_cmp_eq_u32_e64 s[6:7], 0, v0
	s_branch .LBB125_224
.LBB125_215:
	s_cmp_eq_u32 s33, 1
	s_cbranch_scc0 .LBB125_223
; %bb.216:
	s_lshl_b32 s6, s2, 8
	s_mov_b32 s3, 0
	s_lshr_b64 s[4:5], s[36:37], 8
	s_cmp_lg_u64 s[4:5], s[2:3]
	v_mbcnt_lo_u32_b32 v2, -1, 0
	s_cbranch_scc0 .LBB125_227
; %bb.217:
	s_add_u32 s4, s40, s6
	s_addc_u32 s5, s41, 0
	global_load_ubyte v1, v0, s[4:5]
	v_mbcnt_hi_u32_b32 v3, -1, v2
	v_bfrev_b32_e32 v4, 0.5
	v_lshl_or_b32 v4, v3, 2, v4
	s_waitcnt vmcnt(0)
	v_cmp_ne_u16_e32 vcc, 0, v1
	s_nop 1
	v_cndmask_b32_e64 v1, 0, 1, vcc
	s_nop 1
	v_mov_b32_dpp v1, v1 quad_perm:[1,0,3,2] row_mask:0xf bank_mask:0xf bound_ctrl:1
	v_addc_co_u32_e64 v5, s[4:5], 0, v1, vcc
	s_nop 1
	v_mov_b32_dpp v5, v5 quad_perm:[2,3,0,1] row_mask:0xf bank_mask:0xf bound_ctrl:1
	v_addc_co_u32_e32 v1, vcc, v5, v1, vcc
	v_cmp_eq_u32_e32 vcc, 0, v3
	s_nop 0
	v_add_u32_dpp v1, v1, v1 row_ror:4 row_mask:0xf bank_mask:0xf bound_ctrl:1
	s_nop 1
	v_add_u32_dpp v1, v1, v1 row_ror:8 row_mask:0xf bank_mask:0xf bound_ctrl:1
	s_nop 1
	v_add_u32_dpp v1, v1, v1 row_bcast:15 row_mask:0xf bank_mask:0xf bound_ctrl:1
	s_nop 1
	v_add_u32_dpp v1, v1, v1 row_bcast:31 row_mask:0xf bank_mask:0xf bound_ctrl:1
	ds_bpermute_b32 v1, v4, v1
	s_and_saveexec_b64 s[4:5], vcc
	s_cbranch_execz .LBB125_219
; %bb.218:
	v_lshrrev_b32_e32 v4, 4, v0
	v_and_b32_e32 v4, 12, v4
	s_waitcnt lgkmcnt(0)
	ds_write_b32 v4, v1 offset:16
.LBB125_219:
	s_or_b64 exec, exec, s[4:5]
	v_cmp_gt_u32_e32 vcc, 64, v0
	s_waitcnt lgkmcnt(0)
	s_barrier
	s_and_saveexec_b64 s[4:5], vcc
	s_cbranch_execz .LBB125_221
; %bb.220:
	v_and_b32_e32 v1, 3, v3
	v_lshlrev_b32_e32 v4, 2, v1
	ds_read_b32 v4, v4 offset:16
	v_cmp_ne_u32_e32 vcc, 3, v1
	s_nop 1
	v_addc_co_u32_e32 v5, vcc, 0, v3, vcc
	v_lshlrev_b32_e32 v5, 2, v5
	s_waitcnt lgkmcnt(0)
	ds_bpermute_b32 v5, v5, v4
	v_cmp_gt_u32_e32 vcc, 2, v1
	s_waitcnt lgkmcnt(0)
	v_add_u32_e32 v4, v5, v4
	v_cndmask_b32_e64 v1, 0, 1, vcc
	v_lshlrev_b32_e32 v1, 1, v1
	v_add_lshl_u32 v1, v1, v3, 2
	ds_bpermute_b32 v1, v1, v4
	s_waitcnt lgkmcnt(0)
	v_add_u32_e32 v1, v1, v4
.LBB125_221:
	s_or_b64 exec, exec, s[4:5]
.LBB125_222:
	v_cmp_eq_u32_e64 s[6:7], 0, v0
	s_and_saveexec_b64 s[4:5], s[6:7]
	s_cbranch_execnz .LBB125_225
	s_branch .LBB125_226
.LBB125_223:
                                        ; implicit-def: $vgpr1
                                        ; implicit-def: $sgpr2_sgpr3
.LBB125_224:
	s_and_saveexec_b64 s[4:5], s[6:7]
	s_cbranch_execz .LBB125_226
.LBB125_225:
	s_load_dword s4, s[0:1], 0x28
	s_lshl_b64 s[0:1], s[2:3], 2
	s_add_u32 s0, s38, s0
	s_addc_u32 s1, s39, s1
	s_cmp_lg_u64 s[36:37], 0
	s_cselect_b64 vcc, -1, 0
	v_cndmask_b32_e32 v1, 0, v1, vcc
	v_mov_b32_e32 v0, 0
	s_waitcnt lgkmcnt(0)
	v_add_u32_e32 v1, s4, v1
	global_store_dword v0, v1, s[0:1]
.LBB125_226:
	s_endpgm
.LBB125_227:
                                        ; implicit-def: $vgpr1
	s_cbranch_execz .LBB125_222
; %bb.228:
	s_sub_i32 s7, s36, s6
	v_cmp_gt_u32_e32 vcc, s7, v0
                                        ; implicit-def: $vgpr1
	s_and_saveexec_b64 s[4:5], vcc
	s_cbranch_execz .LBB125_230
; %bb.229:
	s_add_u32 s8, s40, s6
	s_addc_u32 s9, s41, 0
	global_load_ubyte v1, v0, s[8:9]
	s_waitcnt vmcnt(0)
	v_cmp_ne_u16_e32 vcc, 0, v1
	s_nop 1
	v_cndmask_b32_e64 v1, 0, 1, vcc
.LBB125_230:
	s_or_b64 exec, exec, s[4:5]
	v_mbcnt_hi_u32_b32 v2, -1, v2
	v_and_b32_e32 v3, 63, v2
	v_cmp_ne_u32_e32 vcc, 63, v3
	s_min_u32 s6, s7, 0x100
	v_and_b32_e32 v5, 0xc0, v0
	v_addc_co_u32_e32 v4, vcc, 0, v2, vcc
	v_lshlrev_b32_e32 v4, 2, v4
	ds_bpermute_b32 v4, v4, v1
	v_sub_u32_e64 v5, s6, v5 clamp
	v_add_u32_e32 v6, 1, v3
	v_cmp_lt_u32_e32 vcc, v6, v5
	v_add_u32_e32 v6, 2, v3
	s_waitcnt lgkmcnt(0)
	v_cndmask_b32_e32 v4, 0, v4, vcc
	v_cmp_gt_u32_e32 vcc, 62, v3
	v_add_u32_e32 v1, v4, v1
	s_nop 0
	v_cndmask_b32_e64 v4, 0, 1, vcc
	v_lshlrev_b32_e32 v4, 1, v4
	v_add_lshl_u32 v4, v4, v2, 2
	ds_bpermute_b32 v4, v4, v1
	v_cmp_lt_u32_e32 vcc, v6, v5
	v_add_u32_e32 v6, 4, v3
	s_waitcnt lgkmcnt(0)
	v_cndmask_b32_e32 v4, 0, v4, vcc
	v_cmp_gt_u32_e32 vcc, 60, v3
	v_add_u32_e32 v1, v1, v4
	s_nop 0
	v_cndmask_b32_e64 v4, 0, 1, vcc
	v_lshlrev_b32_e32 v4, 2, v4
	v_add_lshl_u32 v4, v4, v2, 2
	ds_bpermute_b32 v4, v4, v1
	;; [unrolled: 11-line block ×4, first 2 shown]
	v_cmp_lt_u32_e32 vcc, v6, v5
	s_waitcnt lgkmcnt(0)
	s_nop 0
	v_cndmask_b32_e32 v4, 0, v4, vcc
	v_cmp_gt_u32_e32 vcc, 32, v3
	v_add_u32_e32 v1, v1, v4
	v_add_u32_e32 v3, 32, v3
	v_cndmask_b32_e64 v4, 0, 1, vcc
	v_lshlrev_b32_e32 v4, 5, v4
	v_add_lshl_u32 v4, v4, v2, 2
	ds_bpermute_b32 v4, v4, v1
	v_cmp_lt_u32_e32 vcc, v3, v5
	s_waitcnt lgkmcnt(0)
	s_nop 0
	v_cndmask_b32_e32 v3, 0, v4, vcc
	v_add_u32_e32 v1, v1, v3
	v_cmp_eq_u32_e32 vcc, 0, v2
	s_and_saveexec_b64 s[4:5], vcc
	s_cbranch_execz .LBB125_232
; %bb.231:
	v_lshrrev_b32_e32 v3, 4, v0
	v_and_b32_e32 v3, 12, v3
	ds_write_b32 v3, v1 offset:96
.LBB125_232:
	s_or_b64 exec, exec, s[4:5]
	v_cmp_gt_u32_e32 vcc, 4, v0
	s_waitcnt lgkmcnt(0)
	s_barrier
	s_and_saveexec_b64 s[4:5], vcc
	s_cbranch_execz .LBB125_234
; %bb.233:
	v_lshlrev_b32_e32 v1, 2, v2
	ds_read_b32 v1, v1 offset:96
	v_and_b32_e32 v3, 3, v2
	v_cmp_ne_u32_e32 vcc, 3, v3
	s_add_i32 s6, s6, 63
	s_lshr_b32 s6, s6, 6
	v_addc_co_u32_e32 v4, vcc, 0, v2, vcc
	v_lshlrev_b32_e32 v4, 2, v4
	s_waitcnt lgkmcnt(0)
	ds_bpermute_b32 v4, v4, v1
	v_add_u32_e32 v5, 1, v3
	v_cmp_gt_u32_e32 vcc, s6, v5
	s_waitcnt lgkmcnt(0)
	s_nop 0
	v_cndmask_b32_e32 v4, 0, v4, vcc
	v_cmp_gt_u32_e32 vcc, 2, v3
	v_add_u32_e32 v1, v4, v1
	v_add_u32_e32 v3, 2, v3
	v_cndmask_b32_e64 v4, 0, 1, vcc
	v_lshlrev_b32_e32 v4, 1, v4
	v_add_lshl_u32 v2, v4, v2, 2
	ds_bpermute_b32 v2, v2, v1
	v_cmp_gt_u32_e32 vcc, s6, v3
	s_waitcnt lgkmcnt(0)
	s_nop 0
	v_cndmask_b32_e32 v2, 0, v2, vcc
	v_add_u32_e32 v1, v1, v2
.LBB125_234:
	s_or_b64 exec, exec, s[4:5]
	v_cmp_eq_u32_e64 s[6:7], 0, v0
	s_and_saveexec_b64 s[4:5], s[6:7]
	s_cbranch_execnz .LBB125_225
	s_branch .LBB125_226
	.section	.rodata,"a",@progbits
	.p2align	6, 0x0
	.amdhsa_kernel _ZN7rocprim17ROCPRIM_400000_NS6detail17trampoline_kernelINS0_14default_configENS1_22reduce_config_selectorIiEEZNS1_11reduce_implILb1ES3_N6hipcub16HIPCUB_304000_NS22TransformInputIteratorIiN2at6native8internal21MapNumberOfTrueValuesEPKhlEEPiiNS8_6detail34convert_binary_result_type_wrapperISt4plusIvESG_iEEEE10hipError_tPvRmT1_T2_T3_mT4_P12ihipStream_tbEUlT_E1_NS1_11comp_targetILNS1_3genE5ELNS1_11target_archE942ELNS1_3gpuE9ELNS1_3repE0EEENS1_30default_config_static_selectorELNS0_4arch9wavefront6targetE1EEEvSQ_
		.amdhsa_group_segment_fixed_size 112
		.amdhsa_private_segment_fixed_size 0
		.amdhsa_kernarg_size 48
		.amdhsa_user_sgpr_count 2
		.amdhsa_user_sgpr_dispatch_ptr 0
		.amdhsa_user_sgpr_queue_ptr 0
		.amdhsa_user_sgpr_kernarg_segment_ptr 1
		.amdhsa_user_sgpr_dispatch_id 0
		.amdhsa_user_sgpr_kernarg_preload_length 0
		.amdhsa_user_sgpr_kernarg_preload_offset 0
		.amdhsa_user_sgpr_private_segment_size 0
		.amdhsa_uses_dynamic_stack 0
		.amdhsa_enable_private_segment 0
		.amdhsa_system_sgpr_workgroup_id_x 1
		.amdhsa_system_sgpr_workgroup_id_y 0
		.amdhsa_system_sgpr_workgroup_id_z 0
		.amdhsa_system_sgpr_workgroup_info 0
		.amdhsa_system_vgpr_workitem_id 0
		.amdhsa_next_free_vgpr 35
		.amdhsa_next_free_sgpr 45
		.amdhsa_accum_offset 36
		.amdhsa_reserve_vcc 1
		.amdhsa_float_round_mode_32 0
		.amdhsa_float_round_mode_16_64 0
		.amdhsa_float_denorm_mode_32 3
		.amdhsa_float_denorm_mode_16_64 3
		.amdhsa_dx10_clamp 1
		.amdhsa_ieee_mode 1
		.amdhsa_fp16_overflow 0
		.amdhsa_tg_split 0
		.amdhsa_exception_fp_ieee_invalid_op 0
		.amdhsa_exception_fp_denorm_src 0
		.amdhsa_exception_fp_ieee_div_zero 0
		.amdhsa_exception_fp_ieee_overflow 0
		.amdhsa_exception_fp_ieee_underflow 0
		.amdhsa_exception_fp_ieee_inexact 0
		.amdhsa_exception_int_div_zero 0
	.end_amdhsa_kernel
	.section	.text._ZN7rocprim17ROCPRIM_400000_NS6detail17trampoline_kernelINS0_14default_configENS1_22reduce_config_selectorIiEEZNS1_11reduce_implILb1ES3_N6hipcub16HIPCUB_304000_NS22TransformInputIteratorIiN2at6native8internal21MapNumberOfTrueValuesEPKhlEEPiiNS8_6detail34convert_binary_result_type_wrapperISt4plusIvESG_iEEEE10hipError_tPvRmT1_T2_T3_mT4_P12ihipStream_tbEUlT_E1_NS1_11comp_targetILNS1_3genE5ELNS1_11target_archE942ELNS1_3gpuE9ELNS1_3repE0EEENS1_30default_config_static_selectorELNS0_4arch9wavefront6targetE1EEEvSQ_,"axG",@progbits,_ZN7rocprim17ROCPRIM_400000_NS6detail17trampoline_kernelINS0_14default_configENS1_22reduce_config_selectorIiEEZNS1_11reduce_implILb1ES3_N6hipcub16HIPCUB_304000_NS22TransformInputIteratorIiN2at6native8internal21MapNumberOfTrueValuesEPKhlEEPiiNS8_6detail34convert_binary_result_type_wrapperISt4plusIvESG_iEEEE10hipError_tPvRmT1_T2_T3_mT4_P12ihipStream_tbEUlT_E1_NS1_11comp_targetILNS1_3genE5ELNS1_11target_archE942ELNS1_3gpuE9ELNS1_3repE0EEENS1_30default_config_static_selectorELNS0_4arch9wavefront6targetE1EEEvSQ_,comdat
.Lfunc_end125:
	.size	_ZN7rocprim17ROCPRIM_400000_NS6detail17trampoline_kernelINS0_14default_configENS1_22reduce_config_selectorIiEEZNS1_11reduce_implILb1ES3_N6hipcub16HIPCUB_304000_NS22TransformInputIteratorIiN2at6native8internal21MapNumberOfTrueValuesEPKhlEEPiiNS8_6detail34convert_binary_result_type_wrapperISt4plusIvESG_iEEEE10hipError_tPvRmT1_T2_T3_mT4_P12ihipStream_tbEUlT_E1_NS1_11comp_targetILNS1_3genE5ELNS1_11target_archE942ELNS1_3gpuE9ELNS1_3repE0EEENS1_30default_config_static_selectorELNS0_4arch9wavefront6targetE1EEEvSQ_, .Lfunc_end125-_ZN7rocprim17ROCPRIM_400000_NS6detail17trampoline_kernelINS0_14default_configENS1_22reduce_config_selectorIiEEZNS1_11reduce_implILb1ES3_N6hipcub16HIPCUB_304000_NS22TransformInputIteratorIiN2at6native8internal21MapNumberOfTrueValuesEPKhlEEPiiNS8_6detail34convert_binary_result_type_wrapperISt4plusIvESG_iEEEE10hipError_tPvRmT1_T2_T3_mT4_P12ihipStream_tbEUlT_E1_NS1_11comp_targetILNS1_3genE5ELNS1_11target_archE942ELNS1_3gpuE9ELNS1_3repE0EEENS1_30default_config_static_selectorELNS0_4arch9wavefront6targetE1EEEvSQ_
                                        ; -- End function
	.section	.AMDGPU.csdata,"",@progbits
; Kernel info:
; codeLenInByte = 11160
; NumSgprs: 51
; NumVgprs: 35
; NumAgprs: 0
; TotalNumVgprs: 35
; ScratchSize: 0
; MemoryBound: 0
; FloatMode: 240
; IeeeMode: 1
; LDSByteSize: 112 bytes/workgroup (compile time only)
; SGPRBlocks: 6
; VGPRBlocks: 4
; NumSGPRsForWavesPerEU: 51
; NumVGPRsForWavesPerEU: 35
; AccumOffset: 36
; Occupancy: 8
; WaveLimiterHint : 1
; COMPUTE_PGM_RSRC2:SCRATCH_EN: 0
; COMPUTE_PGM_RSRC2:USER_SGPR: 2
; COMPUTE_PGM_RSRC2:TRAP_HANDLER: 0
; COMPUTE_PGM_RSRC2:TGID_X_EN: 1
; COMPUTE_PGM_RSRC2:TGID_Y_EN: 0
; COMPUTE_PGM_RSRC2:TGID_Z_EN: 0
; COMPUTE_PGM_RSRC2:TIDIG_COMP_CNT: 0
; COMPUTE_PGM_RSRC3_GFX90A:ACCUM_OFFSET: 8
; COMPUTE_PGM_RSRC3_GFX90A:TG_SPLIT: 0
	.section	.text._ZN7rocprim17ROCPRIM_400000_NS6detail17trampoline_kernelINS0_14default_configENS1_22reduce_config_selectorIiEEZNS1_11reduce_implILb1ES3_N6hipcub16HIPCUB_304000_NS22TransformInputIteratorIiN2at6native8internal21MapNumberOfTrueValuesEPKhlEEPiiNS8_6detail34convert_binary_result_type_wrapperISt4plusIvESG_iEEEE10hipError_tPvRmT1_T2_T3_mT4_P12ihipStream_tbEUlT_E1_NS1_11comp_targetILNS1_3genE4ELNS1_11target_archE910ELNS1_3gpuE8ELNS1_3repE0EEENS1_30default_config_static_selectorELNS0_4arch9wavefront6targetE1EEEvSQ_,"axG",@progbits,_ZN7rocprim17ROCPRIM_400000_NS6detail17trampoline_kernelINS0_14default_configENS1_22reduce_config_selectorIiEEZNS1_11reduce_implILb1ES3_N6hipcub16HIPCUB_304000_NS22TransformInputIteratorIiN2at6native8internal21MapNumberOfTrueValuesEPKhlEEPiiNS8_6detail34convert_binary_result_type_wrapperISt4plusIvESG_iEEEE10hipError_tPvRmT1_T2_T3_mT4_P12ihipStream_tbEUlT_E1_NS1_11comp_targetILNS1_3genE4ELNS1_11target_archE910ELNS1_3gpuE8ELNS1_3repE0EEENS1_30default_config_static_selectorELNS0_4arch9wavefront6targetE1EEEvSQ_,comdat
	.protected	_ZN7rocprim17ROCPRIM_400000_NS6detail17trampoline_kernelINS0_14default_configENS1_22reduce_config_selectorIiEEZNS1_11reduce_implILb1ES3_N6hipcub16HIPCUB_304000_NS22TransformInputIteratorIiN2at6native8internal21MapNumberOfTrueValuesEPKhlEEPiiNS8_6detail34convert_binary_result_type_wrapperISt4plusIvESG_iEEEE10hipError_tPvRmT1_T2_T3_mT4_P12ihipStream_tbEUlT_E1_NS1_11comp_targetILNS1_3genE4ELNS1_11target_archE910ELNS1_3gpuE8ELNS1_3repE0EEENS1_30default_config_static_selectorELNS0_4arch9wavefront6targetE1EEEvSQ_ ; -- Begin function _ZN7rocprim17ROCPRIM_400000_NS6detail17trampoline_kernelINS0_14default_configENS1_22reduce_config_selectorIiEEZNS1_11reduce_implILb1ES3_N6hipcub16HIPCUB_304000_NS22TransformInputIteratorIiN2at6native8internal21MapNumberOfTrueValuesEPKhlEEPiiNS8_6detail34convert_binary_result_type_wrapperISt4plusIvESG_iEEEE10hipError_tPvRmT1_T2_T3_mT4_P12ihipStream_tbEUlT_E1_NS1_11comp_targetILNS1_3genE4ELNS1_11target_archE910ELNS1_3gpuE8ELNS1_3repE0EEENS1_30default_config_static_selectorELNS0_4arch9wavefront6targetE1EEEvSQ_
	.globl	_ZN7rocprim17ROCPRIM_400000_NS6detail17trampoline_kernelINS0_14default_configENS1_22reduce_config_selectorIiEEZNS1_11reduce_implILb1ES3_N6hipcub16HIPCUB_304000_NS22TransformInputIteratorIiN2at6native8internal21MapNumberOfTrueValuesEPKhlEEPiiNS8_6detail34convert_binary_result_type_wrapperISt4plusIvESG_iEEEE10hipError_tPvRmT1_T2_T3_mT4_P12ihipStream_tbEUlT_E1_NS1_11comp_targetILNS1_3genE4ELNS1_11target_archE910ELNS1_3gpuE8ELNS1_3repE0EEENS1_30default_config_static_selectorELNS0_4arch9wavefront6targetE1EEEvSQ_
	.p2align	8
	.type	_ZN7rocprim17ROCPRIM_400000_NS6detail17trampoline_kernelINS0_14default_configENS1_22reduce_config_selectorIiEEZNS1_11reduce_implILb1ES3_N6hipcub16HIPCUB_304000_NS22TransformInputIteratorIiN2at6native8internal21MapNumberOfTrueValuesEPKhlEEPiiNS8_6detail34convert_binary_result_type_wrapperISt4plusIvESG_iEEEE10hipError_tPvRmT1_T2_T3_mT4_P12ihipStream_tbEUlT_E1_NS1_11comp_targetILNS1_3genE4ELNS1_11target_archE910ELNS1_3gpuE8ELNS1_3repE0EEENS1_30default_config_static_selectorELNS0_4arch9wavefront6targetE1EEEvSQ_,@function
_ZN7rocprim17ROCPRIM_400000_NS6detail17trampoline_kernelINS0_14default_configENS1_22reduce_config_selectorIiEEZNS1_11reduce_implILb1ES3_N6hipcub16HIPCUB_304000_NS22TransformInputIteratorIiN2at6native8internal21MapNumberOfTrueValuesEPKhlEEPiiNS8_6detail34convert_binary_result_type_wrapperISt4plusIvESG_iEEEE10hipError_tPvRmT1_T2_T3_mT4_P12ihipStream_tbEUlT_E1_NS1_11comp_targetILNS1_3genE4ELNS1_11target_archE910ELNS1_3gpuE8ELNS1_3repE0EEENS1_30default_config_static_selectorELNS0_4arch9wavefront6targetE1EEEvSQ_: ; @_ZN7rocprim17ROCPRIM_400000_NS6detail17trampoline_kernelINS0_14default_configENS1_22reduce_config_selectorIiEEZNS1_11reduce_implILb1ES3_N6hipcub16HIPCUB_304000_NS22TransformInputIteratorIiN2at6native8internal21MapNumberOfTrueValuesEPKhlEEPiiNS8_6detail34convert_binary_result_type_wrapperISt4plusIvESG_iEEEE10hipError_tPvRmT1_T2_T3_mT4_P12ihipStream_tbEUlT_E1_NS1_11comp_targetILNS1_3genE4ELNS1_11target_archE910ELNS1_3gpuE8ELNS1_3repE0EEENS1_30default_config_static_selectorELNS0_4arch9wavefront6targetE1EEEvSQ_
; %bb.0:
	.section	.rodata,"a",@progbits
	.p2align	6, 0x0
	.amdhsa_kernel _ZN7rocprim17ROCPRIM_400000_NS6detail17trampoline_kernelINS0_14default_configENS1_22reduce_config_selectorIiEEZNS1_11reduce_implILb1ES3_N6hipcub16HIPCUB_304000_NS22TransformInputIteratorIiN2at6native8internal21MapNumberOfTrueValuesEPKhlEEPiiNS8_6detail34convert_binary_result_type_wrapperISt4plusIvESG_iEEEE10hipError_tPvRmT1_T2_T3_mT4_P12ihipStream_tbEUlT_E1_NS1_11comp_targetILNS1_3genE4ELNS1_11target_archE910ELNS1_3gpuE8ELNS1_3repE0EEENS1_30default_config_static_selectorELNS0_4arch9wavefront6targetE1EEEvSQ_
		.amdhsa_group_segment_fixed_size 0
		.amdhsa_private_segment_fixed_size 0
		.amdhsa_kernarg_size 48
		.amdhsa_user_sgpr_count 2
		.amdhsa_user_sgpr_dispatch_ptr 0
		.amdhsa_user_sgpr_queue_ptr 0
		.amdhsa_user_sgpr_kernarg_segment_ptr 1
		.amdhsa_user_sgpr_dispatch_id 0
		.amdhsa_user_sgpr_kernarg_preload_length 0
		.amdhsa_user_sgpr_kernarg_preload_offset 0
		.amdhsa_user_sgpr_private_segment_size 0
		.amdhsa_uses_dynamic_stack 0
		.amdhsa_enable_private_segment 0
		.amdhsa_system_sgpr_workgroup_id_x 1
		.amdhsa_system_sgpr_workgroup_id_y 0
		.amdhsa_system_sgpr_workgroup_id_z 0
		.amdhsa_system_sgpr_workgroup_info 0
		.amdhsa_system_vgpr_workitem_id 0
		.amdhsa_next_free_vgpr 1
		.amdhsa_next_free_sgpr 0
		.amdhsa_accum_offset 4
		.amdhsa_reserve_vcc 0
		.amdhsa_float_round_mode_32 0
		.amdhsa_float_round_mode_16_64 0
		.amdhsa_float_denorm_mode_32 3
		.amdhsa_float_denorm_mode_16_64 3
		.amdhsa_dx10_clamp 1
		.amdhsa_ieee_mode 1
		.amdhsa_fp16_overflow 0
		.amdhsa_tg_split 0
		.amdhsa_exception_fp_ieee_invalid_op 0
		.amdhsa_exception_fp_denorm_src 0
		.amdhsa_exception_fp_ieee_div_zero 0
		.amdhsa_exception_fp_ieee_overflow 0
		.amdhsa_exception_fp_ieee_underflow 0
		.amdhsa_exception_fp_ieee_inexact 0
		.amdhsa_exception_int_div_zero 0
	.end_amdhsa_kernel
	.section	.text._ZN7rocprim17ROCPRIM_400000_NS6detail17trampoline_kernelINS0_14default_configENS1_22reduce_config_selectorIiEEZNS1_11reduce_implILb1ES3_N6hipcub16HIPCUB_304000_NS22TransformInputIteratorIiN2at6native8internal21MapNumberOfTrueValuesEPKhlEEPiiNS8_6detail34convert_binary_result_type_wrapperISt4plusIvESG_iEEEE10hipError_tPvRmT1_T2_T3_mT4_P12ihipStream_tbEUlT_E1_NS1_11comp_targetILNS1_3genE4ELNS1_11target_archE910ELNS1_3gpuE8ELNS1_3repE0EEENS1_30default_config_static_selectorELNS0_4arch9wavefront6targetE1EEEvSQ_,"axG",@progbits,_ZN7rocprim17ROCPRIM_400000_NS6detail17trampoline_kernelINS0_14default_configENS1_22reduce_config_selectorIiEEZNS1_11reduce_implILb1ES3_N6hipcub16HIPCUB_304000_NS22TransformInputIteratorIiN2at6native8internal21MapNumberOfTrueValuesEPKhlEEPiiNS8_6detail34convert_binary_result_type_wrapperISt4plusIvESG_iEEEE10hipError_tPvRmT1_T2_T3_mT4_P12ihipStream_tbEUlT_E1_NS1_11comp_targetILNS1_3genE4ELNS1_11target_archE910ELNS1_3gpuE8ELNS1_3repE0EEENS1_30default_config_static_selectorELNS0_4arch9wavefront6targetE1EEEvSQ_,comdat
.Lfunc_end126:
	.size	_ZN7rocprim17ROCPRIM_400000_NS6detail17trampoline_kernelINS0_14default_configENS1_22reduce_config_selectorIiEEZNS1_11reduce_implILb1ES3_N6hipcub16HIPCUB_304000_NS22TransformInputIteratorIiN2at6native8internal21MapNumberOfTrueValuesEPKhlEEPiiNS8_6detail34convert_binary_result_type_wrapperISt4plusIvESG_iEEEE10hipError_tPvRmT1_T2_T3_mT4_P12ihipStream_tbEUlT_E1_NS1_11comp_targetILNS1_3genE4ELNS1_11target_archE910ELNS1_3gpuE8ELNS1_3repE0EEENS1_30default_config_static_selectorELNS0_4arch9wavefront6targetE1EEEvSQ_, .Lfunc_end126-_ZN7rocprim17ROCPRIM_400000_NS6detail17trampoline_kernelINS0_14default_configENS1_22reduce_config_selectorIiEEZNS1_11reduce_implILb1ES3_N6hipcub16HIPCUB_304000_NS22TransformInputIteratorIiN2at6native8internal21MapNumberOfTrueValuesEPKhlEEPiiNS8_6detail34convert_binary_result_type_wrapperISt4plusIvESG_iEEEE10hipError_tPvRmT1_T2_T3_mT4_P12ihipStream_tbEUlT_E1_NS1_11comp_targetILNS1_3genE4ELNS1_11target_archE910ELNS1_3gpuE8ELNS1_3repE0EEENS1_30default_config_static_selectorELNS0_4arch9wavefront6targetE1EEEvSQ_
                                        ; -- End function
	.section	.AMDGPU.csdata,"",@progbits
; Kernel info:
; codeLenInByte = 0
; NumSgprs: 6
; NumVgprs: 0
; NumAgprs: 0
; TotalNumVgprs: 0
; ScratchSize: 0
; MemoryBound: 0
; FloatMode: 240
; IeeeMode: 1
; LDSByteSize: 0 bytes/workgroup (compile time only)
; SGPRBlocks: 0
; VGPRBlocks: 0
; NumSGPRsForWavesPerEU: 6
; NumVGPRsForWavesPerEU: 1
; AccumOffset: 4
; Occupancy: 8
; WaveLimiterHint : 0
; COMPUTE_PGM_RSRC2:SCRATCH_EN: 0
; COMPUTE_PGM_RSRC2:USER_SGPR: 2
; COMPUTE_PGM_RSRC2:TRAP_HANDLER: 0
; COMPUTE_PGM_RSRC2:TGID_X_EN: 1
; COMPUTE_PGM_RSRC2:TGID_Y_EN: 0
; COMPUTE_PGM_RSRC2:TGID_Z_EN: 0
; COMPUTE_PGM_RSRC2:TIDIG_COMP_CNT: 0
; COMPUTE_PGM_RSRC3_GFX90A:ACCUM_OFFSET: 0
; COMPUTE_PGM_RSRC3_GFX90A:TG_SPLIT: 0
	.section	.text._ZN7rocprim17ROCPRIM_400000_NS6detail17trampoline_kernelINS0_14default_configENS1_22reduce_config_selectorIiEEZNS1_11reduce_implILb1ES3_N6hipcub16HIPCUB_304000_NS22TransformInputIteratorIiN2at6native8internal21MapNumberOfTrueValuesEPKhlEEPiiNS8_6detail34convert_binary_result_type_wrapperISt4plusIvESG_iEEEE10hipError_tPvRmT1_T2_T3_mT4_P12ihipStream_tbEUlT_E1_NS1_11comp_targetILNS1_3genE3ELNS1_11target_archE908ELNS1_3gpuE7ELNS1_3repE0EEENS1_30default_config_static_selectorELNS0_4arch9wavefront6targetE1EEEvSQ_,"axG",@progbits,_ZN7rocprim17ROCPRIM_400000_NS6detail17trampoline_kernelINS0_14default_configENS1_22reduce_config_selectorIiEEZNS1_11reduce_implILb1ES3_N6hipcub16HIPCUB_304000_NS22TransformInputIteratorIiN2at6native8internal21MapNumberOfTrueValuesEPKhlEEPiiNS8_6detail34convert_binary_result_type_wrapperISt4plusIvESG_iEEEE10hipError_tPvRmT1_T2_T3_mT4_P12ihipStream_tbEUlT_E1_NS1_11comp_targetILNS1_3genE3ELNS1_11target_archE908ELNS1_3gpuE7ELNS1_3repE0EEENS1_30default_config_static_selectorELNS0_4arch9wavefront6targetE1EEEvSQ_,comdat
	.protected	_ZN7rocprim17ROCPRIM_400000_NS6detail17trampoline_kernelINS0_14default_configENS1_22reduce_config_selectorIiEEZNS1_11reduce_implILb1ES3_N6hipcub16HIPCUB_304000_NS22TransformInputIteratorIiN2at6native8internal21MapNumberOfTrueValuesEPKhlEEPiiNS8_6detail34convert_binary_result_type_wrapperISt4plusIvESG_iEEEE10hipError_tPvRmT1_T2_T3_mT4_P12ihipStream_tbEUlT_E1_NS1_11comp_targetILNS1_3genE3ELNS1_11target_archE908ELNS1_3gpuE7ELNS1_3repE0EEENS1_30default_config_static_selectorELNS0_4arch9wavefront6targetE1EEEvSQ_ ; -- Begin function _ZN7rocprim17ROCPRIM_400000_NS6detail17trampoline_kernelINS0_14default_configENS1_22reduce_config_selectorIiEEZNS1_11reduce_implILb1ES3_N6hipcub16HIPCUB_304000_NS22TransformInputIteratorIiN2at6native8internal21MapNumberOfTrueValuesEPKhlEEPiiNS8_6detail34convert_binary_result_type_wrapperISt4plusIvESG_iEEEE10hipError_tPvRmT1_T2_T3_mT4_P12ihipStream_tbEUlT_E1_NS1_11comp_targetILNS1_3genE3ELNS1_11target_archE908ELNS1_3gpuE7ELNS1_3repE0EEENS1_30default_config_static_selectorELNS0_4arch9wavefront6targetE1EEEvSQ_
	.globl	_ZN7rocprim17ROCPRIM_400000_NS6detail17trampoline_kernelINS0_14default_configENS1_22reduce_config_selectorIiEEZNS1_11reduce_implILb1ES3_N6hipcub16HIPCUB_304000_NS22TransformInputIteratorIiN2at6native8internal21MapNumberOfTrueValuesEPKhlEEPiiNS8_6detail34convert_binary_result_type_wrapperISt4plusIvESG_iEEEE10hipError_tPvRmT1_T2_T3_mT4_P12ihipStream_tbEUlT_E1_NS1_11comp_targetILNS1_3genE3ELNS1_11target_archE908ELNS1_3gpuE7ELNS1_3repE0EEENS1_30default_config_static_selectorELNS0_4arch9wavefront6targetE1EEEvSQ_
	.p2align	8
	.type	_ZN7rocprim17ROCPRIM_400000_NS6detail17trampoline_kernelINS0_14default_configENS1_22reduce_config_selectorIiEEZNS1_11reduce_implILb1ES3_N6hipcub16HIPCUB_304000_NS22TransformInputIteratorIiN2at6native8internal21MapNumberOfTrueValuesEPKhlEEPiiNS8_6detail34convert_binary_result_type_wrapperISt4plusIvESG_iEEEE10hipError_tPvRmT1_T2_T3_mT4_P12ihipStream_tbEUlT_E1_NS1_11comp_targetILNS1_3genE3ELNS1_11target_archE908ELNS1_3gpuE7ELNS1_3repE0EEENS1_30default_config_static_selectorELNS0_4arch9wavefront6targetE1EEEvSQ_,@function
_ZN7rocprim17ROCPRIM_400000_NS6detail17trampoline_kernelINS0_14default_configENS1_22reduce_config_selectorIiEEZNS1_11reduce_implILb1ES3_N6hipcub16HIPCUB_304000_NS22TransformInputIteratorIiN2at6native8internal21MapNumberOfTrueValuesEPKhlEEPiiNS8_6detail34convert_binary_result_type_wrapperISt4plusIvESG_iEEEE10hipError_tPvRmT1_T2_T3_mT4_P12ihipStream_tbEUlT_E1_NS1_11comp_targetILNS1_3genE3ELNS1_11target_archE908ELNS1_3gpuE7ELNS1_3repE0EEENS1_30default_config_static_selectorELNS0_4arch9wavefront6targetE1EEEvSQ_: ; @_ZN7rocprim17ROCPRIM_400000_NS6detail17trampoline_kernelINS0_14default_configENS1_22reduce_config_selectorIiEEZNS1_11reduce_implILb1ES3_N6hipcub16HIPCUB_304000_NS22TransformInputIteratorIiN2at6native8internal21MapNumberOfTrueValuesEPKhlEEPiiNS8_6detail34convert_binary_result_type_wrapperISt4plusIvESG_iEEEE10hipError_tPvRmT1_T2_T3_mT4_P12ihipStream_tbEUlT_E1_NS1_11comp_targetILNS1_3genE3ELNS1_11target_archE908ELNS1_3gpuE7ELNS1_3repE0EEENS1_30default_config_static_selectorELNS0_4arch9wavefront6targetE1EEEvSQ_
; %bb.0:
	.section	.rodata,"a",@progbits
	.p2align	6, 0x0
	.amdhsa_kernel _ZN7rocprim17ROCPRIM_400000_NS6detail17trampoline_kernelINS0_14default_configENS1_22reduce_config_selectorIiEEZNS1_11reduce_implILb1ES3_N6hipcub16HIPCUB_304000_NS22TransformInputIteratorIiN2at6native8internal21MapNumberOfTrueValuesEPKhlEEPiiNS8_6detail34convert_binary_result_type_wrapperISt4plusIvESG_iEEEE10hipError_tPvRmT1_T2_T3_mT4_P12ihipStream_tbEUlT_E1_NS1_11comp_targetILNS1_3genE3ELNS1_11target_archE908ELNS1_3gpuE7ELNS1_3repE0EEENS1_30default_config_static_selectorELNS0_4arch9wavefront6targetE1EEEvSQ_
		.amdhsa_group_segment_fixed_size 0
		.amdhsa_private_segment_fixed_size 0
		.amdhsa_kernarg_size 48
		.amdhsa_user_sgpr_count 2
		.amdhsa_user_sgpr_dispatch_ptr 0
		.amdhsa_user_sgpr_queue_ptr 0
		.amdhsa_user_sgpr_kernarg_segment_ptr 1
		.amdhsa_user_sgpr_dispatch_id 0
		.amdhsa_user_sgpr_kernarg_preload_length 0
		.amdhsa_user_sgpr_kernarg_preload_offset 0
		.amdhsa_user_sgpr_private_segment_size 0
		.amdhsa_uses_dynamic_stack 0
		.amdhsa_enable_private_segment 0
		.amdhsa_system_sgpr_workgroup_id_x 1
		.amdhsa_system_sgpr_workgroup_id_y 0
		.amdhsa_system_sgpr_workgroup_id_z 0
		.amdhsa_system_sgpr_workgroup_info 0
		.amdhsa_system_vgpr_workitem_id 0
		.amdhsa_next_free_vgpr 1
		.amdhsa_next_free_sgpr 0
		.amdhsa_accum_offset 4
		.amdhsa_reserve_vcc 0
		.amdhsa_float_round_mode_32 0
		.amdhsa_float_round_mode_16_64 0
		.amdhsa_float_denorm_mode_32 3
		.amdhsa_float_denorm_mode_16_64 3
		.amdhsa_dx10_clamp 1
		.amdhsa_ieee_mode 1
		.amdhsa_fp16_overflow 0
		.amdhsa_tg_split 0
		.amdhsa_exception_fp_ieee_invalid_op 0
		.amdhsa_exception_fp_denorm_src 0
		.amdhsa_exception_fp_ieee_div_zero 0
		.amdhsa_exception_fp_ieee_overflow 0
		.amdhsa_exception_fp_ieee_underflow 0
		.amdhsa_exception_fp_ieee_inexact 0
		.amdhsa_exception_int_div_zero 0
	.end_amdhsa_kernel
	.section	.text._ZN7rocprim17ROCPRIM_400000_NS6detail17trampoline_kernelINS0_14default_configENS1_22reduce_config_selectorIiEEZNS1_11reduce_implILb1ES3_N6hipcub16HIPCUB_304000_NS22TransformInputIteratorIiN2at6native8internal21MapNumberOfTrueValuesEPKhlEEPiiNS8_6detail34convert_binary_result_type_wrapperISt4plusIvESG_iEEEE10hipError_tPvRmT1_T2_T3_mT4_P12ihipStream_tbEUlT_E1_NS1_11comp_targetILNS1_3genE3ELNS1_11target_archE908ELNS1_3gpuE7ELNS1_3repE0EEENS1_30default_config_static_selectorELNS0_4arch9wavefront6targetE1EEEvSQ_,"axG",@progbits,_ZN7rocprim17ROCPRIM_400000_NS6detail17trampoline_kernelINS0_14default_configENS1_22reduce_config_selectorIiEEZNS1_11reduce_implILb1ES3_N6hipcub16HIPCUB_304000_NS22TransformInputIteratorIiN2at6native8internal21MapNumberOfTrueValuesEPKhlEEPiiNS8_6detail34convert_binary_result_type_wrapperISt4plusIvESG_iEEEE10hipError_tPvRmT1_T2_T3_mT4_P12ihipStream_tbEUlT_E1_NS1_11comp_targetILNS1_3genE3ELNS1_11target_archE908ELNS1_3gpuE7ELNS1_3repE0EEENS1_30default_config_static_selectorELNS0_4arch9wavefront6targetE1EEEvSQ_,comdat
.Lfunc_end127:
	.size	_ZN7rocprim17ROCPRIM_400000_NS6detail17trampoline_kernelINS0_14default_configENS1_22reduce_config_selectorIiEEZNS1_11reduce_implILb1ES3_N6hipcub16HIPCUB_304000_NS22TransformInputIteratorIiN2at6native8internal21MapNumberOfTrueValuesEPKhlEEPiiNS8_6detail34convert_binary_result_type_wrapperISt4plusIvESG_iEEEE10hipError_tPvRmT1_T2_T3_mT4_P12ihipStream_tbEUlT_E1_NS1_11comp_targetILNS1_3genE3ELNS1_11target_archE908ELNS1_3gpuE7ELNS1_3repE0EEENS1_30default_config_static_selectorELNS0_4arch9wavefront6targetE1EEEvSQ_, .Lfunc_end127-_ZN7rocprim17ROCPRIM_400000_NS6detail17trampoline_kernelINS0_14default_configENS1_22reduce_config_selectorIiEEZNS1_11reduce_implILb1ES3_N6hipcub16HIPCUB_304000_NS22TransformInputIteratorIiN2at6native8internal21MapNumberOfTrueValuesEPKhlEEPiiNS8_6detail34convert_binary_result_type_wrapperISt4plusIvESG_iEEEE10hipError_tPvRmT1_T2_T3_mT4_P12ihipStream_tbEUlT_E1_NS1_11comp_targetILNS1_3genE3ELNS1_11target_archE908ELNS1_3gpuE7ELNS1_3repE0EEENS1_30default_config_static_selectorELNS0_4arch9wavefront6targetE1EEEvSQ_
                                        ; -- End function
	.section	.AMDGPU.csdata,"",@progbits
; Kernel info:
; codeLenInByte = 0
; NumSgprs: 6
; NumVgprs: 0
; NumAgprs: 0
; TotalNumVgprs: 0
; ScratchSize: 0
; MemoryBound: 0
; FloatMode: 240
; IeeeMode: 1
; LDSByteSize: 0 bytes/workgroup (compile time only)
; SGPRBlocks: 0
; VGPRBlocks: 0
; NumSGPRsForWavesPerEU: 6
; NumVGPRsForWavesPerEU: 1
; AccumOffset: 4
; Occupancy: 8
; WaveLimiterHint : 0
; COMPUTE_PGM_RSRC2:SCRATCH_EN: 0
; COMPUTE_PGM_RSRC2:USER_SGPR: 2
; COMPUTE_PGM_RSRC2:TRAP_HANDLER: 0
; COMPUTE_PGM_RSRC2:TGID_X_EN: 1
; COMPUTE_PGM_RSRC2:TGID_Y_EN: 0
; COMPUTE_PGM_RSRC2:TGID_Z_EN: 0
; COMPUTE_PGM_RSRC2:TIDIG_COMP_CNT: 0
; COMPUTE_PGM_RSRC3_GFX90A:ACCUM_OFFSET: 0
; COMPUTE_PGM_RSRC3_GFX90A:TG_SPLIT: 0
	.section	.text._ZN7rocprim17ROCPRIM_400000_NS6detail17trampoline_kernelINS0_14default_configENS1_22reduce_config_selectorIiEEZNS1_11reduce_implILb1ES3_N6hipcub16HIPCUB_304000_NS22TransformInputIteratorIiN2at6native8internal21MapNumberOfTrueValuesEPKhlEEPiiNS8_6detail34convert_binary_result_type_wrapperISt4plusIvESG_iEEEE10hipError_tPvRmT1_T2_T3_mT4_P12ihipStream_tbEUlT_E1_NS1_11comp_targetILNS1_3genE2ELNS1_11target_archE906ELNS1_3gpuE6ELNS1_3repE0EEENS1_30default_config_static_selectorELNS0_4arch9wavefront6targetE1EEEvSQ_,"axG",@progbits,_ZN7rocprim17ROCPRIM_400000_NS6detail17trampoline_kernelINS0_14default_configENS1_22reduce_config_selectorIiEEZNS1_11reduce_implILb1ES3_N6hipcub16HIPCUB_304000_NS22TransformInputIteratorIiN2at6native8internal21MapNumberOfTrueValuesEPKhlEEPiiNS8_6detail34convert_binary_result_type_wrapperISt4plusIvESG_iEEEE10hipError_tPvRmT1_T2_T3_mT4_P12ihipStream_tbEUlT_E1_NS1_11comp_targetILNS1_3genE2ELNS1_11target_archE906ELNS1_3gpuE6ELNS1_3repE0EEENS1_30default_config_static_selectorELNS0_4arch9wavefront6targetE1EEEvSQ_,comdat
	.protected	_ZN7rocprim17ROCPRIM_400000_NS6detail17trampoline_kernelINS0_14default_configENS1_22reduce_config_selectorIiEEZNS1_11reduce_implILb1ES3_N6hipcub16HIPCUB_304000_NS22TransformInputIteratorIiN2at6native8internal21MapNumberOfTrueValuesEPKhlEEPiiNS8_6detail34convert_binary_result_type_wrapperISt4plusIvESG_iEEEE10hipError_tPvRmT1_T2_T3_mT4_P12ihipStream_tbEUlT_E1_NS1_11comp_targetILNS1_3genE2ELNS1_11target_archE906ELNS1_3gpuE6ELNS1_3repE0EEENS1_30default_config_static_selectorELNS0_4arch9wavefront6targetE1EEEvSQ_ ; -- Begin function _ZN7rocprim17ROCPRIM_400000_NS6detail17trampoline_kernelINS0_14default_configENS1_22reduce_config_selectorIiEEZNS1_11reduce_implILb1ES3_N6hipcub16HIPCUB_304000_NS22TransformInputIteratorIiN2at6native8internal21MapNumberOfTrueValuesEPKhlEEPiiNS8_6detail34convert_binary_result_type_wrapperISt4plusIvESG_iEEEE10hipError_tPvRmT1_T2_T3_mT4_P12ihipStream_tbEUlT_E1_NS1_11comp_targetILNS1_3genE2ELNS1_11target_archE906ELNS1_3gpuE6ELNS1_3repE0EEENS1_30default_config_static_selectorELNS0_4arch9wavefront6targetE1EEEvSQ_
	.globl	_ZN7rocprim17ROCPRIM_400000_NS6detail17trampoline_kernelINS0_14default_configENS1_22reduce_config_selectorIiEEZNS1_11reduce_implILb1ES3_N6hipcub16HIPCUB_304000_NS22TransformInputIteratorIiN2at6native8internal21MapNumberOfTrueValuesEPKhlEEPiiNS8_6detail34convert_binary_result_type_wrapperISt4plusIvESG_iEEEE10hipError_tPvRmT1_T2_T3_mT4_P12ihipStream_tbEUlT_E1_NS1_11comp_targetILNS1_3genE2ELNS1_11target_archE906ELNS1_3gpuE6ELNS1_3repE0EEENS1_30default_config_static_selectorELNS0_4arch9wavefront6targetE1EEEvSQ_
	.p2align	8
	.type	_ZN7rocprim17ROCPRIM_400000_NS6detail17trampoline_kernelINS0_14default_configENS1_22reduce_config_selectorIiEEZNS1_11reduce_implILb1ES3_N6hipcub16HIPCUB_304000_NS22TransformInputIteratorIiN2at6native8internal21MapNumberOfTrueValuesEPKhlEEPiiNS8_6detail34convert_binary_result_type_wrapperISt4plusIvESG_iEEEE10hipError_tPvRmT1_T2_T3_mT4_P12ihipStream_tbEUlT_E1_NS1_11comp_targetILNS1_3genE2ELNS1_11target_archE906ELNS1_3gpuE6ELNS1_3repE0EEENS1_30default_config_static_selectorELNS0_4arch9wavefront6targetE1EEEvSQ_,@function
_ZN7rocprim17ROCPRIM_400000_NS6detail17trampoline_kernelINS0_14default_configENS1_22reduce_config_selectorIiEEZNS1_11reduce_implILb1ES3_N6hipcub16HIPCUB_304000_NS22TransformInputIteratorIiN2at6native8internal21MapNumberOfTrueValuesEPKhlEEPiiNS8_6detail34convert_binary_result_type_wrapperISt4plusIvESG_iEEEE10hipError_tPvRmT1_T2_T3_mT4_P12ihipStream_tbEUlT_E1_NS1_11comp_targetILNS1_3genE2ELNS1_11target_archE906ELNS1_3gpuE6ELNS1_3repE0EEENS1_30default_config_static_selectorELNS0_4arch9wavefront6targetE1EEEvSQ_: ; @_ZN7rocprim17ROCPRIM_400000_NS6detail17trampoline_kernelINS0_14default_configENS1_22reduce_config_selectorIiEEZNS1_11reduce_implILb1ES3_N6hipcub16HIPCUB_304000_NS22TransformInputIteratorIiN2at6native8internal21MapNumberOfTrueValuesEPKhlEEPiiNS8_6detail34convert_binary_result_type_wrapperISt4plusIvESG_iEEEE10hipError_tPvRmT1_T2_T3_mT4_P12ihipStream_tbEUlT_E1_NS1_11comp_targetILNS1_3genE2ELNS1_11target_archE906ELNS1_3gpuE6ELNS1_3repE0EEENS1_30default_config_static_selectorELNS0_4arch9wavefront6targetE1EEEvSQ_
; %bb.0:
	.section	.rodata,"a",@progbits
	.p2align	6, 0x0
	.amdhsa_kernel _ZN7rocprim17ROCPRIM_400000_NS6detail17trampoline_kernelINS0_14default_configENS1_22reduce_config_selectorIiEEZNS1_11reduce_implILb1ES3_N6hipcub16HIPCUB_304000_NS22TransformInputIteratorIiN2at6native8internal21MapNumberOfTrueValuesEPKhlEEPiiNS8_6detail34convert_binary_result_type_wrapperISt4plusIvESG_iEEEE10hipError_tPvRmT1_T2_T3_mT4_P12ihipStream_tbEUlT_E1_NS1_11comp_targetILNS1_3genE2ELNS1_11target_archE906ELNS1_3gpuE6ELNS1_3repE0EEENS1_30default_config_static_selectorELNS0_4arch9wavefront6targetE1EEEvSQ_
		.amdhsa_group_segment_fixed_size 0
		.amdhsa_private_segment_fixed_size 0
		.amdhsa_kernarg_size 48
		.amdhsa_user_sgpr_count 2
		.amdhsa_user_sgpr_dispatch_ptr 0
		.amdhsa_user_sgpr_queue_ptr 0
		.amdhsa_user_sgpr_kernarg_segment_ptr 1
		.amdhsa_user_sgpr_dispatch_id 0
		.amdhsa_user_sgpr_kernarg_preload_length 0
		.amdhsa_user_sgpr_kernarg_preload_offset 0
		.amdhsa_user_sgpr_private_segment_size 0
		.amdhsa_uses_dynamic_stack 0
		.amdhsa_enable_private_segment 0
		.amdhsa_system_sgpr_workgroup_id_x 1
		.amdhsa_system_sgpr_workgroup_id_y 0
		.amdhsa_system_sgpr_workgroup_id_z 0
		.amdhsa_system_sgpr_workgroup_info 0
		.amdhsa_system_vgpr_workitem_id 0
		.amdhsa_next_free_vgpr 1
		.amdhsa_next_free_sgpr 0
		.amdhsa_accum_offset 4
		.amdhsa_reserve_vcc 0
		.amdhsa_float_round_mode_32 0
		.amdhsa_float_round_mode_16_64 0
		.amdhsa_float_denorm_mode_32 3
		.amdhsa_float_denorm_mode_16_64 3
		.amdhsa_dx10_clamp 1
		.amdhsa_ieee_mode 1
		.amdhsa_fp16_overflow 0
		.amdhsa_tg_split 0
		.amdhsa_exception_fp_ieee_invalid_op 0
		.amdhsa_exception_fp_denorm_src 0
		.amdhsa_exception_fp_ieee_div_zero 0
		.amdhsa_exception_fp_ieee_overflow 0
		.amdhsa_exception_fp_ieee_underflow 0
		.amdhsa_exception_fp_ieee_inexact 0
		.amdhsa_exception_int_div_zero 0
	.end_amdhsa_kernel
	.section	.text._ZN7rocprim17ROCPRIM_400000_NS6detail17trampoline_kernelINS0_14default_configENS1_22reduce_config_selectorIiEEZNS1_11reduce_implILb1ES3_N6hipcub16HIPCUB_304000_NS22TransformInputIteratorIiN2at6native8internal21MapNumberOfTrueValuesEPKhlEEPiiNS8_6detail34convert_binary_result_type_wrapperISt4plusIvESG_iEEEE10hipError_tPvRmT1_T2_T3_mT4_P12ihipStream_tbEUlT_E1_NS1_11comp_targetILNS1_3genE2ELNS1_11target_archE906ELNS1_3gpuE6ELNS1_3repE0EEENS1_30default_config_static_selectorELNS0_4arch9wavefront6targetE1EEEvSQ_,"axG",@progbits,_ZN7rocprim17ROCPRIM_400000_NS6detail17trampoline_kernelINS0_14default_configENS1_22reduce_config_selectorIiEEZNS1_11reduce_implILb1ES3_N6hipcub16HIPCUB_304000_NS22TransformInputIteratorIiN2at6native8internal21MapNumberOfTrueValuesEPKhlEEPiiNS8_6detail34convert_binary_result_type_wrapperISt4plusIvESG_iEEEE10hipError_tPvRmT1_T2_T3_mT4_P12ihipStream_tbEUlT_E1_NS1_11comp_targetILNS1_3genE2ELNS1_11target_archE906ELNS1_3gpuE6ELNS1_3repE0EEENS1_30default_config_static_selectorELNS0_4arch9wavefront6targetE1EEEvSQ_,comdat
.Lfunc_end128:
	.size	_ZN7rocprim17ROCPRIM_400000_NS6detail17trampoline_kernelINS0_14default_configENS1_22reduce_config_selectorIiEEZNS1_11reduce_implILb1ES3_N6hipcub16HIPCUB_304000_NS22TransformInputIteratorIiN2at6native8internal21MapNumberOfTrueValuesEPKhlEEPiiNS8_6detail34convert_binary_result_type_wrapperISt4plusIvESG_iEEEE10hipError_tPvRmT1_T2_T3_mT4_P12ihipStream_tbEUlT_E1_NS1_11comp_targetILNS1_3genE2ELNS1_11target_archE906ELNS1_3gpuE6ELNS1_3repE0EEENS1_30default_config_static_selectorELNS0_4arch9wavefront6targetE1EEEvSQ_, .Lfunc_end128-_ZN7rocprim17ROCPRIM_400000_NS6detail17trampoline_kernelINS0_14default_configENS1_22reduce_config_selectorIiEEZNS1_11reduce_implILb1ES3_N6hipcub16HIPCUB_304000_NS22TransformInputIteratorIiN2at6native8internal21MapNumberOfTrueValuesEPKhlEEPiiNS8_6detail34convert_binary_result_type_wrapperISt4plusIvESG_iEEEE10hipError_tPvRmT1_T2_T3_mT4_P12ihipStream_tbEUlT_E1_NS1_11comp_targetILNS1_3genE2ELNS1_11target_archE906ELNS1_3gpuE6ELNS1_3repE0EEENS1_30default_config_static_selectorELNS0_4arch9wavefront6targetE1EEEvSQ_
                                        ; -- End function
	.section	.AMDGPU.csdata,"",@progbits
; Kernel info:
; codeLenInByte = 0
; NumSgprs: 6
; NumVgprs: 0
; NumAgprs: 0
; TotalNumVgprs: 0
; ScratchSize: 0
; MemoryBound: 0
; FloatMode: 240
; IeeeMode: 1
; LDSByteSize: 0 bytes/workgroup (compile time only)
; SGPRBlocks: 0
; VGPRBlocks: 0
; NumSGPRsForWavesPerEU: 6
; NumVGPRsForWavesPerEU: 1
; AccumOffset: 4
; Occupancy: 8
; WaveLimiterHint : 0
; COMPUTE_PGM_RSRC2:SCRATCH_EN: 0
; COMPUTE_PGM_RSRC2:USER_SGPR: 2
; COMPUTE_PGM_RSRC2:TRAP_HANDLER: 0
; COMPUTE_PGM_RSRC2:TGID_X_EN: 1
; COMPUTE_PGM_RSRC2:TGID_Y_EN: 0
; COMPUTE_PGM_RSRC2:TGID_Z_EN: 0
; COMPUTE_PGM_RSRC2:TIDIG_COMP_CNT: 0
; COMPUTE_PGM_RSRC3_GFX90A:ACCUM_OFFSET: 0
; COMPUTE_PGM_RSRC3_GFX90A:TG_SPLIT: 0
	.section	.text._ZN7rocprim17ROCPRIM_400000_NS6detail17trampoline_kernelINS0_14default_configENS1_22reduce_config_selectorIiEEZNS1_11reduce_implILb1ES3_N6hipcub16HIPCUB_304000_NS22TransformInputIteratorIiN2at6native8internal21MapNumberOfTrueValuesEPKhlEEPiiNS8_6detail34convert_binary_result_type_wrapperISt4plusIvESG_iEEEE10hipError_tPvRmT1_T2_T3_mT4_P12ihipStream_tbEUlT_E1_NS1_11comp_targetILNS1_3genE10ELNS1_11target_archE1201ELNS1_3gpuE5ELNS1_3repE0EEENS1_30default_config_static_selectorELNS0_4arch9wavefront6targetE1EEEvSQ_,"axG",@progbits,_ZN7rocprim17ROCPRIM_400000_NS6detail17trampoline_kernelINS0_14default_configENS1_22reduce_config_selectorIiEEZNS1_11reduce_implILb1ES3_N6hipcub16HIPCUB_304000_NS22TransformInputIteratorIiN2at6native8internal21MapNumberOfTrueValuesEPKhlEEPiiNS8_6detail34convert_binary_result_type_wrapperISt4plusIvESG_iEEEE10hipError_tPvRmT1_T2_T3_mT4_P12ihipStream_tbEUlT_E1_NS1_11comp_targetILNS1_3genE10ELNS1_11target_archE1201ELNS1_3gpuE5ELNS1_3repE0EEENS1_30default_config_static_selectorELNS0_4arch9wavefront6targetE1EEEvSQ_,comdat
	.protected	_ZN7rocprim17ROCPRIM_400000_NS6detail17trampoline_kernelINS0_14default_configENS1_22reduce_config_selectorIiEEZNS1_11reduce_implILb1ES3_N6hipcub16HIPCUB_304000_NS22TransformInputIteratorIiN2at6native8internal21MapNumberOfTrueValuesEPKhlEEPiiNS8_6detail34convert_binary_result_type_wrapperISt4plusIvESG_iEEEE10hipError_tPvRmT1_T2_T3_mT4_P12ihipStream_tbEUlT_E1_NS1_11comp_targetILNS1_3genE10ELNS1_11target_archE1201ELNS1_3gpuE5ELNS1_3repE0EEENS1_30default_config_static_selectorELNS0_4arch9wavefront6targetE1EEEvSQ_ ; -- Begin function _ZN7rocprim17ROCPRIM_400000_NS6detail17trampoline_kernelINS0_14default_configENS1_22reduce_config_selectorIiEEZNS1_11reduce_implILb1ES3_N6hipcub16HIPCUB_304000_NS22TransformInputIteratorIiN2at6native8internal21MapNumberOfTrueValuesEPKhlEEPiiNS8_6detail34convert_binary_result_type_wrapperISt4plusIvESG_iEEEE10hipError_tPvRmT1_T2_T3_mT4_P12ihipStream_tbEUlT_E1_NS1_11comp_targetILNS1_3genE10ELNS1_11target_archE1201ELNS1_3gpuE5ELNS1_3repE0EEENS1_30default_config_static_selectorELNS0_4arch9wavefront6targetE1EEEvSQ_
	.globl	_ZN7rocprim17ROCPRIM_400000_NS6detail17trampoline_kernelINS0_14default_configENS1_22reduce_config_selectorIiEEZNS1_11reduce_implILb1ES3_N6hipcub16HIPCUB_304000_NS22TransformInputIteratorIiN2at6native8internal21MapNumberOfTrueValuesEPKhlEEPiiNS8_6detail34convert_binary_result_type_wrapperISt4plusIvESG_iEEEE10hipError_tPvRmT1_T2_T3_mT4_P12ihipStream_tbEUlT_E1_NS1_11comp_targetILNS1_3genE10ELNS1_11target_archE1201ELNS1_3gpuE5ELNS1_3repE0EEENS1_30default_config_static_selectorELNS0_4arch9wavefront6targetE1EEEvSQ_
	.p2align	8
	.type	_ZN7rocprim17ROCPRIM_400000_NS6detail17trampoline_kernelINS0_14default_configENS1_22reduce_config_selectorIiEEZNS1_11reduce_implILb1ES3_N6hipcub16HIPCUB_304000_NS22TransformInputIteratorIiN2at6native8internal21MapNumberOfTrueValuesEPKhlEEPiiNS8_6detail34convert_binary_result_type_wrapperISt4plusIvESG_iEEEE10hipError_tPvRmT1_T2_T3_mT4_P12ihipStream_tbEUlT_E1_NS1_11comp_targetILNS1_3genE10ELNS1_11target_archE1201ELNS1_3gpuE5ELNS1_3repE0EEENS1_30default_config_static_selectorELNS0_4arch9wavefront6targetE1EEEvSQ_,@function
_ZN7rocprim17ROCPRIM_400000_NS6detail17trampoline_kernelINS0_14default_configENS1_22reduce_config_selectorIiEEZNS1_11reduce_implILb1ES3_N6hipcub16HIPCUB_304000_NS22TransformInputIteratorIiN2at6native8internal21MapNumberOfTrueValuesEPKhlEEPiiNS8_6detail34convert_binary_result_type_wrapperISt4plusIvESG_iEEEE10hipError_tPvRmT1_T2_T3_mT4_P12ihipStream_tbEUlT_E1_NS1_11comp_targetILNS1_3genE10ELNS1_11target_archE1201ELNS1_3gpuE5ELNS1_3repE0EEENS1_30default_config_static_selectorELNS0_4arch9wavefront6targetE1EEEvSQ_: ; @_ZN7rocprim17ROCPRIM_400000_NS6detail17trampoline_kernelINS0_14default_configENS1_22reduce_config_selectorIiEEZNS1_11reduce_implILb1ES3_N6hipcub16HIPCUB_304000_NS22TransformInputIteratorIiN2at6native8internal21MapNumberOfTrueValuesEPKhlEEPiiNS8_6detail34convert_binary_result_type_wrapperISt4plusIvESG_iEEEE10hipError_tPvRmT1_T2_T3_mT4_P12ihipStream_tbEUlT_E1_NS1_11comp_targetILNS1_3genE10ELNS1_11target_archE1201ELNS1_3gpuE5ELNS1_3repE0EEENS1_30default_config_static_selectorELNS0_4arch9wavefront6targetE1EEEvSQ_
; %bb.0:
	.section	.rodata,"a",@progbits
	.p2align	6, 0x0
	.amdhsa_kernel _ZN7rocprim17ROCPRIM_400000_NS6detail17trampoline_kernelINS0_14default_configENS1_22reduce_config_selectorIiEEZNS1_11reduce_implILb1ES3_N6hipcub16HIPCUB_304000_NS22TransformInputIteratorIiN2at6native8internal21MapNumberOfTrueValuesEPKhlEEPiiNS8_6detail34convert_binary_result_type_wrapperISt4plusIvESG_iEEEE10hipError_tPvRmT1_T2_T3_mT4_P12ihipStream_tbEUlT_E1_NS1_11comp_targetILNS1_3genE10ELNS1_11target_archE1201ELNS1_3gpuE5ELNS1_3repE0EEENS1_30default_config_static_selectorELNS0_4arch9wavefront6targetE1EEEvSQ_
		.amdhsa_group_segment_fixed_size 0
		.amdhsa_private_segment_fixed_size 0
		.amdhsa_kernarg_size 48
		.amdhsa_user_sgpr_count 2
		.amdhsa_user_sgpr_dispatch_ptr 0
		.amdhsa_user_sgpr_queue_ptr 0
		.amdhsa_user_sgpr_kernarg_segment_ptr 1
		.amdhsa_user_sgpr_dispatch_id 0
		.amdhsa_user_sgpr_kernarg_preload_length 0
		.amdhsa_user_sgpr_kernarg_preload_offset 0
		.amdhsa_user_sgpr_private_segment_size 0
		.amdhsa_uses_dynamic_stack 0
		.amdhsa_enable_private_segment 0
		.amdhsa_system_sgpr_workgroup_id_x 1
		.amdhsa_system_sgpr_workgroup_id_y 0
		.amdhsa_system_sgpr_workgroup_id_z 0
		.amdhsa_system_sgpr_workgroup_info 0
		.amdhsa_system_vgpr_workitem_id 0
		.amdhsa_next_free_vgpr 1
		.amdhsa_next_free_sgpr 0
		.amdhsa_accum_offset 4
		.amdhsa_reserve_vcc 0
		.amdhsa_float_round_mode_32 0
		.amdhsa_float_round_mode_16_64 0
		.amdhsa_float_denorm_mode_32 3
		.amdhsa_float_denorm_mode_16_64 3
		.amdhsa_dx10_clamp 1
		.amdhsa_ieee_mode 1
		.amdhsa_fp16_overflow 0
		.amdhsa_tg_split 0
		.amdhsa_exception_fp_ieee_invalid_op 0
		.amdhsa_exception_fp_denorm_src 0
		.amdhsa_exception_fp_ieee_div_zero 0
		.amdhsa_exception_fp_ieee_overflow 0
		.amdhsa_exception_fp_ieee_underflow 0
		.amdhsa_exception_fp_ieee_inexact 0
		.amdhsa_exception_int_div_zero 0
	.end_amdhsa_kernel
	.section	.text._ZN7rocprim17ROCPRIM_400000_NS6detail17trampoline_kernelINS0_14default_configENS1_22reduce_config_selectorIiEEZNS1_11reduce_implILb1ES3_N6hipcub16HIPCUB_304000_NS22TransformInputIteratorIiN2at6native8internal21MapNumberOfTrueValuesEPKhlEEPiiNS8_6detail34convert_binary_result_type_wrapperISt4plusIvESG_iEEEE10hipError_tPvRmT1_T2_T3_mT4_P12ihipStream_tbEUlT_E1_NS1_11comp_targetILNS1_3genE10ELNS1_11target_archE1201ELNS1_3gpuE5ELNS1_3repE0EEENS1_30default_config_static_selectorELNS0_4arch9wavefront6targetE1EEEvSQ_,"axG",@progbits,_ZN7rocprim17ROCPRIM_400000_NS6detail17trampoline_kernelINS0_14default_configENS1_22reduce_config_selectorIiEEZNS1_11reduce_implILb1ES3_N6hipcub16HIPCUB_304000_NS22TransformInputIteratorIiN2at6native8internal21MapNumberOfTrueValuesEPKhlEEPiiNS8_6detail34convert_binary_result_type_wrapperISt4plusIvESG_iEEEE10hipError_tPvRmT1_T2_T3_mT4_P12ihipStream_tbEUlT_E1_NS1_11comp_targetILNS1_3genE10ELNS1_11target_archE1201ELNS1_3gpuE5ELNS1_3repE0EEENS1_30default_config_static_selectorELNS0_4arch9wavefront6targetE1EEEvSQ_,comdat
.Lfunc_end129:
	.size	_ZN7rocprim17ROCPRIM_400000_NS6detail17trampoline_kernelINS0_14default_configENS1_22reduce_config_selectorIiEEZNS1_11reduce_implILb1ES3_N6hipcub16HIPCUB_304000_NS22TransformInputIteratorIiN2at6native8internal21MapNumberOfTrueValuesEPKhlEEPiiNS8_6detail34convert_binary_result_type_wrapperISt4plusIvESG_iEEEE10hipError_tPvRmT1_T2_T3_mT4_P12ihipStream_tbEUlT_E1_NS1_11comp_targetILNS1_3genE10ELNS1_11target_archE1201ELNS1_3gpuE5ELNS1_3repE0EEENS1_30default_config_static_selectorELNS0_4arch9wavefront6targetE1EEEvSQ_, .Lfunc_end129-_ZN7rocprim17ROCPRIM_400000_NS6detail17trampoline_kernelINS0_14default_configENS1_22reduce_config_selectorIiEEZNS1_11reduce_implILb1ES3_N6hipcub16HIPCUB_304000_NS22TransformInputIteratorIiN2at6native8internal21MapNumberOfTrueValuesEPKhlEEPiiNS8_6detail34convert_binary_result_type_wrapperISt4plusIvESG_iEEEE10hipError_tPvRmT1_T2_T3_mT4_P12ihipStream_tbEUlT_E1_NS1_11comp_targetILNS1_3genE10ELNS1_11target_archE1201ELNS1_3gpuE5ELNS1_3repE0EEENS1_30default_config_static_selectorELNS0_4arch9wavefront6targetE1EEEvSQ_
                                        ; -- End function
	.section	.AMDGPU.csdata,"",@progbits
; Kernel info:
; codeLenInByte = 0
; NumSgprs: 6
; NumVgprs: 0
; NumAgprs: 0
; TotalNumVgprs: 0
; ScratchSize: 0
; MemoryBound: 0
; FloatMode: 240
; IeeeMode: 1
; LDSByteSize: 0 bytes/workgroup (compile time only)
; SGPRBlocks: 0
; VGPRBlocks: 0
; NumSGPRsForWavesPerEU: 6
; NumVGPRsForWavesPerEU: 1
; AccumOffset: 4
; Occupancy: 8
; WaveLimiterHint : 0
; COMPUTE_PGM_RSRC2:SCRATCH_EN: 0
; COMPUTE_PGM_RSRC2:USER_SGPR: 2
; COMPUTE_PGM_RSRC2:TRAP_HANDLER: 0
; COMPUTE_PGM_RSRC2:TGID_X_EN: 1
; COMPUTE_PGM_RSRC2:TGID_Y_EN: 0
; COMPUTE_PGM_RSRC2:TGID_Z_EN: 0
; COMPUTE_PGM_RSRC2:TIDIG_COMP_CNT: 0
; COMPUTE_PGM_RSRC3_GFX90A:ACCUM_OFFSET: 0
; COMPUTE_PGM_RSRC3_GFX90A:TG_SPLIT: 0
	.section	.text._ZN7rocprim17ROCPRIM_400000_NS6detail17trampoline_kernelINS0_14default_configENS1_22reduce_config_selectorIiEEZNS1_11reduce_implILb1ES3_N6hipcub16HIPCUB_304000_NS22TransformInputIteratorIiN2at6native8internal21MapNumberOfTrueValuesEPKhlEEPiiNS8_6detail34convert_binary_result_type_wrapperISt4plusIvESG_iEEEE10hipError_tPvRmT1_T2_T3_mT4_P12ihipStream_tbEUlT_E1_NS1_11comp_targetILNS1_3genE10ELNS1_11target_archE1200ELNS1_3gpuE4ELNS1_3repE0EEENS1_30default_config_static_selectorELNS0_4arch9wavefront6targetE1EEEvSQ_,"axG",@progbits,_ZN7rocprim17ROCPRIM_400000_NS6detail17trampoline_kernelINS0_14default_configENS1_22reduce_config_selectorIiEEZNS1_11reduce_implILb1ES3_N6hipcub16HIPCUB_304000_NS22TransformInputIteratorIiN2at6native8internal21MapNumberOfTrueValuesEPKhlEEPiiNS8_6detail34convert_binary_result_type_wrapperISt4plusIvESG_iEEEE10hipError_tPvRmT1_T2_T3_mT4_P12ihipStream_tbEUlT_E1_NS1_11comp_targetILNS1_3genE10ELNS1_11target_archE1200ELNS1_3gpuE4ELNS1_3repE0EEENS1_30default_config_static_selectorELNS0_4arch9wavefront6targetE1EEEvSQ_,comdat
	.protected	_ZN7rocprim17ROCPRIM_400000_NS6detail17trampoline_kernelINS0_14default_configENS1_22reduce_config_selectorIiEEZNS1_11reduce_implILb1ES3_N6hipcub16HIPCUB_304000_NS22TransformInputIteratorIiN2at6native8internal21MapNumberOfTrueValuesEPKhlEEPiiNS8_6detail34convert_binary_result_type_wrapperISt4plusIvESG_iEEEE10hipError_tPvRmT1_T2_T3_mT4_P12ihipStream_tbEUlT_E1_NS1_11comp_targetILNS1_3genE10ELNS1_11target_archE1200ELNS1_3gpuE4ELNS1_3repE0EEENS1_30default_config_static_selectorELNS0_4arch9wavefront6targetE1EEEvSQ_ ; -- Begin function _ZN7rocprim17ROCPRIM_400000_NS6detail17trampoline_kernelINS0_14default_configENS1_22reduce_config_selectorIiEEZNS1_11reduce_implILb1ES3_N6hipcub16HIPCUB_304000_NS22TransformInputIteratorIiN2at6native8internal21MapNumberOfTrueValuesEPKhlEEPiiNS8_6detail34convert_binary_result_type_wrapperISt4plusIvESG_iEEEE10hipError_tPvRmT1_T2_T3_mT4_P12ihipStream_tbEUlT_E1_NS1_11comp_targetILNS1_3genE10ELNS1_11target_archE1200ELNS1_3gpuE4ELNS1_3repE0EEENS1_30default_config_static_selectorELNS0_4arch9wavefront6targetE1EEEvSQ_
	.globl	_ZN7rocprim17ROCPRIM_400000_NS6detail17trampoline_kernelINS0_14default_configENS1_22reduce_config_selectorIiEEZNS1_11reduce_implILb1ES3_N6hipcub16HIPCUB_304000_NS22TransformInputIteratorIiN2at6native8internal21MapNumberOfTrueValuesEPKhlEEPiiNS8_6detail34convert_binary_result_type_wrapperISt4plusIvESG_iEEEE10hipError_tPvRmT1_T2_T3_mT4_P12ihipStream_tbEUlT_E1_NS1_11comp_targetILNS1_3genE10ELNS1_11target_archE1200ELNS1_3gpuE4ELNS1_3repE0EEENS1_30default_config_static_selectorELNS0_4arch9wavefront6targetE1EEEvSQ_
	.p2align	8
	.type	_ZN7rocprim17ROCPRIM_400000_NS6detail17trampoline_kernelINS0_14default_configENS1_22reduce_config_selectorIiEEZNS1_11reduce_implILb1ES3_N6hipcub16HIPCUB_304000_NS22TransformInputIteratorIiN2at6native8internal21MapNumberOfTrueValuesEPKhlEEPiiNS8_6detail34convert_binary_result_type_wrapperISt4plusIvESG_iEEEE10hipError_tPvRmT1_T2_T3_mT4_P12ihipStream_tbEUlT_E1_NS1_11comp_targetILNS1_3genE10ELNS1_11target_archE1200ELNS1_3gpuE4ELNS1_3repE0EEENS1_30default_config_static_selectorELNS0_4arch9wavefront6targetE1EEEvSQ_,@function
_ZN7rocprim17ROCPRIM_400000_NS6detail17trampoline_kernelINS0_14default_configENS1_22reduce_config_selectorIiEEZNS1_11reduce_implILb1ES3_N6hipcub16HIPCUB_304000_NS22TransformInputIteratorIiN2at6native8internal21MapNumberOfTrueValuesEPKhlEEPiiNS8_6detail34convert_binary_result_type_wrapperISt4plusIvESG_iEEEE10hipError_tPvRmT1_T2_T3_mT4_P12ihipStream_tbEUlT_E1_NS1_11comp_targetILNS1_3genE10ELNS1_11target_archE1200ELNS1_3gpuE4ELNS1_3repE0EEENS1_30default_config_static_selectorELNS0_4arch9wavefront6targetE1EEEvSQ_: ; @_ZN7rocprim17ROCPRIM_400000_NS6detail17trampoline_kernelINS0_14default_configENS1_22reduce_config_selectorIiEEZNS1_11reduce_implILb1ES3_N6hipcub16HIPCUB_304000_NS22TransformInputIteratorIiN2at6native8internal21MapNumberOfTrueValuesEPKhlEEPiiNS8_6detail34convert_binary_result_type_wrapperISt4plusIvESG_iEEEE10hipError_tPvRmT1_T2_T3_mT4_P12ihipStream_tbEUlT_E1_NS1_11comp_targetILNS1_3genE10ELNS1_11target_archE1200ELNS1_3gpuE4ELNS1_3repE0EEENS1_30default_config_static_selectorELNS0_4arch9wavefront6targetE1EEEvSQ_
; %bb.0:
	.section	.rodata,"a",@progbits
	.p2align	6, 0x0
	.amdhsa_kernel _ZN7rocprim17ROCPRIM_400000_NS6detail17trampoline_kernelINS0_14default_configENS1_22reduce_config_selectorIiEEZNS1_11reduce_implILb1ES3_N6hipcub16HIPCUB_304000_NS22TransformInputIteratorIiN2at6native8internal21MapNumberOfTrueValuesEPKhlEEPiiNS8_6detail34convert_binary_result_type_wrapperISt4plusIvESG_iEEEE10hipError_tPvRmT1_T2_T3_mT4_P12ihipStream_tbEUlT_E1_NS1_11comp_targetILNS1_3genE10ELNS1_11target_archE1200ELNS1_3gpuE4ELNS1_3repE0EEENS1_30default_config_static_selectorELNS0_4arch9wavefront6targetE1EEEvSQ_
		.amdhsa_group_segment_fixed_size 0
		.amdhsa_private_segment_fixed_size 0
		.amdhsa_kernarg_size 48
		.amdhsa_user_sgpr_count 2
		.amdhsa_user_sgpr_dispatch_ptr 0
		.amdhsa_user_sgpr_queue_ptr 0
		.amdhsa_user_sgpr_kernarg_segment_ptr 1
		.amdhsa_user_sgpr_dispatch_id 0
		.amdhsa_user_sgpr_kernarg_preload_length 0
		.amdhsa_user_sgpr_kernarg_preload_offset 0
		.amdhsa_user_sgpr_private_segment_size 0
		.amdhsa_uses_dynamic_stack 0
		.amdhsa_enable_private_segment 0
		.amdhsa_system_sgpr_workgroup_id_x 1
		.amdhsa_system_sgpr_workgroup_id_y 0
		.amdhsa_system_sgpr_workgroup_id_z 0
		.amdhsa_system_sgpr_workgroup_info 0
		.amdhsa_system_vgpr_workitem_id 0
		.amdhsa_next_free_vgpr 1
		.amdhsa_next_free_sgpr 0
		.amdhsa_accum_offset 4
		.amdhsa_reserve_vcc 0
		.amdhsa_float_round_mode_32 0
		.amdhsa_float_round_mode_16_64 0
		.amdhsa_float_denorm_mode_32 3
		.amdhsa_float_denorm_mode_16_64 3
		.amdhsa_dx10_clamp 1
		.amdhsa_ieee_mode 1
		.amdhsa_fp16_overflow 0
		.amdhsa_tg_split 0
		.amdhsa_exception_fp_ieee_invalid_op 0
		.amdhsa_exception_fp_denorm_src 0
		.amdhsa_exception_fp_ieee_div_zero 0
		.amdhsa_exception_fp_ieee_overflow 0
		.amdhsa_exception_fp_ieee_underflow 0
		.amdhsa_exception_fp_ieee_inexact 0
		.amdhsa_exception_int_div_zero 0
	.end_amdhsa_kernel
	.section	.text._ZN7rocprim17ROCPRIM_400000_NS6detail17trampoline_kernelINS0_14default_configENS1_22reduce_config_selectorIiEEZNS1_11reduce_implILb1ES3_N6hipcub16HIPCUB_304000_NS22TransformInputIteratorIiN2at6native8internal21MapNumberOfTrueValuesEPKhlEEPiiNS8_6detail34convert_binary_result_type_wrapperISt4plusIvESG_iEEEE10hipError_tPvRmT1_T2_T3_mT4_P12ihipStream_tbEUlT_E1_NS1_11comp_targetILNS1_3genE10ELNS1_11target_archE1200ELNS1_3gpuE4ELNS1_3repE0EEENS1_30default_config_static_selectorELNS0_4arch9wavefront6targetE1EEEvSQ_,"axG",@progbits,_ZN7rocprim17ROCPRIM_400000_NS6detail17trampoline_kernelINS0_14default_configENS1_22reduce_config_selectorIiEEZNS1_11reduce_implILb1ES3_N6hipcub16HIPCUB_304000_NS22TransformInputIteratorIiN2at6native8internal21MapNumberOfTrueValuesEPKhlEEPiiNS8_6detail34convert_binary_result_type_wrapperISt4plusIvESG_iEEEE10hipError_tPvRmT1_T2_T3_mT4_P12ihipStream_tbEUlT_E1_NS1_11comp_targetILNS1_3genE10ELNS1_11target_archE1200ELNS1_3gpuE4ELNS1_3repE0EEENS1_30default_config_static_selectorELNS0_4arch9wavefront6targetE1EEEvSQ_,comdat
.Lfunc_end130:
	.size	_ZN7rocprim17ROCPRIM_400000_NS6detail17trampoline_kernelINS0_14default_configENS1_22reduce_config_selectorIiEEZNS1_11reduce_implILb1ES3_N6hipcub16HIPCUB_304000_NS22TransformInputIteratorIiN2at6native8internal21MapNumberOfTrueValuesEPKhlEEPiiNS8_6detail34convert_binary_result_type_wrapperISt4plusIvESG_iEEEE10hipError_tPvRmT1_T2_T3_mT4_P12ihipStream_tbEUlT_E1_NS1_11comp_targetILNS1_3genE10ELNS1_11target_archE1200ELNS1_3gpuE4ELNS1_3repE0EEENS1_30default_config_static_selectorELNS0_4arch9wavefront6targetE1EEEvSQ_, .Lfunc_end130-_ZN7rocprim17ROCPRIM_400000_NS6detail17trampoline_kernelINS0_14default_configENS1_22reduce_config_selectorIiEEZNS1_11reduce_implILb1ES3_N6hipcub16HIPCUB_304000_NS22TransformInputIteratorIiN2at6native8internal21MapNumberOfTrueValuesEPKhlEEPiiNS8_6detail34convert_binary_result_type_wrapperISt4plusIvESG_iEEEE10hipError_tPvRmT1_T2_T3_mT4_P12ihipStream_tbEUlT_E1_NS1_11comp_targetILNS1_3genE10ELNS1_11target_archE1200ELNS1_3gpuE4ELNS1_3repE0EEENS1_30default_config_static_selectorELNS0_4arch9wavefront6targetE1EEEvSQ_
                                        ; -- End function
	.section	.AMDGPU.csdata,"",@progbits
; Kernel info:
; codeLenInByte = 0
; NumSgprs: 6
; NumVgprs: 0
; NumAgprs: 0
; TotalNumVgprs: 0
; ScratchSize: 0
; MemoryBound: 0
; FloatMode: 240
; IeeeMode: 1
; LDSByteSize: 0 bytes/workgroup (compile time only)
; SGPRBlocks: 0
; VGPRBlocks: 0
; NumSGPRsForWavesPerEU: 6
; NumVGPRsForWavesPerEU: 1
; AccumOffset: 4
; Occupancy: 8
; WaveLimiterHint : 0
; COMPUTE_PGM_RSRC2:SCRATCH_EN: 0
; COMPUTE_PGM_RSRC2:USER_SGPR: 2
; COMPUTE_PGM_RSRC2:TRAP_HANDLER: 0
; COMPUTE_PGM_RSRC2:TGID_X_EN: 1
; COMPUTE_PGM_RSRC2:TGID_Y_EN: 0
; COMPUTE_PGM_RSRC2:TGID_Z_EN: 0
; COMPUTE_PGM_RSRC2:TIDIG_COMP_CNT: 0
; COMPUTE_PGM_RSRC3_GFX90A:ACCUM_OFFSET: 0
; COMPUTE_PGM_RSRC3_GFX90A:TG_SPLIT: 0
	.section	.text._ZN7rocprim17ROCPRIM_400000_NS6detail17trampoline_kernelINS0_14default_configENS1_22reduce_config_selectorIiEEZNS1_11reduce_implILb1ES3_N6hipcub16HIPCUB_304000_NS22TransformInputIteratorIiN2at6native8internal21MapNumberOfTrueValuesEPKhlEEPiiNS8_6detail34convert_binary_result_type_wrapperISt4plusIvESG_iEEEE10hipError_tPvRmT1_T2_T3_mT4_P12ihipStream_tbEUlT_E1_NS1_11comp_targetILNS1_3genE9ELNS1_11target_archE1100ELNS1_3gpuE3ELNS1_3repE0EEENS1_30default_config_static_selectorELNS0_4arch9wavefront6targetE1EEEvSQ_,"axG",@progbits,_ZN7rocprim17ROCPRIM_400000_NS6detail17trampoline_kernelINS0_14default_configENS1_22reduce_config_selectorIiEEZNS1_11reduce_implILb1ES3_N6hipcub16HIPCUB_304000_NS22TransformInputIteratorIiN2at6native8internal21MapNumberOfTrueValuesEPKhlEEPiiNS8_6detail34convert_binary_result_type_wrapperISt4plusIvESG_iEEEE10hipError_tPvRmT1_T2_T3_mT4_P12ihipStream_tbEUlT_E1_NS1_11comp_targetILNS1_3genE9ELNS1_11target_archE1100ELNS1_3gpuE3ELNS1_3repE0EEENS1_30default_config_static_selectorELNS0_4arch9wavefront6targetE1EEEvSQ_,comdat
	.protected	_ZN7rocprim17ROCPRIM_400000_NS6detail17trampoline_kernelINS0_14default_configENS1_22reduce_config_selectorIiEEZNS1_11reduce_implILb1ES3_N6hipcub16HIPCUB_304000_NS22TransformInputIteratorIiN2at6native8internal21MapNumberOfTrueValuesEPKhlEEPiiNS8_6detail34convert_binary_result_type_wrapperISt4plusIvESG_iEEEE10hipError_tPvRmT1_T2_T3_mT4_P12ihipStream_tbEUlT_E1_NS1_11comp_targetILNS1_3genE9ELNS1_11target_archE1100ELNS1_3gpuE3ELNS1_3repE0EEENS1_30default_config_static_selectorELNS0_4arch9wavefront6targetE1EEEvSQ_ ; -- Begin function _ZN7rocprim17ROCPRIM_400000_NS6detail17trampoline_kernelINS0_14default_configENS1_22reduce_config_selectorIiEEZNS1_11reduce_implILb1ES3_N6hipcub16HIPCUB_304000_NS22TransformInputIteratorIiN2at6native8internal21MapNumberOfTrueValuesEPKhlEEPiiNS8_6detail34convert_binary_result_type_wrapperISt4plusIvESG_iEEEE10hipError_tPvRmT1_T2_T3_mT4_P12ihipStream_tbEUlT_E1_NS1_11comp_targetILNS1_3genE9ELNS1_11target_archE1100ELNS1_3gpuE3ELNS1_3repE0EEENS1_30default_config_static_selectorELNS0_4arch9wavefront6targetE1EEEvSQ_
	.globl	_ZN7rocprim17ROCPRIM_400000_NS6detail17trampoline_kernelINS0_14default_configENS1_22reduce_config_selectorIiEEZNS1_11reduce_implILb1ES3_N6hipcub16HIPCUB_304000_NS22TransformInputIteratorIiN2at6native8internal21MapNumberOfTrueValuesEPKhlEEPiiNS8_6detail34convert_binary_result_type_wrapperISt4plusIvESG_iEEEE10hipError_tPvRmT1_T2_T3_mT4_P12ihipStream_tbEUlT_E1_NS1_11comp_targetILNS1_3genE9ELNS1_11target_archE1100ELNS1_3gpuE3ELNS1_3repE0EEENS1_30default_config_static_selectorELNS0_4arch9wavefront6targetE1EEEvSQ_
	.p2align	8
	.type	_ZN7rocprim17ROCPRIM_400000_NS6detail17trampoline_kernelINS0_14default_configENS1_22reduce_config_selectorIiEEZNS1_11reduce_implILb1ES3_N6hipcub16HIPCUB_304000_NS22TransformInputIteratorIiN2at6native8internal21MapNumberOfTrueValuesEPKhlEEPiiNS8_6detail34convert_binary_result_type_wrapperISt4plusIvESG_iEEEE10hipError_tPvRmT1_T2_T3_mT4_P12ihipStream_tbEUlT_E1_NS1_11comp_targetILNS1_3genE9ELNS1_11target_archE1100ELNS1_3gpuE3ELNS1_3repE0EEENS1_30default_config_static_selectorELNS0_4arch9wavefront6targetE1EEEvSQ_,@function
_ZN7rocprim17ROCPRIM_400000_NS6detail17trampoline_kernelINS0_14default_configENS1_22reduce_config_selectorIiEEZNS1_11reduce_implILb1ES3_N6hipcub16HIPCUB_304000_NS22TransformInputIteratorIiN2at6native8internal21MapNumberOfTrueValuesEPKhlEEPiiNS8_6detail34convert_binary_result_type_wrapperISt4plusIvESG_iEEEE10hipError_tPvRmT1_T2_T3_mT4_P12ihipStream_tbEUlT_E1_NS1_11comp_targetILNS1_3genE9ELNS1_11target_archE1100ELNS1_3gpuE3ELNS1_3repE0EEENS1_30default_config_static_selectorELNS0_4arch9wavefront6targetE1EEEvSQ_: ; @_ZN7rocprim17ROCPRIM_400000_NS6detail17trampoline_kernelINS0_14default_configENS1_22reduce_config_selectorIiEEZNS1_11reduce_implILb1ES3_N6hipcub16HIPCUB_304000_NS22TransformInputIteratorIiN2at6native8internal21MapNumberOfTrueValuesEPKhlEEPiiNS8_6detail34convert_binary_result_type_wrapperISt4plusIvESG_iEEEE10hipError_tPvRmT1_T2_T3_mT4_P12ihipStream_tbEUlT_E1_NS1_11comp_targetILNS1_3genE9ELNS1_11target_archE1100ELNS1_3gpuE3ELNS1_3repE0EEENS1_30default_config_static_selectorELNS0_4arch9wavefront6targetE1EEEvSQ_
; %bb.0:
	.section	.rodata,"a",@progbits
	.p2align	6, 0x0
	.amdhsa_kernel _ZN7rocprim17ROCPRIM_400000_NS6detail17trampoline_kernelINS0_14default_configENS1_22reduce_config_selectorIiEEZNS1_11reduce_implILb1ES3_N6hipcub16HIPCUB_304000_NS22TransformInputIteratorIiN2at6native8internal21MapNumberOfTrueValuesEPKhlEEPiiNS8_6detail34convert_binary_result_type_wrapperISt4plusIvESG_iEEEE10hipError_tPvRmT1_T2_T3_mT4_P12ihipStream_tbEUlT_E1_NS1_11comp_targetILNS1_3genE9ELNS1_11target_archE1100ELNS1_3gpuE3ELNS1_3repE0EEENS1_30default_config_static_selectorELNS0_4arch9wavefront6targetE1EEEvSQ_
		.amdhsa_group_segment_fixed_size 0
		.amdhsa_private_segment_fixed_size 0
		.amdhsa_kernarg_size 48
		.amdhsa_user_sgpr_count 2
		.amdhsa_user_sgpr_dispatch_ptr 0
		.amdhsa_user_sgpr_queue_ptr 0
		.amdhsa_user_sgpr_kernarg_segment_ptr 1
		.amdhsa_user_sgpr_dispatch_id 0
		.amdhsa_user_sgpr_kernarg_preload_length 0
		.amdhsa_user_sgpr_kernarg_preload_offset 0
		.amdhsa_user_sgpr_private_segment_size 0
		.amdhsa_uses_dynamic_stack 0
		.amdhsa_enable_private_segment 0
		.amdhsa_system_sgpr_workgroup_id_x 1
		.amdhsa_system_sgpr_workgroup_id_y 0
		.amdhsa_system_sgpr_workgroup_id_z 0
		.amdhsa_system_sgpr_workgroup_info 0
		.amdhsa_system_vgpr_workitem_id 0
		.amdhsa_next_free_vgpr 1
		.amdhsa_next_free_sgpr 0
		.amdhsa_accum_offset 4
		.amdhsa_reserve_vcc 0
		.amdhsa_float_round_mode_32 0
		.amdhsa_float_round_mode_16_64 0
		.amdhsa_float_denorm_mode_32 3
		.amdhsa_float_denorm_mode_16_64 3
		.amdhsa_dx10_clamp 1
		.amdhsa_ieee_mode 1
		.amdhsa_fp16_overflow 0
		.amdhsa_tg_split 0
		.amdhsa_exception_fp_ieee_invalid_op 0
		.amdhsa_exception_fp_denorm_src 0
		.amdhsa_exception_fp_ieee_div_zero 0
		.amdhsa_exception_fp_ieee_overflow 0
		.amdhsa_exception_fp_ieee_underflow 0
		.amdhsa_exception_fp_ieee_inexact 0
		.amdhsa_exception_int_div_zero 0
	.end_amdhsa_kernel
	.section	.text._ZN7rocprim17ROCPRIM_400000_NS6detail17trampoline_kernelINS0_14default_configENS1_22reduce_config_selectorIiEEZNS1_11reduce_implILb1ES3_N6hipcub16HIPCUB_304000_NS22TransformInputIteratorIiN2at6native8internal21MapNumberOfTrueValuesEPKhlEEPiiNS8_6detail34convert_binary_result_type_wrapperISt4plusIvESG_iEEEE10hipError_tPvRmT1_T2_T3_mT4_P12ihipStream_tbEUlT_E1_NS1_11comp_targetILNS1_3genE9ELNS1_11target_archE1100ELNS1_3gpuE3ELNS1_3repE0EEENS1_30default_config_static_selectorELNS0_4arch9wavefront6targetE1EEEvSQ_,"axG",@progbits,_ZN7rocprim17ROCPRIM_400000_NS6detail17trampoline_kernelINS0_14default_configENS1_22reduce_config_selectorIiEEZNS1_11reduce_implILb1ES3_N6hipcub16HIPCUB_304000_NS22TransformInputIteratorIiN2at6native8internal21MapNumberOfTrueValuesEPKhlEEPiiNS8_6detail34convert_binary_result_type_wrapperISt4plusIvESG_iEEEE10hipError_tPvRmT1_T2_T3_mT4_P12ihipStream_tbEUlT_E1_NS1_11comp_targetILNS1_3genE9ELNS1_11target_archE1100ELNS1_3gpuE3ELNS1_3repE0EEENS1_30default_config_static_selectorELNS0_4arch9wavefront6targetE1EEEvSQ_,comdat
.Lfunc_end131:
	.size	_ZN7rocprim17ROCPRIM_400000_NS6detail17trampoline_kernelINS0_14default_configENS1_22reduce_config_selectorIiEEZNS1_11reduce_implILb1ES3_N6hipcub16HIPCUB_304000_NS22TransformInputIteratorIiN2at6native8internal21MapNumberOfTrueValuesEPKhlEEPiiNS8_6detail34convert_binary_result_type_wrapperISt4plusIvESG_iEEEE10hipError_tPvRmT1_T2_T3_mT4_P12ihipStream_tbEUlT_E1_NS1_11comp_targetILNS1_3genE9ELNS1_11target_archE1100ELNS1_3gpuE3ELNS1_3repE0EEENS1_30default_config_static_selectorELNS0_4arch9wavefront6targetE1EEEvSQ_, .Lfunc_end131-_ZN7rocprim17ROCPRIM_400000_NS6detail17trampoline_kernelINS0_14default_configENS1_22reduce_config_selectorIiEEZNS1_11reduce_implILb1ES3_N6hipcub16HIPCUB_304000_NS22TransformInputIteratorIiN2at6native8internal21MapNumberOfTrueValuesEPKhlEEPiiNS8_6detail34convert_binary_result_type_wrapperISt4plusIvESG_iEEEE10hipError_tPvRmT1_T2_T3_mT4_P12ihipStream_tbEUlT_E1_NS1_11comp_targetILNS1_3genE9ELNS1_11target_archE1100ELNS1_3gpuE3ELNS1_3repE0EEENS1_30default_config_static_selectorELNS0_4arch9wavefront6targetE1EEEvSQ_
                                        ; -- End function
	.section	.AMDGPU.csdata,"",@progbits
; Kernel info:
; codeLenInByte = 0
; NumSgprs: 6
; NumVgprs: 0
; NumAgprs: 0
; TotalNumVgprs: 0
; ScratchSize: 0
; MemoryBound: 0
; FloatMode: 240
; IeeeMode: 1
; LDSByteSize: 0 bytes/workgroup (compile time only)
; SGPRBlocks: 0
; VGPRBlocks: 0
; NumSGPRsForWavesPerEU: 6
; NumVGPRsForWavesPerEU: 1
; AccumOffset: 4
; Occupancy: 8
; WaveLimiterHint : 0
; COMPUTE_PGM_RSRC2:SCRATCH_EN: 0
; COMPUTE_PGM_RSRC2:USER_SGPR: 2
; COMPUTE_PGM_RSRC2:TRAP_HANDLER: 0
; COMPUTE_PGM_RSRC2:TGID_X_EN: 1
; COMPUTE_PGM_RSRC2:TGID_Y_EN: 0
; COMPUTE_PGM_RSRC2:TGID_Z_EN: 0
; COMPUTE_PGM_RSRC2:TIDIG_COMP_CNT: 0
; COMPUTE_PGM_RSRC3_GFX90A:ACCUM_OFFSET: 0
; COMPUTE_PGM_RSRC3_GFX90A:TG_SPLIT: 0
	.section	.text._ZN7rocprim17ROCPRIM_400000_NS6detail17trampoline_kernelINS0_14default_configENS1_22reduce_config_selectorIiEEZNS1_11reduce_implILb1ES3_N6hipcub16HIPCUB_304000_NS22TransformInputIteratorIiN2at6native8internal21MapNumberOfTrueValuesEPKhlEEPiiNS8_6detail34convert_binary_result_type_wrapperISt4plusIvESG_iEEEE10hipError_tPvRmT1_T2_T3_mT4_P12ihipStream_tbEUlT_E1_NS1_11comp_targetILNS1_3genE8ELNS1_11target_archE1030ELNS1_3gpuE2ELNS1_3repE0EEENS1_30default_config_static_selectorELNS0_4arch9wavefront6targetE1EEEvSQ_,"axG",@progbits,_ZN7rocprim17ROCPRIM_400000_NS6detail17trampoline_kernelINS0_14default_configENS1_22reduce_config_selectorIiEEZNS1_11reduce_implILb1ES3_N6hipcub16HIPCUB_304000_NS22TransformInputIteratorIiN2at6native8internal21MapNumberOfTrueValuesEPKhlEEPiiNS8_6detail34convert_binary_result_type_wrapperISt4plusIvESG_iEEEE10hipError_tPvRmT1_T2_T3_mT4_P12ihipStream_tbEUlT_E1_NS1_11comp_targetILNS1_3genE8ELNS1_11target_archE1030ELNS1_3gpuE2ELNS1_3repE0EEENS1_30default_config_static_selectorELNS0_4arch9wavefront6targetE1EEEvSQ_,comdat
	.protected	_ZN7rocprim17ROCPRIM_400000_NS6detail17trampoline_kernelINS0_14default_configENS1_22reduce_config_selectorIiEEZNS1_11reduce_implILb1ES3_N6hipcub16HIPCUB_304000_NS22TransformInputIteratorIiN2at6native8internal21MapNumberOfTrueValuesEPKhlEEPiiNS8_6detail34convert_binary_result_type_wrapperISt4plusIvESG_iEEEE10hipError_tPvRmT1_T2_T3_mT4_P12ihipStream_tbEUlT_E1_NS1_11comp_targetILNS1_3genE8ELNS1_11target_archE1030ELNS1_3gpuE2ELNS1_3repE0EEENS1_30default_config_static_selectorELNS0_4arch9wavefront6targetE1EEEvSQ_ ; -- Begin function _ZN7rocprim17ROCPRIM_400000_NS6detail17trampoline_kernelINS0_14default_configENS1_22reduce_config_selectorIiEEZNS1_11reduce_implILb1ES3_N6hipcub16HIPCUB_304000_NS22TransformInputIteratorIiN2at6native8internal21MapNumberOfTrueValuesEPKhlEEPiiNS8_6detail34convert_binary_result_type_wrapperISt4plusIvESG_iEEEE10hipError_tPvRmT1_T2_T3_mT4_P12ihipStream_tbEUlT_E1_NS1_11comp_targetILNS1_3genE8ELNS1_11target_archE1030ELNS1_3gpuE2ELNS1_3repE0EEENS1_30default_config_static_selectorELNS0_4arch9wavefront6targetE1EEEvSQ_
	.globl	_ZN7rocprim17ROCPRIM_400000_NS6detail17trampoline_kernelINS0_14default_configENS1_22reduce_config_selectorIiEEZNS1_11reduce_implILb1ES3_N6hipcub16HIPCUB_304000_NS22TransformInputIteratorIiN2at6native8internal21MapNumberOfTrueValuesEPKhlEEPiiNS8_6detail34convert_binary_result_type_wrapperISt4plusIvESG_iEEEE10hipError_tPvRmT1_T2_T3_mT4_P12ihipStream_tbEUlT_E1_NS1_11comp_targetILNS1_3genE8ELNS1_11target_archE1030ELNS1_3gpuE2ELNS1_3repE0EEENS1_30default_config_static_selectorELNS0_4arch9wavefront6targetE1EEEvSQ_
	.p2align	8
	.type	_ZN7rocprim17ROCPRIM_400000_NS6detail17trampoline_kernelINS0_14default_configENS1_22reduce_config_selectorIiEEZNS1_11reduce_implILb1ES3_N6hipcub16HIPCUB_304000_NS22TransformInputIteratorIiN2at6native8internal21MapNumberOfTrueValuesEPKhlEEPiiNS8_6detail34convert_binary_result_type_wrapperISt4plusIvESG_iEEEE10hipError_tPvRmT1_T2_T3_mT4_P12ihipStream_tbEUlT_E1_NS1_11comp_targetILNS1_3genE8ELNS1_11target_archE1030ELNS1_3gpuE2ELNS1_3repE0EEENS1_30default_config_static_selectorELNS0_4arch9wavefront6targetE1EEEvSQ_,@function
_ZN7rocprim17ROCPRIM_400000_NS6detail17trampoline_kernelINS0_14default_configENS1_22reduce_config_selectorIiEEZNS1_11reduce_implILb1ES3_N6hipcub16HIPCUB_304000_NS22TransformInputIteratorIiN2at6native8internal21MapNumberOfTrueValuesEPKhlEEPiiNS8_6detail34convert_binary_result_type_wrapperISt4plusIvESG_iEEEE10hipError_tPvRmT1_T2_T3_mT4_P12ihipStream_tbEUlT_E1_NS1_11comp_targetILNS1_3genE8ELNS1_11target_archE1030ELNS1_3gpuE2ELNS1_3repE0EEENS1_30default_config_static_selectorELNS0_4arch9wavefront6targetE1EEEvSQ_: ; @_ZN7rocprim17ROCPRIM_400000_NS6detail17trampoline_kernelINS0_14default_configENS1_22reduce_config_selectorIiEEZNS1_11reduce_implILb1ES3_N6hipcub16HIPCUB_304000_NS22TransformInputIteratorIiN2at6native8internal21MapNumberOfTrueValuesEPKhlEEPiiNS8_6detail34convert_binary_result_type_wrapperISt4plusIvESG_iEEEE10hipError_tPvRmT1_T2_T3_mT4_P12ihipStream_tbEUlT_E1_NS1_11comp_targetILNS1_3genE8ELNS1_11target_archE1030ELNS1_3gpuE2ELNS1_3repE0EEENS1_30default_config_static_selectorELNS0_4arch9wavefront6targetE1EEEvSQ_
; %bb.0:
	.section	.rodata,"a",@progbits
	.p2align	6, 0x0
	.amdhsa_kernel _ZN7rocprim17ROCPRIM_400000_NS6detail17trampoline_kernelINS0_14default_configENS1_22reduce_config_selectorIiEEZNS1_11reduce_implILb1ES3_N6hipcub16HIPCUB_304000_NS22TransformInputIteratorIiN2at6native8internal21MapNumberOfTrueValuesEPKhlEEPiiNS8_6detail34convert_binary_result_type_wrapperISt4plusIvESG_iEEEE10hipError_tPvRmT1_T2_T3_mT4_P12ihipStream_tbEUlT_E1_NS1_11comp_targetILNS1_3genE8ELNS1_11target_archE1030ELNS1_3gpuE2ELNS1_3repE0EEENS1_30default_config_static_selectorELNS0_4arch9wavefront6targetE1EEEvSQ_
		.amdhsa_group_segment_fixed_size 0
		.amdhsa_private_segment_fixed_size 0
		.amdhsa_kernarg_size 48
		.amdhsa_user_sgpr_count 2
		.amdhsa_user_sgpr_dispatch_ptr 0
		.amdhsa_user_sgpr_queue_ptr 0
		.amdhsa_user_sgpr_kernarg_segment_ptr 1
		.amdhsa_user_sgpr_dispatch_id 0
		.amdhsa_user_sgpr_kernarg_preload_length 0
		.amdhsa_user_sgpr_kernarg_preload_offset 0
		.amdhsa_user_sgpr_private_segment_size 0
		.amdhsa_uses_dynamic_stack 0
		.amdhsa_enable_private_segment 0
		.amdhsa_system_sgpr_workgroup_id_x 1
		.amdhsa_system_sgpr_workgroup_id_y 0
		.amdhsa_system_sgpr_workgroup_id_z 0
		.amdhsa_system_sgpr_workgroup_info 0
		.amdhsa_system_vgpr_workitem_id 0
		.amdhsa_next_free_vgpr 1
		.amdhsa_next_free_sgpr 0
		.amdhsa_accum_offset 4
		.amdhsa_reserve_vcc 0
		.amdhsa_float_round_mode_32 0
		.amdhsa_float_round_mode_16_64 0
		.amdhsa_float_denorm_mode_32 3
		.amdhsa_float_denorm_mode_16_64 3
		.amdhsa_dx10_clamp 1
		.amdhsa_ieee_mode 1
		.amdhsa_fp16_overflow 0
		.amdhsa_tg_split 0
		.amdhsa_exception_fp_ieee_invalid_op 0
		.amdhsa_exception_fp_denorm_src 0
		.amdhsa_exception_fp_ieee_div_zero 0
		.amdhsa_exception_fp_ieee_overflow 0
		.amdhsa_exception_fp_ieee_underflow 0
		.amdhsa_exception_fp_ieee_inexact 0
		.amdhsa_exception_int_div_zero 0
	.end_amdhsa_kernel
	.section	.text._ZN7rocprim17ROCPRIM_400000_NS6detail17trampoline_kernelINS0_14default_configENS1_22reduce_config_selectorIiEEZNS1_11reduce_implILb1ES3_N6hipcub16HIPCUB_304000_NS22TransformInputIteratorIiN2at6native8internal21MapNumberOfTrueValuesEPKhlEEPiiNS8_6detail34convert_binary_result_type_wrapperISt4plusIvESG_iEEEE10hipError_tPvRmT1_T2_T3_mT4_P12ihipStream_tbEUlT_E1_NS1_11comp_targetILNS1_3genE8ELNS1_11target_archE1030ELNS1_3gpuE2ELNS1_3repE0EEENS1_30default_config_static_selectorELNS0_4arch9wavefront6targetE1EEEvSQ_,"axG",@progbits,_ZN7rocprim17ROCPRIM_400000_NS6detail17trampoline_kernelINS0_14default_configENS1_22reduce_config_selectorIiEEZNS1_11reduce_implILb1ES3_N6hipcub16HIPCUB_304000_NS22TransformInputIteratorIiN2at6native8internal21MapNumberOfTrueValuesEPKhlEEPiiNS8_6detail34convert_binary_result_type_wrapperISt4plusIvESG_iEEEE10hipError_tPvRmT1_T2_T3_mT4_P12ihipStream_tbEUlT_E1_NS1_11comp_targetILNS1_3genE8ELNS1_11target_archE1030ELNS1_3gpuE2ELNS1_3repE0EEENS1_30default_config_static_selectorELNS0_4arch9wavefront6targetE1EEEvSQ_,comdat
.Lfunc_end132:
	.size	_ZN7rocprim17ROCPRIM_400000_NS6detail17trampoline_kernelINS0_14default_configENS1_22reduce_config_selectorIiEEZNS1_11reduce_implILb1ES3_N6hipcub16HIPCUB_304000_NS22TransformInputIteratorIiN2at6native8internal21MapNumberOfTrueValuesEPKhlEEPiiNS8_6detail34convert_binary_result_type_wrapperISt4plusIvESG_iEEEE10hipError_tPvRmT1_T2_T3_mT4_P12ihipStream_tbEUlT_E1_NS1_11comp_targetILNS1_3genE8ELNS1_11target_archE1030ELNS1_3gpuE2ELNS1_3repE0EEENS1_30default_config_static_selectorELNS0_4arch9wavefront6targetE1EEEvSQ_, .Lfunc_end132-_ZN7rocprim17ROCPRIM_400000_NS6detail17trampoline_kernelINS0_14default_configENS1_22reduce_config_selectorIiEEZNS1_11reduce_implILb1ES3_N6hipcub16HIPCUB_304000_NS22TransformInputIteratorIiN2at6native8internal21MapNumberOfTrueValuesEPKhlEEPiiNS8_6detail34convert_binary_result_type_wrapperISt4plusIvESG_iEEEE10hipError_tPvRmT1_T2_T3_mT4_P12ihipStream_tbEUlT_E1_NS1_11comp_targetILNS1_3genE8ELNS1_11target_archE1030ELNS1_3gpuE2ELNS1_3repE0EEENS1_30default_config_static_selectorELNS0_4arch9wavefront6targetE1EEEvSQ_
                                        ; -- End function
	.section	.AMDGPU.csdata,"",@progbits
; Kernel info:
; codeLenInByte = 0
; NumSgprs: 6
; NumVgprs: 0
; NumAgprs: 0
; TotalNumVgprs: 0
; ScratchSize: 0
; MemoryBound: 0
; FloatMode: 240
; IeeeMode: 1
; LDSByteSize: 0 bytes/workgroup (compile time only)
; SGPRBlocks: 0
; VGPRBlocks: 0
; NumSGPRsForWavesPerEU: 6
; NumVGPRsForWavesPerEU: 1
; AccumOffset: 4
; Occupancy: 8
; WaveLimiterHint : 0
; COMPUTE_PGM_RSRC2:SCRATCH_EN: 0
; COMPUTE_PGM_RSRC2:USER_SGPR: 2
; COMPUTE_PGM_RSRC2:TRAP_HANDLER: 0
; COMPUTE_PGM_RSRC2:TGID_X_EN: 1
; COMPUTE_PGM_RSRC2:TGID_Y_EN: 0
; COMPUTE_PGM_RSRC2:TGID_Z_EN: 0
; COMPUTE_PGM_RSRC2:TIDIG_COMP_CNT: 0
; COMPUTE_PGM_RSRC3_GFX90A:ACCUM_OFFSET: 0
; COMPUTE_PGM_RSRC3_GFX90A:TG_SPLIT: 0
	.section	.text._ZN2at6native8internal12_GLOBAL__N_126adjacent_difference_kernelIPKhEEvlT_Pi,"axG",@progbits,_ZN2at6native8internal12_GLOBAL__N_126adjacent_difference_kernelIPKhEEvlT_Pi,comdat
	.globl	_ZN2at6native8internal12_GLOBAL__N_126adjacent_difference_kernelIPKhEEvlT_Pi ; -- Begin function _ZN2at6native8internal12_GLOBAL__N_126adjacent_difference_kernelIPKhEEvlT_Pi
	.p2align	8
	.type	_ZN2at6native8internal12_GLOBAL__N_126adjacent_difference_kernelIPKhEEvlT_Pi,@function
_ZN2at6native8internal12_GLOBAL__N_126adjacent_difference_kernelIPKhEEvlT_Pi: ; @_ZN2at6native8internal12_GLOBAL__N_126adjacent_difference_kernelIPKhEEvlT_Pi
; %bb.0:
	s_load_dword s3, s[0:1], 0x24
	s_load_dwordx4 s[4:7], s[0:1], 0x0
	s_add_u32 s10, s0, 24
	s_addc_u32 s11, s1, 0
	v_mov_b32_e32 v1, 0
	s_waitcnt lgkmcnt(0)
	s_and_b32 s12, s3, 0xffff
	v_mov_b32_e32 v2, s2
	v_mad_u64_u32 v[4:5], s[8:9], s12, v2, v[0:1]
	v_cmp_gt_i64_e32 vcc, s[4:5], v[4:5]
	s_and_saveexec_b64 s[8:9], vcc
	s_cbranch_execz .LBB133_5
; %bb.1:
	s_load_dword s13, s[10:11], 0x0
	s_load_dwordx2 s[8:9], s[0:1], 0x10
	s_mul_hi_u32 s1, s12, s2
	s_mul_i32 s0, s12, s2
	s_mov_b32 s3, 0
	s_waitcnt lgkmcnt(0)
	s_mul_i32 s2, s13, s12
	v_mov_b32_e32 v2, v1
	v_mov_b32_e32 v3, v4
	s_mov_b32 s10, s3
	s_mov_b32 s11, s2
	s_mov_b64 s[12:13], 0
	v_mov_b64_e32 v[4:5], v[0:1]
	s_branch .LBB133_3
.LBB133_2:                              ;   in Loop: Header=BB133_3 Depth=1
	s_or_b64 exec, exec, s[14:15]
	v_ashrrev_i64 v[6:7], 30, v[2:3]
	v_lshl_add_u64 v[6:7], s[8:9], 0, v[6:7]
	v_lshl_add_u64 v[4:5], v[4:5], 0, s[2:3]
	global_store_dword v[6:7], v0, off
	v_lshl_add_u64 v[6:7], s[0:1], 0, v[4:5]
	v_cmp_le_i64_e32 vcc, s[4:5], v[6:7]
	s_or_b64 s[12:13], vcc, s[12:13]
	v_lshl_add_u64 v[2:3], v[2:3], 0, s[10:11]
	s_andn2_b64 exec, exec, s[12:13]
	s_cbranch_execz .LBB133_5
.LBB133_3:                              ; =>This Inner Loop Header: Depth=1
	v_add_u32_e32 v0, s0, v4
	v_cmp_lt_i32_e32 vcc, 0, v0
	v_mov_b32_e32 v0, 0
	s_and_saveexec_b64 s[14:15], vcc
	s_cbranch_execz .LBB133_2
; %bb.4:                                ;   in Loop: Header=BB133_3 Depth=1
	v_add_u32_e32 v8, s0, v4
	v_and_b32_e32 v0, 0x7fffffff, v8
	v_lshl_add_u64 v[6:7], s[6:7], 0, v[0:1]
	v_add_u32_e32 v0, -1, v8
	global_load_ubyte v8, v[6:7], off
	global_load_ubyte v9, v0, s[6:7]
	s_waitcnt vmcnt(0)
	v_cmp_ne_u16_e32 vcc, v8, v9
	s_nop 1
	v_cndmask_b32_e64 v0, 0, 1, vcc
	s_branch .LBB133_2
.LBB133_5:
	s_endpgm
	.section	.rodata,"a",@progbits
	.p2align	6, 0x0
	.amdhsa_kernel _ZN2at6native8internal12_GLOBAL__N_126adjacent_difference_kernelIPKhEEvlT_Pi
		.amdhsa_group_segment_fixed_size 0
		.amdhsa_private_segment_fixed_size 0
		.amdhsa_kernarg_size 280
		.amdhsa_user_sgpr_count 2
		.amdhsa_user_sgpr_dispatch_ptr 0
		.amdhsa_user_sgpr_queue_ptr 0
		.amdhsa_user_sgpr_kernarg_segment_ptr 1
		.amdhsa_user_sgpr_dispatch_id 0
		.amdhsa_user_sgpr_kernarg_preload_length 0
		.amdhsa_user_sgpr_kernarg_preload_offset 0
		.amdhsa_user_sgpr_private_segment_size 0
		.amdhsa_uses_dynamic_stack 0
		.amdhsa_enable_private_segment 0
		.amdhsa_system_sgpr_workgroup_id_x 1
		.amdhsa_system_sgpr_workgroup_id_y 0
		.amdhsa_system_sgpr_workgroup_id_z 0
		.amdhsa_system_sgpr_workgroup_info 0
		.amdhsa_system_vgpr_workitem_id 0
		.amdhsa_next_free_vgpr 10
		.amdhsa_next_free_sgpr 16
		.amdhsa_accum_offset 12
		.amdhsa_reserve_vcc 1
		.amdhsa_float_round_mode_32 0
		.amdhsa_float_round_mode_16_64 0
		.amdhsa_float_denorm_mode_32 3
		.amdhsa_float_denorm_mode_16_64 3
		.amdhsa_dx10_clamp 1
		.amdhsa_ieee_mode 1
		.amdhsa_fp16_overflow 0
		.amdhsa_tg_split 0
		.amdhsa_exception_fp_ieee_invalid_op 0
		.amdhsa_exception_fp_denorm_src 0
		.amdhsa_exception_fp_ieee_div_zero 0
		.amdhsa_exception_fp_ieee_overflow 0
		.amdhsa_exception_fp_ieee_underflow 0
		.amdhsa_exception_fp_ieee_inexact 0
		.amdhsa_exception_int_div_zero 0
	.end_amdhsa_kernel
	.section	.text._ZN2at6native8internal12_GLOBAL__N_126adjacent_difference_kernelIPKhEEvlT_Pi,"axG",@progbits,_ZN2at6native8internal12_GLOBAL__N_126adjacent_difference_kernelIPKhEEvlT_Pi,comdat
.Lfunc_end133:
	.size	_ZN2at6native8internal12_GLOBAL__N_126adjacent_difference_kernelIPKhEEvlT_Pi, .Lfunc_end133-_ZN2at6native8internal12_GLOBAL__N_126adjacent_difference_kernelIPKhEEvlT_Pi
                                        ; -- End function
	.section	.AMDGPU.csdata,"",@progbits
; Kernel info:
; codeLenInByte = 284
; NumSgprs: 22
; NumVgprs: 10
; NumAgprs: 0
; TotalNumVgprs: 10
; ScratchSize: 0
; MemoryBound: 0
; FloatMode: 240
; IeeeMode: 1
; LDSByteSize: 0 bytes/workgroup (compile time only)
; SGPRBlocks: 2
; VGPRBlocks: 1
; NumSGPRsForWavesPerEU: 22
; NumVGPRsForWavesPerEU: 10
; AccumOffset: 12
; Occupancy: 8
; WaveLimiterHint : 0
; COMPUTE_PGM_RSRC2:SCRATCH_EN: 0
; COMPUTE_PGM_RSRC2:USER_SGPR: 2
; COMPUTE_PGM_RSRC2:TRAP_HANDLER: 0
; COMPUTE_PGM_RSRC2:TGID_X_EN: 1
; COMPUTE_PGM_RSRC2:TGID_Y_EN: 0
; COMPUTE_PGM_RSRC2:TGID_Z_EN: 0
; COMPUTE_PGM_RSRC2:TIDIG_COMP_CNT: 0
; COMPUTE_PGM_RSRC3_GFX90A:ACCUM_OFFSET: 2
; COMPUTE_PGM_RSRC3_GFX90A:TG_SPLIT: 0
	.section	.text._ZN7rocprim17ROCPRIM_400000_NS6detail17trampoline_kernelINS0_14default_configENS1_25partition_config_selectorILNS1_17partition_subalgoE8EhNS0_10empty_typeEbEEZZNS1_14partition_implILS5_8ELb0ES3_jPKhPS6_PKS6_NS0_5tupleIJPhS6_EEENSE_IJSB_SB_EEENS0_18inequality_wrapperIN6hipcub16HIPCUB_304000_NS8EqualityEEEPlJS6_EEE10hipError_tPvRmT3_T4_T5_T6_T7_T9_mT8_P12ihipStream_tbDpT10_ENKUlT_T0_E_clISt17integral_constantIbLb0EES17_EEDaS12_S13_EUlS12_E_NS1_11comp_targetILNS1_3genE0ELNS1_11target_archE4294967295ELNS1_3gpuE0ELNS1_3repE0EEENS1_30default_config_static_selectorELNS0_4arch9wavefront6targetE1EEEvT1_,"axG",@progbits,_ZN7rocprim17ROCPRIM_400000_NS6detail17trampoline_kernelINS0_14default_configENS1_25partition_config_selectorILNS1_17partition_subalgoE8EhNS0_10empty_typeEbEEZZNS1_14partition_implILS5_8ELb0ES3_jPKhPS6_PKS6_NS0_5tupleIJPhS6_EEENSE_IJSB_SB_EEENS0_18inequality_wrapperIN6hipcub16HIPCUB_304000_NS8EqualityEEEPlJS6_EEE10hipError_tPvRmT3_T4_T5_T6_T7_T9_mT8_P12ihipStream_tbDpT10_ENKUlT_T0_E_clISt17integral_constantIbLb0EES17_EEDaS12_S13_EUlS12_E_NS1_11comp_targetILNS1_3genE0ELNS1_11target_archE4294967295ELNS1_3gpuE0ELNS1_3repE0EEENS1_30default_config_static_selectorELNS0_4arch9wavefront6targetE1EEEvT1_,comdat
	.protected	_ZN7rocprim17ROCPRIM_400000_NS6detail17trampoline_kernelINS0_14default_configENS1_25partition_config_selectorILNS1_17partition_subalgoE8EhNS0_10empty_typeEbEEZZNS1_14partition_implILS5_8ELb0ES3_jPKhPS6_PKS6_NS0_5tupleIJPhS6_EEENSE_IJSB_SB_EEENS0_18inequality_wrapperIN6hipcub16HIPCUB_304000_NS8EqualityEEEPlJS6_EEE10hipError_tPvRmT3_T4_T5_T6_T7_T9_mT8_P12ihipStream_tbDpT10_ENKUlT_T0_E_clISt17integral_constantIbLb0EES17_EEDaS12_S13_EUlS12_E_NS1_11comp_targetILNS1_3genE0ELNS1_11target_archE4294967295ELNS1_3gpuE0ELNS1_3repE0EEENS1_30default_config_static_selectorELNS0_4arch9wavefront6targetE1EEEvT1_ ; -- Begin function _ZN7rocprim17ROCPRIM_400000_NS6detail17trampoline_kernelINS0_14default_configENS1_25partition_config_selectorILNS1_17partition_subalgoE8EhNS0_10empty_typeEbEEZZNS1_14partition_implILS5_8ELb0ES3_jPKhPS6_PKS6_NS0_5tupleIJPhS6_EEENSE_IJSB_SB_EEENS0_18inequality_wrapperIN6hipcub16HIPCUB_304000_NS8EqualityEEEPlJS6_EEE10hipError_tPvRmT3_T4_T5_T6_T7_T9_mT8_P12ihipStream_tbDpT10_ENKUlT_T0_E_clISt17integral_constantIbLb0EES17_EEDaS12_S13_EUlS12_E_NS1_11comp_targetILNS1_3genE0ELNS1_11target_archE4294967295ELNS1_3gpuE0ELNS1_3repE0EEENS1_30default_config_static_selectorELNS0_4arch9wavefront6targetE1EEEvT1_
	.globl	_ZN7rocprim17ROCPRIM_400000_NS6detail17trampoline_kernelINS0_14default_configENS1_25partition_config_selectorILNS1_17partition_subalgoE8EhNS0_10empty_typeEbEEZZNS1_14partition_implILS5_8ELb0ES3_jPKhPS6_PKS6_NS0_5tupleIJPhS6_EEENSE_IJSB_SB_EEENS0_18inequality_wrapperIN6hipcub16HIPCUB_304000_NS8EqualityEEEPlJS6_EEE10hipError_tPvRmT3_T4_T5_T6_T7_T9_mT8_P12ihipStream_tbDpT10_ENKUlT_T0_E_clISt17integral_constantIbLb0EES17_EEDaS12_S13_EUlS12_E_NS1_11comp_targetILNS1_3genE0ELNS1_11target_archE4294967295ELNS1_3gpuE0ELNS1_3repE0EEENS1_30default_config_static_selectorELNS0_4arch9wavefront6targetE1EEEvT1_
	.p2align	8
	.type	_ZN7rocprim17ROCPRIM_400000_NS6detail17trampoline_kernelINS0_14default_configENS1_25partition_config_selectorILNS1_17partition_subalgoE8EhNS0_10empty_typeEbEEZZNS1_14partition_implILS5_8ELb0ES3_jPKhPS6_PKS6_NS0_5tupleIJPhS6_EEENSE_IJSB_SB_EEENS0_18inequality_wrapperIN6hipcub16HIPCUB_304000_NS8EqualityEEEPlJS6_EEE10hipError_tPvRmT3_T4_T5_T6_T7_T9_mT8_P12ihipStream_tbDpT10_ENKUlT_T0_E_clISt17integral_constantIbLb0EES17_EEDaS12_S13_EUlS12_E_NS1_11comp_targetILNS1_3genE0ELNS1_11target_archE4294967295ELNS1_3gpuE0ELNS1_3repE0EEENS1_30default_config_static_selectorELNS0_4arch9wavefront6targetE1EEEvT1_,@function
_ZN7rocprim17ROCPRIM_400000_NS6detail17trampoline_kernelINS0_14default_configENS1_25partition_config_selectorILNS1_17partition_subalgoE8EhNS0_10empty_typeEbEEZZNS1_14partition_implILS5_8ELb0ES3_jPKhPS6_PKS6_NS0_5tupleIJPhS6_EEENSE_IJSB_SB_EEENS0_18inequality_wrapperIN6hipcub16HIPCUB_304000_NS8EqualityEEEPlJS6_EEE10hipError_tPvRmT3_T4_T5_T6_T7_T9_mT8_P12ihipStream_tbDpT10_ENKUlT_T0_E_clISt17integral_constantIbLb0EES17_EEDaS12_S13_EUlS12_E_NS1_11comp_targetILNS1_3genE0ELNS1_11target_archE4294967295ELNS1_3gpuE0ELNS1_3repE0EEENS1_30default_config_static_selectorELNS0_4arch9wavefront6targetE1EEEvT1_: ; @_ZN7rocprim17ROCPRIM_400000_NS6detail17trampoline_kernelINS0_14default_configENS1_25partition_config_selectorILNS1_17partition_subalgoE8EhNS0_10empty_typeEbEEZZNS1_14partition_implILS5_8ELb0ES3_jPKhPS6_PKS6_NS0_5tupleIJPhS6_EEENSE_IJSB_SB_EEENS0_18inequality_wrapperIN6hipcub16HIPCUB_304000_NS8EqualityEEEPlJS6_EEE10hipError_tPvRmT3_T4_T5_T6_T7_T9_mT8_P12ihipStream_tbDpT10_ENKUlT_T0_E_clISt17integral_constantIbLb0EES17_EEDaS12_S13_EUlS12_E_NS1_11comp_targetILNS1_3genE0ELNS1_11target_archE4294967295ELNS1_3gpuE0ELNS1_3repE0EEENS1_30default_config_static_selectorELNS0_4arch9wavefront6targetE1EEEvT1_
; %bb.0:
	.section	.rodata,"a",@progbits
	.p2align	6, 0x0
	.amdhsa_kernel _ZN7rocprim17ROCPRIM_400000_NS6detail17trampoline_kernelINS0_14default_configENS1_25partition_config_selectorILNS1_17partition_subalgoE8EhNS0_10empty_typeEbEEZZNS1_14partition_implILS5_8ELb0ES3_jPKhPS6_PKS6_NS0_5tupleIJPhS6_EEENSE_IJSB_SB_EEENS0_18inequality_wrapperIN6hipcub16HIPCUB_304000_NS8EqualityEEEPlJS6_EEE10hipError_tPvRmT3_T4_T5_T6_T7_T9_mT8_P12ihipStream_tbDpT10_ENKUlT_T0_E_clISt17integral_constantIbLb0EES17_EEDaS12_S13_EUlS12_E_NS1_11comp_targetILNS1_3genE0ELNS1_11target_archE4294967295ELNS1_3gpuE0ELNS1_3repE0EEENS1_30default_config_static_selectorELNS0_4arch9wavefront6targetE1EEEvT1_
		.amdhsa_group_segment_fixed_size 0
		.amdhsa_private_segment_fixed_size 0
		.amdhsa_kernarg_size 112
		.amdhsa_user_sgpr_count 2
		.amdhsa_user_sgpr_dispatch_ptr 0
		.amdhsa_user_sgpr_queue_ptr 0
		.amdhsa_user_sgpr_kernarg_segment_ptr 1
		.amdhsa_user_sgpr_dispatch_id 0
		.amdhsa_user_sgpr_kernarg_preload_length 0
		.amdhsa_user_sgpr_kernarg_preload_offset 0
		.amdhsa_user_sgpr_private_segment_size 0
		.amdhsa_uses_dynamic_stack 0
		.amdhsa_enable_private_segment 0
		.amdhsa_system_sgpr_workgroup_id_x 1
		.amdhsa_system_sgpr_workgroup_id_y 0
		.amdhsa_system_sgpr_workgroup_id_z 0
		.amdhsa_system_sgpr_workgroup_info 0
		.amdhsa_system_vgpr_workitem_id 0
		.amdhsa_next_free_vgpr 1
		.amdhsa_next_free_sgpr 0
		.amdhsa_accum_offset 4
		.amdhsa_reserve_vcc 0
		.amdhsa_float_round_mode_32 0
		.amdhsa_float_round_mode_16_64 0
		.amdhsa_float_denorm_mode_32 3
		.amdhsa_float_denorm_mode_16_64 3
		.amdhsa_dx10_clamp 1
		.amdhsa_ieee_mode 1
		.amdhsa_fp16_overflow 0
		.amdhsa_tg_split 0
		.amdhsa_exception_fp_ieee_invalid_op 0
		.amdhsa_exception_fp_denorm_src 0
		.amdhsa_exception_fp_ieee_div_zero 0
		.amdhsa_exception_fp_ieee_overflow 0
		.amdhsa_exception_fp_ieee_underflow 0
		.amdhsa_exception_fp_ieee_inexact 0
		.amdhsa_exception_int_div_zero 0
	.end_amdhsa_kernel
	.section	.text._ZN7rocprim17ROCPRIM_400000_NS6detail17trampoline_kernelINS0_14default_configENS1_25partition_config_selectorILNS1_17partition_subalgoE8EhNS0_10empty_typeEbEEZZNS1_14partition_implILS5_8ELb0ES3_jPKhPS6_PKS6_NS0_5tupleIJPhS6_EEENSE_IJSB_SB_EEENS0_18inequality_wrapperIN6hipcub16HIPCUB_304000_NS8EqualityEEEPlJS6_EEE10hipError_tPvRmT3_T4_T5_T6_T7_T9_mT8_P12ihipStream_tbDpT10_ENKUlT_T0_E_clISt17integral_constantIbLb0EES17_EEDaS12_S13_EUlS12_E_NS1_11comp_targetILNS1_3genE0ELNS1_11target_archE4294967295ELNS1_3gpuE0ELNS1_3repE0EEENS1_30default_config_static_selectorELNS0_4arch9wavefront6targetE1EEEvT1_,"axG",@progbits,_ZN7rocprim17ROCPRIM_400000_NS6detail17trampoline_kernelINS0_14default_configENS1_25partition_config_selectorILNS1_17partition_subalgoE8EhNS0_10empty_typeEbEEZZNS1_14partition_implILS5_8ELb0ES3_jPKhPS6_PKS6_NS0_5tupleIJPhS6_EEENSE_IJSB_SB_EEENS0_18inequality_wrapperIN6hipcub16HIPCUB_304000_NS8EqualityEEEPlJS6_EEE10hipError_tPvRmT3_T4_T5_T6_T7_T9_mT8_P12ihipStream_tbDpT10_ENKUlT_T0_E_clISt17integral_constantIbLb0EES17_EEDaS12_S13_EUlS12_E_NS1_11comp_targetILNS1_3genE0ELNS1_11target_archE4294967295ELNS1_3gpuE0ELNS1_3repE0EEENS1_30default_config_static_selectorELNS0_4arch9wavefront6targetE1EEEvT1_,comdat
.Lfunc_end134:
	.size	_ZN7rocprim17ROCPRIM_400000_NS6detail17trampoline_kernelINS0_14default_configENS1_25partition_config_selectorILNS1_17partition_subalgoE8EhNS0_10empty_typeEbEEZZNS1_14partition_implILS5_8ELb0ES3_jPKhPS6_PKS6_NS0_5tupleIJPhS6_EEENSE_IJSB_SB_EEENS0_18inequality_wrapperIN6hipcub16HIPCUB_304000_NS8EqualityEEEPlJS6_EEE10hipError_tPvRmT3_T4_T5_T6_T7_T9_mT8_P12ihipStream_tbDpT10_ENKUlT_T0_E_clISt17integral_constantIbLb0EES17_EEDaS12_S13_EUlS12_E_NS1_11comp_targetILNS1_3genE0ELNS1_11target_archE4294967295ELNS1_3gpuE0ELNS1_3repE0EEENS1_30default_config_static_selectorELNS0_4arch9wavefront6targetE1EEEvT1_, .Lfunc_end134-_ZN7rocprim17ROCPRIM_400000_NS6detail17trampoline_kernelINS0_14default_configENS1_25partition_config_selectorILNS1_17partition_subalgoE8EhNS0_10empty_typeEbEEZZNS1_14partition_implILS5_8ELb0ES3_jPKhPS6_PKS6_NS0_5tupleIJPhS6_EEENSE_IJSB_SB_EEENS0_18inequality_wrapperIN6hipcub16HIPCUB_304000_NS8EqualityEEEPlJS6_EEE10hipError_tPvRmT3_T4_T5_T6_T7_T9_mT8_P12ihipStream_tbDpT10_ENKUlT_T0_E_clISt17integral_constantIbLb0EES17_EEDaS12_S13_EUlS12_E_NS1_11comp_targetILNS1_3genE0ELNS1_11target_archE4294967295ELNS1_3gpuE0ELNS1_3repE0EEENS1_30default_config_static_selectorELNS0_4arch9wavefront6targetE1EEEvT1_
                                        ; -- End function
	.section	.AMDGPU.csdata,"",@progbits
; Kernel info:
; codeLenInByte = 0
; NumSgprs: 6
; NumVgprs: 0
; NumAgprs: 0
; TotalNumVgprs: 0
; ScratchSize: 0
; MemoryBound: 0
; FloatMode: 240
; IeeeMode: 1
; LDSByteSize: 0 bytes/workgroup (compile time only)
; SGPRBlocks: 0
; VGPRBlocks: 0
; NumSGPRsForWavesPerEU: 6
; NumVGPRsForWavesPerEU: 1
; AccumOffset: 4
; Occupancy: 8
; WaveLimiterHint : 0
; COMPUTE_PGM_RSRC2:SCRATCH_EN: 0
; COMPUTE_PGM_RSRC2:USER_SGPR: 2
; COMPUTE_PGM_RSRC2:TRAP_HANDLER: 0
; COMPUTE_PGM_RSRC2:TGID_X_EN: 1
; COMPUTE_PGM_RSRC2:TGID_Y_EN: 0
; COMPUTE_PGM_RSRC2:TGID_Z_EN: 0
; COMPUTE_PGM_RSRC2:TIDIG_COMP_CNT: 0
; COMPUTE_PGM_RSRC3_GFX90A:ACCUM_OFFSET: 0
; COMPUTE_PGM_RSRC3_GFX90A:TG_SPLIT: 0
	.section	.text._ZN7rocprim17ROCPRIM_400000_NS6detail17trampoline_kernelINS0_14default_configENS1_25partition_config_selectorILNS1_17partition_subalgoE8EhNS0_10empty_typeEbEEZZNS1_14partition_implILS5_8ELb0ES3_jPKhPS6_PKS6_NS0_5tupleIJPhS6_EEENSE_IJSB_SB_EEENS0_18inequality_wrapperIN6hipcub16HIPCUB_304000_NS8EqualityEEEPlJS6_EEE10hipError_tPvRmT3_T4_T5_T6_T7_T9_mT8_P12ihipStream_tbDpT10_ENKUlT_T0_E_clISt17integral_constantIbLb0EES17_EEDaS12_S13_EUlS12_E_NS1_11comp_targetILNS1_3genE5ELNS1_11target_archE942ELNS1_3gpuE9ELNS1_3repE0EEENS1_30default_config_static_selectorELNS0_4arch9wavefront6targetE1EEEvT1_,"axG",@progbits,_ZN7rocprim17ROCPRIM_400000_NS6detail17trampoline_kernelINS0_14default_configENS1_25partition_config_selectorILNS1_17partition_subalgoE8EhNS0_10empty_typeEbEEZZNS1_14partition_implILS5_8ELb0ES3_jPKhPS6_PKS6_NS0_5tupleIJPhS6_EEENSE_IJSB_SB_EEENS0_18inequality_wrapperIN6hipcub16HIPCUB_304000_NS8EqualityEEEPlJS6_EEE10hipError_tPvRmT3_T4_T5_T6_T7_T9_mT8_P12ihipStream_tbDpT10_ENKUlT_T0_E_clISt17integral_constantIbLb0EES17_EEDaS12_S13_EUlS12_E_NS1_11comp_targetILNS1_3genE5ELNS1_11target_archE942ELNS1_3gpuE9ELNS1_3repE0EEENS1_30default_config_static_selectorELNS0_4arch9wavefront6targetE1EEEvT1_,comdat
	.protected	_ZN7rocprim17ROCPRIM_400000_NS6detail17trampoline_kernelINS0_14default_configENS1_25partition_config_selectorILNS1_17partition_subalgoE8EhNS0_10empty_typeEbEEZZNS1_14partition_implILS5_8ELb0ES3_jPKhPS6_PKS6_NS0_5tupleIJPhS6_EEENSE_IJSB_SB_EEENS0_18inequality_wrapperIN6hipcub16HIPCUB_304000_NS8EqualityEEEPlJS6_EEE10hipError_tPvRmT3_T4_T5_T6_T7_T9_mT8_P12ihipStream_tbDpT10_ENKUlT_T0_E_clISt17integral_constantIbLb0EES17_EEDaS12_S13_EUlS12_E_NS1_11comp_targetILNS1_3genE5ELNS1_11target_archE942ELNS1_3gpuE9ELNS1_3repE0EEENS1_30default_config_static_selectorELNS0_4arch9wavefront6targetE1EEEvT1_ ; -- Begin function _ZN7rocprim17ROCPRIM_400000_NS6detail17trampoline_kernelINS0_14default_configENS1_25partition_config_selectorILNS1_17partition_subalgoE8EhNS0_10empty_typeEbEEZZNS1_14partition_implILS5_8ELb0ES3_jPKhPS6_PKS6_NS0_5tupleIJPhS6_EEENSE_IJSB_SB_EEENS0_18inequality_wrapperIN6hipcub16HIPCUB_304000_NS8EqualityEEEPlJS6_EEE10hipError_tPvRmT3_T4_T5_T6_T7_T9_mT8_P12ihipStream_tbDpT10_ENKUlT_T0_E_clISt17integral_constantIbLb0EES17_EEDaS12_S13_EUlS12_E_NS1_11comp_targetILNS1_3genE5ELNS1_11target_archE942ELNS1_3gpuE9ELNS1_3repE0EEENS1_30default_config_static_selectorELNS0_4arch9wavefront6targetE1EEEvT1_
	.globl	_ZN7rocprim17ROCPRIM_400000_NS6detail17trampoline_kernelINS0_14default_configENS1_25partition_config_selectorILNS1_17partition_subalgoE8EhNS0_10empty_typeEbEEZZNS1_14partition_implILS5_8ELb0ES3_jPKhPS6_PKS6_NS0_5tupleIJPhS6_EEENSE_IJSB_SB_EEENS0_18inequality_wrapperIN6hipcub16HIPCUB_304000_NS8EqualityEEEPlJS6_EEE10hipError_tPvRmT3_T4_T5_T6_T7_T9_mT8_P12ihipStream_tbDpT10_ENKUlT_T0_E_clISt17integral_constantIbLb0EES17_EEDaS12_S13_EUlS12_E_NS1_11comp_targetILNS1_3genE5ELNS1_11target_archE942ELNS1_3gpuE9ELNS1_3repE0EEENS1_30default_config_static_selectorELNS0_4arch9wavefront6targetE1EEEvT1_
	.p2align	8
	.type	_ZN7rocprim17ROCPRIM_400000_NS6detail17trampoline_kernelINS0_14default_configENS1_25partition_config_selectorILNS1_17partition_subalgoE8EhNS0_10empty_typeEbEEZZNS1_14partition_implILS5_8ELb0ES3_jPKhPS6_PKS6_NS0_5tupleIJPhS6_EEENSE_IJSB_SB_EEENS0_18inequality_wrapperIN6hipcub16HIPCUB_304000_NS8EqualityEEEPlJS6_EEE10hipError_tPvRmT3_T4_T5_T6_T7_T9_mT8_P12ihipStream_tbDpT10_ENKUlT_T0_E_clISt17integral_constantIbLb0EES17_EEDaS12_S13_EUlS12_E_NS1_11comp_targetILNS1_3genE5ELNS1_11target_archE942ELNS1_3gpuE9ELNS1_3repE0EEENS1_30default_config_static_selectorELNS0_4arch9wavefront6targetE1EEEvT1_,@function
_ZN7rocprim17ROCPRIM_400000_NS6detail17trampoline_kernelINS0_14default_configENS1_25partition_config_selectorILNS1_17partition_subalgoE8EhNS0_10empty_typeEbEEZZNS1_14partition_implILS5_8ELb0ES3_jPKhPS6_PKS6_NS0_5tupleIJPhS6_EEENSE_IJSB_SB_EEENS0_18inequality_wrapperIN6hipcub16HIPCUB_304000_NS8EqualityEEEPlJS6_EEE10hipError_tPvRmT3_T4_T5_T6_T7_T9_mT8_P12ihipStream_tbDpT10_ENKUlT_T0_E_clISt17integral_constantIbLb0EES17_EEDaS12_S13_EUlS12_E_NS1_11comp_targetILNS1_3genE5ELNS1_11target_archE942ELNS1_3gpuE9ELNS1_3repE0EEENS1_30default_config_static_selectorELNS0_4arch9wavefront6targetE1EEEvT1_: ; @_ZN7rocprim17ROCPRIM_400000_NS6detail17trampoline_kernelINS0_14default_configENS1_25partition_config_selectorILNS1_17partition_subalgoE8EhNS0_10empty_typeEbEEZZNS1_14partition_implILS5_8ELb0ES3_jPKhPS6_PKS6_NS0_5tupleIJPhS6_EEENSE_IJSB_SB_EEENS0_18inequality_wrapperIN6hipcub16HIPCUB_304000_NS8EqualityEEEPlJS6_EEE10hipError_tPvRmT3_T4_T5_T6_T7_T9_mT8_P12ihipStream_tbDpT10_ENKUlT_T0_E_clISt17integral_constantIbLb0EES17_EEDaS12_S13_EUlS12_E_NS1_11comp_targetILNS1_3genE5ELNS1_11target_archE942ELNS1_3gpuE9ELNS1_3repE0EEENS1_30default_config_static_selectorELNS0_4arch9wavefront6targetE1EEEvT1_
; %bb.0:
	s_load_dwordx2 s[8:9], s[0:1], 0x50
	s_load_dwordx4 s[4:7], s[0:1], 0x8
	s_load_dwordx4 s[20:23], s[0:1], 0x40
	s_load_dword s10, s[0:1], 0x68
	v_mov_b32_e32 v22, v0
	s_waitcnt lgkmcnt(0)
	v_mov_b32_e32 v3, s9
	s_add_u32 s9, s4, s6
	s_addc_u32 s11, s5, s7
	s_add_i32 s12, s10, -1
	s_lshl_b32 s3, s12, 14
	s_lshl_b32 s14, s2, 14
	s_add_i32 s3, s6, s3
	s_lshl_b32 s4, s10, 14
	s_add_u32 s4, s6, s4
	s_addc_u32 s5, s7, 0
	v_mov_b32_e32 v2, s8
	s_cmp_eq_u32 s2, s12
	s_load_dwordx2 s[22:23], s[22:23], 0x0
	v_cmp_ge_u64_e32 vcc, s[4:5], v[2:3]
	s_cselect_b64 s[24:25], -1, 0
	s_and_b64 s[4:5], s[24:25], vcc
	s_xor_b64 s[26:27], s[4:5], -1
	s_add_u32 s10, s9, s14
	s_mov_b64 s[12:13], -1
	s_addc_u32 s11, s11, 0
	s_and_b64 vcc, exec, s[26:27]
	v_lshrrev_b32_e32 v2, 5, v0
	s_cbranch_vccz .LBB135_2
; %bb.1:
	global_load_ubyte v3, v0, s[10:11]
	global_load_ubyte v10, v0, s[10:11] offset:512
	global_load_ubyte v11, v0, s[10:11] offset:1024
	global_load_ubyte v12, v0, s[10:11] offset:1536
	global_load_ubyte v13, v0, s[10:11] offset:2048
	global_load_ubyte v14, v0, s[10:11] offset:2560
	global_load_ubyte v15, v0, s[10:11] offset:3072
	global_load_ubyte v16, v0, s[10:11] offset:3584
	v_mov_b32_e32 v1, 0
	v_lshl_add_u64 v[4:5], s[10:11], 0, v[0:1]
	v_add_co_u32_e32 v6, vcc, 0x1000, v4
	v_and_b32_e32 v8, 12, v2
	s_nop 0
	v_addc_co_u32_e32 v7, vcc, 0, v5, vcc
	global_load_ubyte v1, v[6:7], off
	global_load_ubyte v17, v[6:7], off offset:512
	global_load_ubyte v20, v[6:7], off offset:1024
	;; [unrolled: 1-line block ×3, first 2 shown]
	v_or_b32_e32 v9, 0x200, v0
	v_or_b32_e32 v18, 0x400, v0
	;; [unrolled: 1-line block ×4, first 2 shown]
	v_add_u32_e32 v25, v8, v0
	v_lshrrev_b32_e32 v8, 5, v9
	v_lshrrev_b32_e32 v9, 5, v18
	v_lshrrev_b32_e32 v18, 5, v19
	v_lshrrev_b32_e32 v19, 5, v21
	global_load_ubyte v21, v[6:7], off offset:2048
	global_load_ubyte v28, v[6:7], off offset:2560
	;; [unrolled: 1-line block ×3, first 2 shown]
	v_and_b32_e32 v27, 28, v8
	v_and_b32_e32 v9, 44, v9
	v_add_co_u32_e32 v8, vcc, 0x2000, v4
	v_add_u32_e32 v30, v9, v0
	s_nop 0
	v_addc_co_u32_e32 v9, vcc, 0, v5, vcc
	global_load_ubyte v31, v[8:9], off offset:512
	v_and_b32_e32 v18, 60, v18
	global_load_ubyte v6, v[6:7], off offset:3584
	v_add_u32_e32 v7, v18, v0
	global_load_ubyte v18, v[8:9], off
	global_load_ubyte v32, v[8:9], off offset:1024
	global_load_ubyte v33, v[8:9], off offset:1536
	;; [unrolled: 1-line block ×6, first 2 shown]
	v_or_b32_e32 v23, 0xa00, v0
	v_or_b32_e32 v24, 0xc00, v0
	v_add_co_u32_e32 v4, vcc, 0x3000, v4
	v_lshrrev_b32_e32 v23, 5, v23
	v_lshrrev_b32_e32 v24, 5, v24
	v_addc_co_u32_e32 v5, vcc, 0, v5, vcc
	v_and_b32_e32 v19, 0x4c, v19
	v_and_b32_e32 v23, 0x5c, v23
	;; [unrolled: 1-line block ×3, first 2 shown]
	global_load_ubyte v8, v[4:5], off
	global_load_ubyte v9, v[4:5], off offset:512
	global_load_ubyte v38, v[4:5], off offset:1024
	;; [unrolled: 1-line block ×7, first 2 shown]
	v_add_u32_e32 v27, v27, v0
	v_add_u32_e32 v19, v19, v0
	v_add_u32_e32 v23, v23, v0
	v_add_u32_e32 v24, v24, v0
	s_mov_b64 s[12:13], 0
	s_waitcnt vmcnt(31)
	ds_write_b8 v25, v3
	s_waitcnt vmcnt(30)
	ds_write_b8 v27, v10 offset:512
	s_waitcnt vmcnt(29)
	ds_write_b8 v30, v11 offset:1024
	;; [unrolled: 2-line block ×6, first 2 shown]
	v_or_b32_e32 v3, 0xe00, v0
	v_lshrrev_b32_e32 v3, 5, v3
	v_and_b32_e32 v3, 0x7c, v3
	v_add_u32_e32 v3, v3, v0
	s_waitcnt vmcnt(24)
	ds_write_b8 v3, v16 offset:3584
	v_or_b32_e32 v3, 0x1000, v0
	v_lshrrev_b32_e32 v3, 5, v3
	v_and_b32_e32 v3, 0x8c, v3
	v_add_u32_e32 v3, v3, v0
	s_waitcnt vmcnt(23)
	ds_write_b8 v3, v1 offset:4096
	;; [unrolled: 6-line block ×10, first 2 shown]
	v_or_b32_e32 v1, 0x2200, v0
	v_lshrrev_b32_e32 v1, 5, v1
	v_and_b32_e32 v1, 0x11c, v1
	v_add_u32_e32 v1, v1, v0
	ds_write_b8 v1, v31 offset:8704
	v_or_b32_e32 v1, 0x2400, v0
	v_lshrrev_b32_e32 v1, 5, v1
	v_and_b32_e32 v1, 0x12c, v1
	v_add_u32_e32 v1, v1, v0
	s_waitcnt vmcnt(13)
	ds_write_b8 v1, v32 offset:9216
	v_or_b32_e32 v1, 0x2600, v0
	v_lshrrev_b32_e32 v1, 5, v1
	v_and_b32_e32 v1, 0x13c, v1
	v_add_u32_e32 v1, v1, v0
	s_waitcnt vmcnt(12)
	;; [unrolled: 6-line block ×14, first 2 shown]
	ds_write_b8 v1, v43 offset:15872
	s_waitcnt lgkmcnt(0)
	s_barrier
.LBB135_2:
	s_andn2_b64 vcc, exec, s[12:13]
	s_sub_i32 s3, s8, s3
	s_cbranch_vccnz .LBB135_68
; %bb.3:
	v_cmp_gt_u32_e32 vcc, s3, v0
                                        ; implicit-def: $vgpr1
	s_and_saveexec_b64 s[8:9], vcc
	s_cbranch_execz .LBB135_5
; %bb.4:
	global_load_ubyte v1, v0, s[10:11]
.LBB135_5:
	s_or_b64 exec, exec, s[8:9]
	v_or_b32_e32 v3, 0x200, v0
	v_cmp_gt_u32_e32 vcc, s3, v3
                                        ; implicit-def: $vgpr4
	s_and_saveexec_b64 s[8:9], vcc
	s_cbranch_execz .LBB135_7
; %bb.6:
	global_load_ubyte v4, v0, s[10:11] offset:512
.LBB135_7:
	s_or_b64 exec, exec, s[8:9]
	v_or_b32_e32 v5, 0x400, v0
	v_cmp_gt_u32_e32 vcc, s3, v5
                                        ; implicit-def: $vgpr6
	s_and_saveexec_b64 s[8:9], vcc
	s_cbranch_execz .LBB135_9
; %bb.8:
	global_load_ubyte v6, v0, s[10:11] offset:1024
.LBB135_9:
	s_or_b64 exec, exec, s[8:9]
	v_or_b32_e32 v7, 0x600, v0
	v_cmp_gt_u32_e32 vcc, s3, v7
                                        ; implicit-def: $vgpr8
	s_and_saveexec_b64 s[8:9], vcc
	s_cbranch_execz .LBB135_11
; %bb.10:
	global_load_ubyte v8, v0, s[10:11] offset:1536
.LBB135_11:
	s_or_b64 exec, exec, s[8:9]
	v_or_b32_e32 v9, 0x800, v0
	v_cmp_gt_u32_e32 vcc, s3, v9
                                        ; implicit-def: $vgpr10
	s_and_saveexec_b64 s[8:9], vcc
	s_cbranch_execz .LBB135_13
; %bb.12:
	global_load_ubyte v10, v0, s[10:11] offset:2048
.LBB135_13:
	s_or_b64 exec, exec, s[8:9]
	v_or_b32_e32 v11, 0xa00, v0
	v_cmp_gt_u32_e32 vcc, s3, v11
                                        ; implicit-def: $vgpr12
	s_and_saveexec_b64 s[8:9], vcc
	s_cbranch_execz .LBB135_15
; %bb.14:
	global_load_ubyte v12, v0, s[10:11] offset:2560
.LBB135_15:
	s_or_b64 exec, exec, s[8:9]
	v_or_b32_e32 v13, 0xc00, v0
	v_cmp_gt_u32_e32 vcc, s3, v13
                                        ; implicit-def: $vgpr14
	s_and_saveexec_b64 s[8:9], vcc
	s_cbranch_execz .LBB135_17
; %bb.16:
	global_load_ubyte v14, v0, s[10:11] offset:3072
.LBB135_17:
	s_or_b64 exec, exec, s[8:9]
	v_or_b32_e32 v15, 0xe00, v0
	v_cmp_gt_u32_e32 vcc, s3, v15
                                        ; implicit-def: $vgpr16
	s_and_saveexec_b64 s[8:9], vcc
	s_cbranch_execz .LBB135_19
; %bb.18:
	global_load_ubyte v16, v0, s[10:11] offset:3584
.LBB135_19:
	s_or_b64 exec, exec, s[8:9]
	v_or_b32_e32 v17, 0x1000, v0
	v_cmp_gt_u32_e32 vcc, s3, v17
                                        ; implicit-def: $vgpr18
	s_and_saveexec_b64 s[8:9], vcc
	s_cbranch_execz .LBB135_21
; %bb.20:
	global_load_ubyte v18, v17, s[10:11]
.LBB135_21:
	s_or_b64 exec, exec, s[8:9]
	v_or_b32_e32 v19, 0x1200, v0
	v_cmp_gt_u32_e32 vcc, s3, v19
                                        ; implicit-def: $vgpr20
	s_and_saveexec_b64 s[8:9], vcc
	s_cbranch_execz .LBB135_23
; %bb.22:
	global_load_ubyte v20, v19, s[10:11]
.LBB135_23:
	s_or_b64 exec, exec, s[8:9]
	v_or_b32_e32 v21, 0x1400, v0
	v_cmp_gt_u32_e32 vcc, s3, v21
                                        ; implicit-def: $vgpr23
	s_and_saveexec_b64 s[8:9], vcc
	s_cbranch_execz .LBB135_25
; %bb.24:
	global_load_ubyte v23, v21, s[10:11]
.LBB135_25:
	s_or_b64 exec, exec, s[8:9]
	v_or_b32_e32 v24, 0x1600, v0
	v_cmp_gt_u32_e32 vcc, s3, v24
                                        ; implicit-def: $vgpr25
	s_and_saveexec_b64 s[8:9], vcc
	s_cbranch_execz .LBB135_27
; %bb.26:
	global_load_ubyte v25, v24, s[10:11]
.LBB135_27:
	s_or_b64 exec, exec, s[8:9]
	v_or_b32_e32 v26, 0x1800, v0
	v_cmp_gt_u32_e32 vcc, s3, v26
                                        ; implicit-def: $vgpr27
	s_and_saveexec_b64 s[8:9], vcc
	s_cbranch_execz .LBB135_29
; %bb.28:
	global_load_ubyte v27, v26, s[10:11]
.LBB135_29:
	s_or_b64 exec, exec, s[8:9]
	v_or_b32_e32 v28, 0x1a00, v0
	v_cmp_gt_u32_e32 vcc, s3, v28
                                        ; implicit-def: $vgpr29
	s_and_saveexec_b64 s[8:9], vcc
	s_cbranch_execz .LBB135_31
; %bb.30:
	global_load_ubyte v29, v28, s[10:11]
.LBB135_31:
	s_or_b64 exec, exec, s[8:9]
	v_or_b32_e32 v30, 0x1c00, v0
	v_cmp_gt_u32_e32 vcc, s3, v30
                                        ; implicit-def: $vgpr31
	s_and_saveexec_b64 s[8:9], vcc
	s_cbranch_execz .LBB135_33
; %bb.32:
	global_load_ubyte v31, v30, s[10:11]
.LBB135_33:
	s_or_b64 exec, exec, s[8:9]
	v_or_b32_e32 v32, 0x1e00, v0
	v_cmp_gt_u32_e32 vcc, s3, v32
                                        ; implicit-def: $vgpr33
	s_and_saveexec_b64 s[8:9], vcc
	s_cbranch_execz .LBB135_35
; %bb.34:
	global_load_ubyte v33, v32, s[10:11]
.LBB135_35:
	s_or_b64 exec, exec, s[8:9]
	v_or_b32_e32 v34, 0x2000, v0
	v_cmp_gt_u32_e32 vcc, s3, v34
                                        ; implicit-def: $vgpr35
	s_and_saveexec_b64 s[8:9], vcc
	s_cbranch_execz .LBB135_37
; %bb.36:
	global_load_ubyte v35, v34, s[10:11]
.LBB135_37:
	s_or_b64 exec, exec, s[8:9]
	v_or_b32_e32 v36, 0x2200, v0
	v_cmp_gt_u32_e32 vcc, s3, v36
                                        ; implicit-def: $vgpr37
	s_and_saveexec_b64 s[8:9], vcc
	s_cbranch_execz .LBB135_39
; %bb.38:
	global_load_ubyte v37, v36, s[10:11]
.LBB135_39:
	s_or_b64 exec, exec, s[8:9]
	v_or_b32_e32 v38, 0x2400, v0
	v_cmp_gt_u32_e32 vcc, s3, v38
                                        ; implicit-def: $vgpr39
	s_and_saveexec_b64 s[8:9], vcc
	s_cbranch_execz .LBB135_41
; %bb.40:
	global_load_ubyte v39, v38, s[10:11]
.LBB135_41:
	s_or_b64 exec, exec, s[8:9]
	v_or_b32_e32 v40, 0x2600, v0
	v_cmp_gt_u32_e32 vcc, s3, v40
                                        ; implicit-def: $vgpr41
	s_and_saveexec_b64 s[8:9], vcc
	s_cbranch_execz .LBB135_43
; %bb.42:
	global_load_ubyte v41, v40, s[10:11]
.LBB135_43:
	s_or_b64 exec, exec, s[8:9]
	v_or_b32_e32 v42, 0x2800, v0
	v_cmp_gt_u32_e32 vcc, s3, v42
                                        ; implicit-def: $vgpr43
	s_and_saveexec_b64 s[8:9], vcc
	s_cbranch_execz .LBB135_45
; %bb.44:
	global_load_ubyte v43, v42, s[10:11]
.LBB135_45:
	s_or_b64 exec, exec, s[8:9]
	v_or_b32_e32 v44, 0x2a00, v0
	v_cmp_gt_u32_e32 vcc, s3, v44
                                        ; implicit-def: $vgpr45
	s_and_saveexec_b64 s[8:9], vcc
	s_cbranch_execz .LBB135_47
; %bb.46:
	global_load_ubyte v45, v44, s[10:11]
.LBB135_47:
	s_or_b64 exec, exec, s[8:9]
	v_or_b32_e32 v46, 0x2c00, v0
	v_cmp_gt_u32_e32 vcc, s3, v46
                                        ; implicit-def: $vgpr47
	s_and_saveexec_b64 s[8:9], vcc
	s_cbranch_execz .LBB135_49
; %bb.48:
	global_load_ubyte v47, v46, s[10:11]
.LBB135_49:
	s_or_b64 exec, exec, s[8:9]
	v_or_b32_e32 v48, 0x2e00, v0
	v_cmp_gt_u32_e32 vcc, s3, v48
                                        ; implicit-def: $vgpr49
	s_and_saveexec_b64 s[8:9], vcc
	s_cbranch_execz .LBB135_51
; %bb.50:
	global_load_ubyte v49, v48, s[10:11]
.LBB135_51:
	s_or_b64 exec, exec, s[8:9]
	v_or_b32_e32 v50, 0x3000, v0
	v_cmp_gt_u32_e32 vcc, s3, v50
                                        ; implicit-def: $vgpr51
	s_and_saveexec_b64 s[8:9], vcc
	s_cbranch_execz .LBB135_53
; %bb.52:
	global_load_ubyte v51, v50, s[10:11]
.LBB135_53:
	s_or_b64 exec, exec, s[8:9]
	v_or_b32_e32 v52, 0x3200, v0
	v_cmp_gt_u32_e32 vcc, s3, v52
                                        ; implicit-def: $vgpr53
	s_and_saveexec_b64 s[8:9], vcc
	s_cbranch_execz .LBB135_55
; %bb.54:
	global_load_ubyte v53, v52, s[10:11]
.LBB135_55:
	s_or_b64 exec, exec, s[8:9]
	v_or_b32_e32 v54, 0x3400, v0
	v_cmp_gt_u32_e32 vcc, s3, v54
                                        ; implicit-def: $vgpr55
	s_and_saveexec_b64 s[8:9], vcc
	s_cbranch_execz .LBB135_57
; %bb.56:
	global_load_ubyte v55, v54, s[10:11]
.LBB135_57:
	s_or_b64 exec, exec, s[8:9]
	v_or_b32_e32 v56, 0x3600, v0
	v_cmp_gt_u32_e32 vcc, s3, v56
                                        ; implicit-def: $vgpr57
	s_and_saveexec_b64 s[8:9], vcc
	s_cbranch_execz .LBB135_59
; %bb.58:
	global_load_ubyte v57, v56, s[10:11]
.LBB135_59:
	s_or_b64 exec, exec, s[8:9]
	v_or_b32_e32 v58, 0x3800, v0
	v_cmp_gt_u32_e32 vcc, s3, v58
                                        ; implicit-def: $vgpr59
	s_and_saveexec_b64 s[8:9], vcc
	s_cbranch_execz .LBB135_61
; %bb.60:
	global_load_ubyte v59, v58, s[10:11]
.LBB135_61:
	s_or_b64 exec, exec, s[8:9]
	v_or_b32_e32 v60, 0x3a00, v0
	v_cmp_gt_u32_e32 vcc, s3, v60
                                        ; implicit-def: $vgpr61
	s_and_saveexec_b64 s[8:9], vcc
	s_cbranch_execz .LBB135_63
; %bb.62:
	global_load_ubyte v61, v60, s[10:11]
.LBB135_63:
	s_or_b64 exec, exec, s[8:9]
	v_or_b32_e32 v62, 0x3c00, v0
	v_cmp_gt_u32_e32 vcc, s3, v62
                                        ; implicit-def: $vgpr63
	s_and_saveexec_b64 s[8:9], vcc
	s_cbranch_execz .LBB135_65
; %bb.64:
	global_load_ubyte v63, v62, s[10:11]
.LBB135_65:
	s_or_b64 exec, exec, s[8:9]
	v_or_b32_e32 v64, 0x3e00, v0
	v_cmp_gt_u32_e32 vcc, s3, v64
                                        ; implicit-def: $vgpr65
	s_and_saveexec_b64 s[8:9], vcc
	s_cbranch_execz .LBB135_67
; %bb.66:
	global_load_ubyte v65, v64, s[10:11]
.LBB135_67:
	s_or_b64 exec, exec, s[8:9]
	v_and_b32_e32 v2, 12, v2
	v_add_u32_e32 v2, v2, v0
	s_waitcnt vmcnt(0)
	ds_write_b8 v2, v1
	v_lshrrev_b32_e32 v1, 5, v3
	v_and_b32_e32 v1, 28, v1
	v_add_u32_e32 v1, v1, v0
	ds_write_b8 v1, v4 offset:512
	v_lshrrev_b32_e32 v1, 5, v5
	v_and_b32_e32 v1, 60, v1
	v_add_u32_e32 v1, v1, v0
	ds_write_b8 v1, v6 offset:1024
	;; [unrolled: 4-line block ×31, first 2 shown]
	s_waitcnt lgkmcnt(0)
	s_barrier
.LBB135_68:
	v_lshlrev_b32_e32 v10, 5, v0
	v_and_b32_e32 v1, 0x1fc, v0
	v_add_u32_e32 v1, v1, v10
	s_waitcnt lgkmcnt(0)
	ds_read2_b32 v[2:3], v1 offset0:6 offset1:7
	ds_read2_b32 v[8:9], v1 offset1:1
	ds_read2_b32 v[6:7], v1 offset0:2 offset1:3
	ds_read2_b32 v[4:5], v1 offset0:4 offset1:5
	s_cmp_lg_u32 s2, 0
	s_cselect_b64 s[16:17], -1, 0
	s_cmp_lg_u64 s[6:7], 0
	s_cselect_b64 s[6:7], -1, 0
	s_or_b64 s[6:7], s[16:17], s[6:7]
	s_waitcnt lgkmcnt(3)
	v_lshrrev_b32_e32 v25, 8, v2
	v_lshrrev_b32_e32 v24, 16, v2
	v_lshrrev_b32_e32 v23, 24, v2
	v_lshrrev_b32_e32 v21, 8, v3
	v_lshrrev_b32_e32 v20, 16, v3
	v_lshrrev_b32_e32 v1, 24, v3
	s_waitcnt lgkmcnt(2)
	v_lshrrev_b32_e32 v50, 8, v8
	v_lshrrev_b32_e32 v48, 16, v8
	v_lshrrev_b32_e32 v47, 24, v8
	v_lshrrev_b32_e32 v45, 8, v9
	v_lshrrev_b32_e32 v43, 16, v9
	v_lshrrev_b32_e32 v42, 24, v9
	s_waitcnt lgkmcnt(1)
	v_lshrrev_b32_e32 v40, 8, v6
	v_lshrrev_b32_e32 v38, 16, v6
	v_lshrrev_b32_e32 v37, 24, v6
	v_lshrrev_b32_e32 v35, 8, v7
	v_lshrrev_b32_e32 v33, 16, v7
	v_lshrrev_b32_e32 v32, 24, v7
	s_waitcnt lgkmcnt(0)
	v_lshrrev_b32_e32 v31, 8, v4
	v_lshrrev_b32_e32 v30, 16, v4
	v_lshrrev_b32_e32 v29, 24, v4
	v_lshrrev_b32_e32 v28, 8, v5
	v_lshrrev_b32_e32 v27, 16, v5
	v_lshrrev_b32_e32 v26, 24, v5
	s_mov_b64 s[8:9], 0
	s_and_b64 vcc, exec, s[6:7]
	s_barrier
	s_cbranch_vccz .LBB135_73
; %bb.69:
	v_mov_b32_e32 v11, 0
	global_load_ubyte v11, v11, s[10:11] offset:-1
	s_and_b64 vcc, exec, s[26:27]
	ds_write_b8 v0, v1
	s_cbranch_vccz .LBB135_75
; %bb.70:
	v_cmp_ne_u32_e32 vcc, 0, v0
	s_waitcnt vmcnt(0)
	v_mov_b32_e32 v12, v11
	s_waitcnt lgkmcnt(0)
	s_barrier
	s_and_saveexec_b64 s[6:7], vcc
	s_cbranch_execz .LBB135_72
; %bb.71:
	v_add_u32_e32 v12, -1, v0
	ds_read_u8 v12, v12
.LBB135_72:
	s_or_b64 exec, exec, s[6:7]
	v_cmp_ne_u16_sdwa s[6:7], v20, v1 src0_sel:BYTE_0 src1_sel:DWORD
	s_nop 1
	v_cndmask_b32_e64 v34, 0, 1, s[6:7]
	v_cmp_ne_u16_sdwa s[6:7], v21, v20 src0_sel:BYTE_0 src1_sel:BYTE_0
	s_nop 1
	v_cndmask_b32_e64 v36, 0, 1, s[6:7]
	v_cmp_ne_u16_sdwa s[6:7], v3, v21 src0_sel:BYTE_0 src1_sel:BYTE_0
	s_nop 1
	v_cndmask_b32_e64 v39, 0, 1, s[6:7]
	v_cmp_ne_u16_sdwa s[6:7], v23, v3 src0_sel:DWORD src1_sel:BYTE_0
	s_nop 1
	v_cndmask_b32_e64 v41, 0, 1, s[6:7]
	v_cmp_ne_u16_sdwa s[6:7], v24, v23 src0_sel:BYTE_0 src1_sel:DWORD
	s_nop 1
	v_cndmask_b32_e64 v44, 0, 1, s[6:7]
	v_cmp_ne_u16_sdwa s[6:7], v25, v24 src0_sel:BYTE_0 src1_sel:BYTE_0
	s_nop 1
	v_cndmask_b32_e64 v46, 0, 1, s[6:7]
	v_cmp_ne_u16_sdwa s[6:7], v2, v25 src0_sel:BYTE_0 src1_sel:BYTE_0
	s_nop 1
	v_cndmask_b32_e64 v49, 0, 1, s[6:7]
	v_cmp_ne_u16_sdwa s[6:7], v26, v2 src0_sel:DWORD src1_sel:BYTE_0
	s_nop 1
	v_cndmask_b32_e64 v51, 0, 1, s[6:7]
	;; [unrolled: 12-line block ×7, first 2 shown]
	v_cmp_ne_u16_sdwa s[6:7], v48, v47 src0_sel:BYTE_0 src1_sel:DWORD
	s_nop 1
	v_cndmask_b32_e64 v72, 0, 1, s[6:7]
	v_cmp_ne_u16_sdwa s[6:7], v50, v48 src0_sel:BYTE_0 src1_sel:BYTE_0
	s_nop 1
	v_cndmask_b32_e64 v73, 0, 1, s[6:7]
	v_cmp_ne_u16_sdwa s[6:7], v8, v50 src0_sel:BYTE_0 src1_sel:BYTE_0
	s_nop 1
	v_cndmask_b32_e64 v74, 0, 1, s[6:7]
	s_waitcnt lgkmcnt(0)
	v_cmp_ne_u16_sdwa s[6:7], v12, v8 src0_sel:BYTE_0 src1_sel:BYTE_0
	s_and_b64 vcc, exec, s[8:9]
	s_cbranch_vccnz .LBB135_76
	s_branch .LBB135_79
.LBB135_73:
                                        ; implicit-def: $sgpr6_sgpr7
                                        ; implicit-def: $vgpr74
                                        ; implicit-def: $vgpr73
                                        ; implicit-def: $vgpr72
                                        ; implicit-def: $vgpr71
                                        ; implicit-def: $vgpr70
                                        ; implicit-def: $vgpr69
                                        ; implicit-def: $vgpr68
                                        ; implicit-def: $vgpr67
                                        ; implicit-def: $vgpr66
                                        ; implicit-def: $vgpr65
                                        ; implicit-def: $vgpr64
                                        ; implicit-def: $vgpr63
                                        ; implicit-def: $vgpr62
                                        ; implicit-def: $vgpr61
                                        ; implicit-def: $vgpr60
                                        ; implicit-def: $vgpr59
                                        ; implicit-def: $vgpr58
                                        ; implicit-def: $vgpr57
                                        ; implicit-def: $vgpr56
                                        ; implicit-def: $vgpr55
                                        ; implicit-def: $vgpr54
                                        ; implicit-def: $vgpr53
                                        ; implicit-def: $vgpr52
                                        ; implicit-def: $vgpr51
                                        ; implicit-def: $vgpr49
                                        ; implicit-def: $vgpr46
                                        ; implicit-def: $vgpr44
                                        ; implicit-def: $vgpr41
                                        ; implicit-def: $vgpr39
                                        ; implicit-def: $vgpr36
                                        ; implicit-def: $vgpr34
	s_branch .LBB135_80
.LBB135_74:
                                        ; implicit-def: $sgpr12
	v_mov_b32_e32 v75, s12
	s_and_saveexec_b64 s[10:11], s[8:9]
	s_cbranch_execnz .LBB135_88
	s_branch .LBB135_89
.LBB135_75:
                                        ; implicit-def: $sgpr6_sgpr7
                                        ; implicit-def: $vgpr74
                                        ; implicit-def: $vgpr73
                                        ; implicit-def: $vgpr72
                                        ; implicit-def: $vgpr71
                                        ; implicit-def: $vgpr70
                                        ; implicit-def: $vgpr69
                                        ; implicit-def: $vgpr68
                                        ; implicit-def: $vgpr67
                                        ; implicit-def: $vgpr66
                                        ; implicit-def: $vgpr65
                                        ; implicit-def: $vgpr64
                                        ; implicit-def: $vgpr63
                                        ; implicit-def: $vgpr62
                                        ; implicit-def: $vgpr61
                                        ; implicit-def: $vgpr60
                                        ; implicit-def: $vgpr59
                                        ; implicit-def: $vgpr58
                                        ; implicit-def: $vgpr57
                                        ; implicit-def: $vgpr56
                                        ; implicit-def: $vgpr55
                                        ; implicit-def: $vgpr54
                                        ; implicit-def: $vgpr53
                                        ; implicit-def: $vgpr52
                                        ; implicit-def: $vgpr51
                                        ; implicit-def: $vgpr49
                                        ; implicit-def: $vgpr46
                                        ; implicit-def: $vgpr44
                                        ; implicit-def: $vgpr41
                                        ; implicit-def: $vgpr39
                                        ; implicit-def: $vgpr36
                                        ; implicit-def: $vgpr34
	s_cbranch_execz .LBB135_79
.LBB135_76:
	v_cmp_ne_u32_e32 vcc, 0, v0
	s_waitcnt lgkmcnt(0)
	s_barrier
	s_and_saveexec_b64 s[6:7], vcc
	s_cbranch_execz .LBB135_78
; %bb.77:
	s_waitcnt vmcnt(0)
	v_add_u32_e32 v11, -1, v0
	ds_read_u8 v11, v11
.LBB135_78:
	s_or_b64 exec, exec, s[6:7]
	v_or_b32_e32 v12, 31, v10
	v_cmp_gt_u32_e32 vcc, s3, v12
	v_cmp_ne_u16_sdwa s[6:7], v20, v1 src0_sel:BYTE_0 src1_sel:BYTE_0
	s_and_b64 s[6:7], vcc, s[6:7]
	v_or_b32_e32 v12, 30, v10
	v_cndmask_b32_e64 v34, 0, 1, s[6:7]
	v_cmp_gt_u32_e32 vcc, s3, v12
	v_cmp_ne_u16_sdwa s[6:7], v21, v20 src0_sel:BYTE_0 src1_sel:BYTE_0
	s_and_b64 s[6:7], vcc, s[6:7]
	v_or_b32_e32 v12, 29, v10
	v_cndmask_b32_e64 v36, 0, 1, s[6:7]
	;; [unrolled: 5-line block ×30, first 2 shown]
	v_cmp_gt_u32_e32 vcc, s3, v12
	v_cmp_ne_u16_sdwa s[6:7], v8, v50 src0_sel:BYTE_0 src1_sel:BYTE_0
	s_and_b64 s[6:7], vcc, s[6:7]
	v_cmp_gt_u32_e32 vcc, s3, v10
	v_cndmask_b32_e64 v74, 0, 1, s[6:7]
	s_waitcnt vmcnt(0) lgkmcnt(0)
	v_cmp_ne_u16_sdwa s[6:7], v11, v8 src0_sel:BYTE_0 src1_sel:BYTE_0
	s_and_b64 s[6:7], vcc, s[6:7]
.LBB135_79:
	s_mov_b64 s[8:9], -1
	s_cbranch_execnz .LBB135_74
.LBB135_80:
	s_and_b64 vcc, exec, s[26:27]
	v_cmp_ne_u16_sdwa s[48:49], v21, v20 src0_sel:BYTE_0 src1_sel:BYTE_0
	v_cmp_ne_u16_sdwa s[50:51], v3, v21 src0_sel:BYTE_0 src1_sel:BYTE_0
	v_cmp_ne_u16_sdwa s[44:45], v25, v24 src0_sel:BYTE_0 src1_sel:BYTE_0
	v_cmp_ne_u16_sdwa s[46:47], v2, v25 src0_sel:BYTE_0 src1_sel:BYTE_0
	v_cmp_ne_u16_sdwa s[40:41], v28, v27 src0_sel:BYTE_0 src1_sel:BYTE_0
	v_cmp_ne_u16_sdwa s[42:43], v5, v28 src0_sel:BYTE_0 src1_sel:BYTE_0
	v_cmp_ne_u16_sdwa s[36:37], v31, v30 src0_sel:BYTE_0 src1_sel:BYTE_0
	v_cmp_ne_u16_sdwa s[38:39], v4, v31 src0_sel:BYTE_0 src1_sel:BYTE_0
	v_cmp_ne_u16_sdwa s[30:31], v35, v33 src0_sel:BYTE_0 src1_sel:BYTE_0
	v_cmp_ne_u16_sdwa s[34:35], v7, v35 src0_sel:BYTE_0 src1_sel:BYTE_0
	v_cmp_ne_u16_sdwa s[18:19], v40, v38 src0_sel:BYTE_0 src1_sel:BYTE_0
	v_cmp_ne_u16_sdwa s[28:29], v6, v40 src0_sel:BYTE_0 src1_sel:BYTE_0
	v_cmp_ne_u16_sdwa s[12:13], v45, v43 src0_sel:BYTE_0 src1_sel:BYTE_0
	v_cmp_ne_u16_sdwa s[14:15], v9, v45 src0_sel:BYTE_0 src1_sel:BYTE_0
	v_cmp_ne_u16_sdwa s[6:7], v50, v48 src0_sel:BYTE_0 src1_sel:BYTE_0
	v_cmp_ne_u16_sdwa s[10:11], v8, v50 src0_sel:BYTE_0 src1_sel:BYTE_0
	ds_write_b8 v0, v1
	s_cbranch_vccz .LBB135_84
; %bb.81:
	v_cndmask_b32_e64 v36, 0, 1, s[48:49]
	v_cmp_ne_u16_sdwa s[48:49], v23, v3 src0_sel:DWORD src1_sel:BYTE_0
	v_cndmask_b32_e64 v46, 0, 1, s[44:45]
	v_cmp_ne_u16_sdwa s[44:45], v26, v2 src0_sel:DWORD src1_sel:BYTE_0
	;; [unrolled: 2-line block ×7, first 2 shown]
	v_cmp_ne_u16_sdwa s[52:53], v20, v1 src0_sel:BYTE_0 src1_sel:DWORD
	v_cndmask_b32_e64 v41, 0, 1, s[48:49]
	v_cmp_ne_u16_sdwa s[48:49], v24, v23 src0_sel:BYTE_0 src1_sel:DWORD
	v_cndmask_b32_e64 v51, 0, 1, s[44:45]
	;; [unrolled: 2-line block ×8, first 2 shown]
	v_cndmask_b32_e64 v39, 0, 1, s[50:51]
	v_cndmask_b32_e64 v44, 0, 1, s[48:49]
	;; [unrolled: 1-line block ×16, first 2 shown]
	v_cmp_ne_u32_e32 vcc, 0, v0
	s_waitcnt lgkmcnt(0)
	s_barrier
	s_waitcnt lgkmcnt(0)
                                        ; implicit-def: $sgpr6_sgpr7
	s_and_saveexec_b64 s[10:11], vcc
	s_xor_b64 s[10:11], exec, s[10:11]
	s_cbranch_execz .LBB135_83
; %bb.82:
	s_waitcnt vmcnt(0)
	v_add_u32_e32 v11, -1, v0
	ds_read_u8 v11, v11
	s_or_b64 s[8:9], s[8:9], exec
	s_waitcnt lgkmcnt(0)
	v_cmp_ne_u16_sdwa s[6:7], v11, v8 src0_sel:DWORD src1_sel:BYTE_0
	s_and_b64 s[6:7], s[6:7], exec
.LBB135_83:
	s_or_b64 exec, exec, s[10:11]
	s_mov_b32 s12, 1
	s_branch .LBB135_87
.LBB135_84:
                                        ; implicit-def: $sgpr6_sgpr7
                                        ; implicit-def: $vgpr74
                                        ; implicit-def: $vgpr73
                                        ; implicit-def: $vgpr72
                                        ; implicit-def: $vgpr71
                                        ; implicit-def: $vgpr70
                                        ; implicit-def: $vgpr69
                                        ; implicit-def: $vgpr68
                                        ; implicit-def: $vgpr67
                                        ; implicit-def: $vgpr66
                                        ; implicit-def: $vgpr65
                                        ; implicit-def: $vgpr64
                                        ; implicit-def: $vgpr63
                                        ; implicit-def: $vgpr62
                                        ; implicit-def: $vgpr61
                                        ; implicit-def: $vgpr60
                                        ; implicit-def: $vgpr59
                                        ; implicit-def: $vgpr58
                                        ; implicit-def: $vgpr57
                                        ; implicit-def: $vgpr56
                                        ; implicit-def: $vgpr55
                                        ; implicit-def: $vgpr54
                                        ; implicit-def: $vgpr53
                                        ; implicit-def: $vgpr52
                                        ; implicit-def: $vgpr51
                                        ; implicit-def: $vgpr49
                                        ; implicit-def: $vgpr46
                                        ; implicit-def: $vgpr44
                                        ; implicit-def: $vgpr41
                                        ; implicit-def: $vgpr39
                                        ; implicit-def: $vgpr36
                                        ; implicit-def: $vgpr34
                                        ; implicit-def: $sgpr12
	s_cbranch_execz .LBB135_87
; %bb.85:
	s_waitcnt vmcnt(0)
	v_or_b32_e32 v11, 31, v10
	v_cmp_gt_u32_e32 vcc, s3, v11
	v_cmp_ne_u16_sdwa s[6:7], v20, v1 src0_sel:BYTE_0 src1_sel:BYTE_0
	s_and_b64 s[6:7], vcc, s[6:7]
	v_or_b32_e32 v11, 30, v10
	v_cndmask_b32_e64 v34, 0, 1, s[6:7]
	v_cmp_gt_u32_e32 vcc, s3, v11
	v_cmp_ne_u16_sdwa s[6:7], v21, v20 src0_sel:BYTE_0 src1_sel:BYTE_0
	s_and_b64 s[6:7], vcc, s[6:7]
	v_or_b32_e32 v11, 29, v10
	v_cndmask_b32_e64 v36, 0, 1, s[6:7]
	;; [unrolled: 5-line block ×30, first 2 shown]
	v_cmp_gt_u32_e32 vcc, s3, v11
	v_cmp_ne_u16_sdwa s[6:7], v8, v50 src0_sel:BYTE_0 src1_sel:BYTE_0
	s_and_b64 s[6:7], vcc, s[6:7]
	s_mov_b32 s12, 1
	v_cndmask_b32_e64 v74, 0, 1, s[6:7]
	v_cmp_ne_u32_e32 vcc, 0, v0
	s_waitcnt lgkmcnt(0)
	s_barrier
	s_waitcnt lgkmcnt(0)
                                        ; implicit-def: $sgpr6_sgpr7
	s_and_saveexec_b64 s[10:11], vcc
	s_cbranch_execz .LBB135_307
; %bb.86:
	v_add_u32_e32 v11, -1, v0
	ds_read_u8 v11, v11
	v_cmp_gt_u32_e32 vcc, s3, v10
	s_or_b64 s[8:9], s[8:9], exec
	s_waitcnt lgkmcnt(0)
	v_and_b32_e32 v11, 0xff, v11
	v_cmp_ne_u16_sdwa s[6:7], v11, v8 src0_sel:DWORD src1_sel:BYTE_0
	s_and_b64 s[6:7], vcc, s[6:7]
	s_and_b64 s[6:7], s[6:7], exec
	s_or_b64 exec, exec, s[10:11]
.LBB135_87:
	v_mov_b32_e32 v75, s12
	s_and_saveexec_b64 s[10:11], s[8:9]
.LBB135_88:
	v_cndmask_b32_e64 v75, 0, 1, s[6:7]
.LBB135_89:
	s_or_b64 exec, exec, s[10:11]
	s_load_dwordx2 s[28:29], s[0:1], 0x60
	s_andn2_b64 vcc, exec, s[4:5]
	s_cbranch_vccnz .LBB135_91
; %bb.90:
	v_cmp_gt_u32_e32 vcc, s3, v10
	s_waitcnt vmcnt(0)
	v_or_b32_e32 v11, 1, v10
	v_cndmask_b32_e32 v75, 0, v75, vcc
	v_cmp_gt_u32_e32 vcc, s3, v11
	v_or_b32_e32 v11, 2, v10
	s_nop 0
	v_cndmask_b32_e32 v74, 0, v74, vcc
	v_cmp_gt_u32_e32 vcc, s3, v11
	v_or_b32_e32 v11, 3, v10
	s_nop 0
	;; [unrolled: 4-line block ×28, first 2 shown]
	v_cndmask_b32_e32 v41, 0, v41, vcc
	v_cmp_gt_u32_e32 vcc, s3, v11
	v_or_b32_e32 v11, 30, v10
	v_or_b32_e32 v10, 31, v10
	v_cndmask_b32_e32 v39, 0, v39, vcc
	v_cmp_gt_u32_e32 vcc, s3, v11
	s_nop 1
	v_cndmask_b32_e32 v36, 0, v36, vcc
	v_cmp_gt_u32_e32 vcc, s3, v10
	s_nop 1
	v_cndmask_b32_e32 v34, 0, v34, vcc
.LBB135_91:
	v_and_b32_e32 v116, 0xff, v41
	v_and_b32_e32 v117, 0xff, v39
	v_add_u32_sdwa v10, v36, v34 dst_sel:DWORD dst_unused:UNUSED_PAD src0_sel:BYTE_0 src1_sel:BYTE_0
	v_and_b32_e32 v114, 0xff, v46
	v_and_b32_e32 v115, 0xff, v44
	v_add3_u32 v10, v10, v117, v116
	v_and_b32_e32 v112, 0xff, v51
	v_and_b32_e32 v113, 0xff, v49
	v_add3_u32 v10, v10, v115, v114
	;; [unrolled: 3-line block ×14, first 2 shown]
	v_add3_u32 v90, v10, v77, v76
	v_mbcnt_lo_u32_b32 v10, -1, 0
	v_mbcnt_hi_u32_b32 v88, -1, v10
	v_and_b32_e32 v10, 15, v88
	v_cmp_eq_u32_e64 s[14:15], 0, v10
	v_cmp_lt_u32_e64 s[12:13], 1, v10
	v_cmp_lt_u32_e64 s[10:11], 3, v10
	v_cmp_lt_u32_e64 s[8:9], 7, v10
	v_and_b32_e32 v10, 16, v88
	v_cmp_eq_u32_e64 s[6:7], 0, v10
	v_or_b32_e32 v10, 63, v0
	v_cmp_lt_u32_e64 s[18:19], 31, v88
	v_lshrrev_b32_e32 v89, 6, v0
	v_cmp_eq_u32_e64 s[4:5], v10, v0
	s_and_b64 vcc, exec, s[16:17]
	s_waitcnt lgkmcnt(0)
	s_barrier
	s_cbranch_vccz .LBB135_118
; %bb.92:
	v_mov_b32_dpp v10, v90 row_shr:1 row_mask:0xf bank_mask:0xf
	v_cndmask_b32_e64 v10, v10, 0, s[14:15]
	v_add_u32_e32 v10, v10, v90
	s_waitcnt vmcnt(0)
	s_nop 0
	v_mov_b32_dpp v11, v10 row_shr:2 row_mask:0xf bank_mask:0xf
	v_cndmask_b32_e64 v11, 0, v11, s[12:13]
	v_add_u32_e32 v10, v10, v11
	s_nop 1
	v_mov_b32_dpp v11, v10 row_shr:4 row_mask:0xf bank_mask:0xf
	v_cndmask_b32_e64 v11, 0, v11, s[10:11]
	v_add_u32_e32 v10, v10, v11
	;; [unrolled: 4-line block ×3, first 2 shown]
	s_nop 1
	v_mov_b32_dpp v11, v10 row_bcast:15 row_mask:0xf bank_mask:0xf
	v_cndmask_b32_e64 v11, v11, 0, s[6:7]
	v_add_u32_e32 v10, v10, v11
	s_nop 1
	v_mov_b32_dpp v11, v10 row_bcast:31 row_mask:0xf bank_mask:0xf
	v_cndmask_b32_e64 v11, 0, v11, s[18:19]
	v_add_u32_e32 v10, v10, v11
	s_and_saveexec_b64 s[16:17], s[4:5]
	s_cbranch_execz .LBB135_94
; %bb.93:
	v_lshlrev_b32_e32 v11, 2, v89
	ds_write_b32 v11, v10
.LBB135_94:
	s_or_b64 exec, exec, s[16:17]
	v_cmp_gt_u32_e32 vcc, 8, v0
	s_waitcnt lgkmcnt(0)
	s_barrier
	s_and_saveexec_b64 s[16:17], vcc
	s_cbranch_execz .LBB135_96
; %bb.95:
	v_lshlrev_b32_e32 v11, 2, v0
	ds_read_b32 v12, v11
	v_and_b32_e32 v13, 7, v88
	v_cmp_ne_u32_e32 vcc, 0, v13
	s_waitcnt lgkmcnt(0)
	v_mov_b32_dpp v14, v12 row_shr:1 row_mask:0xf bank_mask:0xf
	v_cndmask_b32_e32 v14, 0, v14, vcc
	v_add_u32_e32 v12, v14, v12
	v_cmp_lt_u32_e32 vcc, 1, v13
	s_nop 0
	v_mov_b32_dpp v14, v12 row_shr:2 row_mask:0xf bank_mask:0xf
	v_cndmask_b32_e32 v14, 0, v14, vcc
	v_add_u32_e32 v12, v12, v14
	v_cmp_lt_u32_e32 vcc, 3, v13
	s_nop 0
	v_mov_b32_dpp v14, v12 row_shr:4 row_mask:0xf bank_mask:0xf
	v_cndmask_b32_e32 v13, 0, v14, vcc
	v_add_u32_e32 v12, v12, v13
	ds_write_b32 v11, v12
.LBB135_96:
	s_or_b64 exec, exec, s[16:17]
	v_cmp_gt_u32_e32 vcc, 64, v0
	v_cmp_lt_u32_e64 s[16:17], 63, v0
	s_waitcnt lgkmcnt(0)
	s_barrier
	s_waitcnt lgkmcnt(0)
                                        ; implicit-def: $vgpr91
	s_and_saveexec_b64 s[30:31], s[16:17]
	s_cbranch_execz .LBB135_98
; %bb.97:
	v_lshl_add_u32 v11, v89, 2, -4
	ds_read_b32 v91, v11
	s_waitcnt lgkmcnt(0)
	v_add_u32_e32 v10, v91, v10
.LBB135_98:
	s_or_b64 exec, exec, s[30:31]
	v_add_u32_e32 v11, -1, v88
	v_and_b32_e32 v12, 64, v88
	v_cmp_lt_i32_e64 s[16:17], v11, v12
	s_nop 1
	v_cndmask_b32_e64 v11, v11, v88, s[16:17]
	v_lshlrev_b32_e32 v11, 2, v11
	ds_bpermute_b32 v92, v11, v10
	v_cmp_eq_u32_e64 s[16:17], 0, v88
	s_and_saveexec_b64 s[30:31], vcc
	s_cbranch_execz .LBB135_117
; %bb.99:
	v_mov_b32_e32 v17, 0
	ds_read_b32 v10, v17 offset:28
	s_and_saveexec_b64 s[34:35], s[16:17]
	s_cbranch_execz .LBB135_101
; %bb.100:
	s_add_i32 s36, s2, 64
	s_mov_b32 s37, 0
	s_lshl_b64 s[36:37], s[36:37], 3
	s_add_u32 s36, s28, s36
	v_mov_b32_e32 v11, 1
	s_addc_u32 s37, s29, s37
	s_waitcnt lgkmcnt(0)
	global_store_dwordx2 v17, v[10:11], s[36:37] sc1
.LBB135_101:
	s_or_b64 exec, exec, s[34:35]
	v_xad_u32 v12, v88, -1, s2
	v_add_u32_e32 v16, 64, v12
	v_lshl_add_u64 v[18:19], v[16:17], 3, s[28:29]
	global_load_dwordx2 v[14:15], v[18:19], off sc1
	s_waitcnt vmcnt(0)
	v_cmp_eq_u16_sdwa s[36:37], v15, v17 src0_sel:BYTE_0 src1_sel:DWORD
	s_and_saveexec_b64 s[34:35], s[36:37]
	s_cbranch_execz .LBB135_105
; %bb.102:
	s_mov_b64 s[36:37], 0
	v_mov_b32_e32 v11, 0
.LBB135_103:                            ; =>This Inner Loop Header: Depth=1
	global_load_dwordx2 v[14:15], v[18:19], off sc1
	s_waitcnt vmcnt(0)
	v_cmp_ne_u16_sdwa s[38:39], v15, v11 src0_sel:BYTE_0 src1_sel:DWORD
	s_or_b64 s[36:37], s[38:39], s[36:37]
	s_andn2_b64 exec, exec, s[36:37]
	s_cbranch_execnz .LBB135_103
; %bb.104:
	s_or_b64 exec, exec, s[36:37]
.LBB135_105:
	s_or_b64 exec, exec, s[34:35]
	v_and_b32_e32 v94, 63, v88
	v_mov_b32_e32 v93, 2
	v_cmp_ne_u32_e32 vcc, 63, v94
	v_cmp_eq_u16_sdwa s[34:35], v15, v93 src0_sel:BYTE_0 src1_sel:DWORD
	v_lshlrev_b64 v[16:17], v88, -1
	v_addc_co_u32_e32 v18, vcc, 0, v88, vcc
	v_and_b32_e32 v11, s35, v17
	v_lshlrev_b32_e32 v95, 2, v18
	v_or_b32_e32 v11, 0x80000000, v11
	ds_bpermute_b32 v18, v95, v14
	v_and_b32_e32 v13, s34, v16
	v_ffbl_b32_e32 v11, v11
	v_add_u32_e32 v11, 32, v11
	v_ffbl_b32_e32 v13, v13
	v_min_u32_e32 v11, v13, v11
	v_cmp_lt_u32_e32 vcc, v94, v11
	v_add_u32_e32 v97, 2, v94
	v_add_u32_e32 v99, 4, v94
	s_waitcnt lgkmcnt(0)
	v_cndmask_b32_e32 v13, 0, v18, vcc
	v_cmp_gt_u32_e32 vcc, 62, v94
	v_add_u32_e32 v13, v13, v14
	v_add_u32_e32 v119, 8, v94
	v_cndmask_b32_e64 v14, 0, 1, vcc
	v_lshlrev_b32_e32 v14, 1, v14
	v_add_lshl_u32 v96, v14, v88, 2
	ds_bpermute_b32 v14, v96, v13
	v_cmp_le_u32_e32 vcc, v97, v11
	v_add_u32_e32 v121, 16, v94
	v_add_u32_e32 v123, 32, v94
	s_waitcnt lgkmcnt(0)
	v_cndmask_b32_e32 v14, 0, v14, vcc
	v_cmp_gt_u32_e32 vcc, 60, v94
	v_add_u32_e32 v13, v13, v14
	s_nop 0
	v_cndmask_b32_e64 v14, 0, 1, vcc
	v_lshlrev_b32_e32 v14, 2, v14
	v_add_lshl_u32 v98, v14, v88, 2
	ds_bpermute_b32 v14, v98, v13
	v_cmp_le_u32_e32 vcc, v99, v11
	s_waitcnt lgkmcnt(0)
	s_nop 0
	v_cndmask_b32_e32 v14, 0, v14, vcc
	v_cmp_gt_u32_e32 vcc, 56, v94
	v_add_u32_e32 v13, v13, v14
	s_nop 0
	v_cndmask_b32_e64 v14, 0, 1, vcc
	v_lshlrev_b32_e32 v14, 3, v14
	v_add_lshl_u32 v118, v14, v88, 2
	ds_bpermute_b32 v14, v118, v13
	v_cmp_le_u32_e32 vcc, v119, v11
	s_waitcnt lgkmcnt(0)
	s_nop 0
	;; [unrolled: 11-line block ×4, first 2 shown]
	v_cndmask_b32_e32 v11, 0, v14, vcc
	v_add_u32_e32 v14, v13, v11
	v_mov_b32_e32 v13, 0
	s_branch .LBB135_107
.LBB135_106:                            ;   in Loop: Header=BB135_107 Depth=1
	s_or_b64 exec, exec, s[34:35]
	v_cmp_eq_u16_sdwa s[34:35], v15, v93 src0_sel:BYTE_0 src1_sel:DWORD
	ds_bpermute_b32 v124, v95, v14
	v_subrev_u32_e32 v12, 64, v12
	v_and_b32_e32 v18, s35, v17
	v_or_b32_e32 v18, 0x80000000, v18
	v_and_b32_e32 v19, s34, v16
	v_ffbl_b32_e32 v18, v18
	v_add_u32_e32 v18, 32, v18
	v_ffbl_b32_e32 v19, v19
	v_min_u32_e32 v18, v19, v18
	v_cmp_lt_u32_e32 vcc, v94, v18
	s_waitcnt lgkmcnt(0)
	s_nop 0
	v_cndmask_b32_e32 v19, 0, v124, vcc
	v_add_u32_e32 v14, v19, v14
	ds_bpermute_b32 v19, v96, v14
	v_cmp_le_u32_e32 vcc, v97, v18
	s_waitcnt lgkmcnt(0)
	s_nop 0
	v_cndmask_b32_e32 v19, 0, v19, vcc
	v_add_u32_e32 v14, v14, v19
	ds_bpermute_b32 v19, v98, v14
	v_cmp_le_u32_e32 vcc, v99, v18
	s_waitcnt lgkmcnt(0)
	s_nop 0
	v_cndmask_b32_e32 v19, 0, v19, vcc
	v_add_u32_e32 v14, v14, v19
	ds_bpermute_b32 v19, v118, v14
	v_cmp_le_u32_e32 vcc, v119, v18
	s_waitcnt lgkmcnt(0)
	s_nop 0
	v_cndmask_b32_e32 v19, 0, v19, vcc
	v_add_u32_e32 v14, v14, v19
	ds_bpermute_b32 v19, v120, v14
	v_cmp_le_u32_e32 vcc, v121, v18
	s_waitcnt lgkmcnt(0)
	s_nop 0
	v_cndmask_b32_e32 v19, 0, v19, vcc
	v_add_u32_e32 v14, v14, v19
	ds_bpermute_b32 v19, v122, v14
	v_cmp_le_u32_e32 vcc, v123, v18
	s_waitcnt lgkmcnt(0)
	s_nop 0
	v_cndmask_b32_e32 v18, 0, v19, vcc
	v_add3_u32 v14, v18, v11, v14
.LBB135_107:                            ; =>This Loop Header: Depth=1
                                        ;     Child Loop BB135_110 Depth 2
	v_cmp_ne_u16_sdwa s[34:35], v15, v93 src0_sel:BYTE_0 src1_sel:DWORD
	s_nop 1
	v_cndmask_b32_e64 v11, 0, 1, s[34:35]
	;;#ASMSTART
	;;#ASMEND
	s_nop 0
	v_cmp_ne_u32_e32 vcc, 0, v11
	s_cmp_lg_u64 vcc, exec
	v_mov_b32_e32 v11, v14
	s_cbranch_scc1 .LBB135_112
; %bb.108:                              ;   in Loop: Header=BB135_107 Depth=1
	v_lshl_add_u64 v[18:19], v[12:13], 3, s[28:29]
	global_load_dwordx2 v[14:15], v[18:19], off sc1
	s_waitcnt vmcnt(0)
	v_cmp_eq_u16_sdwa s[36:37], v15, v13 src0_sel:BYTE_0 src1_sel:DWORD
	s_and_saveexec_b64 s[34:35], s[36:37]
	s_cbranch_execz .LBB135_106
; %bb.109:                              ;   in Loop: Header=BB135_107 Depth=1
	s_mov_b64 s[36:37], 0
.LBB135_110:                            ;   Parent Loop BB135_107 Depth=1
                                        ; =>  This Inner Loop Header: Depth=2
	global_load_dwordx2 v[14:15], v[18:19], off sc1
	s_waitcnt vmcnt(0)
	v_cmp_ne_u16_sdwa s[38:39], v15, v13 src0_sel:BYTE_0 src1_sel:DWORD
	s_or_b64 s[36:37], s[38:39], s[36:37]
	s_andn2_b64 exec, exec, s[36:37]
	s_cbranch_execnz .LBB135_110
; %bb.111:                              ;   in Loop: Header=BB135_107 Depth=1
	s_or_b64 exec, exec, s[36:37]
	s_branch .LBB135_106
.LBB135_112:                            ;   in Loop: Header=BB135_107 Depth=1
                                        ; implicit-def: $vgpr14
                                        ; implicit-def: $vgpr15
	s_cbranch_execz .LBB135_107
; %bb.113:
	s_and_saveexec_b64 s[34:35], s[16:17]
	s_cbranch_execz .LBB135_115
; %bb.114:
	s_add_i32 s2, s2, 64
	s_mov_b32 s3, 0
	s_lshl_b64 s[2:3], s[2:3], 3
	s_add_u32 s2, s28, s2
	v_add_u32_e32 v12, v11, v10
	v_mov_b32_e32 v13, 2
	s_addc_u32 s3, s29, s3
	v_mov_b32_e32 v14, 0
	global_store_dwordx2 v14, v[12:13], s[2:3] sc1
	ds_write_b64 v14, v[10:11] offset:16896
.LBB135_115:
	s_or_b64 exec, exec, s[34:35]
	v_cmp_eq_u32_e32 vcc, 0, v0
	s_and_b64 exec, exec, vcc
	s_cbranch_execz .LBB135_117
; %bb.116:
	v_mov_b32_e32 v10, 0
	ds_write_b32 v10, v11 offset:28
.LBB135_117:
	s_or_b64 exec, exec, s[30:31]
	v_mov_b32_e32 v11, 0
	s_waitcnt lgkmcnt(0)
	s_barrier
	ds_read_b32 v12, v11 offset:28
	s_waitcnt lgkmcnt(0)
	s_barrier
	ds_read_b64 v[16:17], v11 offset:16896
	v_cndmask_b32_e64 v10, v92, v91, s[16:17]
	v_cmp_ne_u32_e32 vcc, 0, v0
	s_waitcnt lgkmcnt(0)
	v_mov_b32_e32 v18, v17
	v_cndmask_b32_e32 v10, 0, v10, vcc
	v_add_u32_e32 v96, v12, v10
	s_load_dwordx2 s[2:3], s[0:1], 0x28
	s_branch .LBB135_128
.LBB135_118:
                                        ; implicit-def: $vgpr18
                                        ; implicit-def: $vgpr16
                                        ; implicit-def: $vgpr96
	s_load_dwordx2 s[2:3], s[0:1], 0x28
	s_cbranch_execz .LBB135_128
; %bb.119:
	v_mov_b32_dpp v10, v90 row_shr:1 row_mask:0xf bank_mask:0xf
	v_cndmask_b32_e64 v10, v10, 0, s[14:15]
	v_add_u32_e32 v10, v10, v90
	s_waitcnt vmcnt(0)
	s_nop 0
	v_mov_b32_dpp v11, v10 row_shr:2 row_mask:0xf bank_mask:0xf
	v_cndmask_b32_e64 v11, 0, v11, s[12:13]
	v_add_u32_e32 v10, v10, v11
	s_nop 1
	v_mov_b32_dpp v11, v10 row_shr:4 row_mask:0xf bank_mask:0xf
	v_cndmask_b32_e64 v11, 0, v11, s[10:11]
	v_add_u32_e32 v10, v10, v11
	;; [unrolled: 4-line block ×3, first 2 shown]
	s_nop 1
	v_mov_b32_dpp v11, v10 row_bcast:15 row_mask:0xf bank_mask:0xf
	v_cndmask_b32_e64 v11, v11, 0, s[6:7]
	v_add_u32_e32 v10, v10, v11
	s_nop 1
	v_mov_b32_dpp v11, v10 row_bcast:31 row_mask:0xf bank_mask:0xf
	v_cndmask_b32_e64 v11, 0, v11, s[18:19]
	v_add_u32_e32 v10, v10, v11
	s_and_saveexec_b64 s[0:1], s[4:5]
	s_cbranch_execz .LBB135_121
; %bb.120:
	v_lshlrev_b32_e32 v11, 2, v89
	ds_write_b32 v11, v10
.LBB135_121:
	s_or_b64 exec, exec, s[0:1]
	v_cmp_gt_u32_e32 vcc, 8, v0
	s_waitcnt lgkmcnt(0)
	s_barrier
	s_and_saveexec_b64 s[0:1], vcc
	s_cbranch_execz .LBB135_123
; %bb.122:
	v_lshlrev_b32_e32 v11, 2, v0
	ds_read_b32 v12, v11
	v_and_b32_e32 v13, 7, v88
	v_cmp_ne_u32_e32 vcc, 0, v13
	s_waitcnt lgkmcnt(0)
	v_mov_b32_dpp v14, v12 row_shr:1 row_mask:0xf bank_mask:0xf
	v_cndmask_b32_e32 v14, 0, v14, vcc
	v_add_u32_e32 v12, v14, v12
	v_cmp_lt_u32_e32 vcc, 1, v13
	s_nop 0
	v_mov_b32_dpp v14, v12 row_shr:2 row_mask:0xf bank_mask:0xf
	v_cndmask_b32_e32 v14, 0, v14, vcc
	v_add_u32_e32 v12, v12, v14
	v_cmp_lt_u32_e32 vcc, 3, v13
	s_nop 0
	v_mov_b32_dpp v14, v12 row_shr:4 row_mask:0xf bank_mask:0xf
	v_cndmask_b32_e32 v13, 0, v14, vcc
	v_add_u32_e32 v12, v12, v13
	ds_write_b32 v11, v12
.LBB135_123:
	s_or_b64 exec, exec, s[0:1]
	v_cmp_lt_u32_e32 vcc, 63, v0
	v_mov_b32_e32 v12, 0
	v_mov_b32_e32 v11, 0
	s_waitcnt lgkmcnt(0)
	s_barrier
	s_and_saveexec_b64 s[0:1], vcc
	s_cbranch_execz .LBB135_125
; %bb.124:
	v_lshl_add_u32 v11, v89, 2, -4
	ds_read_b32 v11, v11
.LBB135_125:
	s_or_b64 exec, exec, s[0:1]
	v_add_u32_e32 v13, -1, v88
	v_and_b32_e32 v14, 64, v88
	v_cmp_lt_i32_e32 vcc, v13, v14
	s_waitcnt lgkmcnt(0)
	v_add_u32_e32 v10, v11, v10
	ds_read_b32 v16, v12 offset:28
	v_cndmask_b32_e32 v13, v13, v88, vcc
	v_lshlrev_b32_e32 v13, 2, v13
	ds_bpermute_b32 v10, v13, v10
	v_cmp_eq_u32_e32 vcc, 0, v0
	s_and_saveexec_b64 s[0:1], vcc
	s_cbranch_execz .LBB135_127
; %bb.126:
	v_mov_b32_e32 v12, 0
	v_mov_b32_e32 v17, 2
	s_waitcnt lgkmcnt(1)
	global_store_dwordx2 v12, v[16:17], s[28:29] offset:512 sc1
.LBB135_127:
	s_or_b64 exec, exec, s[0:1]
	v_cmp_eq_u32_e64 s[0:1], 0, v88
	v_mov_b32_e32 v18, 0
	s_waitcnt lgkmcnt(0)
	v_cndmask_b32_e64 v10, v10, v11, s[0:1]
	v_cndmask_b32_e64 v96, v10, 0, vcc
	s_barrier
.LBB135_128:
	v_add_u32_e32 v99, v96, v76
	v_add_u32_e32 v98, v99, v77
	;; [unrolled: 1-line block ×29, first 2 shown]
	s_movk_i32 s0, 0x201
	s_waitcnt vmcnt(0)
	v_add_u32_e32 v11, v12, v117
	v_cmp_gt_u32_e32 vcc, s0, v16
	v_add_u32_sdwa v10, v11, v36 dst_sel:DWORD dst_unused:UNUSED_PAD src0_sel:DWORD src1_sel:BYTE_0
	s_mov_b64 s[0:1], -1
	s_cbranch_vccnz .LBB135_132
; %bb.129:
	s_and_b64 vcc, exec, s[0:1]
	s_cbranch_vccnz .LBB135_229
.LBB135_130:
	v_cmp_eq_u32_e32 vcc, 0, v0
	s_and_b64 s[0:1], vcc, s[24:25]
	s_waitcnt lgkmcnt(0)
	s_and_saveexec_b64 s[2:3], s[0:1]
	s_cbranch_execnz .LBB135_306
.LBB135_131:
	s_endpgm
.LBB135_132:
	v_add_u32_e32 v100, v18, v16
	v_cmp_lt_u32_e32 vcc, v96, v100
	s_or_b64 s[4:5], s[26:27], vcc
	s_and_saveexec_b64 s[0:1], s[4:5]
	s_cbranch_execz .LBB135_135
; %bb.133:
	v_and_b32_e32 v101, 1, v75
	v_cmp_eq_u32_e32 vcc, 1, v101
	s_and_b64 exec, exec, vcc
	s_cbranch_execz .LBB135_135
; %bb.134:
	s_waitcnt lgkmcnt(0)
	s_add_u32 s4, s2, s22
	s_addc_u32 s5, s3, s23
	global_store_byte v96, v8, s[4:5]
.LBB135_135:
	s_or_b64 exec, exec, s[0:1]
	v_cmp_lt_u32_e32 vcc, v99, v100
	s_or_b64 s[4:5], s[26:27], vcc
	s_and_saveexec_b64 s[0:1], s[4:5]
	s_cbranch_execz .LBB135_138
; %bb.136:
	v_and_b32_e32 v101, 1, v74
	v_cmp_eq_u32_e32 vcc, 1, v101
	s_and_b64 exec, exec, vcc
	s_cbranch_execz .LBB135_138
; %bb.137:
	s_waitcnt lgkmcnt(0)
	s_add_u32 s4, s2, s22
	s_addc_u32 s5, s3, s23
	global_store_byte v99, v50, s[4:5]
.LBB135_138:
	s_or_b64 exec, exec, s[0:1]
	v_cmp_lt_u32_e32 vcc, v98, v100
	s_or_b64 s[4:5], s[26:27], vcc
	s_and_saveexec_b64 s[0:1], s[4:5]
	s_cbranch_execz .LBB135_141
; %bb.139:
	v_and_b32_e32 v101, 1, v73
	v_cmp_eq_u32_e32 vcc, 1, v101
	s_and_b64 exec, exec, vcc
	s_cbranch_execz .LBB135_141
; %bb.140:
	s_waitcnt lgkmcnt(0)
	s_add_u32 s4, s2, s22
	s_addc_u32 s5, s3, s23
	global_store_byte v98, v48, s[4:5]
.LBB135_141:
	s_or_b64 exec, exec, s[0:1]
	v_cmp_lt_u32_e32 vcc, v97, v100
	s_or_b64 s[4:5], s[26:27], vcc
	s_and_saveexec_b64 s[0:1], s[4:5]
	s_cbranch_execz .LBB135_144
; %bb.142:
	v_and_b32_e32 v101, 1, v72
	v_cmp_eq_u32_e32 vcc, 1, v101
	s_and_b64 exec, exec, vcc
	s_cbranch_execz .LBB135_144
; %bb.143:
	s_waitcnt lgkmcnt(0)
	s_add_u32 s4, s2, s22
	s_addc_u32 s5, s3, s23
	global_store_byte v97, v47, s[4:5]
.LBB135_144:
	s_or_b64 exec, exec, s[0:1]
	v_cmp_lt_u32_e32 vcc, v95, v100
	s_or_b64 s[4:5], s[26:27], vcc
	s_and_saveexec_b64 s[0:1], s[4:5]
	s_cbranch_execz .LBB135_147
; %bb.145:
	v_and_b32_e32 v101, 1, v71
	v_cmp_eq_u32_e32 vcc, 1, v101
	s_and_b64 exec, exec, vcc
	s_cbranch_execz .LBB135_147
; %bb.146:
	s_waitcnt lgkmcnt(0)
	s_add_u32 s4, s2, s22
	s_addc_u32 s5, s3, s23
	global_store_byte v95, v9, s[4:5]
.LBB135_147:
	s_or_b64 exec, exec, s[0:1]
	v_cmp_lt_u32_e32 vcc, v94, v100
	s_or_b64 s[4:5], s[26:27], vcc
	s_and_saveexec_b64 s[0:1], s[4:5]
	s_cbranch_execz .LBB135_150
; %bb.148:
	v_and_b32_e32 v101, 1, v70
	v_cmp_eq_u32_e32 vcc, 1, v101
	s_and_b64 exec, exec, vcc
	s_cbranch_execz .LBB135_150
; %bb.149:
	s_waitcnt lgkmcnt(0)
	s_add_u32 s4, s2, s22
	s_addc_u32 s5, s3, s23
	global_store_byte v94, v45, s[4:5]
.LBB135_150:
	s_or_b64 exec, exec, s[0:1]
	v_cmp_lt_u32_e32 vcc, v93, v100
	s_or_b64 s[4:5], s[26:27], vcc
	s_and_saveexec_b64 s[0:1], s[4:5]
	s_cbranch_execz .LBB135_153
; %bb.151:
	v_and_b32_e32 v101, 1, v69
	v_cmp_eq_u32_e32 vcc, 1, v101
	s_and_b64 exec, exec, vcc
	s_cbranch_execz .LBB135_153
; %bb.152:
	s_waitcnt lgkmcnt(0)
	s_add_u32 s4, s2, s22
	s_addc_u32 s5, s3, s23
	global_store_byte v93, v43, s[4:5]
.LBB135_153:
	s_or_b64 exec, exec, s[0:1]
	v_cmp_lt_u32_e32 vcc, v92, v100
	s_or_b64 s[4:5], s[26:27], vcc
	s_and_saveexec_b64 s[0:1], s[4:5]
	s_cbranch_execz .LBB135_156
; %bb.154:
	v_and_b32_e32 v101, 1, v68
	v_cmp_eq_u32_e32 vcc, 1, v101
	s_and_b64 exec, exec, vcc
	s_cbranch_execz .LBB135_156
; %bb.155:
	s_waitcnt lgkmcnt(0)
	s_add_u32 s4, s2, s22
	s_addc_u32 s5, s3, s23
	global_store_byte v92, v42, s[4:5]
.LBB135_156:
	s_or_b64 exec, exec, s[0:1]
	v_cmp_lt_u32_e32 vcc, v91, v100
	s_or_b64 s[4:5], s[26:27], vcc
	s_and_saveexec_b64 s[0:1], s[4:5]
	s_cbranch_execz .LBB135_159
; %bb.157:
	v_and_b32_e32 v101, 1, v67
	v_cmp_eq_u32_e32 vcc, 1, v101
	s_and_b64 exec, exec, vcc
	s_cbranch_execz .LBB135_159
; %bb.158:
	s_waitcnt lgkmcnt(0)
	s_add_u32 s4, s2, s22
	s_addc_u32 s5, s3, s23
	global_store_byte v91, v6, s[4:5]
.LBB135_159:
	s_or_b64 exec, exec, s[0:1]
	v_cmp_lt_u32_e32 vcc, v90, v100
	s_or_b64 s[4:5], s[26:27], vcc
	s_and_saveexec_b64 s[0:1], s[4:5]
	s_cbranch_execz .LBB135_162
; %bb.160:
	v_and_b32_e32 v101, 1, v66
	v_cmp_eq_u32_e32 vcc, 1, v101
	s_and_b64 exec, exec, vcc
	s_cbranch_execz .LBB135_162
; %bb.161:
	s_waitcnt lgkmcnt(0)
	s_add_u32 s4, s2, s22
	s_addc_u32 s5, s3, s23
	global_store_byte v90, v40, s[4:5]
.LBB135_162:
	s_or_b64 exec, exec, s[0:1]
	v_cmp_lt_u32_e32 vcc, v89, v100
	s_or_b64 s[4:5], s[26:27], vcc
	s_and_saveexec_b64 s[0:1], s[4:5]
	s_cbranch_execz .LBB135_165
; %bb.163:
	v_and_b32_e32 v101, 1, v65
	v_cmp_eq_u32_e32 vcc, 1, v101
	s_and_b64 exec, exec, vcc
	s_cbranch_execz .LBB135_165
; %bb.164:
	s_waitcnt lgkmcnt(0)
	s_add_u32 s4, s2, s22
	s_addc_u32 s5, s3, s23
	global_store_byte v89, v38, s[4:5]
.LBB135_165:
	s_or_b64 exec, exec, s[0:1]
	v_cmp_lt_u32_e32 vcc, v88, v100
	s_or_b64 s[4:5], s[26:27], vcc
	s_and_saveexec_b64 s[0:1], s[4:5]
	s_cbranch_execz .LBB135_168
; %bb.166:
	v_and_b32_e32 v101, 1, v64
	v_cmp_eq_u32_e32 vcc, 1, v101
	s_and_b64 exec, exec, vcc
	s_cbranch_execz .LBB135_168
; %bb.167:
	s_waitcnt lgkmcnt(0)
	s_add_u32 s4, s2, s22
	s_addc_u32 s5, s3, s23
	global_store_byte v88, v37, s[4:5]
.LBB135_168:
	s_or_b64 exec, exec, s[0:1]
	v_cmp_lt_u32_e32 vcc, v87, v100
	s_or_b64 s[4:5], s[26:27], vcc
	s_and_saveexec_b64 s[0:1], s[4:5]
	s_cbranch_execz .LBB135_171
; %bb.169:
	v_and_b32_e32 v101, 1, v63
	v_cmp_eq_u32_e32 vcc, 1, v101
	s_and_b64 exec, exec, vcc
	s_cbranch_execz .LBB135_171
; %bb.170:
	s_waitcnt lgkmcnt(0)
	s_add_u32 s4, s2, s22
	s_addc_u32 s5, s3, s23
	global_store_byte v87, v7, s[4:5]
.LBB135_171:
	s_or_b64 exec, exec, s[0:1]
	v_cmp_lt_u32_e32 vcc, v86, v100
	s_or_b64 s[4:5], s[26:27], vcc
	s_and_saveexec_b64 s[0:1], s[4:5]
	s_cbranch_execz .LBB135_174
; %bb.172:
	v_and_b32_e32 v101, 1, v62
	v_cmp_eq_u32_e32 vcc, 1, v101
	s_and_b64 exec, exec, vcc
	s_cbranch_execz .LBB135_174
; %bb.173:
	s_waitcnt lgkmcnt(0)
	s_add_u32 s4, s2, s22
	s_addc_u32 s5, s3, s23
	global_store_byte v86, v35, s[4:5]
.LBB135_174:
	s_or_b64 exec, exec, s[0:1]
	v_cmp_lt_u32_e32 vcc, v85, v100
	s_or_b64 s[4:5], s[26:27], vcc
	s_and_saveexec_b64 s[0:1], s[4:5]
	s_cbranch_execz .LBB135_177
; %bb.175:
	v_and_b32_e32 v101, 1, v61
	v_cmp_eq_u32_e32 vcc, 1, v101
	s_and_b64 exec, exec, vcc
	s_cbranch_execz .LBB135_177
; %bb.176:
	s_waitcnt lgkmcnt(0)
	s_add_u32 s4, s2, s22
	s_addc_u32 s5, s3, s23
	global_store_byte v85, v33, s[4:5]
.LBB135_177:
	s_or_b64 exec, exec, s[0:1]
	v_cmp_lt_u32_e32 vcc, v84, v100
	s_or_b64 s[4:5], s[26:27], vcc
	s_and_saveexec_b64 s[0:1], s[4:5]
	s_cbranch_execz .LBB135_180
; %bb.178:
	v_and_b32_e32 v101, 1, v60
	v_cmp_eq_u32_e32 vcc, 1, v101
	s_and_b64 exec, exec, vcc
	s_cbranch_execz .LBB135_180
; %bb.179:
	s_waitcnt lgkmcnt(0)
	s_add_u32 s4, s2, s22
	s_addc_u32 s5, s3, s23
	global_store_byte v84, v32, s[4:5]
.LBB135_180:
	s_or_b64 exec, exec, s[0:1]
	v_cmp_lt_u32_e32 vcc, v83, v100
	s_or_b64 s[4:5], s[26:27], vcc
	s_and_saveexec_b64 s[0:1], s[4:5]
	s_cbranch_execz .LBB135_183
; %bb.181:
	v_and_b32_e32 v101, 1, v59
	v_cmp_eq_u32_e32 vcc, 1, v101
	s_and_b64 exec, exec, vcc
	s_cbranch_execz .LBB135_183
; %bb.182:
	s_waitcnt lgkmcnt(0)
	s_add_u32 s4, s2, s22
	s_addc_u32 s5, s3, s23
	global_store_byte v83, v4, s[4:5]
.LBB135_183:
	s_or_b64 exec, exec, s[0:1]
	v_cmp_lt_u32_e32 vcc, v82, v100
	s_or_b64 s[4:5], s[26:27], vcc
	s_and_saveexec_b64 s[0:1], s[4:5]
	s_cbranch_execz .LBB135_186
; %bb.184:
	v_and_b32_e32 v101, 1, v58
	v_cmp_eq_u32_e32 vcc, 1, v101
	s_and_b64 exec, exec, vcc
	s_cbranch_execz .LBB135_186
; %bb.185:
	s_waitcnt lgkmcnt(0)
	s_add_u32 s4, s2, s22
	s_addc_u32 s5, s3, s23
	global_store_byte v82, v31, s[4:5]
.LBB135_186:
	s_or_b64 exec, exec, s[0:1]
	v_cmp_lt_u32_e32 vcc, v81, v100
	s_or_b64 s[4:5], s[26:27], vcc
	s_and_saveexec_b64 s[0:1], s[4:5]
	s_cbranch_execz .LBB135_189
; %bb.187:
	v_and_b32_e32 v101, 1, v57
	v_cmp_eq_u32_e32 vcc, 1, v101
	s_and_b64 exec, exec, vcc
	s_cbranch_execz .LBB135_189
; %bb.188:
	s_waitcnt lgkmcnt(0)
	s_add_u32 s4, s2, s22
	s_addc_u32 s5, s3, s23
	global_store_byte v81, v30, s[4:5]
.LBB135_189:
	s_or_b64 exec, exec, s[0:1]
	v_cmp_lt_u32_e32 vcc, v80, v100
	s_or_b64 s[4:5], s[26:27], vcc
	s_and_saveexec_b64 s[0:1], s[4:5]
	s_cbranch_execz .LBB135_192
; %bb.190:
	v_and_b32_e32 v101, 1, v56
	v_cmp_eq_u32_e32 vcc, 1, v101
	s_and_b64 exec, exec, vcc
	s_cbranch_execz .LBB135_192
; %bb.191:
	s_waitcnt lgkmcnt(0)
	s_add_u32 s4, s2, s22
	s_addc_u32 s5, s3, s23
	global_store_byte v80, v29, s[4:5]
.LBB135_192:
	s_or_b64 exec, exec, s[0:1]
	v_cmp_lt_u32_e32 vcc, v79, v100
	s_or_b64 s[4:5], s[26:27], vcc
	s_and_saveexec_b64 s[0:1], s[4:5]
	s_cbranch_execz .LBB135_195
; %bb.193:
	v_and_b32_e32 v101, 1, v55
	v_cmp_eq_u32_e32 vcc, 1, v101
	s_and_b64 exec, exec, vcc
	s_cbranch_execz .LBB135_195
; %bb.194:
	s_waitcnt lgkmcnt(0)
	s_add_u32 s4, s2, s22
	s_addc_u32 s5, s3, s23
	global_store_byte v79, v5, s[4:5]
.LBB135_195:
	s_or_b64 exec, exec, s[0:1]
	v_cmp_lt_u32_e32 vcc, v78, v100
	s_or_b64 s[4:5], s[26:27], vcc
	s_and_saveexec_b64 s[0:1], s[4:5]
	s_cbranch_execz .LBB135_198
; %bb.196:
	v_and_b32_e32 v101, 1, v54
	v_cmp_eq_u32_e32 vcc, 1, v101
	s_and_b64 exec, exec, vcc
	s_cbranch_execz .LBB135_198
; %bb.197:
	s_waitcnt lgkmcnt(0)
	s_add_u32 s4, s2, s22
	s_addc_u32 s5, s3, s23
	global_store_byte v78, v28, s[4:5]
.LBB135_198:
	s_or_b64 exec, exec, s[0:1]
	v_cmp_lt_u32_e32 vcc, v77, v100
	s_or_b64 s[4:5], s[26:27], vcc
	s_and_saveexec_b64 s[0:1], s[4:5]
	s_cbranch_execz .LBB135_201
; %bb.199:
	v_and_b32_e32 v101, 1, v53
	v_cmp_eq_u32_e32 vcc, 1, v101
	s_and_b64 exec, exec, vcc
	s_cbranch_execz .LBB135_201
; %bb.200:
	s_waitcnt lgkmcnt(0)
	s_add_u32 s4, s2, s22
	s_addc_u32 s5, s3, s23
	global_store_byte v77, v27, s[4:5]
.LBB135_201:
	s_or_b64 exec, exec, s[0:1]
	v_cmp_lt_u32_e32 vcc, v76, v100
	s_or_b64 s[4:5], s[26:27], vcc
	s_and_saveexec_b64 s[0:1], s[4:5]
	s_cbranch_execz .LBB135_204
; %bb.202:
	v_and_b32_e32 v101, 1, v52
	v_cmp_eq_u32_e32 vcc, 1, v101
	s_and_b64 exec, exec, vcc
	s_cbranch_execz .LBB135_204
; %bb.203:
	s_waitcnt lgkmcnt(0)
	s_add_u32 s4, s2, s22
	s_addc_u32 s5, s3, s23
	global_store_byte v76, v26, s[4:5]
.LBB135_204:
	s_or_b64 exec, exec, s[0:1]
	v_cmp_lt_u32_e32 vcc, v19, v100
	s_or_b64 s[4:5], s[26:27], vcc
	s_and_saveexec_b64 s[0:1], s[4:5]
	s_cbranch_execz .LBB135_207
; %bb.205:
	v_and_b32_e32 v101, 1, v51
	v_cmp_eq_u32_e32 vcc, 1, v101
	s_and_b64 exec, exec, vcc
	s_cbranch_execz .LBB135_207
; %bb.206:
	s_waitcnt lgkmcnt(0)
	s_add_u32 s4, s2, s22
	s_addc_u32 s5, s3, s23
	global_store_byte v19, v2, s[4:5]
.LBB135_207:
	s_or_b64 exec, exec, s[0:1]
	v_cmp_lt_u32_e32 vcc, v17, v100
	s_or_b64 s[4:5], s[26:27], vcc
	s_and_saveexec_b64 s[0:1], s[4:5]
	s_cbranch_execz .LBB135_210
; %bb.208:
	v_and_b32_e32 v101, 1, v49
	v_cmp_eq_u32_e32 vcc, 1, v101
	s_and_b64 exec, exec, vcc
	s_cbranch_execz .LBB135_210
; %bb.209:
	s_waitcnt lgkmcnt(0)
	s_add_u32 s4, s2, s22
	s_addc_u32 s5, s3, s23
	global_store_byte v17, v25, s[4:5]
.LBB135_210:
	s_or_b64 exec, exec, s[0:1]
	v_cmp_lt_u32_e32 vcc, v15, v100
	s_or_b64 s[4:5], s[26:27], vcc
	s_and_saveexec_b64 s[0:1], s[4:5]
	s_cbranch_execz .LBB135_213
; %bb.211:
	v_and_b32_e32 v101, 1, v46
	v_cmp_eq_u32_e32 vcc, 1, v101
	s_and_b64 exec, exec, vcc
	s_cbranch_execz .LBB135_213
; %bb.212:
	s_waitcnt lgkmcnt(0)
	s_add_u32 s4, s2, s22
	s_addc_u32 s5, s3, s23
	global_store_byte v15, v24, s[4:5]
.LBB135_213:
	s_or_b64 exec, exec, s[0:1]
	v_cmp_lt_u32_e32 vcc, v14, v100
	s_or_b64 s[4:5], s[26:27], vcc
	s_and_saveexec_b64 s[0:1], s[4:5]
	s_cbranch_execz .LBB135_216
; %bb.214:
	v_and_b32_e32 v101, 1, v44
	v_cmp_eq_u32_e32 vcc, 1, v101
	s_and_b64 exec, exec, vcc
	s_cbranch_execz .LBB135_216
; %bb.215:
	s_waitcnt lgkmcnt(0)
	s_add_u32 s4, s2, s22
	s_addc_u32 s5, s3, s23
	global_store_byte v14, v23, s[4:5]
.LBB135_216:
	s_or_b64 exec, exec, s[0:1]
	v_cmp_lt_u32_e32 vcc, v13, v100
	s_or_b64 s[4:5], s[26:27], vcc
	s_and_saveexec_b64 s[0:1], s[4:5]
	s_cbranch_execz .LBB135_219
; %bb.217:
	v_and_b32_e32 v101, 1, v41
	v_cmp_eq_u32_e32 vcc, 1, v101
	s_and_b64 exec, exec, vcc
	s_cbranch_execz .LBB135_219
; %bb.218:
	s_waitcnt lgkmcnt(0)
	s_add_u32 s4, s2, s22
	s_addc_u32 s5, s3, s23
	global_store_byte v13, v3, s[4:5]
.LBB135_219:
	s_or_b64 exec, exec, s[0:1]
	v_cmp_lt_u32_e32 vcc, v12, v100
	s_or_b64 s[4:5], s[26:27], vcc
	s_and_saveexec_b64 s[0:1], s[4:5]
	s_cbranch_execz .LBB135_222
; %bb.220:
	v_and_b32_e32 v101, 1, v39
	v_cmp_eq_u32_e32 vcc, 1, v101
	s_and_b64 exec, exec, vcc
	s_cbranch_execz .LBB135_222
; %bb.221:
	s_waitcnt lgkmcnt(0)
	s_add_u32 s4, s2, s22
	s_addc_u32 s5, s3, s23
	global_store_byte v12, v21, s[4:5]
.LBB135_222:
	s_or_b64 exec, exec, s[0:1]
	v_cmp_lt_u32_e32 vcc, v11, v100
	s_or_b64 s[4:5], s[26:27], vcc
	s_and_saveexec_b64 s[0:1], s[4:5]
	s_cbranch_execz .LBB135_225
; %bb.223:
	v_and_b32_e32 v101, 1, v36
	v_cmp_eq_u32_e32 vcc, 1, v101
	s_and_b64 exec, exec, vcc
	s_cbranch_execz .LBB135_225
; %bb.224:
	s_waitcnt lgkmcnt(0)
	s_add_u32 s4, s2, s22
	s_addc_u32 s5, s3, s23
	global_store_byte v11, v20, s[4:5]
.LBB135_225:
	s_or_b64 exec, exec, s[0:1]
	v_cmp_lt_u32_e32 vcc, v10, v100
	s_or_b64 s[4:5], s[26:27], vcc
	s_and_saveexec_b64 s[0:1], s[4:5]
	s_cbranch_execz .LBB135_228
; %bb.226:
	v_and_b32_e32 v100, 1, v34
	v_cmp_eq_u32_e32 vcc, 1, v100
	s_and_b64 exec, exec, vcc
	s_cbranch_execz .LBB135_228
; %bb.227:
	s_waitcnt lgkmcnt(0)
	s_add_u32 s4, s2, s22
	s_addc_u32 s5, s3, s23
	global_store_byte v10, v1, s[4:5]
.LBB135_228:
	s_or_b64 exec, exec, s[0:1]
	s_branch .LBB135_130
.LBB135_229:
	v_and_b32_e32 v75, 1, v75
	v_cmp_eq_u32_e32 vcc, 1, v75
	s_and_saveexec_b64 s[0:1], vcc
	s_cbranch_execz .LBB135_231
; %bb.230:
	v_sub_u32_e32 v75, v96, v18
	ds_write_b8 v75, v8
.LBB135_231:
	s_or_b64 exec, exec, s[0:1]
	v_and_b32_e32 v8, 1, v74
	v_cmp_eq_u32_e32 vcc, 1, v8
	s_and_saveexec_b64 s[0:1], vcc
	s_cbranch_execz .LBB135_233
; %bb.232:
	v_sub_u32_e32 v8, v99, v18
	ds_write_b8 v8, v50
.LBB135_233:
	s_or_b64 exec, exec, s[0:1]
	;; [unrolled: 9-line block ×32, first 2 shown]
	v_cmp_lt_u32_e32 vcc, v0, v16
	s_waitcnt lgkmcnt(0)
	s_barrier
	s_and_saveexec_b64 s[0:1], vcc
	s_cbranch_execz .LBB135_305
; %bb.294:
	v_mov_b32_e32 v19, 0
	v_lshl_add_u64 v[2:3], s[2:3], 0, v[18:19]
	v_xad_u32 v1, v0, -1, v16
	s_movk_i32 s2, 0xdff
	v_lshl_add_u64 v[20:21], v[2:3], 0, s[22:23]
	v_cmp_lt_u32_e32 vcc, s2, v1
	s_mov_b64 s[4:5], -1
	s_and_saveexec_b64 s[2:3], vcc
	s_cbranch_execz .LBB135_302
; %bb.295:
	v_lshrrev_b32_e32 v17, 9, v1
	v_or_b32_e32 v7, 0xe00, v0
	v_or_b32_e32 v6, 0xc00, v0
	;; [unrolled: 1-line block ×7, first 2 shown]
	v_add_u32_e32 v24, -7, v17
	v_mov_b64_e32 v[14:15], v[6:7]
	v_cmp_lt_u32_e32 vcc, 7, v24
	v_mov_b64_e32 v[12:13], v[4:5]
	v_mov_b64_e32 v[10:11], v[2:3]
	;; [unrolled: 1-line block ×3, first 2 shown]
	s_and_saveexec_b64 s[4:5], vcc
	s_cbranch_execz .LBB135_299
; %bb.296:
	v_lshrrev_b32_e32 v8, 3, v24
	v_add_u32_e32 v8, 1, v8
	v_and_b32_e32 v19, 0x3ffffffe, v8
	v_mov_b64_e32 v[14:15], v[6:7]
	s_mov_b32 s8, 0
	s_mov_b64 s[6:7], 0
	v_mov_b32_e32 v23, 0
	v_mov_b32_e32 v25, v0
	v_mov_b64_e32 v[12:13], v[4:5]
	v_mov_b64_e32 v[10:11], v[2:3]
	;; [unrolled: 1-line block ×3, first 2 shown]
.LBB135_297:                            ; =>This Inner Loop Header: Depth=1
	v_mov_b32_e32 v22, v8
	v_lshl_add_u64 v[34:35], v[20:21], 0, v[22:23]
	v_mov_b32_e32 v22, v9
	v_lshl_add_u64 v[36:37], v[20:21], 0, v[22:23]
	;; [unrolled: 2-line block ×3, first 2 shown]
	v_mov_b32_e32 v22, v11
	ds_read_u8 v44, v25
	ds_read_u8 v45, v25 offset:512
	ds_read_u8 v46, v25 offset:1024
	;; [unrolled: 1-line block ×7, first 2 shown]
	v_lshl_add_u64 v[40:41], v[20:21], 0, v[22:23]
	v_mov_b32_e32 v22, v12
	ds_read_u8 v52, v25 offset:4096
	ds_read_u8 v53, v25 offset:4608
	;; [unrolled: 1-line block ×8, first 2 shown]
	v_lshl_add_u64 v[42:43], v[20:21], 0, v[22:23]
	v_mov_b32_e32 v22, v13
	s_waitcnt lgkmcnt(14)
	global_store_byte v[34:35], v44, off
	global_store_byte v[36:37], v45, off
	s_waitcnt lgkmcnt(13)
	global_store_byte v[38:39], v46, off
	s_waitcnt lgkmcnt(12)
	global_store_byte v[40:41], v47, off
	v_lshl_add_u64 v[34:35], v[20:21], 0, v[22:23]
	v_mov_b32_e32 v22, v14
	v_add_u32_e32 v19, -2, v19
	v_lshl_add_u64 v[36:37], v[20:21], 0, v[22:23]
	v_mov_b32_e32 v22, v15
	s_add_i32 s8, s8, 16
	v_cmp_eq_u32_e32 vcc, 0, v19
	s_waitcnt lgkmcnt(11)
	global_store_byte v[42:43], v48, off
	s_waitcnt lgkmcnt(10)
	global_store_byte v[34:35], v49, off
	v_lshl_add_u64 v[34:35], v[20:21], 0, v[22:23]
	v_add_u32_e32 v22, 0x1000, v8
	v_add_u32_e32 v2, 0x1000, v15
	;; [unrolled: 1-line block ×8, first 2 shown]
	v_mov_b32_e32 v33, v23
	v_mov_b32_e32 v31, v23
	;; [unrolled: 1-line block ×7, first 2 shown]
	v_add_u32_e32 v25, 0x2000, v25
	v_add_u32_e32 v9, 0x2000, v9
	v_mov_b32_e32 v1, s8
	v_add_u32_e32 v10, 0x2000, v10
	s_or_b64 s[6:7], vcc, s[6:7]
	v_add_u32_e32 v11, 0x2000, v11
	v_add_u32_e32 v12, 0x2000, v12
	;; [unrolled: 1-line block ×5, first 2 shown]
	s_waitcnt lgkmcnt(9)
	global_store_byte v[36:37], v50, off
	v_add_u32_e32 v8, 0x2000, v8
	s_waitcnt lgkmcnt(8)
	global_store_byte v[34:35], v51, off
	v_lshl_add_u64 v[34:35], v[20:21], 0, v[22:23]
	v_lshl_add_u64 v[32:33], v[20:21], 0, v[32:33]
	;; [unrolled: 1-line block ×8, first 2 shown]
	s_waitcnt lgkmcnt(7)
	global_store_byte v[34:35], v52, off
	s_waitcnt lgkmcnt(6)
	global_store_byte v[32:33], v53, off
	s_waitcnt lgkmcnt(5)
	global_store_byte v[30:31], v54, off
	s_waitcnt lgkmcnt(4)
	global_store_byte v[28:29], v55, off
	s_waitcnt lgkmcnt(3)
	global_store_byte v[26:27], v56, off
	s_waitcnt lgkmcnt(2)
	global_store_byte v[6:7], v57, off
	s_waitcnt lgkmcnt(1)
	global_store_byte v[4:5], v58, off
	s_waitcnt lgkmcnt(0)
	global_store_byte v[2:3], v59, off
	s_andn2_b64 exec, exec, s[6:7]
	s_cbranch_execnz .LBB135_297
; %bb.298:
	s_or_b64 exec, exec, s[6:7]
	v_lshlrev_b32_e32 v19, 9, v1
.LBB135_299:
	s_or_b64 exec, exec, s[4:5]
	v_and_b32_e32 v1, 8, v24
	v_cmp_eq_u32_e32 vcc, 0, v1
	s_and_saveexec_b64 s[4:5], vcc
	s_cbranch_execz .LBB135_301
; %bb.300:
	v_mov_b32_e32 v3, 0
	v_mov_b32_e32 v2, v8
	v_lshl_add_u64 v[4:5], v[20:21], 0, v[2:3]
	v_mov_b32_e32 v2, v9
	v_or_b32_e32 v1, v0, v19
	v_lshl_add_u64 v[6:7], v[20:21], 0, v[2:3]
	v_mov_b32_e32 v2, v10
	ds_read_u8 v19, v1
	ds_read_u8 v26, v1 offset:512
	ds_read_u8 v27, v1 offset:1024
	;; [unrolled: 1-line block ×7, first 2 shown]
	v_lshl_add_u64 v[8:9], v[20:21], 0, v[2:3]
	v_mov_b32_e32 v2, v11
	v_lshl_add_u64 v[10:11], v[20:21], 0, v[2:3]
	v_mov_b32_e32 v2, v12
	;; [unrolled: 2-line block ×5, first 2 shown]
	v_lshl_add_u64 v[2:3], v[20:21], 0, v[2:3]
	s_waitcnt lgkmcnt(7)
	global_store_byte v[4:5], v19, off
	s_waitcnt lgkmcnt(6)
	global_store_byte v[6:7], v26, off
	;; [unrolled: 2-line block ×8, first 2 shown]
.LBB135_301:
	s_or_b64 exec, exec, s[4:5]
	v_add_u32_e32 v1, 1, v17
	v_and_b32_e32 v2, 0xfffff8, v1
	v_cmp_ne_u32_e32 vcc, v1, v2
	v_lshl_or_b32 v22, v2, 9, v0
	s_orn2_b64 s[4:5], vcc, exec
.LBB135_302:
	s_or_b64 exec, exec, s[2:3]
	s_and_b64 exec, exec, s[4:5]
	s_cbranch_execz .LBB135_305
; %bb.303:
	s_mov_b64 s[2:3], 0
.LBB135_304:                            ; =>This Inner Loop Header: Depth=1
	ds_read_u8 v1, v22
	v_readfirstlane_b32 s4, v20
	v_readfirstlane_b32 s5, v21
	s_waitcnt lgkmcnt(0)
	s_nop 3
	global_store_byte v22, v1, s[4:5]
	v_add_u32_e32 v22, 0x200, v22
	v_cmp_ge_u32_e32 vcc, v22, v16
	s_or_b64 s[2:3], vcc, s[2:3]
	s_andn2_b64 exec, exec, s[2:3]
	s_cbranch_execnz .LBB135_304
.LBB135_305:
	s_or_b64 exec, exec, s[0:1]
	v_cmp_eq_u32_e32 vcc, 0, v0
	s_and_b64 s[0:1], vcc, s[24:25]
	s_and_saveexec_b64 s[2:3], s[0:1]
	s_cbranch_execz .LBB135_131
.LBB135_306:
	v_mov_b32_e32 v17, 0
	v_lshl_add_u64 v[0:1], s[22:23], 0, v[16:17]
	v_mov_b32_e32 v19, v17
	v_lshl_add_u64 v[0:1], v[0:1], 0, v[18:19]
	global_store_dwordx2 v17, v[0:1], s[20:21]
	s_endpgm
.LBB135_307:
	s_or_b64 exec, exec, s[10:11]
	v_mov_b32_e32 v75, s12
	s_and_saveexec_b64 s[10:11], s[8:9]
	s_cbranch_execnz .LBB135_88
	s_branch .LBB135_89
	.section	.rodata,"a",@progbits
	.p2align	6, 0x0
	.amdhsa_kernel _ZN7rocprim17ROCPRIM_400000_NS6detail17trampoline_kernelINS0_14default_configENS1_25partition_config_selectorILNS1_17partition_subalgoE8EhNS0_10empty_typeEbEEZZNS1_14partition_implILS5_8ELb0ES3_jPKhPS6_PKS6_NS0_5tupleIJPhS6_EEENSE_IJSB_SB_EEENS0_18inequality_wrapperIN6hipcub16HIPCUB_304000_NS8EqualityEEEPlJS6_EEE10hipError_tPvRmT3_T4_T5_T6_T7_T9_mT8_P12ihipStream_tbDpT10_ENKUlT_T0_E_clISt17integral_constantIbLb0EES17_EEDaS12_S13_EUlS12_E_NS1_11comp_targetILNS1_3genE5ELNS1_11target_archE942ELNS1_3gpuE9ELNS1_3repE0EEENS1_30default_config_static_selectorELNS0_4arch9wavefront6targetE1EEEvT1_
		.amdhsa_group_segment_fixed_size 16904
		.amdhsa_private_segment_fixed_size 0
		.amdhsa_kernarg_size 112
		.amdhsa_user_sgpr_count 2
		.amdhsa_user_sgpr_dispatch_ptr 0
		.amdhsa_user_sgpr_queue_ptr 0
		.amdhsa_user_sgpr_kernarg_segment_ptr 1
		.amdhsa_user_sgpr_dispatch_id 0
		.amdhsa_user_sgpr_kernarg_preload_length 0
		.amdhsa_user_sgpr_kernarg_preload_offset 0
		.amdhsa_user_sgpr_private_segment_size 0
		.amdhsa_uses_dynamic_stack 0
		.amdhsa_enable_private_segment 0
		.amdhsa_system_sgpr_workgroup_id_x 1
		.amdhsa_system_sgpr_workgroup_id_y 0
		.amdhsa_system_sgpr_workgroup_id_z 0
		.amdhsa_system_sgpr_workgroup_info 0
		.amdhsa_system_vgpr_workitem_id 0
		.amdhsa_next_free_vgpr 125
		.amdhsa_next_free_sgpr 54
		.amdhsa_accum_offset 128
		.amdhsa_reserve_vcc 1
		.amdhsa_float_round_mode_32 0
		.amdhsa_float_round_mode_16_64 0
		.amdhsa_float_denorm_mode_32 3
		.amdhsa_float_denorm_mode_16_64 3
		.amdhsa_dx10_clamp 1
		.amdhsa_ieee_mode 1
		.amdhsa_fp16_overflow 0
		.amdhsa_tg_split 0
		.amdhsa_exception_fp_ieee_invalid_op 0
		.amdhsa_exception_fp_denorm_src 0
		.amdhsa_exception_fp_ieee_div_zero 0
		.amdhsa_exception_fp_ieee_overflow 0
		.amdhsa_exception_fp_ieee_underflow 0
		.amdhsa_exception_fp_ieee_inexact 0
		.amdhsa_exception_int_div_zero 0
	.end_amdhsa_kernel
	.section	.text._ZN7rocprim17ROCPRIM_400000_NS6detail17trampoline_kernelINS0_14default_configENS1_25partition_config_selectorILNS1_17partition_subalgoE8EhNS0_10empty_typeEbEEZZNS1_14partition_implILS5_8ELb0ES3_jPKhPS6_PKS6_NS0_5tupleIJPhS6_EEENSE_IJSB_SB_EEENS0_18inequality_wrapperIN6hipcub16HIPCUB_304000_NS8EqualityEEEPlJS6_EEE10hipError_tPvRmT3_T4_T5_T6_T7_T9_mT8_P12ihipStream_tbDpT10_ENKUlT_T0_E_clISt17integral_constantIbLb0EES17_EEDaS12_S13_EUlS12_E_NS1_11comp_targetILNS1_3genE5ELNS1_11target_archE942ELNS1_3gpuE9ELNS1_3repE0EEENS1_30default_config_static_selectorELNS0_4arch9wavefront6targetE1EEEvT1_,"axG",@progbits,_ZN7rocprim17ROCPRIM_400000_NS6detail17trampoline_kernelINS0_14default_configENS1_25partition_config_selectorILNS1_17partition_subalgoE8EhNS0_10empty_typeEbEEZZNS1_14partition_implILS5_8ELb0ES3_jPKhPS6_PKS6_NS0_5tupleIJPhS6_EEENSE_IJSB_SB_EEENS0_18inequality_wrapperIN6hipcub16HIPCUB_304000_NS8EqualityEEEPlJS6_EEE10hipError_tPvRmT3_T4_T5_T6_T7_T9_mT8_P12ihipStream_tbDpT10_ENKUlT_T0_E_clISt17integral_constantIbLb0EES17_EEDaS12_S13_EUlS12_E_NS1_11comp_targetILNS1_3genE5ELNS1_11target_archE942ELNS1_3gpuE9ELNS1_3repE0EEENS1_30default_config_static_selectorELNS0_4arch9wavefront6targetE1EEEvT1_,comdat
.Lfunc_end135:
	.size	_ZN7rocprim17ROCPRIM_400000_NS6detail17trampoline_kernelINS0_14default_configENS1_25partition_config_selectorILNS1_17partition_subalgoE8EhNS0_10empty_typeEbEEZZNS1_14partition_implILS5_8ELb0ES3_jPKhPS6_PKS6_NS0_5tupleIJPhS6_EEENSE_IJSB_SB_EEENS0_18inequality_wrapperIN6hipcub16HIPCUB_304000_NS8EqualityEEEPlJS6_EEE10hipError_tPvRmT3_T4_T5_T6_T7_T9_mT8_P12ihipStream_tbDpT10_ENKUlT_T0_E_clISt17integral_constantIbLb0EES17_EEDaS12_S13_EUlS12_E_NS1_11comp_targetILNS1_3genE5ELNS1_11target_archE942ELNS1_3gpuE9ELNS1_3repE0EEENS1_30default_config_static_selectorELNS0_4arch9wavefront6targetE1EEEvT1_, .Lfunc_end135-_ZN7rocprim17ROCPRIM_400000_NS6detail17trampoline_kernelINS0_14default_configENS1_25partition_config_selectorILNS1_17partition_subalgoE8EhNS0_10empty_typeEbEEZZNS1_14partition_implILS5_8ELb0ES3_jPKhPS6_PKS6_NS0_5tupleIJPhS6_EEENSE_IJSB_SB_EEENS0_18inequality_wrapperIN6hipcub16HIPCUB_304000_NS8EqualityEEEPlJS6_EEE10hipError_tPvRmT3_T4_T5_T6_T7_T9_mT8_P12ihipStream_tbDpT10_ENKUlT_T0_E_clISt17integral_constantIbLb0EES17_EEDaS12_S13_EUlS12_E_NS1_11comp_targetILNS1_3genE5ELNS1_11target_archE942ELNS1_3gpuE9ELNS1_3repE0EEENS1_30default_config_static_selectorELNS0_4arch9wavefront6targetE1EEEvT1_
                                        ; -- End function
	.section	.AMDGPU.csdata,"",@progbits
; Kernel info:
; codeLenInByte = 14076
; NumSgprs: 60
; NumVgprs: 125
; NumAgprs: 0
; TotalNumVgprs: 125
; ScratchSize: 0
; MemoryBound: 0
; FloatMode: 240
; IeeeMode: 1
; LDSByteSize: 16904 bytes/workgroup (compile time only)
; SGPRBlocks: 7
; VGPRBlocks: 15
; NumSGPRsForWavesPerEU: 60
; NumVGPRsForWavesPerEU: 125
; AccumOffset: 128
; Occupancy: 4
; WaveLimiterHint : 1
; COMPUTE_PGM_RSRC2:SCRATCH_EN: 0
; COMPUTE_PGM_RSRC2:USER_SGPR: 2
; COMPUTE_PGM_RSRC2:TRAP_HANDLER: 0
; COMPUTE_PGM_RSRC2:TGID_X_EN: 1
; COMPUTE_PGM_RSRC2:TGID_Y_EN: 0
; COMPUTE_PGM_RSRC2:TGID_Z_EN: 0
; COMPUTE_PGM_RSRC2:TIDIG_COMP_CNT: 0
; COMPUTE_PGM_RSRC3_GFX90A:ACCUM_OFFSET: 31
; COMPUTE_PGM_RSRC3_GFX90A:TG_SPLIT: 0
	.section	.text._ZN7rocprim17ROCPRIM_400000_NS6detail17trampoline_kernelINS0_14default_configENS1_25partition_config_selectorILNS1_17partition_subalgoE8EhNS0_10empty_typeEbEEZZNS1_14partition_implILS5_8ELb0ES3_jPKhPS6_PKS6_NS0_5tupleIJPhS6_EEENSE_IJSB_SB_EEENS0_18inequality_wrapperIN6hipcub16HIPCUB_304000_NS8EqualityEEEPlJS6_EEE10hipError_tPvRmT3_T4_T5_T6_T7_T9_mT8_P12ihipStream_tbDpT10_ENKUlT_T0_E_clISt17integral_constantIbLb0EES17_EEDaS12_S13_EUlS12_E_NS1_11comp_targetILNS1_3genE4ELNS1_11target_archE910ELNS1_3gpuE8ELNS1_3repE0EEENS1_30default_config_static_selectorELNS0_4arch9wavefront6targetE1EEEvT1_,"axG",@progbits,_ZN7rocprim17ROCPRIM_400000_NS6detail17trampoline_kernelINS0_14default_configENS1_25partition_config_selectorILNS1_17partition_subalgoE8EhNS0_10empty_typeEbEEZZNS1_14partition_implILS5_8ELb0ES3_jPKhPS6_PKS6_NS0_5tupleIJPhS6_EEENSE_IJSB_SB_EEENS0_18inequality_wrapperIN6hipcub16HIPCUB_304000_NS8EqualityEEEPlJS6_EEE10hipError_tPvRmT3_T4_T5_T6_T7_T9_mT8_P12ihipStream_tbDpT10_ENKUlT_T0_E_clISt17integral_constantIbLb0EES17_EEDaS12_S13_EUlS12_E_NS1_11comp_targetILNS1_3genE4ELNS1_11target_archE910ELNS1_3gpuE8ELNS1_3repE0EEENS1_30default_config_static_selectorELNS0_4arch9wavefront6targetE1EEEvT1_,comdat
	.protected	_ZN7rocprim17ROCPRIM_400000_NS6detail17trampoline_kernelINS0_14default_configENS1_25partition_config_selectorILNS1_17partition_subalgoE8EhNS0_10empty_typeEbEEZZNS1_14partition_implILS5_8ELb0ES3_jPKhPS6_PKS6_NS0_5tupleIJPhS6_EEENSE_IJSB_SB_EEENS0_18inequality_wrapperIN6hipcub16HIPCUB_304000_NS8EqualityEEEPlJS6_EEE10hipError_tPvRmT3_T4_T5_T6_T7_T9_mT8_P12ihipStream_tbDpT10_ENKUlT_T0_E_clISt17integral_constantIbLb0EES17_EEDaS12_S13_EUlS12_E_NS1_11comp_targetILNS1_3genE4ELNS1_11target_archE910ELNS1_3gpuE8ELNS1_3repE0EEENS1_30default_config_static_selectorELNS0_4arch9wavefront6targetE1EEEvT1_ ; -- Begin function _ZN7rocprim17ROCPRIM_400000_NS6detail17trampoline_kernelINS0_14default_configENS1_25partition_config_selectorILNS1_17partition_subalgoE8EhNS0_10empty_typeEbEEZZNS1_14partition_implILS5_8ELb0ES3_jPKhPS6_PKS6_NS0_5tupleIJPhS6_EEENSE_IJSB_SB_EEENS0_18inequality_wrapperIN6hipcub16HIPCUB_304000_NS8EqualityEEEPlJS6_EEE10hipError_tPvRmT3_T4_T5_T6_T7_T9_mT8_P12ihipStream_tbDpT10_ENKUlT_T0_E_clISt17integral_constantIbLb0EES17_EEDaS12_S13_EUlS12_E_NS1_11comp_targetILNS1_3genE4ELNS1_11target_archE910ELNS1_3gpuE8ELNS1_3repE0EEENS1_30default_config_static_selectorELNS0_4arch9wavefront6targetE1EEEvT1_
	.globl	_ZN7rocprim17ROCPRIM_400000_NS6detail17trampoline_kernelINS0_14default_configENS1_25partition_config_selectorILNS1_17partition_subalgoE8EhNS0_10empty_typeEbEEZZNS1_14partition_implILS5_8ELb0ES3_jPKhPS6_PKS6_NS0_5tupleIJPhS6_EEENSE_IJSB_SB_EEENS0_18inequality_wrapperIN6hipcub16HIPCUB_304000_NS8EqualityEEEPlJS6_EEE10hipError_tPvRmT3_T4_T5_T6_T7_T9_mT8_P12ihipStream_tbDpT10_ENKUlT_T0_E_clISt17integral_constantIbLb0EES17_EEDaS12_S13_EUlS12_E_NS1_11comp_targetILNS1_3genE4ELNS1_11target_archE910ELNS1_3gpuE8ELNS1_3repE0EEENS1_30default_config_static_selectorELNS0_4arch9wavefront6targetE1EEEvT1_
	.p2align	8
	.type	_ZN7rocprim17ROCPRIM_400000_NS6detail17trampoline_kernelINS0_14default_configENS1_25partition_config_selectorILNS1_17partition_subalgoE8EhNS0_10empty_typeEbEEZZNS1_14partition_implILS5_8ELb0ES3_jPKhPS6_PKS6_NS0_5tupleIJPhS6_EEENSE_IJSB_SB_EEENS0_18inequality_wrapperIN6hipcub16HIPCUB_304000_NS8EqualityEEEPlJS6_EEE10hipError_tPvRmT3_T4_T5_T6_T7_T9_mT8_P12ihipStream_tbDpT10_ENKUlT_T0_E_clISt17integral_constantIbLb0EES17_EEDaS12_S13_EUlS12_E_NS1_11comp_targetILNS1_3genE4ELNS1_11target_archE910ELNS1_3gpuE8ELNS1_3repE0EEENS1_30default_config_static_selectorELNS0_4arch9wavefront6targetE1EEEvT1_,@function
_ZN7rocprim17ROCPRIM_400000_NS6detail17trampoline_kernelINS0_14default_configENS1_25partition_config_selectorILNS1_17partition_subalgoE8EhNS0_10empty_typeEbEEZZNS1_14partition_implILS5_8ELb0ES3_jPKhPS6_PKS6_NS0_5tupleIJPhS6_EEENSE_IJSB_SB_EEENS0_18inequality_wrapperIN6hipcub16HIPCUB_304000_NS8EqualityEEEPlJS6_EEE10hipError_tPvRmT3_T4_T5_T6_T7_T9_mT8_P12ihipStream_tbDpT10_ENKUlT_T0_E_clISt17integral_constantIbLb0EES17_EEDaS12_S13_EUlS12_E_NS1_11comp_targetILNS1_3genE4ELNS1_11target_archE910ELNS1_3gpuE8ELNS1_3repE0EEENS1_30default_config_static_selectorELNS0_4arch9wavefront6targetE1EEEvT1_: ; @_ZN7rocprim17ROCPRIM_400000_NS6detail17trampoline_kernelINS0_14default_configENS1_25partition_config_selectorILNS1_17partition_subalgoE8EhNS0_10empty_typeEbEEZZNS1_14partition_implILS5_8ELb0ES3_jPKhPS6_PKS6_NS0_5tupleIJPhS6_EEENSE_IJSB_SB_EEENS0_18inequality_wrapperIN6hipcub16HIPCUB_304000_NS8EqualityEEEPlJS6_EEE10hipError_tPvRmT3_T4_T5_T6_T7_T9_mT8_P12ihipStream_tbDpT10_ENKUlT_T0_E_clISt17integral_constantIbLb0EES17_EEDaS12_S13_EUlS12_E_NS1_11comp_targetILNS1_3genE4ELNS1_11target_archE910ELNS1_3gpuE8ELNS1_3repE0EEENS1_30default_config_static_selectorELNS0_4arch9wavefront6targetE1EEEvT1_
; %bb.0:
	.section	.rodata,"a",@progbits
	.p2align	6, 0x0
	.amdhsa_kernel _ZN7rocprim17ROCPRIM_400000_NS6detail17trampoline_kernelINS0_14default_configENS1_25partition_config_selectorILNS1_17partition_subalgoE8EhNS0_10empty_typeEbEEZZNS1_14partition_implILS5_8ELb0ES3_jPKhPS6_PKS6_NS0_5tupleIJPhS6_EEENSE_IJSB_SB_EEENS0_18inequality_wrapperIN6hipcub16HIPCUB_304000_NS8EqualityEEEPlJS6_EEE10hipError_tPvRmT3_T4_T5_T6_T7_T9_mT8_P12ihipStream_tbDpT10_ENKUlT_T0_E_clISt17integral_constantIbLb0EES17_EEDaS12_S13_EUlS12_E_NS1_11comp_targetILNS1_3genE4ELNS1_11target_archE910ELNS1_3gpuE8ELNS1_3repE0EEENS1_30default_config_static_selectorELNS0_4arch9wavefront6targetE1EEEvT1_
		.amdhsa_group_segment_fixed_size 0
		.amdhsa_private_segment_fixed_size 0
		.amdhsa_kernarg_size 112
		.amdhsa_user_sgpr_count 2
		.amdhsa_user_sgpr_dispatch_ptr 0
		.amdhsa_user_sgpr_queue_ptr 0
		.amdhsa_user_sgpr_kernarg_segment_ptr 1
		.amdhsa_user_sgpr_dispatch_id 0
		.amdhsa_user_sgpr_kernarg_preload_length 0
		.amdhsa_user_sgpr_kernarg_preload_offset 0
		.amdhsa_user_sgpr_private_segment_size 0
		.amdhsa_uses_dynamic_stack 0
		.amdhsa_enable_private_segment 0
		.amdhsa_system_sgpr_workgroup_id_x 1
		.amdhsa_system_sgpr_workgroup_id_y 0
		.amdhsa_system_sgpr_workgroup_id_z 0
		.amdhsa_system_sgpr_workgroup_info 0
		.amdhsa_system_vgpr_workitem_id 0
		.amdhsa_next_free_vgpr 1
		.amdhsa_next_free_sgpr 0
		.amdhsa_accum_offset 4
		.amdhsa_reserve_vcc 0
		.amdhsa_float_round_mode_32 0
		.amdhsa_float_round_mode_16_64 0
		.amdhsa_float_denorm_mode_32 3
		.amdhsa_float_denorm_mode_16_64 3
		.amdhsa_dx10_clamp 1
		.amdhsa_ieee_mode 1
		.amdhsa_fp16_overflow 0
		.amdhsa_tg_split 0
		.amdhsa_exception_fp_ieee_invalid_op 0
		.amdhsa_exception_fp_denorm_src 0
		.amdhsa_exception_fp_ieee_div_zero 0
		.amdhsa_exception_fp_ieee_overflow 0
		.amdhsa_exception_fp_ieee_underflow 0
		.amdhsa_exception_fp_ieee_inexact 0
		.amdhsa_exception_int_div_zero 0
	.end_amdhsa_kernel
	.section	.text._ZN7rocprim17ROCPRIM_400000_NS6detail17trampoline_kernelINS0_14default_configENS1_25partition_config_selectorILNS1_17partition_subalgoE8EhNS0_10empty_typeEbEEZZNS1_14partition_implILS5_8ELb0ES3_jPKhPS6_PKS6_NS0_5tupleIJPhS6_EEENSE_IJSB_SB_EEENS0_18inequality_wrapperIN6hipcub16HIPCUB_304000_NS8EqualityEEEPlJS6_EEE10hipError_tPvRmT3_T4_T5_T6_T7_T9_mT8_P12ihipStream_tbDpT10_ENKUlT_T0_E_clISt17integral_constantIbLb0EES17_EEDaS12_S13_EUlS12_E_NS1_11comp_targetILNS1_3genE4ELNS1_11target_archE910ELNS1_3gpuE8ELNS1_3repE0EEENS1_30default_config_static_selectorELNS0_4arch9wavefront6targetE1EEEvT1_,"axG",@progbits,_ZN7rocprim17ROCPRIM_400000_NS6detail17trampoline_kernelINS0_14default_configENS1_25partition_config_selectorILNS1_17partition_subalgoE8EhNS0_10empty_typeEbEEZZNS1_14partition_implILS5_8ELb0ES3_jPKhPS6_PKS6_NS0_5tupleIJPhS6_EEENSE_IJSB_SB_EEENS0_18inequality_wrapperIN6hipcub16HIPCUB_304000_NS8EqualityEEEPlJS6_EEE10hipError_tPvRmT3_T4_T5_T6_T7_T9_mT8_P12ihipStream_tbDpT10_ENKUlT_T0_E_clISt17integral_constantIbLb0EES17_EEDaS12_S13_EUlS12_E_NS1_11comp_targetILNS1_3genE4ELNS1_11target_archE910ELNS1_3gpuE8ELNS1_3repE0EEENS1_30default_config_static_selectorELNS0_4arch9wavefront6targetE1EEEvT1_,comdat
.Lfunc_end136:
	.size	_ZN7rocprim17ROCPRIM_400000_NS6detail17trampoline_kernelINS0_14default_configENS1_25partition_config_selectorILNS1_17partition_subalgoE8EhNS0_10empty_typeEbEEZZNS1_14partition_implILS5_8ELb0ES3_jPKhPS6_PKS6_NS0_5tupleIJPhS6_EEENSE_IJSB_SB_EEENS0_18inequality_wrapperIN6hipcub16HIPCUB_304000_NS8EqualityEEEPlJS6_EEE10hipError_tPvRmT3_T4_T5_T6_T7_T9_mT8_P12ihipStream_tbDpT10_ENKUlT_T0_E_clISt17integral_constantIbLb0EES17_EEDaS12_S13_EUlS12_E_NS1_11comp_targetILNS1_3genE4ELNS1_11target_archE910ELNS1_3gpuE8ELNS1_3repE0EEENS1_30default_config_static_selectorELNS0_4arch9wavefront6targetE1EEEvT1_, .Lfunc_end136-_ZN7rocprim17ROCPRIM_400000_NS6detail17trampoline_kernelINS0_14default_configENS1_25partition_config_selectorILNS1_17partition_subalgoE8EhNS0_10empty_typeEbEEZZNS1_14partition_implILS5_8ELb0ES3_jPKhPS6_PKS6_NS0_5tupleIJPhS6_EEENSE_IJSB_SB_EEENS0_18inequality_wrapperIN6hipcub16HIPCUB_304000_NS8EqualityEEEPlJS6_EEE10hipError_tPvRmT3_T4_T5_T6_T7_T9_mT8_P12ihipStream_tbDpT10_ENKUlT_T0_E_clISt17integral_constantIbLb0EES17_EEDaS12_S13_EUlS12_E_NS1_11comp_targetILNS1_3genE4ELNS1_11target_archE910ELNS1_3gpuE8ELNS1_3repE0EEENS1_30default_config_static_selectorELNS0_4arch9wavefront6targetE1EEEvT1_
                                        ; -- End function
	.section	.AMDGPU.csdata,"",@progbits
; Kernel info:
; codeLenInByte = 0
; NumSgprs: 6
; NumVgprs: 0
; NumAgprs: 0
; TotalNumVgprs: 0
; ScratchSize: 0
; MemoryBound: 0
; FloatMode: 240
; IeeeMode: 1
; LDSByteSize: 0 bytes/workgroup (compile time only)
; SGPRBlocks: 0
; VGPRBlocks: 0
; NumSGPRsForWavesPerEU: 6
; NumVGPRsForWavesPerEU: 1
; AccumOffset: 4
; Occupancy: 8
; WaveLimiterHint : 0
; COMPUTE_PGM_RSRC2:SCRATCH_EN: 0
; COMPUTE_PGM_RSRC2:USER_SGPR: 2
; COMPUTE_PGM_RSRC2:TRAP_HANDLER: 0
; COMPUTE_PGM_RSRC2:TGID_X_EN: 1
; COMPUTE_PGM_RSRC2:TGID_Y_EN: 0
; COMPUTE_PGM_RSRC2:TGID_Z_EN: 0
; COMPUTE_PGM_RSRC2:TIDIG_COMP_CNT: 0
; COMPUTE_PGM_RSRC3_GFX90A:ACCUM_OFFSET: 0
; COMPUTE_PGM_RSRC3_GFX90A:TG_SPLIT: 0
	.section	.text._ZN7rocprim17ROCPRIM_400000_NS6detail17trampoline_kernelINS0_14default_configENS1_25partition_config_selectorILNS1_17partition_subalgoE8EhNS0_10empty_typeEbEEZZNS1_14partition_implILS5_8ELb0ES3_jPKhPS6_PKS6_NS0_5tupleIJPhS6_EEENSE_IJSB_SB_EEENS0_18inequality_wrapperIN6hipcub16HIPCUB_304000_NS8EqualityEEEPlJS6_EEE10hipError_tPvRmT3_T4_T5_T6_T7_T9_mT8_P12ihipStream_tbDpT10_ENKUlT_T0_E_clISt17integral_constantIbLb0EES17_EEDaS12_S13_EUlS12_E_NS1_11comp_targetILNS1_3genE3ELNS1_11target_archE908ELNS1_3gpuE7ELNS1_3repE0EEENS1_30default_config_static_selectorELNS0_4arch9wavefront6targetE1EEEvT1_,"axG",@progbits,_ZN7rocprim17ROCPRIM_400000_NS6detail17trampoline_kernelINS0_14default_configENS1_25partition_config_selectorILNS1_17partition_subalgoE8EhNS0_10empty_typeEbEEZZNS1_14partition_implILS5_8ELb0ES3_jPKhPS6_PKS6_NS0_5tupleIJPhS6_EEENSE_IJSB_SB_EEENS0_18inequality_wrapperIN6hipcub16HIPCUB_304000_NS8EqualityEEEPlJS6_EEE10hipError_tPvRmT3_T4_T5_T6_T7_T9_mT8_P12ihipStream_tbDpT10_ENKUlT_T0_E_clISt17integral_constantIbLb0EES17_EEDaS12_S13_EUlS12_E_NS1_11comp_targetILNS1_3genE3ELNS1_11target_archE908ELNS1_3gpuE7ELNS1_3repE0EEENS1_30default_config_static_selectorELNS0_4arch9wavefront6targetE1EEEvT1_,comdat
	.protected	_ZN7rocprim17ROCPRIM_400000_NS6detail17trampoline_kernelINS0_14default_configENS1_25partition_config_selectorILNS1_17partition_subalgoE8EhNS0_10empty_typeEbEEZZNS1_14partition_implILS5_8ELb0ES3_jPKhPS6_PKS6_NS0_5tupleIJPhS6_EEENSE_IJSB_SB_EEENS0_18inequality_wrapperIN6hipcub16HIPCUB_304000_NS8EqualityEEEPlJS6_EEE10hipError_tPvRmT3_T4_T5_T6_T7_T9_mT8_P12ihipStream_tbDpT10_ENKUlT_T0_E_clISt17integral_constantIbLb0EES17_EEDaS12_S13_EUlS12_E_NS1_11comp_targetILNS1_3genE3ELNS1_11target_archE908ELNS1_3gpuE7ELNS1_3repE0EEENS1_30default_config_static_selectorELNS0_4arch9wavefront6targetE1EEEvT1_ ; -- Begin function _ZN7rocprim17ROCPRIM_400000_NS6detail17trampoline_kernelINS0_14default_configENS1_25partition_config_selectorILNS1_17partition_subalgoE8EhNS0_10empty_typeEbEEZZNS1_14partition_implILS5_8ELb0ES3_jPKhPS6_PKS6_NS0_5tupleIJPhS6_EEENSE_IJSB_SB_EEENS0_18inequality_wrapperIN6hipcub16HIPCUB_304000_NS8EqualityEEEPlJS6_EEE10hipError_tPvRmT3_T4_T5_T6_T7_T9_mT8_P12ihipStream_tbDpT10_ENKUlT_T0_E_clISt17integral_constantIbLb0EES17_EEDaS12_S13_EUlS12_E_NS1_11comp_targetILNS1_3genE3ELNS1_11target_archE908ELNS1_3gpuE7ELNS1_3repE0EEENS1_30default_config_static_selectorELNS0_4arch9wavefront6targetE1EEEvT1_
	.globl	_ZN7rocprim17ROCPRIM_400000_NS6detail17trampoline_kernelINS0_14default_configENS1_25partition_config_selectorILNS1_17partition_subalgoE8EhNS0_10empty_typeEbEEZZNS1_14partition_implILS5_8ELb0ES3_jPKhPS6_PKS6_NS0_5tupleIJPhS6_EEENSE_IJSB_SB_EEENS0_18inequality_wrapperIN6hipcub16HIPCUB_304000_NS8EqualityEEEPlJS6_EEE10hipError_tPvRmT3_T4_T5_T6_T7_T9_mT8_P12ihipStream_tbDpT10_ENKUlT_T0_E_clISt17integral_constantIbLb0EES17_EEDaS12_S13_EUlS12_E_NS1_11comp_targetILNS1_3genE3ELNS1_11target_archE908ELNS1_3gpuE7ELNS1_3repE0EEENS1_30default_config_static_selectorELNS0_4arch9wavefront6targetE1EEEvT1_
	.p2align	8
	.type	_ZN7rocprim17ROCPRIM_400000_NS6detail17trampoline_kernelINS0_14default_configENS1_25partition_config_selectorILNS1_17partition_subalgoE8EhNS0_10empty_typeEbEEZZNS1_14partition_implILS5_8ELb0ES3_jPKhPS6_PKS6_NS0_5tupleIJPhS6_EEENSE_IJSB_SB_EEENS0_18inequality_wrapperIN6hipcub16HIPCUB_304000_NS8EqualityEEEPlJS6_EEE10hipError_tPvRmT3_T4_T5_T6_T7_T9_mT8_P12ihipStream_tbDpT10_ENKUlT_T0_E_clISt17integral_constantIbLb0EES17_EEDaS12_S13_EUlS12_E_NS1_11comp_targetILNS1_3genE3ELNS1_11target_archE908ELNS1_3gpuE7ELNS1_3repE0EEENS1_30default_config_static_selectorELNS0_4arch9wavefront6targetE1EEEvT1_,@function
_ZN7rocprim17ROCPRIM_400000_NS6detail17trampoline_kernelINS0_14default_configENS1_25partition_config_selectorILNS1_17partition_subalgoE8EhNS0_10empty_typeEbEEZZNS1_14partition_implILS5_8ELb0ES3_jPKhPS6_PKS6_NS0_5tupleIJPhS6_EEENSE_IJSB_SB_EEENS0_18inequality_wrapperIN6hipcub16HIPCUB_304000_NS8EqualityEEEPlJS6_EEE10hipError_tPvRmT3_T4_T5_T6_T7_T9_mT8_P12ihipStream_tbDpT10_ENKUlT_T0_E_clISt17integral_constantIbLb0EES17_EEDaS12_S13_EUlS12_E_NS1_11comp_targetILNS1_3genE3ELNS1_11target_archE908ELNS1_3gpuE7ELNS1_3repE0EEENS1_30default_config_static_selectorELNS0_4arch9wavefront6targetE1EEEvT1_: ; @_ZN7rocprim17ROCPRIM_400000_NS6detail17trampoline_kernelINS0_14default_configENS1_25partition_config_selectorILNS1_17partition_subalgoE8EhNS0_10empty_typeEbEEZZNS1_14partition_implILS5_8ELb0ES3_jPKhPS6_PKS6_NS0_5tupleIJPhS6_EEENSE_IJSB_SB_EEENS0_18inequality_wrapperIN6hipcub16HIPCUB_304000_NS8EqualityEEEPlJS6_EEE10hipError_tPvRmT3_T4_T5_T6_T7_T9_mT8_P12ihipStream_tbDpT10_ENKUlT_T0_E_clISt17integral_constantIbLb0EES17_EEDaS12_S13_EUlS12_E_NS1_11comp_targetILNS1_3genE3ELNS1_11target_archE908ELNS1_3gpuE7ELNS1_3repE0EEENS1_30default_config_static_selectorELNS0_4arch9wavefront6targetE1EEEvT1_
; %bb.0:
	.section	.rodata,"a",@progbits
	.p2align	6, 0x0
	.amdhsa_kernel _ZN7rocprim17ROCPRIM_400000_NS6detail17trampoline_kernelINS0_14default_configENS1_25partition_config_selectorILNS1_17partition_subalgoE8EhNS0_10empty_typeEbEEZZNS1_14partition_implILS5_8ELb0ES3_jPKhPS6_PKS6_NS0_5tupleIJPhS6_EEENSE_IJSB_SB_EEENS0_18inequality_wrapperIN6hipcub16HIPCUB_304000_NS8EqualityEEEPlJS6_EEE10hipError_tPvRmT3_T4_T5_T6_T7_T9_mT8_P12ihipStream_tbDpT10_ENKUlT_T0_E_clISt17integral_constantIbLb0EES17_EEDaS12_S13_EUlS12_E_NS1_11comp_targetILNS1_3genE3ELNS1_11target_archE908ELNS1_3gpuE7ELNS1_3repE0EEENS1_30default_config_static_selectorELNS0_4arch9wavefront6targetE1EEEvT1_
		.amdhsa_group_segment_fixed_size 0
		.amdhsa_private_segment_fixed_size 0
		.amdhsa_kernarg_size 112
		.amdhsa_user_sgpr_count 2
		.amdhsa_user_sgpr_dispatch_ptr 0
		.amdhsa_user_sgpr_queue_ptr 0
		.amdhsa_user_sgpr_kernarg_segment_ptr 1
		.amdhsa_user_sgpr_dispatch_id 0
		.amdhsa_user_sgpr_kernarg_preload_length 0
		.amdhsa_user_sgpr_kernarg_preload_offset 0
		.amdhsa_user_sgpr_private_segment_size 0
		.amdhsa_uses_dynamic_stack 0
		.amdhsa_enable_private_segment 0
		.amdhsa_system_sgpr_workgroup_id_x 1
		.amdhsa_system_sgpr_workgroup_id_y 0
		.amdhsa_system_sgpr_workgroup_id_z 0
		.amdhsa_system_sgpr_workgroup_info 0
		.amdhsa_system_vgpr_workitem_id 0
		.amdhsa_next_free_vgpr 1
		.amdhsa_next_free_sgpr 0
		.amdhsa_accum_offset 4
		.amdhsa_reserve_vcc 0
		.amdhsa_float_round_mode_32 0
		.amdhsa_float_round_mode_16_64 0
		.amdhsa_float_denorm_mode_32 3
		.amdhsa_float_denorm_mode_16_64 3
		.amdhsa_dx10_clamp 1
		.amdhsa_ieee_mode 1
		.amdhsa_fp16_overflow 0
		.amdhsa_tg_split 0
		.amdhsa_exception_fp_ieee_invalid_op 0
		.amdhsa_exception_fp_denorm_src 0
		.amdhsa_exception_fp_ieee_div_zero 0
		.amdhsa_exception_fp_ieee_overflow 0
		.amdhsa_exception_fp_ieee_underflow 0
		.amdhsa_exception_fp_ieee_inexact 0
		.amdhsa_exception_int_div_zero 0
	.end_amdhsa_kernel
	.section	.text._ZN7rocprim17ROCPRIM_400000_NS6detail17trampoline_kernelINS0_14default_configENS1_25partition_config_selectorILNS1_17partition_subalgoE8EhNS0_10empty_typeEbEEZZNS1_14partition_implILS5_8ELb0ES3_jPKhPS6_PKS6_NS0_5tupleIJPhS6_EEENSE_IJSB_SB_EEENS0_18inequality_wrapperIN6hipcub16HIPCUB_304000_NS8EqualityEEEPlJS6_EEE10hipError_tPvRmT3_T4_T5_T6_T7_T9_mT8_P12ihipStream_tbDpT10_ENKUlT_T0_E_clISt17integral_constantIbLb0EES17_EEDaS12_S13_EUlS12_E_NS1_11comp_targetILNS1_3genE3ELNS1_11target_archE908ELNS1_3gpuE7ELNS1_3repE0EEENS1_30default_config_static_selectorELNS0_4arch9wavefront6targetE1EEEvT1_,"axG",@progbits,_ZN7rocprim17ROCPRIM_400000_NS6detail17trampoline_kernelINS0_14default_configENS1_25partition_config_selectorILNS1_17partition_subalgoE8EhNS0_10empty_typeEbEEZZNS1_14partition_implILS5_8ELb0ES3_jPKhPS6_PKS6_NS0_5tupleIJPhS6_EEENSE_IJSB_SB_EEENS0_18inequality_wrapperIN6hipcub16HIPCUB_304000_NS8EqualityEEEPlJS6_EEE10hipError_tPvRmT3_T4_T5_T6_T7_T9_mT8_P12ihipStream_tbDpT10_ENKUlT_T0_E_clISt17integral_constantIbLb0EES17_EEDaS12_S13_EUlS12_E_NS1_11comp_targetILNS1_3genE3ELNS1_11target_archE908ELNS1_3gpuE7ELNS1_3repE0EEENS1_30default_config_static_selectorELNS0_4arch9wavefront6targetE1EEEvT1_,comdat
.Lfunc_end137:
	.size	_ZN7rocprim17ROCPRIM_400000_NS6detail17trampoline_kernelINS0_14default_configENS1_25partition_config_selectorILNS1_17partition_subalgoE8EhNS0_10empty_typeEbEEZZNS1_14partition_implILS5_8ELb0ES3_jPKhPS6_PKS6_NS0_5tupleIJPhS6_EEENSE_IJSB_SB_EEENS0_18inequality_wrapperIN6hipcub16HIPCUB_304000_NS8EqualityEEEPlJS6_EEE10hipError_tPvRmT3_T4_T5_T6_T7_T9_mT8_P12ihipStream_tbDpT10_ENKUlT_T0_E_clISt17integral_constantIbLb0EES17_EEDaS12_S13_EUlS12_E_NS1_11comp_targetILNS1_3genE3ELNS1_11target_archE908ELNS1_3gpuE7ELNS1_3repE0EEENS1_30default_config_static_selectorELNS0_4arch9wavefront6targetE1EEEvT1_, .Lfunc_end137-_ZN7rocprim17ROCPRIM_400000_NS6detail17trampoline_kernelINS0_14default_configENS1_25partition_config_selectorILNS1_17partition_subalgoE8EhNS0_10empty_typeEbEEZZNS1_14partition_implILS5_8ELb0ES3_jPKhPS6_PKS6_NS0_5tupleIJPhS6_EEENSE_IJSB_SB_EEENS0_18inequality_wrapperIN6hipcub16HIPCUB_304000_NS8EqualityEEEPlJS6_EEE10hipError_tPvRmT3_T4_T5_T6_T7_T9_mT8_P12ihipStream_tbDpT10_ENKUlT_T0_E_clISt17integral_constantIbLb0EES17_EEDaS12_S13_EUlS12_E_NS1_11comp_targetILNS1_3genE3ELNS1_11target_archE908ELNS1_3gpuE7ELNS1_3repE0EEENS1_30default_config_static_selectorELNS0_4arch9wavefront6targetE1EEEvT1_
                                        ; -- End function
	.section	.AMDGPU.csdata,"",@progbits
; Kernel info:
; codeLenInByte = 0
; NumSgprs: 6
; NumVgprs: 0
; NumAgprs: 0
; TotalNumVgprs: 0
; ScratchSize: 0
; MemoryBound: 0
; FloatMode: 240
; IeeeMode: 1
; LDSByteSize: 0 bytes/workgroup (compile time only)
; SGPRBlocks: 0
; VGPRBlocks: 0
; NumSGPRsForWavesPerEU: 6
; NumVGPRsForWavesPerEU: 1
; AccumOffset: 4
; Occupancy: 8
; WaveLimiterHint : 0
; COMPUTE_PGM_RSRC2:SCRATCH_EN: 0
; COMPUTE_PGM_RSRC2:USER_SGPR: 2
; COMPUTE_PGM_RSRC2:TRAP_HANDLER: 0
; COMPUTE_PGM_RSRC2:TGID_X_EN: 1
; COMPUTE_PGM_RSRC2:TGID_Y_EN: 0
; COMPUTE_PGM_RSRC2:TGID_Z_EN: 0
; COMPUTE_PGM_RSRC2:TIDIG_COMP_CNT: 0
; COMPUTE_PGM_RSRC3_GFX90A:ACCUM_OFFSET: 0
; COMPUTE_PGM_RSRC3_GFX90A:TG_SPLIT: 0
	.section	.text._ZN7rocprim17ROCPRIM_400000_NS6detail17trampoline_kernelINS0_14default_configENS1_25partition_config_selectorILNS1_17partition_subalgoE8EhNS0_10empty_typeEbEEZZNS1_14partition_implILS5_8ELb0ES3_jPKhPS6_PKS6_NS0_5tupleIJPhS6_EEENSE_IJSB_SB_EEENS0_18inequality_wrapperIN6hipcub16HIPCUB_304000_NS8EqualityEEEPlJS6_EEE10hipError_tPvRmT3_T4_T5_T6_T7_T9_mT8_P12ihipStream_tbDpT10_ENKUlT_T0_E_clISt17integral_constantIbLb0EES17_EEDaS12_S13_EUlS12_E_NS1_11comp_targetILNS1_3genE2ELNS1_11target_archE906ELNS1_3gpuE6ELNS1_3repE0EEENS1_30default_config_static_selectorELNS0_4arch9wavefront6targetE1EEEvT1_,"axG",@progbits,_ZN7rocprim17ROCPRIM_400000_NS6detail17trampoline_kernelINS0_14default_configENS1_25partition_config_selectorILNS1_17partition_subalgoE8EhNS0_10empty_typeEbEEZZNS1_14partition_implILS5_8ELb0ES3_jPKhPS6_PKS6_NS0_5tupleIJPhS6_EEENSE_IJSB_SB_EEENS0_18inequality_wrapperIN6hipcub16HIPCUB_304000_NS8EqualityEEEPlJS6_EEE10hipError_tPvRmT3_T4_T5_T6_T7_T9_mT8_P12ihipStream_tbDpT10_ENKUlT_T0_E_clISt17integral_constantIbLb0EES17_EEDaS12_S13_EUlS12_E_NS1_11comp_targetILNS1_3genE2ELNS1_11target_archE906ELNS1_3gpuE6ELNS1_3repE0EEENS1_30default_config_static_selectorELNS0_4arch9wavefront6targetE1EEEvT1_,comdat
	.protected	_ZN7rocprim17ROCPRIM_400000_NS6detail17trampoline_kernelINS0_14default_configENS1_25partition_config_selectorILNS1_17partition_subalgoE8EhNS0_10empty_typeEbEEZZNS1_14partition_implILS5_8ELb0ES3_jPKhPS6_PKS6_NS0_5tupleIJPhS6_EEENSE_IJSB_SB_EEENS0_18inequality_wrapperIN6hipcub16HIPCUB_304000_NS8EqualityEEEPlJS6_EEE10hipError_tPvRmT3_T4_T5_T6_T7_T9_mT8_P12ihipStream_tbDpT10_ENKUlT_T0_E_clISt17integral_constantIbLb0EES17_EEDaS12_S13_EUlS12_E_NS1_11comp_targetILNS1_3genE2ELNS1_11target_archE906ELNS1_3gpuE6ELNS1_3repE0EEENS1_30default_config_static_selectorELNS0_4arch9wavefront6targetE1EEEvT1_ ; -- Begin function _ZN7rocprim17ROCPRIM_400000_NS6detail17trampoline_kernelINS0_14default_configENS1_25partition_config_selectorILNS1_17partition_subalgoE8EhNS0_10empty_typeEbEEZZNS1_14partition_implILS5_8ELb0ES3_jPKhPS6_PKS6_NS0_5tupleIJPhS6_EEENSE_IJSB_SB_EEENS0_18inequality_wrapperIN6hipcub16HIPCUB_304000_NS8EqualityEEEPlJS6_EEE10hipError_tPvRmT3_T4_T5_T6_T7_T9_mT8_P12ihipStream_tbDpT10_ENKUlT_T0_E_clISt17integral_constantIbLb0EES17_EEDaS12_S13_EUlS12_E_NS1_11comp_targetILNS1_3genE2ELNS1_11target_archE906ELNS1_3gpuE6ELNS1_3repE0EEENS1_30default_config_static_selectorELNS0_4arch9wavefront6targetE1EEEvT1_
	.globl	_ZN7rocprim17ROCPRIM_400000_NS6detail17trampoline_kernelINS0_14default_configENS1_25partition_config_selectorILNS1_17partition_subalgoE8EhNS0_10empty_typeEbEEZZNS1_14partition_implILS5_8ELb0ES3_jPKhPS6_PKS6_NS0_5tupleIJPhS6_EEENSE_IJSB_SB_EEENS0_18inequality_wrapperIN6hipcub16HIPCUB_304000_NS8EqualityEEEPlJS6_EEE10hipError_tPvRmT3_T4_T5_T6_T7_T9_mT8_P12ihipStream_tbDpT10_ENKUlT_T0_E_clISt17integral_constantIbLb0EES17_EEDaS12_S13_EUlS12_E_NS1_11comp_targetILNS1_3genE2ELNS1_11target_archE906ELNS1_3gpuE6ELNS1_3repE0EEENS1_30default_config_static_selectorELNS0_4arch9wavefront6targetE1EEEvT1_
	.p2align	8
	.type	_ZN7rocprim17ROCPRIM_400000_NS6detail17trampoline_kernelINS0_14default_configENS1_25partition_config_selectorILNS1_17partition_subalgoE8EhNS0_10empty_typeEbEEZZNS1_14partition_implILS5_8ELb0ES3_jPKhPS6_PKS6_NS0_5tupleIJPhS6_EEENSE_IJSB_SB_EEENS0_18inequality_wrapperIN6hipcub16HIPCUB_304000_NS8EqualityEEEPlJS6_EEE10hipError_tPvRmT3_T4_T5_T6_T7_T9_mT8_P12ihipStream_tbDpT10_ENKUlT_T0_E_clISt17integral_constantIbLb0EES17_EEDaS12_S13_EUlS12_E_NS1_11comp_targetILNS1_3genE2ELNS1_11target_archE906ELNS1_3gpuE6ELNS1_3repE0EEENS1_30default_config_static_selectorELNS0_4arch9wavefront6targetE1EEEvT1_,@function
_ZN7rocprim17ROCPRIM_400000_NS6detail17trampoline_kernelINS0_14default_configENS1_25partition_config_selectorILNS1_17partition_subalgoE8EhNS0_10empty_typeEbEEZZNS1_14partition_implILS5_8ELb0ES3_jPKhPS6_PKS6_NS0_5tupleIJPhS6_EEENSE_IJSB_SB_EEENS0_18inequality_wrapperIN6hipcub16HIPCUB_304000_NS8EqualityEEEPlJS6_EEE10hipError_tPvRmT3_T4_T5_T6_T7_T9_mT8_P12ihipStream_tbDpT10_ENKUlT_T0_E_clISt17integral_constantIbLb0EES17_EEDaS12_S13_EUlS12_E_NS1_11comp_targetILNS1_3genE2ELNS1_11target_archE906ELNS1_3gpuE6ELNS1_3repE0EEENS1_30default_config_static_selectorELNS0_4arch9wavefront6targetE1EEEvT1_: ; @_ZN7rocprim17ROCPRIM_400000_NS6detail17trampoline_kernelINS0_14default_configENS1_25partition_config_selectorILNS1_17partition_subalgoE8EhNS0_10empty_typeEbEEZZNS1_14partition_implILS5_8ELb0ES3_jPKhPS6_PKS6_NS0_5tupleIJPhS6_EEENSE_IJSB_SB_EEENS0_18inequality_wrapperIN6hipcub16HIPCUB_304000_NS8EqualityEEEPlJS6_EEE10hipError_tPvRmT3_T4_T5_T6_T7_T9_mT8_P12ihipStream_tbDpT10_ENKUlT_T0_E_clISt17integral_constantIbLb0EES17_EEDaS12_S13_EUlS12_E_NS1_11comp_targetILNS1_3genE2ELNS1_11target_archE906ELNS1_3gpuE6ELNS1_3repE0EEENS1_30default_config_static_selectorELNS0_4arch9wavefront6targetE1EEEvT1_
; %bb.0:
	.section	.rodata,"a",@progbits
	.p2align	6, 0x0
	.amdhsa_kernel _ZN7rocprim17ROCPRIM_400000_NS6detail17trampoline_kernelINS0_14default_configENS1_25partition_config_selectorILNS1_17partition_subalgoE8EhNS0_10empty_typeEbEEZZNS1_14partition_implILS5_8ELb0ES3_jPKhPS6_PKS6_NS0_5tupleIJPhS6_EEENSE_IJSB_SB_EEENS0_18inequality_wrapperIN6hipcub16HIPCUB_304000_NS8EqualityEEEPlJS6_EEE10hipError_tPvRmT3_T4_T5_T6_T7_T9_mT8_P12ihipStream_tbDpT10_ENKUlT_T0_E_clISt17integral_constantIbLb0EES17_EEDaS12_S13_EUlS12_E_NS1_11comp_targetILNS1_3genE2ELNS1_11target_archE906ELNS1_3gpuE6ELNS1_3repE0EEENS1_30default_config_static_selectorELNS0_4arch9wavefront6targetE1EEEvT1_
		.amdhsa_group_segment_fixed_size 0
		.amdhsa_private_segment_fixed_size 0
		.amdhsa_kernarg_size 112
		.amdhsa_user_sgpr_count 2
		.amdhsa_user_sgpr_dispatch_ptr 0
		.amdhsa_user_sgpr_queue_ptr 0
		.amdhsa_user_sgpr_kernarg_segment_ptr 1
		.amdhsa_user_sgpr_dispatch_id 0
		.amdhsa_user_sgpr_kernarg_preload_length 0
		.amdhsa_user_sgpr_kernarg_preload_offset 0
		.amdhsa_user_sgpr_private_segment_size 0
		.amdhsa_uses_dynamic_stack 0
		.amdhsa_enable_private_segment 0
		.amdhsa_system_sgpr_workgroup_id_x 1
		.amdhsa_system_sgpr_workgroup_id_y 0
		.amdhsa_system_sgpr_workgroup_id_z 0
		.amdhsa_system_sgpr_workgroup_info 0
		.amdhsa_system_vgpr_workitem_id 0
		.amdhsa_next_free_vgpr 1
		.amdhsa_next_free_sgpr 0
		.amdhsa_accum_offset 4
		.amdhsa_reserve_vcc 0
		.amdhsa_float_round_mode_32 0
		.amdhsa_float_round_mode_16_64 0
		.amdhsa_float_denorm_mode_32 3
		.amdhsa_float_denorm_mode_16_64 3
		.amdhsa_dx10_clamp 1
		.amdhsa_ieee_mode 1
		.amdhsa_fp16_overflow 0
		.amdhsa_tg_split 0
		.amdhsa_exception_fp_ieee_invalid_op 0
		.amdhsa_exception_fp_denorm_src 0
		.amdhsa_exception_fp_ieee_div_zero 0
		.amdhsa_exception_fp_ieee_overflow 0
		.amdhsa_exception_fp_ieee_underflow 0
		.amdhsa_exception_fp_ieee_inexact 0
		.amdhsa_exception_int_div_zero 0
	.end_amdhsa_kernel
	.section	.text._ZN7rocprim17ROCPRIM_400000_NS6detail17trampoline_kernelINS0_14default_configENS1_25partition_config_selectorILNS1_17partition_subalgoE8EhNS0_10empty_typeEbEEZZNS1_14partition_implILS5_8ELb0ES3_jPKhPS6_PKS6_NS0_5tupleIJPhS6_EEENSE_IJSB_SB_EEENS0_18inequality_wrapperIN6hipcub16HIPCUB_304000_NS8EqualityEEEPlJS6_EEE10hipError_tPvRmT3_T4_T5_T6_T7_T9_mT8_P12ihipStream_tbDpT10_ENKUlT_T0_E_clISt17integral_constantIbLb0EES17_EEDaS12_S13_EUlS12_E_NS1_11comp_targetILNS1_3genE2ELNS1_11target_archE906ELNS1_3gpuE6ELNS1_3repE0EEENS1_30default_config_static_selectorELNS0_4arch9wavefront6targetE1EEEvT1_,"axG",@progbits,_ZN7rocprim17ROCPRIM_400000_NS6detail17trampoline_kernelINS0_14default_configENS1_25partition_config_selectorILNS1_17partition_subalgoE8EhNS0_10empty_typeEbEEZZNS1_14partition_implILS5_8ELb0ES3_jPKhPS6_PKS6_NS0_5tupleIJPhS6_EEENSE_IJSB_SB_EEENS0_18inequality_wrapperIN6hipcub16HIPCUB_304000_NS8EqualityEEEPlJS6_EEE10hipError_tPvRmT3_T4_T5_T6_T7_T9_mT8_P12ihipStream_tbDpT10_ENKUlT_T0_E_clISt17integral_constantIbLb0EES17_EEDaS12_S13_EUlS12_E_NS1_11comp_targetILNS1_3genE2ELNS1_11target_archE906ELNS1_3gpuE6ELNS1_3repE0EEENS1_30default_config_static_selectorELNS0_4arch9wavefront6targetE1EEEvT1_,comdat
.Lfunc_end138:
	.size	_ZN7rocprim17ROCPRIM_400000_NS6detail17trampoline_kernelINS0_14default_configENS1_25partition_config_selectorILNS1_17partition_subalgoE8EhNS0_10empty_typeEbEEZZNS1_14partition_implILS5_8ELb0ES3_jPKhPS6_PKS6_NS0_5tupleIJPhS6_EEENSE_IJSB_SB_EEENS0_18inequality_wrapperIN6hipcub16HIPCUB_304000_NS8EqualityEEEPlJS6_EEE10hipError_tPvRmT3_T4_T5_T6_T7_T9_mT8_P12ihipStream_tbDpT10_ENKUlT_T0_E_clISt17integral_constantIbLb0EES17_EEDaS12_S13_EUlS12_E_NS1_11comp_targetILNS1_3genE2ELNS1_11target_archE906ELNS1_3gpuE6ELNS1_3repE0EEENS1_30default_config_static_selectorELNS0_4arch9wavefront6targetE1EEEvT1_, .Lfunc_end138-_ZN7rocprim17ROCPRIM_400000_NS6detail17trampoline_kernelINS0_14default_configENS1_25partition_config_selectorILNS1_17partition_subalgoE8EhNS0_10empty_typeEbEEZZNS1_14partition_implILS5_8ELb0ES3_jPKhPS6_PKS6_NS0_5tupleIJPhS6_EEENSE_IJSB_SB_EEENS0_18inequality_wrapperIN6hipcub16HIPCUB_304000_NS8EqualityEEEPlJS6_EEE10hipError_tPvRmT3_T4_T5_T6_T7_T9_mT8_P12ihipStream_tbDpT10_ENKUlT_T0_E_clISt17integral_constantIbLb0EES17_EEDaS12_S13_EUlS12_E_NS1_11comp_targetILNS1_3genE2ELNS1_11target_archE906ELNS1_3gpuE6ELNS1_3repE0EEENS1_30default_config_static_selectorELNS0_4arch9wavefront6targetE1EEEvT1_
                                        ; -- End function
	.section	.AMDGPU.csdata,"",@progbits
; Kernel info:
; codeLenInByte = 0
; NumSgprs: 6
; NumVgprs: 0
; NumAgprs: 0
; TotalNumVgprs: 0
; ScratchSize: 0
; MemoryBound: 0
; FloatMode: 240
; IeeeMode: 1
; LDSByteSize: 0 bytes/workgroup (compile time only)
; SGPRBlocks: 0
; VGPRBlocks: 0
; NumSGPRsForWavesPerEU: 6
; NumVGPRsForWavesPerEU: 1
; AccumOffset: 4
; Occupancy: 8
; WaveLimiterHint : 0
; COMPUTE_PGM_RSRC2:SCRATCH_EN: 0
; COMPUTE_PGM_RSRC2:USER_SGPR: 2
; COMPUTE_PGM_RSRC2:TRAP_HANDLER: 0
; COMPUTE_PGM_RSRC2:TGID_X_EN: 1
; COMPUTE_PGM_RSRC2:TGID_Y_EN: 0
; COMPUTE_PGM_RSRC2:TGID_Z_EN: 0
; COMPUTE_PGM_RSRC2:TIDIG_COMP_CNT: 0
; COMPUTE_PGM_RSRC3_GFX90A:ACCUM_OFFSET: 0
; COMPUTE_PGM_RSRC3_GFX90A:TG_SPLIT: 0
	.section	.text._ZN7rocprim17ROCPRIM_400000_NS6detail17trampoline_kernelINS0_14default_configENS1_25partition_config_selectorILNS1_17partition_subalgoE8EhNS0_10empty_typeEbEEZZNS1_14partition_implILS5_8ELb0ES3_jPKhPS6_PKS6_NS0_5tupleIJPhS6_EEENSE_IJSB_SB_EEENS0_18inequality_wrapperIN6hipcub16HIPCUB_304000_NS8EqualityEEEPlJS6_EEE10hipError_tPvRmT3_T4_T5_T6_T7_T9_mT8_P12ihipStream_tbDpT10_ENKUlT_T0_E_clISt17integral_constantIbLb0EES17_EEDaS12_S13_EUlS12_E_NS1_11comp_targetILNS1_3genE10ELNS1_11target_archE1200ELNS1_3gpuE4ELNS1_3repE0EEENS1_30default_config_static_selectorELNS0_4arch9wavefront6targetE1EEEvT1_,"axG",@progbits,_ZN7rocprim17ROCPRIM_400000_NS6detail17trampoline_kernelINS0_14default_configENS1_25partition_config_selectorILNS1_17partition_subalgoE8EhNS0_10empty_typeEbEEZZNS1_14partition_implILS5_8ELb0ES3_jPKhPS6_PKS6_NS0_5tupleIJPhS6_EEENSE_IJSB_SB_EEENS0_18inequality_wrapperIN6hipcub16HIPCUB_304000_NS8EqualityEEEPlJS6_EEE10hipError_tPvRmT3_T4_T5_T6_T7_T9_mT8_P12ihipStream_tbDpT10_ENKUlT_T0_E_clISt17integral_constantIbLb0EES17_EEDaS12_S13_EUlS12_E_NS1_11comp_targetILNS1_3genE10ELNS1_11target_archE1200ELNS1_3gpuE4ELNS1_3repE0EEENS1_30default_config_static_selectorELNS0_4arch9wavefront6targetE1EEEvT1_,comdat
	.protected	_ZN7rocprim17ROCPRIM_400000_NS6detail17trampoline_kernelINS0_14default_configENS1_25partition_config_selectorILNS1_17partition_subalgoE8EhNS0_10empty_typeEbEEZZNS1_14partition_implILS5_8ELb0ES3_jPKhPS6_PKS6_NS0_5tupleIJPhS6_EEENSE_IJSB_SB_EEENS0_18inequality_wrapperIN6hipcub16HIPCUB_304000_NS8EqualityEEEPlJS6_EEE10hipError_tPvRmT3_T4_T5_T6_T7_T9_mT8_P12ihipStream_tbDpT10_ENKUlT_T0_E_clISt17integral_constantIbLb0EES17_EEDaS12_S13_EUlS12_E_NS1_11comp_targetILNS1_3genE10ELNS1_11target_archE1200ELNS1_3gpuE4ELNS1_3repE0EEENS1_30default_config_static_selectorELNS0_4arch9wavefront6targetE1EEEvT1_ ; -- Begin function _ZN7rocprim17ROCPRIM_400000_NS6detail17trampoline_kernelINS0_14default_configENS1_25partition_config_selectorILNS1_17partition_subalgoE8EhNS0_10empty_typeEbEEZZNS1_14partition_implILS5_8ELb0ES3_jPKhPS6_PKS6_NS0_5tupleIJPhS6_EEENSE_IJSB_SB_EEENS0_18inequality_wrapperIN6hipcub16HIPCUB_304000_NS8EqualityEEEPlJS6_EEE10hipError_tPvRmT3_T4_T5_T6_T7_T9_mT8_P12ihipStream_tbDpT10_ENKUlT_T0_E_clISt17integral_constantIbLb0EES17_EEDaS12_S13_EUlS12_E_NS1_11comp_targetILNS1_3genE10ELNS1_11target_archE1200ELNS1_3gpuE4ELNS1_3repE0EEENS1_30default_config_static_selectorELNS0_4arch9wavefront6targetE1EEEvT1_
	.globl	_ZN7rocprim17ROCPRIM_400000_NS6detail17trampoline_kernelINS0_14default_configENS1_25partition_config_selectorILNS1_17partition_subalgoE8EhNS0_10empty_typeEbEEZZNS1_14partition_implILS5_8ELb0ES3_jPKhPS6_PKS6_NS0_5tupleIJPhS6_EEENSE_IJSB_SB_EEENS0_18inequality_wrapperIN6hipcub16HIPCUB_304000_NS8EqualityEEEPlJS6_EEE10hipError_tPvRmT3_T4_T5_T6_T7_T9_mT8_P12ihipStream_tbDpT10_ENKUlT_T0_E_clISt17integral_constantIbLb0EES17_EEDaS12_S13_EUlS12_E_NS1_11comp_targetILNS1_3genE10ELNS1_11target_archE1200ELNS1_3gpuE4ELNS1_3repE0EEENS1_30default_config_static_selectorELNS0_4arch9wavefront6targetE1EEEvT1_
	.p2align	8
	.type	_ZN7rocprim17ROCPRIM_400000_NS6detail17trampoline_kernelINS0_14default_configENS1_25partition_config_selectorILNS1_17partition_subalgoE8EhNS0_10empty_typeEbEEZZNS1_14partition_implILS5_8ELb0ES3_jPKhPS6_PKS6_NS0_5tupleIJPhS6_EEENSE_IJSB_SB_EEENS0_18inequality_wrapperIN6hipcub16HIPCUB_304000_NS8EqualityEEEPlJS6_EEE10hipError_tPvRmT3_T4_T5_T6_T7_T9_mT8_P12ihipStream_tbDpT10_ENKUlT_T0_E_clISt17integral_constantIbLb0EES17_EEDaS12_S13_EUlS12_E_NS1_11comp_targetILNS1_3genE10ELNS1_11target_archE1200ELNS1_3gpuE4ELNS1_3repE0EEENS1_30default_config_static_selectorELNS0_4arch9wavefront6targetE1EEEvT1_,@function
_ZN7rocprim17ROCPRIM_400000_NS6detail17trampoline_kernelINS0_14default_configENS1_25partition_config_selectorILNS1_17partition_subalgoE8EhNS0_10empty_typeEbEEZZNS1_14partition_implILS5_8ELb0ES3_jPKhPS6_PKS6_NS0_5tupleIJPhS6_EEENSE_IJSB_SB_EEENS0_18inequality_wrapperIN6hipcub16HIPCUB_304000_NS8EqualityEEEPlJS6_EEE10hipError_tPvRmT3_T4_T5_T6_T7_T9_mT8_P12ihipStream_tbDpT10_ENKUlT_T0_E_clISt17integral_constantIbLb0EES17_EEDaS12_S13_EUlS12_E_NS1_11comp_targetILNS1_3genE10ELNS1_11target_archE1200ELNS1_3gpuE4ELNS1_3repE0EEENS1_30default_config_static_selectorELNS0_4arch9wavefront6targetE1EEEvT1_: ; @_ZN7rocprim17ROCPRIM_400000_NS6detail17trampoline_kernelINS0_14default_configENS1_25partition_config_selectorILNS1_17partition_subalgoE8EhNS0_10empty_typeEbEEZZNS1_14partition_implILS5_8ELb0ES3_jPKhPS6_PKS6_NS0_5tupleIJPhS6_EEENSE_IJSB_SB_EEENS0_18inequality_wrapperIN6hipcub16HIPCUB_304000_NS8EqualityEEEPlJS6_EEE10hipError_tPvRmT3_T4_T5_T6_T7_T9_mT8_P12ihipStream_tbDpT10_ENKUlT_T0_E_clISt17integral_constantIbLb0EES17_EEDaS12_S13_EUlS12_E_NS1_11comp_targetILNS1_3genE10ELNS1_11target_archE1200ELNS1_3gpuE4ELNS1_3repE0EEENS1_30default_config_static_selectorELNS0_4arch9wavefront6targetE1EEEvT1_
; %bb.0:
	.section	.rodata,"a",@progbits
	.p2align	6, 0x0
	.amdhsa_kernel _ZN7rocprim17ROCPRIM_400000_NS6detail17trampoline_kernelINS0_14default_configENS1_25partition_config_selectorILNS1_17partition_subalgoE8EhNS0_10empty_typeEbEEZZNS1_14partition_implILS5_8ELb0ES3_jPKhPS6_PKS6_NS0_5tupleIJPhS6_EEENSE_IJSB_SB_EEENS0_18inequality_wrapperIN6hipcub16HIPCUB_304000_NS8EqualityEEEPlJS6_EEE10hipError_tPvRmT3_T4_T5_T6_T7_T9_mT8_P12ihipStream_tbDpT10_ENKUlT_T0_E_clISt17integral_constantIbLb0EES17_EEDaS12_S13_EUlS12_E_NS1_11comp_targetILNS1_3genE10ELNS1_11target_archE1200ELNS1_3gpuE4ELNS1_3repE0EEENS1_30default_config_static_selectorELNS0_4arch9wavefront6targetE1EEEvT1_
		.amdhsa_group_segment_fixed_size 0
		.amdhsa_private_segment_fixed_size 0
		.amdhsa_kernarg_size 112
		.amdhsa_user_sgpr_count 2
		.amdhsa_user_sgpr_dispatch_ptr 0
		.amdhsa_user_sgpr_queue_ptr 0
		.amdhsa_user_sgpr_kernarg_segment_ptr 1
		.amdhsa_user_sgpr_dispatch_id 0
		.amdhsa_user_sgpr_kernarg_preload_length 0
		.amdhsa_user_sgpr_kernarg_preload_offset 0
		.amdhsa_user_sgpr_private_segment_size 0
		.amdhsa_uses_dynamic_stack 0
		.amdhsa_enable_private_segment 0
		.amdhsa_system_sgpr_workgroup_id_x 1
		.amdhsa_system_sgpr_workgroup_id_y 0
		.amdhsa_system_sgpr_workgroup_id_z 0
		.amdhsa_system_sgpr_workgroup_info 0
		.amdhsa_system_vgpr_workitem_id 0
		.amdhsa_next_free_vgpr 1
		.amdhsa_next_free_sgpr 0
		.amdhsa_accum_offset 4
		.amdhsa_reserve_vcc 0
		.amdhsa_float_round_mode_32 0
		.amdhsa_float_round_mode_16_64 0
		.amdhsa_float_denorm_mode_32 3
		.amdhsa_float_denorm_mode_16_64 3
		.amdhsa_dx10_clamp 1
		.amdhsa_ieee_mode 1
		.amdhsa_fp16_overflow 0
		.amdhsa_tg_split 0
		.amdhsa_exception_fp_ieee_invalid_op 0
		.amdhsa_exception_fp_denorm_src 0
		.amdhsa_exception_fp_ieee_div_zero 0
		.amdhsa_exception_fp_ieee_overflow 0
		.amdhsa_exception_fp_ieee_underflow 0
		.amdhsa_exception_fp_ieee_inexact 0
		.amdhsa_exception_int_div_zero 0
	.end_amdhsa_kernel
	.section	.text._ZN7rocprim17ROCPRIM_400000_NS6detail17trampoline_kernelINS0_14default_configENS1_25partition_config_selectorILNS1_17partition_subalgoE8EhNS0_10empty_typeEbEEZZNS1_14partition_implILS5_8ELb0ES3_jPKhPS6_PKS6_NS0_5tupleIJPhS6_EEENSE_IJSB_SB_EEENS0_18inequality_wrapperIN6hipcub16HIPCUB_304000_NS8EqualityEEEPlJS6_EEE10hipError_tPvRmT3_T4_T5_T6_T7_T9_mT8_P12ihipStream_tbDpT10_ENKUlT_T0_E_clISt17integral_constantIbLb0EES17_EEDaS12_S13_EUlS12_E_NS1_11comp_targetILNS1_3genE10ELNS1_11target_archE1200ELNS1_3gpuE4ELNS1_3repE0EEENS1_30default_config_static_selectorELNS0_4arch9wavefront6targetE1EEEvT1_,"axG",@progbits,_ZN7rocprim17ROCPRIM_400000_NS6detail17trampoline_kernelINS0_14default_configENS1_25partition_config_selectorILNS1_17partition_subalgoE8EhNS0_10empty_typeEbEEZZNS1_14partition_implILS5_8ELb0ES3_jPKhPS6_PKS6_NS0_5tupleIJPhS6_EEENSE_IJSB_SB_EEENS0_18inequality_wrapperIN6hipcub16HIPCUB_304000_NS8EqualityEEEPlJS6_EEE10hipError_tPvRmT3_T4_T5_T6_T7_T9_mT8_P12ihipStream_tbDpT10_ENKUlT_T0_E_clISt17integral_constantIbLb0EES17_EEDaS12_S13_EUlS12_E_NS1_11comp_targetILNS1_3genE10ELNS1_11target_archE1200ELNS1_3gpuE4ELNS1_3repE0EEENS1_30default_config_static_selectorELNS0_4arch9wavefront6targetE1EEEvT1_,comdat
.Lfunc_end139:
	.size	_ZN7rocprim17ROCPRIM_400000_NS6detail17trampoline_kernelINS0_14default_configENS1_25partition_config_selectorILNS1_17partition_subalgoE8EhNS0_10empty_typeEbEEZZNS1_14partition_implILS5_8ELb0ES3_jPKhPS6_PKS6_NS0_5tupleIJPhS6_EEENSE_IJSB_SB_EEENS0_18inequality_wrapperIN6hipcub16HIPCUB_304000_NS8EqualityEEEPlJS6_EEE10hipError_tPvRmT3_T4_T5_T6_T7_T9_mT8_P12ihipStream_tbDpT10_ENKUlT_T0_E_clISt17integral_constantIbLb0EES17_EEDaS12_S13_EUlS12_E_NS1_11comp_targetILNS1_3genE10ELNS1_11target_archE1200ELNS1_3gpuE4ELNS1_3repE0EEENS1_30default_config_static_selectorELNS0_4arch9wavefront6targetE1EEEvT1_, .Lfunc_end139-_ZN7rocprim17ROCPRIM_400000_NS6detail17trampoline_kernelINS0_14default_configENS1_25partition_config_selectorILNS1_17partition_subalgoE8EhNS0_10empty_typeEbEEZZNS1_14partition_implILS5_8ELb0ES3_jPKhPS6_PKS6_NS0_5tupleIJPhS6_EEENSE_IJSB_SB_EEENS0_18inequality_wrapperIN6hipcub16HIPCUB_304000_NS8EqualityEEEPlJS6_EEE10hipError_tPvRmT3_T4_T5_T6_T7_T9_mT8_P12ihipStream_tbDpT10_ENKUlT_T0_E_clISt17integral_constantIbLb0EES17_EEDaS12_S13_EUlS12_E_NS1_11comp_targetILNS1_3genE10ELNS1_11target_archE1200ELNS1_3gpuE4ELNS1_3repE0EEENS1_30default_config_static_selectorELNS0_4arch9wavefront6targetE1EEEvT1_
                                        ; -- End function
	.section	.AMDGPU.csdata,"",@progbits
; Kernel info:
; codeLenInByte = 0
; NumSgprs: 6
; NumVgprs: 0
; NumAgprs: 0
; TotalNumVgprs: 0
; ScratchSize: 0
; MemoryBound: 0
; FloatMode: 240
; IeeeMode: 1
; LDSByteSize: 0 bytes/workgroup (compile time only)
; SGPRBlocks: 0
; VGPRBlocks: 0
; NumSGPRsForWavesPerEU: 6
; NumVGPRsForWavesPerEU: 1
; AccumOffset: 4
; Occupancy: 8
; WaveLimiterHint : 0
; COMPUTE_PGM_RSRC2:SCRATCH_EN: 0
; COMPUTE_PGM_RSRC2:USER_SGPR: 2
; COMPUTE_PGM_RSRC2:TRAP_HANDLER: 0
; COMPUTE_PGM_RSRC2:TGID_X_EN: 1
; COMPUTE_PGM_RSRC2:TGID_Y_EN: 0
; COMPUTE_PGM_RSRC2:TGID_Z_EN: 0
; COMPUTE_PGM_RSRC2:TIDIG_COMP_CNT: 0
; COMPUTE_PGM_RSRC3_GFX90A:ACCUM_OFFSET: 0
; COMPUTE_PGM_RSRC3_GFX90A:TG_SPLIT: 0
	.section	.text._ZN7rocprim17ROCPRIM_400000_NS6detail17trampoline_kernelINS0_14default_configENS1_25partition_config_selectorILNS1_17partition_subalgoE8EhNS0_10empty_typeEbEEZZNS1_14partition_implILS5_8ELb0ES3_jPKhPS6_PKS6_NS0_5tupleIJPhS6_EEENSE_IJSB_SB_EEENS0_18inequality_wrapperIN6hipcub16HIPCUB_304000_NS8EqualityEEEPlJS6_EEE10hipError_tPvRmT3_T4_T5_T6_T7_T9_mT8_P12ihipStream_tbDpT10_ENKUlT_T0_E_clISt17integral_constantIbLb0EES17_EEDaS12_S13_EUlS12_E_NS1_11comp_targetILNS1_3genE9ELNS1_11target_archE1100ELNS1_3gpuE3ELNS1_3repE0EEENS1_30default_config_static_selectorELNS0_4arch9wavefront6targetE1EEEvT1_,"axG",@progbits,_ZN7rocprim17ROCPRIM_400000_NS6detail17trampoline_kernelINS0_14default_configENS1_25partition_config_selectorILNS1_17partition_subalgoE8EhNS0_10empty_typeEbEEZZNS1_14partition_implILS5_8ELb0ES3_jPKhPS6_PKS6_NS0_5tupleIJPhS6_EEENSE_IJSB_SB_EEENS0_18inequality_wrapperIN6hipcub16HIPCUB_304000_NS8EqualityEEEPlJS6_EEE10hipError_tPvRmT3_T4_T5_T6_T7_T9_mT8_P12ihipStream_tbDpT10_ENKUlT_T0_E_clISt17integral_constantIbLb0EES17_EEDaS12_S13_EUlS12_E_NS1_11comp_targetILNS1_3genE9ELNS1_11target_archE1100ELNS1_3gpuE3ELNS1_3repE0EEENS1_30default_config_static_selectorELNS0_4arch9wavefront6targetE1EEEvT1_,comdat
	.protected	_ZN7rocprim17ROCPRIM_400000_NS6detail17trampoline_kernelINS0_14default_configENS1_25partition_config_selectorILNS1_17partition_subalgoE8EhNS0_10empty_typeEbEEZZNS1_14partition_implILS5_8ELb0ES3_jPKhPS6_PKS6_NS0_5tupleIJPhS6_EEENSE_IJSB_SB_EEENS0_18inequality_wrapperIN6hipcub16HIPCUB_304000_NS8EqualityEEEPlJS6_EEE10hipError_tPvRmT3_T4_T5_T6_T7_T9_mT8_P12ihipStream_tbDpT10_ENKUlT_T0_E_clISt17integral_constantIbLb0EES17_EEDaS12_S13_EUlS12_E_NS1_11comp_targetILNS1_3genE9ELNS1_11target_archE1100ELNS1_3gpuE3ELNS1_3repE0EEENS1_30default_config_static_selectorELNS0_4arch9wavefront6targetE1EEEvT1_ ; -- Begin function _ZN7rocprim17ROCPRIM_400000_NS6detail17trampoline_kernelINS0_14default_configENS1_25partition_config_selectorILNS1_17partition_subalgoE8EhNS0_10empty_typeEbEEZZNS1_14partition_implILS5_8ELb0ES3_jPKhPS6_PKS6_NS0_5tupleIJPhS6_EEENSE_IJSB_SB_EEENS0_18inequality_wrapperIN6hipcub16HIPCUB_304000_NS8EqualityEEEPlJS6_EEE10hipError_tPvRmT3_T4_T5_T6_T7_T9_mT8_P12ihipStream_tbDpT10_ENKUlT_T0_E_clISt17integral_constantIbLb0EES17_EEDaS12_S13_EUlS12_E_NS1_11comp_targetILNS1_3genE9ELNS1_11target_archE1100ELNS1_3gpuE3ELNS1_3repE0EEENS1_30default_config_static_selectorELNS0_4arch9wavefront6targetE1EEEvT1_
	.globl	_ZN7rocprim17ROCPRIM_400000_NS6detail17trampoline_kernelINS0_14default_configENS1_25partition_config_selectorILNS1_17partition_subalgoE8EhNS0_10empty_typeEbEEZZNS1_14partition_implILS5_8ELb0ES3_jPKhPS6_PKS6_NS0_5tupleIJPhS6_EEENSE_IJSB_SB_EEENS0_18inequality_wrapperIN6hipcub16HIPCUB_304000_NS8EqualityEEEPlJS6_EEE10hipError_tPvRmT3_T4_T5_T6_T7_T9_mT8_P12ihipStream_tbDpT10_ENKUlT_T0_E_clISt17integral_constantIbLb0EES17_EEDaS12_S13_EUlS12_E_NS1_11comp_targetILNS1_3genE9ELNS1_11target_archE1100ELNS1_3gpuE3ELNS1_3repE0EEENS1_30default_config_static_selectorELNS0_4arch9wavefront6targetE1EEEvT1_
	.p2align	8
	.type	_ZN7rocprim17ROCPRIM_400000_NS6detail17trampoline_kernelINS0_14default_configENS1_25partition_config_selectorILNS1_17partition_subalgoE8EhNS0_10empty_typeEbEEZZNS1_14partition_implILS5_8ELb0ES3_jPKhPS6_PKS6_NS0_5tupleIJPhS6_EEENSE_IJSB_SB_EEENS0_18inequality_wrapperIN6hipcub16HIPCUB_304000_NS8EqualityEEEPlJS6_EEE10hipError_tPvRmT3_T4_T5_T6_T7_T9_mT8_P12ihipStream_tbDpT10_ENKUlT_T0_E_clISt17integral_constantIbLb0EES17_EEDaS12_S13_EUlS12_E_NS1_11comp_targetILNS1_3genE9ELNS1_11target_archE1100ELNS1_3gpuE3ELNS1_3repE0EEENS1_30default_config_static_selectorELNS0_4arch9wavefront6targetE1EEEvT1_,@function
_ZN7rocprim17ROCPRIM_400000_NS6detail17trampoline_kernelINS0_14default_configENS1_25partition_config_selectorILNS1_17partition_subalgoE8EhNS0_10empty_typeEbEEZZNS1_14partition_implILS5_8ELb0ES3_jPKhPS6_PKS6_NS0_5tupleIJPhS6_EEENSE_IJSB_SB_EEENS0_18inequality_wrapperIN6hipcub16HIPCUB_304000_NS8EqualityEEEPlJS6_EEE10hipError_tPvRmT3_T4_T5_T6_T7_T9_mT8_P12ihipStream_tbDpT10_ENKUlT_T0_E_clISt17integral_constantIbLb0EES17_EEDaS12_S13_EUlS12_E_NS1_11comp_targetILNS1_3genE9ELNS1_11target_archE1100ELNS1_3gpuE3ELNS1_3repE0EEENS1_30default_config_static_selectorELNS0_4arch9wavefront6targetE1EEEvT1_: ; @_ZN7rocprim17ROCPRIM_400000_NS6detail17trampoline_kernelINS0_14default_configENS1_25partition_config_selectorILNS1_17partition_subalgoE8EhNS0_10empty_typeEbEEZZNS1_14partition_implILS5_8ELb0ES3_jPKhPS6_PKS6_NS0_5tupleIJPhS6_EEENSE_IJSB_SB_EEENS0_18inequality_wrapperIN6hipcub16HIPCUB_304000_NS8EqualityEEEPlJS6_EEE10hipError_tPvRmT3_T4_T5_T6_T7_T9_mT8_P12ihipStream_tbDpT10_ENKUlT_T0_E_clISt17integral_constantIbLb0EES17_EEDaS12_S13_EUlS12_E_NS1_11comp_targetILNS1_3genE9ELNS1_11target_archE1100ELNS1_3gpuE3ELNS1_3repE0EEENS1_30default_config_static_selectorELNS0_4arch9wavefront6targetE1EEEvT1_
; %bb.0:
	.section	.rodata,"a",@progbits
	.p2align	6, 0x0
	.amdhsa_kernel _ZN7rocprim17ROCPRIM_400000_NS6detail17trampoline_kernelINS0_14default_configENS1_25partition_config_selectorILNS1_17partition_subalgoE8EhNS0_10empty_typeEbEEZZNS1_14partition_implILS5_8ELb0ES3_jPKhPS6_PKS6_NS0_5tupleIJPhS6_EEENSE_IJSB_SB_EEENS0_18inequality_wrapperIN6hipcub16HIPCUB_304000_NS8EqualityEEEPlJS6_EEE10hipError_tPvRmT3_T4_T5_T6_T7_T9_mT8_P12ihipStream_tbDpT10_ENKUlT_T0_E_clISt17integral_constantIbLb0EES17_EEDaS12_S13_EUlS12_E_NS1_11comp_targetILNS1_3genE9ELNS1_11target_archE1100ELNS1_3gpuE3ELNS1_3repE0EEENS1_30default_config_static_selectorELNS0_4arch9wavefront6targetE1EEEvT1_
		.amdhsa_group_segment_fixed_size 0
		.amdhsa_private_segment_fixed_size 0
		.amdhsa_kernarg_size 112
		.amdhsa_user_sgpr_count 2
		.amdhsa_user_sgpr_dispatch_ptr 0
		.amdhsa_user_sgpr_queue_ptr 0
		.amdhsa_user_sgpr_kernarg_segment_ptr 1
		.amdhsa_user_sgpr_dispatch_id 0
		.amdhsa_user_sgpr_kernarg_preload_length 0
		.amdhsa_user_sgpr_kernarg_preload_offset 0
		.amdhsa_user_sgpr_private_segment_size 0
		.amdhsa_uses_dynamic_stack 0
		.amdhsa_enable_private_segment 0
		.amdhsa_system_sgpr_workgroup_id_x 1
		.amdhsa_system_sgpr_workgroup_id_y 0
		.amdhsa_system_sgpr_workgroup_id_z 0
		.amdhsa_system_sgpr_workgroup_info 0
		.amdhsa_system_vgpr_workitem_id 0
		.amdhsa_next_free_vgpr 1
		.amdhsa_next_free_sgpr 0
		.amdhsa_accum_offset 4
		.amdhsa_reserve_vcc 0
		.amdhsa_float_round_mode_32 0
		.amdhsa_float_round_mode_16_64 0
		.amdhsa_float_denorm_mode_32 3
		.amdhsa_float_denorm_mode_16_64 3
		.amdhsa_dx10_clamp 1
		.amdhsa_ieee_mode 1
		.amdhsa_fp16_overflow 0
		.amdhsa_tg_split 0
		.amdhsa_exception_fp_ieee_invalid_op 0
		.amdhsa_exception_fp_denorm_src 0
		.amdhsa_exception_fp_ieee_div_zero 0
		.amdhsa_exception_fp_ieee_overflow 0
		.amdhsa_exception_fp_ieee_underflow 0
		.amdhsa_exception_fp_ieee_inexact 0
		.amdhsa_exception_int_div_zero 0
	.end_amdhsa_kernel
	.section	.text._ZN7rocprim17ROCPRIM_400000_NS6detail17trampoline_kernelINS0_14default_configENS1_25partition_config_selectorILNS1_17partition_subalgoE8EhNS0_10empty_typeEbEEZZNS1_14partition_implILS5_8ELb0ES3_jPKhPS6_PKS6_NS0_5tupleIJPhS6_EEENSE_IJSB_SB_EEENS0_18inequality_wrapperIN6hipcub16HIPCUB_304000_NS8EqualityEEEPlJS6_EEE10hipError_tPvRmT3_T4_T5_T6_T7_T9_mT8_P12ihipStream_tbDpT10_ENKUlT_T0_E_clISt17integral_constantIbLb0EES17_EEDaS12_S13_EUlS12_E_NS1_11comp_targetILNS1_3genE9ELNS1_11target_archE1100ELNS1_3gpuE3ELNS1_3repE0EEENS1_30default_config_static_selectorELNS0_4arch9wavefront6targetE1EEEvT1_,"axG",@progbits,_ZN7rocprim17ROCPRIM_400000_NS6detail17trampoline_kernelINS0_14default_configENS1_25partition_config_selectorILNS1_17partition_subalgoE8EhNS0_10empty_typeEbEEZZNS1_14partition_implILS5_8ELb0ES3_jPKhPS6_PKS6_NS0_5tupleIJPhS6_EEENSE_IJSB_SB_EEENS0_18inequality_wrapperIN6hipcub16HIPCUB_304000_NS8EqualityEEEPlJS6_EEE10hipError_tPvRmT3_T4_T5_T6_T7_T9_mT8_P12ihipStream_tbDpT10_ENKUlT_T0_E_clISt17integral_constantIbLb0EES17_EEDaS12_S13_EUlS12_E_NS1_11comp_targetILNS1_3genE9ELNS1_11target_archE1100ELNS1_3gpuE3ELNS1_3repE0EEENS1_30default_config_static_selectorELNS0_4arch9wavefront6targetE1EEEvT1_,comdat
.Lfunc_end140:
	.size	_ZN7rocprim17ROCPRIM_400000_NS6detail17trampoline_kernelINS0_14default_configENS1_25partition_config_selectorILNS1_17partition_subalgoE8EhNS0_10empty_typeEbEEZZNS1_14partition_implILS5_8ELb0ES3_jPKhPS6_PKS6_NS0_5tupleIJPhS6_EEENSE_IJSB_SB_EEENS0_18inequality_wrapperIN6hipcub16HIPCUB_304000_NS8EqualityEEEPlJS6_EEE10hipError_tPvRmT3_T4_T5_T6_T7_T9_mT8_P12ihipStream_tbDpT10_ENKUlT_T0_E_clISt17integral_constantIbLb0EES17_EEDaS12_S13_EUlS12_E_NS1_11comp_targetILNS1_3genE9ELNS1_11target_archE1100ELNS1_3gpuE3ELNS1_3repE0EEENS1_30default_config_static_selectorELNS0_4arch9wavefront6targetE1EEEvT1_, .Lfunc_end140-_ZN7rocprim17ROCPRIM_400000_NS6detail17trampoline_kernelINS0_14default_configENS1_25partition_config_selectorILNS1_17partition_subalgoE8EhNS0_10empty_typeEbEEZZNS1_14partition_implILS5_8ELb0ES3_jPKhPS6_PKS6_NS0_5tupleIJPhS6_EEENSE_IJSB_SB_EEENS0_18inequality_wrapperIN6hipcub16HIPCUB_304000_NS8EqualityEEEPlJS6_EEE10hipError_tPvRmT3_T4_T5_T6_T7_T9_mT8_P12ihipStream_tbDpT10_ENKUlT_T0_E_clISt17integral_constantIbLb0EES17_EEDaS12_S13_EUlS12_E_NS1_11comp_targetILNS1_3genE9ELNS1_11target_archE1100ELNS1_3gpuE3ELNS1_3repE0EEENS1_30default_config_static_selectorELNS0_4arch9wavefront6targetE1EEEvT1_
                                        ; -- End function
	.section	.AMDGPU.csdata,"",@progbits
; Kernel info:
; codeLenInByte = 0
; NumSgprs: 6
; NumVgprs: 0
; NumAgprs: 0
; TotalNumVgprs: 0
; ScratchSize: 0
; MemoryBound: 0
; FloatMode: 240
; IeeeMode: 1
; LDSByteSize: 0 bytes/workgroup (compile time only)
; SGPRBlocks: 0
; VGPRBlocks: 0
; NumSGPRsForWavesPerEU: 6
; NumVGPRsForWavesPerEU: 1
; AccumOffset: 4
; Occupancy: 8
; WaveLimiterHint : 0
; COMPUTE_PGM_RSRC2:SCRATCH_EN: 0
; COMPUTE_PGM_RSRC2:USER_SGPR: 2
; COMPUTE_PGM_RSRC2:TRAP_HANDLER: 0
; COMPUTE_PGM_RSRC2:TGID_X_EN: 1
; COMPUTE_PGM_RSRC2:TGID_Y_EN: 0
; COMPUTE_PGM_RSRC2:TGID_Z_EN: 0
; COMPUTE_PGM_RSRC2:TIDIG_COMP_CNT: 0
; COMPUTE_PGM_RSRC3_GFX90A:ACCUM_OFFSET: 0
; COMPUTE_PGM_RSRC3_GFX90A:TG_SPLIT: 0
	.section	.text._ZN7rocprim17ROCPRIM_400000_NS6detail17trampoline_kernelINS0_14default_configENS1_25partition_config_selectorILNS1_17partition_subalgoE8EhNS0_10empty_typeEbEEZZNS1_14partition_implILS5_8ELb0ES3_jPKhPS6_PKS6_NS0_5tupleIJPhS6_EEENSE_IJSB_SB_EEENS0_18inequality_wrapperIN6hipcub16HIPCUB_304000_NS8EqualityEEEPlJS6_EEE10hipError_tPvRmT3_T4_T5_T6_T7_T9_mT8_P12ihipStream_tbDpT10_ENKUlT_T0_E_clISt17integral_constantIbLb0EES17_EEDaS12_S13_EUlS12_E_NS1_11comp_targetILNS1_3genE8ELNS1_11target_archE1030ELNS1_3gpuE2ELNS1_3repE0EEENS1_30default_config_static_selectorELNS0_4arch9wavefront6targetE1EEEvT1_,"axG",@progbits,_ZN7rocprim17ROCPRIM_400000_NS6detail17trampoline_kernelINS0_14default_configENS1_25partition_config_selectorILNS1_17partition_subalgoE8EhNS0_10empty_typeEbEEZZNS1_14partition_implILS5_8ELb0ES3_jPKhPS6_PKS6_NS0_5tupleIJPhS6_EEENSE_IJSB_SB_EEENS0_18inequality_wrapperIN6hipcub16HIPCUB_304000_NS8EqualityEEEPlJS6_EEE10hipError_tPvRmT3_T4_T5_T6_T7_T9_mT8_P12ihipStream_tbDpT10_ENKUlT_T0_E_clISt17integral_constantIbLb0EES17_EEDaS12_S13_EUlS12_E_NS1_11comp_targetILNS1_3genE8ELNS1_11target_archE1030ELNS1_3gpuE2ELNS1_3repE0EEENS1_30default_config_static_selectorELNS0_4arch9wavefront6targetE1EEEvT1_,comdat
	.protected	_ZN7rocprim17ROCPRIM_400000_NS6detail17trampoline_kernelINS0_14default_configENS1_25partition_config_selectorILNS1_17partition_subalgoE8EhNS0_10empty_typeEbEEZZNS1_14partition_implILS5_8ELb0ES3_jPKhPS6_PKS6_NS0_5tupleIJPhS6_EEENSE_IJSB_SB_EEENS0_18inequality_wrapperIN6hipcub16HIPCUB_304000_NS8EqualityEEEPlJS6_EEE10hipError_tPvRmT3_T4_T5_T6_T7_T9_mT8_P12ihipStream_tbDpT10_ENKUlT_T0_E_clISt17integral_constantIbLb0EES17_EEDaS12_S13_EUlS12_E_NS1_11comp_targetILNS1_3genE8ELNS1_11target_archE1030ELNS1_3gpuE2ELNS1_3repE0EEENS1_30default_config_static_selectorELNS0_4arch9wavefront6targetE1EEEvT1_ ; -- Begin function _ZN7rocprim17ROCPRIM_400000_NS6detail17trampoline_kernelINS0_14default_configENS1_25partition_config_selectorILNS1_17partition_subalgoE8EhNS0_10empty_typeEbEEZZNS1_14partition_implILS5_8ELb0ES3_jPKhPS6_PKS6_NS0_5tupleIJPhS6_EEENSE_IJSB_SB_EEENS0_18inequality_wrapperIN6hipcub16HIPCUB_304000_NS8EqualityEEEPlJS6_EEE10hipError_tPvRmT3_T4_T5_T6_T7_T9_mT8_P12ihipStream_tbDpT10_ENKUlT_T0_E_clISt17integral_constantIbLb0EES17_EEDaS12_S13_EUlS12_E_NS1_11comp_targetILNS1_3genE8ELNS1_11target_archE1030ELNS1_3gpuE2ELNS1_3repE0EEENS1_30default_config_static_selectorELNS0_4arch9wavefront6targetE1EEEvT1_
	.globl	_ZN7rocprim17ROCPRIM_400000_NS6detail17trampoline_kernelINS0_14default_configENS1_25partition_config_selectorILNS1_17partition_subalgoE8EhNS0_10empty_typeEbEEZZNS1_14partition_implILS5_8ELb0ES3_jPKhPS6_PKS6_NS0_5tupleIJPhS6_EEENSE_IJSB_SB_EEENS0_18inequality_wrapperIN6hipcub16HIPCUB_304000_NS8EqualityEEEPlJS6_EEE10hipError_tPvRmT3_T4_T5_T6_T7_T9_mT8_P12ihipStream_tbDpT10_ENKUlT_T0_E_clISt17integral_constantIbLb0EES17_EEDaS12_S13_EUlS12_E_NS1_11comp_targetILNS1_3genE8ELNS1_11target_archE1030ELNS1_3gpuE2ELNS1_3repE0EEENS1_30default_config_static_selectorELNS0_4arch9wavefront6targetE1EEEvT1_
	.p2align	8
	.type	_ZN7rocprim17ROCPRIM_400000_NS6detail17trampoline_kernelINS0_14default_configENS1_25partition_config_selectorILNS1_17partition_subalgoE8EhNS0_10empty_typeEbEEZZNS1_14partition_implILS5_8ELb0ES3_jPKhPS6_PKS6_NS0_5tupleIJPhS6_EEENSE_IJSB_SB_EEENS0_18inequality_wrapperIN6hipcub16HIPCUB_304000_NS8EqualityEEEPlJS6_EEE10hipError_tPvRmT3_T4_T5_T6_T7_T9_mT8_P12ihipStream_tbDpT10_ENKUlT_T0_E_clISt17integral_constantIbLb0EES17_EEDaS12_S13_EUlS12_E_NS1_11comp_targetILNS1_3genE8ELNS1_11target_archE1030ELNS1_3gpuE2ELNS1_3repE0EEENS1_30default_config_static_selectorELNS0_4arch9wavefront6targetE1EEEvT1_,@function
_ZN7rocprim17ROCPRIM_400000_NS6detail17trampoline_kernelINS0_14default_configENS1_25partition_config_selectorILNS1_17partition_subalgoE8EhNS0_10empty_typeEbEEZZNS1_14partition_implILS5_8ELb0ES3_jPKhPS6_PKS6_NS0_5tupleIJPhS6_EEENSE_IJSB_SB_EEENS0_18inequality_wrapperIN6hipcub16HIPCUB_304000_NS8EqualityEEEPlJS6_EEE10hipError_tPvRmT3_T4_T5_T6_T7_T9_mT8_P12ihipStream_tbDpT10_ENKUlT_T0_E_clISt17integral_constantIbLb0EES17_EEDaS12_S13_EUlS12_E_NS1_11comp_targetILNS1_3genE8ELNS1_11target_archE1030ELNS1_3gpuE2ELNS1_3repE0EEENS1_30default_config_static_selectorELNS0_4arch9wavefront6targetE1EEEvT1_: ; @_ZN7rocprim17ROCPRIM_400000_NS6detail17trampoline_kernelINS0_14default_configENS1_25partition_config_selectorILNS1_17partition_subalgoE8EhNS0_10empty_typeEbEEZZNS1_14partition_implILS5_8ELb0ES3_jPKhPS6_PKS6_NS0_5tupleIJPhS6_EEENSE_IJSB_SB_EEENS0_18inequality_wrapperIN6hipcub16HIPCUB_304000_NS8EqualityEEEPlJS6_EEE10hipError_tPvRmT3_T4_T5_T6_T7_T9_mT8_P12ihipStream_tbDpT10_ENKUlT_T0_E_clISt17integral_constantIbLb0EES17_EEDaS12_S13_EUlS12_E_NS1_11comp_targetILNS1_3genE8ELNS1_11target_archE1030ELNS1_3gpuE2ELNS1_3repE0EEENS1_30default_config_static_selectorELNS0_4arch9wavefront6targetE1EEEvT1_
; %bb.0:
	.section	.rodata,"a",@progbits
	.p2align	6, 0x0
	.amdhsa_kernel _ZN7rocprim17ROCPRIM_400000_NS6detail17trampoline_kernelINS0_14default_configENS1_25partition_config_selectorILNS1_17partition_subalgoE8EhNS0_10empty_typeEbEEZZNS1_14partition_implILS5_8ELb0ES3_jPKhPS6_PKS6_NS0_5tupleIJPhS6_EEENSE_IJSB_SB_EEENS0_18inequality_wrapperIN6hipcub16HIPCUB_304000_NS8EqualityEEEPlJS6_EEE10hipError_tPvRmT3_T4_T5_T6_T7_T9_mT8_P12ihipStream_tbDpT10_ENKUlT_T0_E_clISt17integral_constantIbLb0EES17_EEDaS12_S13_EUlS12_E_NS1_11comp_targetILNS1_3genE8ELNS1_11target_archE1030ELNS1_3gpuE2ELNS1_3repE0EEENS1_30default_config_static_selectorELNS0_4arch9wavefront6targetE1EEEvT1_
		.amdhsa_group_segment_fixed_size 0
		.amdhsa_private_segment_fixed_size 0
		.amdhsa_kernarg_size 112
		.amdhsa_user_sgpr_count 2
		.amdhsa_user_sgpr_dispatch_ptr 0
		.amdhsa_user_sgpr_queue_ptr 0
		.amdhsa_user_sgpr_kernarg_segment_ptr 1
		.amdhsa_user_sgpr_dispatch_id 0
		.amdhsa_user_sgpr_kernarg_preload_length 0
		.amdhsa_user_sgpr_kernarg_preload_offset 0
		.amdhsa_user_sgpr_private_segment_size 0
		.amdhsa_uses_dynamic_stack 0
		.amdhsa_enable_private_segment 0
		.amdhsa_system_sgpr_workgroup_id_x 1
		.amdhsa_system_sgpr_workgroup_id_y 0
		.amdhsa_system_sgpr_workgroup_id_z 0
		.amdhsa_system_sgpr_workgroup_info 0
		.amdhsa_system_vgpr_workitem_id 0
		.amdhsa_next_free_vgpr 1
		.amdhsa_next_free_sgpr 0
		.amdhsa_accum_offset 4
		.amdhsa_reserve_vcc 0
		.amdhsa_float_round_mode_32 0
		.amdhsa_float_round_mode_16_64 0
		.amdhsa_float_denorm_mode_32 3
		.amdhsa_float_denorm_mode_16_64 3
		.amdhsa_dx10_clamp 1
		.amdhsa_ieee_mode 1
		.amdhsa_fp16_overflow 0
		.amdhsa_tg_split 0
		.amdhsa_exception_fp_ieee_invalid_op 0
		.amdhsa_exception_fp_denorm_src 0
		.amdhsa_exception_fp_ieee_div_zero 0
		.amdhsa_exception_fp_ieee_overflow 0
		.amdhsa_exception_fp_ieee_underflow 0
		.amdhsa_exception_fp_ieee_inexact 0
		.amdhsa_exception_int_div_zero 0
	.end_amdhsa_kernel
	.section	.text._ZN7rocprim17ROCPRIM_400000_NS6detail17trampoline_kernelINS0_14default_configENS1_25partition_config_selectorILNS1_17partition_subalgoE8EhNS0_10empty_typeEbEEZZNS1_14partition_implILS5_8ELb0ES3_jPKhPS6_PKS6_NS0_5tupleIJPhS6_EEENSE_IJSB_SB_EEENS0_18inequality_wrapperIN6hipcub16HIPCUB_304000_NS8EqualityEEEPlJS6_EEE10hipError_tPvRmT3_T4_T5_T6_T7_T9_mT8_P12ihipStream_tbDpT10_ENKUlT_T0_E_clISt17integral_constantIbLb0EES17_EEDaS12_S13_EUlS12_E_NS1_11comp_targetILNS1_3genE8ELNS1_11target_archE1030ELNS1_3gpuE2ELNS1_3repE0EEENS1_30default_config_static_selectorELNS0_4arch9wavefront6targetE1EEEvT1_,"axG",@progbits,_ZN7rocprim17ROCPRIM_400000_NS6detail17trampoline_kernelINS0_14default_configENS1_25partition_config_selectorILNS1_17partition_subalgoE8EhNS0_10empty_typeEbEEZZNS1_14partition_implILS5_8ELb0ES3_jPKhPS6_PKS6_NS0_5tupleIJPhS6_EEENSE_IJSB_SB_EEENS0_18inequality_wrapperIN6hipcub16HIPCUB_304000_NS8EqualityEEEPlJS6_EEE10hipError_tPvRmT3_T4_T5_T6_T7_T9_mT8_P12ihipStream_tbDpT10_ENKUlT_T0_E_clISt17integral_constantIbLb0EES17_EEDaS12_S13_EUlS12_E_NS1_11comp_targetILNS1_3genE8ELNS1_11target_archE1030ELNS1_3gpuE2ELNS1_3repE0EEENS1_30default_config_static_selectorELNS0_4arch9wavefront6targetE1EEEvT1_,comdat
.Lfunc_end141:
	.size	_ZN7rocprim17ROCPRIM_400000_NS6detail17trampoline_kernelINS0_14default_configENS1_25partition_config_selectorILNS1_17partition_subalgoE8EhNS0_10empty_typeEbEEZZNS1_14partition_implILS5_8ELb0ES3_jPKhPS6_PKS6_NS0_5tupleIJPhS6_EEENSE_IJSB_SB_EEENS0_18inequality_wrapperIN6hipcub16HIPCUB_304000_NS8EqualityEEEPlJS6_EEE10hipError_tPvRmT3_T4_T5_T6_T7_T9_mT8_P12ihipStream_tbDpT10_ENKUlT_T0_E_clISt17integral_constantIbLb0EES17_EEDaS12_S13_EUlS12_E_NS1_11comp_targetILNS1_3genE8ELNS1_11target_archE1030ELNS1_3gpuE2ELNS1_3repE0EEENS1_30default_config_static_selectorELNS0_4arch9wavefront6targetE1EEEvT1_, .Lfunc_end141-_ZN7rocprim17ROCPRIM_400000_NS6detail17trampoline_kernelINS0_14default_configENS1_25partition_config_selectorILNS1_17partition_subalgoE8EhNS0_10empty_typeEbEEZZNS1_14partition_implILS5_8ELb0ES3_jPKhPS6_PKS6_NS0_5tupleIJPhS6_EEENSE_IJSB_SB_EEENS0_18inequality_wrapperIN6hipcub16HIPCUB_304000_NS8EqualityEEEPlJS6_EEE10hipError_tPvRmT3_T4_T5_T6_T7_T9_mT8_P12ihipStream_tbDpT10_ENKUlT_T0_E_clISt17integral_constantIbLb0EES17_EEDaS12_S13_EUlS12_E_NS1_11comp_targetILNS1_3genE8ELNS1_11target_archE1030ELNS1_3gpuE2ELNS1_3repE0EEENS1_30default_config_static_selectorELNS0_4arch9wavefront6targetE1EEEvT1_
                                        ; -- End function
	.section	.AMDGPU.csdata,"",@progbits
; Kernel info:
; codeLenInByte = 0
; NumSgprs: 6
; NumVgprs: 0
; NumAgprs: 0
; TotalNumVgprs: 0
; ScratchSize: 0
; MemoryBound: 0
; FloatMode: 240
; IeeeMode: 1
; LDSByteSize: 0 bytes/workgroup (compile time only)
; SGPRBlocks: 0
; VGPRBlocks: 0
; NumSGPRsForWavesPerEU: 6
; NumVGPRsForWavesPerEU: 1
; AccumOffset: 4
; Occupancy: 8
; WaveLimiterHint : 0
; COMPUTE_PGM_RSRC2:SCRATCH_EN: 0
; COMPUTE_PGM_RSRC2:USER_SGPR: 2
; COMPUTE_PGM_RSRC2:TRAP_HANDLER: 0
; COMPUTE_PGM_RSRC2:TGID_X_EN: 1
; COMPUTE_PGM_RSRC2:TGID_Y_EN: 0
; COMPUTE_PGM_RSRC2:TGID_Z_EN: 0
; COMPUTE_PGM_RSRC2:TIDIG_COMP_CNT: 0
; COMPUTE_PGM_RSRC3_GFX90A:ACCUM_OFFSET: 0
; COMPUTE_PGM_RSRC3_GFX90A:TG_SPLIT: 0
	.section	.text._ZN7rocprim17ROCPRIM_400000_NS6detail17trampoline_kernelINS0_14default_configENS1_25partition_config_selectorILNS1_17partition_subalgoE8EhNS0_10empty_typeEbEEZZNS1_14partition_implILS5_8ELb0ES3_jPKhPS6_PKS6_NS0_5tupleIJPhS6_EEENSE_IJSB_SB_EEENS0_18inequality_wrapperIN6hipcub16HIPCUB_304000_NS8EqualityEEEPlJS6_EEE10hipError_tPvRmT3_T4_T5_T6_T7_T9_mT8_P12ihipStream_tbDpT10_ENKUlT_T0_E_clISt17integral_constantIbLb1EES17_EEDaS12_S13_EUlS12_E_NS1_11comp_targetILNS1_3genE0ELNS1_11target_archE4294967295ELNS1_3gpuE0ELNS1_3repE0EEENS1_30default_config_static_selectorELNS0_4arch9wavefront6targetE1EEEvT1_,"axG",@progbits,_ZN7rocprim17ROCPRIM_400000_NS6detail17trampoline_kernelINS0_14default_configENS1_25partition_config_selectorILNS1_17partition_subalgoE8EhNS0_10empty_typeEbEEZZNS1_14partition_implILS5_8ELb0ES3_jPKhPS6_PKS6_NS0_5tupleIJPhS6_EEENSE_IJSB_SB_EEENS0_18inequality_wrapperIN6hipcub16HIPCUB_304000_NS8EqualityEEEPlJS6_EEE10hipError_tPvRmT3_T4_T5_T6_T7_T9_mT8_P12ihipStream_tbDpT10_ENKUlT_T0_E_clISt17integral_constantIbLb1EES17_EEDaS12_S13_EUlS12_E_NS1_11comp_targetILNS1_3genE0ELNS1_11target_archE4294967295ELNS1_3gpuE0ELNS1_3repE0EEENS1_30default_config_static_selectorELNS0_4arch9wavefront6targetE1EEEvT1_,comdat
	.protected	_ZN7rocprim17ROCPRIM_400000_NS6detail17trampoline_kernelINS0_14default_configENS1_25partition_config_selectorILNS1_17partition_subalgoE8EhNS0_10empty_typeEbEEZZNS1_14partition_implILS5_8ELb0ES3_jPKhPS6_PKS6_NS0_5tupleIJPhS6_EEENSE_IJSB_SB_EEENS0_18inequality_wrapperIN6hipcub16HIPCUB_304000_NS8EqualityEEEPlJS6_EEE10hipError_tPvRmT3_T4_T5_T6_T7_T9_mT8_P12ihipStream_tbDpT10_ENKUlT_T0_E_clISt17integral_constantIbLb1EES17_EEDaS12_S13_EUlS12_E_NS1_11comp_targetILNS1_3genE0ELNS1_11target_archE4294967295ELNS1_3gpuE0ELNS1_3repE0EEENS1_30default_config_static_selectorELNS0_4arch9wavefront6targetE1EEEvT1_ ; -- Begin function _ZN7rocprim17ROCPRIM_400000_NS6detail17trampoline_kernelINS0_14default_configENS1_25partition_config_selectorILNS1_17partition_subalgoE8EhNS0_10empty_typeEbEEZZNS1_14partition_implILS5_8ELb0ES3_jPKhPS6_PKS6_NS0_5tupleIJPhS6_EEENSE_IJSB_SB_EEENS0_18inequality_wrapperIN6hipcub16HIPCUB_304000_NS8EqualityEEEPlJS6_EEE10hipError_tPvRmT3_T4_T5_T6_T7_T9_mT8_P12ihipStream_tbDpT10_ENKUlT_T0_E_clISt17integral_constantIbLb1EES17_EEDaS12_S13_EUlS12_E_NS1_11comp_targetILNS1_3genE0ELNS1_11target_archE4294967295ELNS1_3gpuE0ELNS1_3repE0EEENS1_30default_config_static_selectorELNS0_4arch9wavefront6targetE1EEEvT1_
	.globl	_ZN7rocprim17ROCPRIM_400000_NS6detail17trampoline_kernelINS0_14default_configENS1_25partition_config_selectorILNS1_17partition_subalgoE8EhNS0_10empty_typeEbEEZZNS1_14partition_implILS5_8ELb0ES3_jPKhPS6_PKS6_NS0_5tupleIJPhS6_EEENSE_IJSB_SB_EEENS0_18inequality_wrapperIN6hipcub16HIPCUB_304000_NS8EqualityEEEPlJS6_EEE10hipError_tPvRmT3_T4_T5_T6_T7_T9_mT8_P12ihipStream_tbDpT10_ENKUlT_T0_E_clISt17integral_constantIbLb1EES17_EEDaS12_S13_EUlS12_E_NS1_11comp_targetILNS1_3genE0ELNS1_11target_archE4294967295ELNS1_3gpuE0ELNS1_3repE0EEENS1_30default_config_static_selectorELNS0_4arch9wavefront6targetE1EEEvT1_
	.p2align	8
	.type	_ZN7rocprim17ROCPRIM_400000_NS6detail17trampoline_kernelINS0_14default_configENS1_25partition_config_selectorILNS1_17partition_subalgoE8EhNS0_10empty_typeEbEEZZNS1_14partition_implILS5_8ELb0ES3_jPKhPS6_PKS6_NS0_5tupleIJPhS6_EEENSE_IJSB_SB_EEENS0_18inequality_wrapperIN6hipcub16HIPCUB_304000_NS8EqualityEEEPlJS6_EEE10hipError_tPvRmT3_T4_T5_T6_T7_T9_mT8_P12ihipStream_tbDpT10_ENKUlT_T0_E_clISt17integral_constantIbLb1EES17_EEDaS12_S13_EUlS12_E_NS1_11comp_targetILNS1_3genE0ELNS1_11target_archE4294967295ELNS1_3gpuE0ELNS1_3repE0EEENS1_30default_config_static_selectorELNS0_4arch9wavefront6targetE1EEEvT1_,@function
_ZN7rocprim17ROCPRIM_400000_NS6detail17trampoline_kernelINS0_14default_configENS1_25partition_config_selectorILNS1_17partition_subalgoE8EhNS0_10empty_typeEbEEZZNS1_14partition_implILS5_8ELb0ES3_jPKhPS6_PKS6_NS0_5tupleIJPhS6_EEENSE_IJSB_SB_EEENS0_18inequality_wrapperIN6hipcub16HIPCUB_304000_NS8EqualityEEEPlJS6_EEE10hipError_tPvRmT3_T4_T5_T6_T7_T9_mT8_P12ihipStream_tbDpT10_ENKUlT_T0_E_clISt17integral_constantIbLb1EES17_EEDaS12_S13_EUlS12_E_NS1_11comp_targetILNS1_3genE0ELNS1_11target_archE4294967295ELNS1_3gpuE0ELNS1_3repE0EEENS1_30default_config_static_selectorELNS0_4arch9wavefront6targetE1EEEvT1_: ; @_ZN7rocprim17ROCPRIM_400000_NS6detail17trampoline_kernelINS0_14default_configENS1_25partition_config_selectorILNS1_17partition_subalgoE8EhNS0_10empty_typeEbEEZZNS1_14partition_implILS5_8ELb0ES3_jPKhPS6_PKS6_NS0_5tupleIJPhS6_EEENSE_IJSB_SB_EEENS0_18inequality_wrapperIN6hipcub16HIPCUB_304000_NS8EqualityEEEPlJS6_EEE10hipError_tPvRmT3_T4_T5_T6_T7_T9_mT8_P12ihipStream_tbDpT10_ENKUlT_T0_E_clISt17integral_constantIbLb1EES17_EEDaS12_S13_EUlS12_E_NS1_11comp_targetILNS1_3genE0ELNS1_11target_archE4294967295ELNS1_3gpuE0ELNS1_3repE0EEENS1_30default_config_static_selectorELNS0_4arch9wavefront6targetE1EEEvT1_
; %bb.0:
	.section	.rodata,"a",@progbits
	.p2align	6, 0x0
	.amdhsa_kernel _ZN7rocprim17ROCPRIM_400000_NS6detail17trampoline_kernelINS0_14default_configENS1_25partition_config_selectorILNS1_17partition_subalgoE8EhNS0_10empty_typeEbEEZZNS1_14partition_implILS5_8ELb0ES3_jPKhPS6_PKS6_NS0_5tupleIJPhS6_EEENSE_IJSB_SB_EEENS0_18inequality_wrapperIN6hipcub16HIPCUB_304000_NS8EqualityEEEPlJS6_EEE10hipError_tPvRmT3_T4_T5_T6_T7_T9_mT8_P12ihipStream_tbDpT10_ENKUlT_T0_E_clISt17integral_constantIbLb1EES17_EEDaS12_S13_EUlS12_E_NS1_11comp_targetILNS1_3genE0ELNS1_11target_archE4294967295ELNS1_3gpuE0ELNS1_3repE0EEENS1_30default_config_static_selectorELNS0_4arch9wavefront6targetE1EEEvT1_
		.amdhsa_group_segment_fixed_size 0
		.amdhsa_private_segment_fixed_size 0
		.amdhsa_kernarg_size 128
		.amdhsa_user_sgpr_count 2
		.amdhsa_user_sgpr_dispatch_ptr 0
		.amdhsa_user_sgpr_queue_ptr 0
		.amdhsa_user_sgpr_kernarg_segment_ptr 1
		.amdhsa_user_sgpr_dispatch_id 0
		.amdhsa_user_sgpr_kernarg_preload_length 0
		.amdhsa_user_sgpr_kernarg_preload_offset 0
		.amdhsa_user_sgpr_private_segment_size 0
		.amdhsa_uses_dynamic_stack 0
		.amdhsa_enable_private_segment 0
		.amdhsa_system_sgpr_workgroup_id_x 1
		.amdhsa_system_sgpr_workgroup_id_y 0
		.amdhsa_system_sgpr_workgroup_id_z 0
		.amdhsa_system_sgpr_workgroup_info 0
		.amdhsa_system_vgpr_workitem_id 0
		.amdhsa_next_free_vgpr 1
		.amdhsa_next_free_sgpr 0
		.amdhsa_accum_offset 4
		.amdhsa_reserve_vcc 0
		.amdhsa_float_round_mode_32 0
		.amdhsa_float_round_mode_16_64 0
		.amdhsa_float_denorm_mode_32 3
		.amdhsa_float_denorm_mode_16_64 3
		.amdhsa_dx10_clamp 1
		.amdhsa_ieee_mode 1
		.amdhsa_fp16_overflow 0
		.amdhsa_tg_split 0
		.amdhsa_exception_fp_ieee_invalid_op 0
		.amdhsa_exception_fp_denorm_src 0
		.amdhsa_exception_fp_ieee_div_zero 0
		.amdhsa_exception_fp_ieee_overflow 0
		.amdhsa_exception_fp_ieee_underflow 0
		.amdhsa_exception_fp_ieee_inexact 0
		.amdhsa_exception_int_div_zero 0
	.end_amdhsa_kernel
	.section	.text._ZN7rocprim17ROCPRIM_400000_NS6detail17trampoline_kernelINS0_14default_configENS1_25partition_config_selectorILNS1_17partition_subalgoE8EhNS0_10empty_typeEbEEZZNS1_14partition_implILS5_8ELb0ES3_jPKhPS6_PKS6_NS0_5tupleIJPhS6_EEENSE_IJSB_SB_EEENS0_18inequality_wrapperIN6hipcub16HIPCUB_304000_NS8EqualityEEEPlJS6_EEE10hipError_tPvRmT3_T4_T5_T6_T7_T9_mT8_P12ihipStream_tbDpT10_ENKUlT_T0_E_clISt17integral_constantIbLb1EES17_EEDaS12_S13_EUlS12_E_NS1_11comp_targetILNS1_3genE0ELNS1_11target_archE4294967295ELNS1_3gpuE0ELNS1_3repE0EEENS1_30default_config_static_selectorELNS0_4arch9wavefront6targetE1EEEvT1_,"axG",@progbits,_ZN7rocprim17ROCPRIM_400000_NS6detail17trampoline_kernelINS0_14default_configENS1_25partition_config_selectorILNS1_17partition_subalgoE8EhNS0_10empty_typeEbEEZZNS1_14partition_implILS5_8ELb0ES3_jPKhPS6_PKS6_NS0_5tupleIJPhS6_EEENSE_IJSB_SB_EEENS0_18inequality_wrapperIN6hipcub16HIPCUB_304000_NS8EqualityEEEPlJS6_EEE10hipError_tPvRmT3_T4_T5_T6_T7_T9_mT8_P12ihipStream_tbDpT10_ENKUlT_T0_E_clISt17integral_constantIbLb1EES17_EEDaS12_S13_EUlS12_E_NS1_11comp_targetILNS1_3genE0ELNS1_11target_archE4294967295ELNS1_3gpuE0ELNS1_3repE0EEENS1_30default_config_static_selectorELNS0_4arch9wavefront6targetE1EEEvT1_,comdat
.Lfunc_end142:
	.size	_ZN7rocprim17ROCPRIM_400000_NS6detail17trampoline_kernelINS0_14default_configENS1_25partition_config_selectorILNS1_17partition_subalgoE8EhNS0_10empty_typeEbEEZZNS1_14partition_implILS5_8ELb0ES3_jPKhPS6_PKS6_NS0_5tupleIJPhS6_EEENSE_IJSB_SB_EEENS0_18inequality_wrapperIN6hipcub16HIPCUB_304000_NS8EqualityEEEPlJS6_EEE10hipError_tPvRmT3_T4_T5_T6_T7_T9_mT8_P12ihipStream_tbDpT10_ENKUlT_T0_E_clISt17integral_constantIbLb1EES17_EEDaS12_S13_EUlS12_E_NS1_11comp_targetILNS1_3genE0ELNS1_11target_archE4294967295ELNS1_3gpuE0ELNS1_3repE0EEENS1_30default_config_static_selectorELNS0_4arch9wavefront6targetE1EEEvT1_, .Lfunc_end142-_ZN7rocprim17ROCPRIM_400000_NS6detail17trampoline_kernelINS0_14default_configENS1_25partition_config_selectorILNS1_17partition_subalgoE8EhNS0_10empty_typeEbEEZZNS1_14partition_implILS5_8ELb0ES3_jPKhPS6_PKS6_NS0_5tupleIJPhS6_EEENSE_IJSB_SB_EEENS0_18inequality_wrapperIN6hipcub16HIPCUB_304000_NS8EqualityEEEPlJS6_EEE10hipError_tPvRmT3_T4_T5_T6_T7_T9_mT8_P12ihipStream_tbDpT10_ENKUlT_T0_E_clISt17integral_constantIbLb1EES17_EEDaS12_S13_EUlS12_E_NS1_11comp_targetILNS1_3genE0ELNS1_11target_archE4294967295ELNS1_3gpuE0ELNS1_3repE0EEENS1_30default_config_static_selectorELNS0_4arch9wavefront6targetE1EEEvT1_
                                        ; -- End function
	.section	.AMDGPU.csdata,"",@progbits
; Kernel info:
; codeLenInByte = 0
; NumSgprs: 6
; NumVgprs: 0
; NumAgprs: 0
; TotalNumVgprs: 0
; ScratchSize: 0
; MemoryBound: 0
; FloatMode: 240
; IeeeMode: 1
; LDSByteSize: 0 bytes/workgroup (compile time only)
; SGPRBlocks: 0
; VGPRBlocks: 0
; NumSGPRsForWavesPerEU: 6
; NumVGPRsForWavesPerEU: 1
; AccumOffset: 4
; Occupancy: 8
; WaveLimiterHint : 0
; COMPUTE_PGM_RSRC2:SCRATCH_EN: 0
; COMPUTE_PGM_RSRC2:USER_SGPR: 2
; COMPUTE_PGM_RSRC2:TRAP_HANDLER: 0
; COMPUTE_PGM_RSRC2:TGID_X_EN: 1
; COMPUTE_PGM_RSRC2:TGID_Y_EN: 0
; COMPUTE_PGM_RSRC2:TGID_Z_EN: 0
; COMPUTE_PGM_RSRC2:TIDIG_COMP_CNT: 0
; COMPUTE_PGM_RSRC3_GFX90A:ACCUM_OFFSET: 0
; COMPUTE_PGM_RSRC3_GFX90A:TG_SPLIT: 0
	.section	.text._ZN7rocprim17ROCPRIM_400000_NS6detail17trampoline_kernelINS0_14default_configENS1_25partition_config_selectorILNS1_17partition_subalgoE8EhNS0_10empty_typeEbEEZZNS1_14partition_implILS5_8ELb0ES3_jPKhPS6_PKS6_NS0_5tupleIJPhS6_EEENSE_IJSB_SB_EEENS0_18inequality_wrapperIN6hipcub16HIPCUB_304000_NS8EqualityEEEPlJS6_EEE10hipError_tPvRmT3_T4_T5_T6_T7_T9_mT8_P12ihipStream_tbDpT10_ENKUlT_T0_E_clISt17integral_constantIbLb1EES17_EEDaS12_S13_EUlS12_E_NS1_11comp_targetILNS1_3genE5ELNS1_11target_archE942ELNS1_3gpuE9ELNS1_3repE0EEENS1_30default_config_static_selectorELNS0_4arch9wavefront6targetE1EEEvT1_,"axG",@progbits,_ZN7rocprim17ROCPRIM_400000_NS6detail17trampoline_kernelINS0_14default_configENS1_25partition_config_selectorILNS1_17partition_subalgoE8EhNS0_10empty_typeEbEEZZNS1_14partition_implILS5_8ELb0ES3_jPKhPS6_PKS6_NS0_5tupleIJPhS6_EEENSE_IJSB_SB_EEENS0_18inequality_wrapperIN6hipcub16HIPCUB_304000_NS8EqualityEEEPlJS6_EEE10hipError_tPvRmT3_T4_T5_T6_T7_T9_mT8_P12ihipStream_tbDpT10_ENKUlT_T0_E_clISt17integral_constantIbLb1EES17_EEDaS12_S13_EUlS12_E_NS1_11comp_targetILNS1_3genE5ELNS1_11target_archE942ELNS1_3gpuE9ELNS1_3repE0EEENS1_30default_config_static_selectorELNS0_4arch9wavefront6targetE1EEEvT1_,comdat
	.protected	_ZN7rocprim17ROCPRIM_400000_NS6detail17trampoline_kernelINS0_14default_configENS1_25partition_config_selectorILNS1_17partition_subalgoE8EhNS0_10empty_typeEbEEZZNS1_14partition_implILS5_8ELb0ES3_jPKhPS6_PKS6_NS0_5tupleIJPhS6_EEENSE_IJSB_SB_EEENS0_18inequality_wrapperIN6hipcub16HIPCUB_304000_NS8EqualityEEEPlJS6_EEE10hipError_tPvRmT3_T4_T5_T6_T7_T9_mT8_P12ihipStream_tbDpT10_ENKUlT_T0_E_clISt17integral_constantIbLb1EES17_EEDaS12_S13_EUlS12_E_NS1_11comp_targetILNS1_3genE5ELNS1_11target_archE942ELNS1_3gpuE9ELNS1_3repE0EEENS1_30default_config_static_selectorELNS0_4arch9wavefront6targetE1EEEvT1_ ; -- Begin function _ZN7rocprim17ROCPRIM_400000_NS6detail17trampoline_kernelINS0_14default_configENS1_25partition_config_selectorILNS1_17partition_subalgoE8EhNS0_10empty_typeEbEEZZNS1_14partition_implILS5_8ELb0ES3_jPKhPS6_PKS6_NS0_5tupleIJPhS6_EEENSE_IJSB_SB_EEENS0_18inequality_wrapperIN6hipcub16HIPCUB_304000_NS8EqualityEEEPlJS6_EEE10hipError_tPvRmT3_T4_T5_T6_T7_T9_mT8_P12ihipStream_tbDpT10_ENKUlT_T0_E_clISt17integral_constantIbLb1EES17_EEDaS12_S13_EUlS12_E_NS1_11comp_targetILNS1_3genE5ELNS1_11target_archE942ELNS1_3gpuE9ELNS1_3repE0EEENS1_30default_config_static_selectorELNS0_4arch9wavefront6targetE1EEEvT1_
	.globl	_ZN7rocprim17ROCPRIM_400000_NS6detail17trampoline_kernelINS0_14default_configENS1_25partition_config_selectorILNS1_17partition_subalgoE8EhNS0_10empty_typeEbEEZZNS1_14partition_implILS5_8ELb0ES3_jPKhPS6_PKS6_NS0_5tupleIJPhS6_EEENSE_IJSB_SB_EEENS0_18inequality_wrapperIN6hipcub16HIPCUB_304000_NS8EqualityEEEPlJS6_EEE10hipError_tPvRmT3_T4_T5_T6_T7_T9_mT8_P12ihipStream_tbDpT10_ENKUlT_T0_E_clISt17integral_constantIbLb1EES17_EEDaS12_S13_EUlS12_E_NS1_11comp_targetILNS1_3genE5ELNS1_11target_archE942ELNS1_3gpuE9ELNS1_3repE0EEENS1_30default_config_static_selectorELNS0_4arch9wavefront6targetE1EEEvT1_
	.p2align	8
	.type	_ZN7rocprim17ROCPRIM_400000_NS6detail17trampoline_kernelINS0_14default_configENS1_25partition_config_selectorILNS1_17partition_subalgoE8EhNS0_10empty_typeEbEEZZNS1_14partition_implILS5_8ELb0ES3_jPKhPS6_PKS6_NS0_5tupleIJPhS6_EEENSE_IJSB_SB_EEENS0_18inequality_wrapperIN6hipcub16HIPCUB_304000_NS8EqualityEEEPlJS6_EEE10hipError_tPvRmT3_T4_T5_T6_T7_T9_mT8_P12ihipStream_tbDpT10_ENKUlT_T0_E_clISt17integral_constantIbLb1EES17_EEDaS12_S13_EUlS12_E_NS1_11comp_targetILNS1_3genE5ELNS1_11target_archE942ELNS1_3gpuE9ELNS1_3repE0EEENS1_30default_config_static_selectorELNS0_4arch9wavefront6targetE1EEEvT1_,@function
_ZN7rocprim17ROCPRIM_400000_NS6detail17trampoline_kernelINS0_14default_configENS1_25partition_config_selectorILNS1_17partition_subalgoE8EhNS0_10empty_typeEbEEZZNS1_14partition_implILS5_8ELb0ES3_jPKhPS6_PKS6_NS0_5tupleIJPhS6_EEENSE_IJSB_SB_EEENS0_18inequality_wrapperIN6hipcub16HIPCUB_304000_NS8EqualityEEEPlJS6_EEE10hipError_tPvRmT3_T4_T5_T6_T7_T9_mT8_P12ihipStream_tbDpT10_ENKUlT_T0_E_clISt17integral_constantIbLb1EES17_EEDaS12_S13_EUlS12_E_NS1_11comp_targetILNS1_3genE5ELNS1_11target_archE942ELNS1_3gpuE9ELNS1_3repE0EEENS1_30default_config_static_selectorELNS0_4arch9wavefront6targetE1EEEvT1_: ; @_ZN7rocprim17ROCPRIM_400000_NS6detail17trampoline_kernelINS0_14default_configENS1_25partition_config_selectorILNS1_17partition_subalgoE8EhNS0_10empty_typeEbEEZZNS1_14partition_implILS5_8ELb0ES3_jPKhPS6_PKS6_NS0_5tupleIJPhS6_EEENSE_IJSB_SB_EEENS0_18inequality_wrapperIN6hipcub16HIPCUB_304000_NS8EqualityEEEPlJS6_EEE10hipError_tPvRmT3_T4_T5_T6_T7_T9_mT8_P12ihipStream_tbDpT10_ENKUlT_T0_E_clISt17integral_constantIbLb1EES17_EEDaS12_S13_EUlS12_E_NS1_11comp_targetILNS1_3genE5ELNS1_11target_archE942ELNS1_3gpuE9ELNS1_3repE0EEENS1_30default_config_static_selectorELNS0_4arch9wavefront6targetE1EEEvT1_
; %bb.0:
	s_load_dwordx2 s[26:27], s[0:1], 0x28
	s_load_dwordx4 s[20:23], s[0:1], 0x40
	s_load_dwordx2 s[8:9], s[0:1], 0x50
	s_load_dwordx2 s[30:31], s[0:1], 0x60
	v_cmp_ne_u32_e64 s[2:3], 0, v0
	v_cmp_eq_u32_e64 s[18:19], 0, v0
	s_and_saveexec_b64 s[4:5], s[18:19]
	s_cbranch_execz .LBB143_4
; %bb.1:
	s_mov_b64 s[10:11], exec
	v_mbcnt_lo_u32_b32 v1, s10, 0
	v_mbcnt_hi_u32_b32 v1, s11, v1
	v_cmp_eq_u32_e32 vcc, 0, v1
                                        ; implicit-def: $vgpr2
	s_and_saveexec_b64 s[6:7], vcc
	s_cbranch_execz .LBB143_3
; %bb.2:
	s_load_dwordx2 s[12:13], s[0:1], 0x70
	s_bcnt1_i32_b64 s10, s[10:11]
	v_mov_b32_e32 v2, 0
	v_mov_b32_e32 v3, s10
	s_waitcnt lgkmcnt(0)
	global_atomic_add v2, v2, v3, s[12:13] sc0
.LBB143_3:
	s_or_b64 exec, exec, s[6:7]
	s_waitcnt vmcnt(0)
	v_readfirstlane_b32 s6, v2
	v_mov_b32_e32 v2, 0
	s_nop 0
	v_add_u32_e32 v1, s6, v1
	ds_write_b32 v2, v1
.LBB143_4:
	s_or_b64 exec, exec, s[4:5]
	v_mov_b32_e32 v3, 0
	s_load_dwordx4 s[4:7], s[0:1], 0x8
	s_load_dword s12, s[0:1], 0x68
	s_waitcnt lgkmcnt(0)
	s_barrier
	ds_read_b32 v1, v3
	s_waitcnt lgkmcnt(0)
	s_barrier
	global_load_dwordx2 v[6:7], v3, s[22:23]
	s_add_u32 s0, s4, s6
	s_addc_u32 s1, s5, s7
	s_add_i32 s5, s12, -1
	s_lshl_b32 s4, s5, 14
	v_mov_b32_e32 v9, s9
	s_lshl_b32 s9, s12, 14
	s_add_i32 s4, s6, s4
	s_add_u32 s12, s6, s9
	s_addc_u32 s13, s7, 0
	v_readfirstlane_b32 s33, v1
	v_mov_b32_e32 v8, s8
	s_cmp_eq_u32 s33, s5
	v_lshlrev_b32_e32 v2, 14, v1
	v_cmp_ge_u64_e32 vcc, s[12:13], v[8:9]
	s_cselect_b64 s[24:25], -1, 0
	v_lshl_add_u64 v[10:11], s[0:1], 0, v[2:3]
	s_and_b64 s[0:1], vcc, s[24:25]
	s_xor_b64 s[28:29], s[0:1], -1
	s_mov_b64 s[10:11], -1
	v_lshrrev_b32_e32 v4, 5, v0
	s_and_b64 vcc, exec, s[28:29]
	s_waitcnt vmcnt(0)
	v_readfirstlane_b32 s22, v6
	v_readfirstlane_b32 s23, v7
	s_cbranch_vccz .LBB143_6
; %bb.5:
	v_readfirstlane_b32 s10, v10
	v_readfirstlane_b32 s11, v11
	s_nop 4
	global_load_ubyte v5, v0, s[10:11]
	global_load_ubyte v12, v0, s[10:11] offset:512
	global_load_ubyte v13, v0, s[10:11] offset:1024
	;; [unrolled: 1-line block ×6, first 2 shown]
	v_mov_b32_e32 v1, v3
	v_lshl_add_u64 v[2:3], v[10:11], 0, v[0:1]
	global_load_ubyte v1, v0, s[10:11] offset:3584
	v_add_co_u32_e32 v6, vcc, 0x1000, v2
	v_and_b32_e32 v8, 12, v4
	s_nop 0
	v_addc_co_u32_e32 v7, vcc, 0, v3, vcc
	global_load_ubyte v18, v[6:7], off
	global_load_ubyte v19, v[6:7], off offset:512
	global_load_ubyte v22, v[6:7], off offset:1024
	;; [unrolled: 1-line block ×3, first 2 shown]
	v_or_b32_e32 v9, 0x200, v0
	v_or_b32_e32 v20, 0x400, v0
	;; [unrolled: 1-line block ×4, first 2 shown]
	v_add_u32_e32 v26, v8, v0
	v_lshrrev_b32_e32 v8, 5, v9
	v_lshrrev_b32_e32 v9, 5, v20
	;; [unrolled: 1-line block ×4, first 2 shown]
	global_load_ubyte v23, v[6:7], off offset:2048
	global_load_ubyte v29, v[6:7], off offset:2560
	;; [unrolled: 1-line block ×3, first 2 shown]
	v_and_b32_e32 v28, 28, v8
	global_load_ubyte v6, v[6:7], off offset:3584
	v_and_b32_e32 v9, 44, v9
	v_add_co_u32_e32 v8, vcc, 0x2000, v2
	v_and_b32_e32 v20, 60, v20
	v_add_u32_e32 v31, v9, v0
	v_addc_co_u32_e32 v9, vcc, 0, v3, vcc
	v_add_u32_e32 v7, v20, v0
	global_load_ubyte v20, v[8:9], off
	global_load_ubyte v32, v[8:9], off offset:512
	global_load_ubyte v33, v[8:9], off offset:1024
	;; [unrolled: 1-line block ×7, first 2 shown]
	v_or_b32_e32 v25, 0xc00, v0
	v_or_b32_e32 v24, 0xa00, v0
	v_lshrrev_b32_e32 v25, 5, v25
	v_add_co_u32_e32 v2, vcc, 0x3000, v2
	v_lshrrev_b32_e32 v24, 5, v24
	v_and_b32_e32 v25, 0x6c, v25
	v_addc_co_u32_e32 v3, vcc, 0, v3, vcc
	v_and_b32_e32 v21, 0x4c, v21
	v_and_b32_e32 v24, 0x5c, v24
	global_load_ubyte v8, v[2:3], off
	global_load_ubyte v9, v[2:3], off offset:512
	global_load_ubyte v39, v[2:3], off offset:1024
	global_load_ubyte v40, v[2:3], off offset:1536
	global_load_ubyte v41, v[2:3], off offset:2048
	global_load_ubyte v42, v[2:3], off offset:2560
	global_load_ubyte v43, v[2:3], off offset:3072
	global_load_ubyte v44, v[2:3], off offset:3584
	v_add_u32_e32 v2, v25, v0
	v_add_u32_e32 v28, v28, v0
	v_add_u32_e32 v21, v21, v0
	v_add_u32_e32 v24, v24, v0
	s_mov_b64 s[10:11], 0
	s_waitcnt vmcnt(31)
	ds_write_b8 v26, v5
	s_waitcnt vmcnt(30)
	ds_write_b8 v28, v12 offset:512
	s_waitcnt vmcnt(29)
	ds_write_b8 v31, v13 offset:1024
	;; [unrolled: 2-line block ×6, first 2 shown]
	v_or_b32_e32 v2, 0xe00, v0
	v_lshrrev_b32_e32 v2, 5, v2
	v_and_b32_e32 v2, 0x7c, v2
	v_add_u32_e32 v2, v2, v0
	s_waitcnt vmcnt(24)
	ds_write_b8 v2, v1 offset:3584
	v_or_b32_e32 v1, 0x1000, v0
	v_lshrrev_b32_e32 v1, 5, v1
	v_and_b32_e32 v1, 0x8c, v1
	v_add_u32_e32 v1, v1, v0
	s_waitcnt vmcnt(23)
	ds_write_b8 v1, v18 offset:4096
	v_or_b32_e32 v1, 0x1200, v0
	v_lshrrev_b32_e32 v1, 5, v1
	v_and_b32_e32 v1, 0x9c, v1
	v_add_u32_e32 v1, v1, v0
	s_waitcnt vmcnt(22)
	ds_write_b8 v1, v19 offset:4608
	v_or_b32_e32 v1, 0x1400, v0
	v_lshrrev_b32_e32 v1, 5, v1
	v_and_b32_e32 v1, 0xac, v1
	v_add_u32_e32 v1, v1, v0
	s_waitcnt vmcnt(21)
	ds_write_b8 v1, v22 offset:5120
	v_or_b32_e32 v1, 0x1600, v0
	v_lshrrev_b32_e32 v1, 5, v1
	v_and_b32_e32 v1, 0xbc, v1
	v_add_u32_e32 v1, v1, v0
	s_waitcnt vmcnt(20)
	ds_write_b8 v1, v27 offset:5632
	v_or_b32_e32 v1, 0x1800, v0
	v_lshrrev_b32_e32 v1, 5, v1
	v_and_b32_e32 v1, 0xcc, v1
	v_add_u32_e32 v1, v1, v0
	s_waitcnt vmcnt(19)
	ds_write_b8 v1, v23 offset:6144
	v_or_b32_e32 v1, 0x1a00, v0
	v_lshrrev_b32_e32 v1, 5, v1
	v_and_b32_e32 v1, 0xdc, v1
	v_add_u32_e32 v1, v1, v0
	s_waitcnt vmcnt(18)
	ds_write_b8 v1, v29 offset:6656
	v_or_b32_e32 v1, 0x1c00, v0
	v_lshrrev_b32_e32 v1, 5, v1
	v_and_b32_e32 v1, 0xec, v1
	v_add_u32_e32 v1, v1, v0
	s_waitcnt vmcnt(17)
	ds_write_b8 v1, v30 offset:7168
	v_or_b32_e32 v1, 0x1e00, v0
	v_lshrrev_b32_e32 v1, 5, v1
	v_and_b32_e32 v1, 0xfc, v1
	v_add_u32_e32 v1, v1, v0
	s_waitcnt vmcnt(16)
	ds_write_b8 v1, v6 offset:7680
	v_or_b32_e32 v1, 0x2000, v0
	v_lshrrev_b32_e32 v1, 5, v1
	v_and_b32_e32 v1, 0x10c, v1
	v_add_u32_e32 v1, v1, v0
	s_waitcnt vmcnt(15)
	ds_write_b8 v1, v20 offset:8192
	v_or_b32_e32 v1, 0x2200, v0
	v_lshrrev_b32_e32 v1, 5, v1
	v_and_b32_e32 v1, 0x11c, v1
	v_add_u32_e32 v1, v1, v0
	s_waitcnt vmcnt(14)
	ds_write_b8 v1, v32 offset:8704
	v_or_b32_e32 v1, 0x2400, v0
	v_lshrrev_b32_e32 v1, 5, v1
	v_and_b32_e32 v1, 0x12c, v1
	v_add_u32_e32 v1, v1, v0
	s_waitcnt vmcnt(13)
	ds_write_b8 v1, v33 offset:9216
	v_or_b32_e32 v1, 0x2600, v0
	v_lshrrev_b32_e32 v1, 5, v1
	v_and_b32_e32 v1, 0x13c, v1
	v_add_u32_e32 v1, v1, v0
	s_waitcnt vmcnt(12)
	ds_write_b8 v1, v34 offset:9728
	v_or_b32_e32 v1, 0x2800, v0
	v_lshrrev_b32_e32 v1, 5, v1
	v_and_b32_e32 v1, 0x14c, v1
	v_add_u32_e32 v1, v1, v0
	s_waitcnt vmcnt(11)
	ds_write_b8 v1, v35 offset:10240
	v_or_b32_e32 v1, 0x2a00, v0
	v_lshrrev_b32_e32 v1, 5, v1
	v_and_b32_e32 v1, 0x15c, v1
	v_add_u32_e32 v1, v1, v0
	s_waitcnt vmcnt(10)
	ds_write_b8 v1, v36 offset:10752
	v_or_b32_e32 v1, 0x2c00, v0
	v_lshrrev_b32_e32 v1, 5, v1
	v_and_b32_e32 v1, 0x16c, v1
	v_add_u32_e32 v1, v1, v0
	s_waitcnt vmcnt(9)
	ds_write_b8 v1, v37 offset:11264
	v_or_b32_e32 v1, 0x2e00, v0
	v_lshrrev_b32_e32 v1, 5, v1
	v_and_b32_e32 v1, 0x17c, v1
	v_add_u32_e32 v1, v1, v0
	s_waitcnt vmcnt(8)
	ds_write_b8 v1, v38 offset:11776
	v_or_b32_e32 v1, 0x3000, v0
	v_lshrrev_b32_e32 v1, 5, v1
	v_and_b32_e32 v1, 0x18c, v1
	v_add_u32_e32 v1, v1, v0
	s_waitcnt vmcnt(7)
	ds_write_b8 v1, v8 offset:12288
	v_or_b32_e32 v1, 0x3200, v0
	v_lshrrev_b32_e32 v1, 5, v1
	v_and_b32_e32 v1, 0x19c, v1
	v_add_u32_e32 v1, v1, v0
	s_waitcnt vmcnt(6)
	ds_write_b8 v1, v9 offset:12800
	v_or_b32_e32 v1, 0x3400, v0
	v_lshrrev_b32_e32 v1, 5, v1
	v_and_b32_e32 v1, 0x1ac, v1
	v_add_u32_e32 v1, v1, v0
	s_waitcnt vmcnt(5)
	ds_write_b8 v1, v39 offset:13312
	v_or_b32_e32 v1, 0x3600, v0
	v_lshrrev_b32_e32 v1, 5, v1
	v_and_b32_e32 v1, 0x1bc, v1
	v_add_u32_e32 v1, v1, v0
	s_waitcnt vmcnt(4)
	ds_write_b8 v1, v40 offset:13824
	v_or_b32_e32 v1, 0x3800, v0
	v_lshrrev_b32_e32 v1, 5, v1
	v_and_b32_e32 v1, 0x1cc, v1
	v_add_u32_e32 v1, v1, v0
	s_waitcnt vmcnt(3)
	ds_write_b8 v1, v41 offset:14336
	v_or_b32_e32 v1, 0x3a00, v0
	v_lshrrev_b32_e32 v1, 5, v1
	v_and_b32_e32 v1, 0x1dc, v1
	v_add_u32_e32 v1, v1, v0
	s_waitcnt vmcnt(2)
	ds_write_b8 v1, v42 offset:14848
	v_or_b32_e32 v1, 0x3c00, v0
	v_lshrrev_b32_e32 v1, 5, v1
	v_and_b32_e32 v1, 0x1ec, v1
	v_add_u32_e32 v1, v1, v0
	s_waitcnt vmcnt(1)
	ds_write_b8 v1, v43 offset:15360
	v_or_b32_e32 v1, 0x3e00, v0
	v_lshrrev_b32_e32 v1, 5, v1
	v_and_b32_e32 v1, 0x1fc, v1
	v_add_u32_e32 v1, v1, v0
	s_waitcnt vmcnt(0)
	ds_write_b8 v1, v44 offset:15872
	s_waitcnt lgkmcnt(0)
	s_barrier
.LBB143_6:
	s_andn2_b64 vcc, exec, s[10:11]
	s_sub_i32 s56, s8, s4
	s_cbranch_vccnz .LBB143_72
; %bb.7:
	v_cmp_gt_u32_e32 vcc, s56, v0
                                        ; implicit-def: $vgpr1
	s_and_saveexec_b64 s[4:5], vcc
	s_cbranch_execz .LBB143_9
; %bb.8:
	v_readfirstlane_b32 s8, v10
	v_readfirstlane_b32 s9, v11
	s_nop 4
	global_load_ubyte v1, v0, s[8:9]
.LBB143_9:
	s_or_b64 exec, exec, s[4:5]
	v_or_b32_e32 v2, 0x200, v0
	v_cmp_gt_u32_e32 vcc, s56, v2
                                        ; implicit-def: $vgpr3
	s_and_saveexec_b64 s[4:5], vcc
	s_cbranch_execz .LBB143_11
; %bb.10:
	v_readfirstlane_b32 s8, v10
	v_readfirstlane_b32 s9, v11
	s_nop 4
	global_load_ubyte v3, v0, s[8:9] offset:512
.LBB143_11:
	s_or_b64 exec, exec, s[4:5]
	v_or_b32_e32 v5, 0x400, v0
	v_cmp_gt_u32_e32 vcc, s56, v5
                                        ; implicit-def: $vgpr6
	s_and_saveexec_b64 s[4:5], vcc
	s_cbranch_execz .LBB143_13
; %bb.12:
	v_readfirstlane_b32 s8, v10
	v_readfirstlane_b32 s9, v11
	s_nop 4
	global_load_ubyte v6, v0, s[8:9] offset:1024
.LBB143_13:
	s_or_b64 exec, exec, s[4:5]
	v_or_b32_e32 v7, 0x600, v0
	v_cmp_gt_u32_e32 vcc, s56, v7
                                        ; implicit-def: $vgpr8
	s_and_saveexec_b64 s[4:5], vcc
	s_cbranch_execz .LBB143_15
; %bb.14:
	v_readfirstlane_b32 s8, v10
	v_readfirstlane_b32 s9, v11
	s_nop 4
	global_load_ubyte v8, v0, s[8:9] offset:1536
.LBB143_15:
	s_or_b64 exec, exec, s[4:5]
	v_or_b32_e32 v9, 0x800, v0
	v_cmp_gt_u32_e32 vcc, s56, v9
                                        ; implicit-def: $vgpr12
	s_and_saveexec_b64 s[4:5], vcc
	s_cbranch_execz .LBB143_17
; %bb.16:
	v_readfirstlane_b32 s8, v10
	v_readfirstlane_b32 s9, v11
	s_nop 4
	global_load_ubyte v12, v0, s[8:9] offset:2048
.LBB143_17:
	s_or_b64 exec, exec, s[4:5]
	v_or_b32_e32 v13, 0xa00, v0
	v_cmp_gt_u32_e32 vcc, s56, v13
                                        ; implicit-def: $vgpr14
	s_and_saveexec_b64 s[4:5], vcc
	s_cbranch_execz .LBB143_19
; %bb.18:
	v_readfirstlane_b32 s8, v10
	v_readfirstlane_b32 s9, v11
	s_nop 4
	global_load_ubyte v14, v0, s[8:9] offset:2560
.LBB143_19:
	s_or_b64 exec, exec, s[4:5]
	v_or_b32_e32 v15, 0xc00, v0
	v_cmp_gt_u32_e32 vcc, s56, v15
                                        ; implicit-def: $vgpr16
	s_and_saveexec_b64 s[4:5], vcc
	s_cbranch_execz .LBB143_21
; %bb.20:
	v_readfirstlane_b32 s8, v10
	v_readfirstlane_b32 s9, v11
	s_nop 4
	global_load_ubyte v16, v0, s[8:9] offset:3072
.LBB143_21:
	s_or_b64 exec, exec, s[4:5]
	v_or_b32_e32 v17, 0xe00, v0
	v_cmp_gt_u32_e32 vcc, s56, v17
                                        ; implicit-def: $vgpr18
	s_and_saveexec_b64 s[4:5], vcc
	s_cbranch_execz .LBB143_23
; %bb.22:
	v_readfirstlane_b32 s8, v10
	v_readfirstlane_b32 s9, v11
	s_nop 4
	global_load_ubyte v18, v0, s[8:9] offset:3584
.LBB143_23:
	s_or_b64 exec, exec, s[4:5]
	v_or_b32_e32 v19, 0x1000, v0
	v_cmp_gt_u32_e32 vcc, s56, v19
                                        ; implicit-def: $vgpr20
	s_and_saveexec_b64 s[4:5], vcc
	s_cbranch_execz .LBB143_25
; %bb.24:
	v_readfirstlane_b32 s8, v10
	v_readfirstlane_b32 s9, v11
	s_nop 4
	global_load_ubyte v20, v19, s[8:9]
.LBB143_25:
	s_or_b64 exec, exec, s[4:5]
	v_or_b32_e32 v21, 0x1200, v0
	v_cmp_gt_u32_e32 vcc, s56, v21
                                        ; implicit-def: $vgpr22
	s_and_saveexec_b64 s[4:5], vcc
	s_cbranch_execz .LBB143_27
; %bb.26:
	v_readfirstlane_b32 s8, v10
	v_readfirstlane_b32 s9, v11
	s_nop 4
	global_load_ubyte v22, v21, s[8:9]
.LBB143_27:
	s_or_b64 exec, exec, s[4:5]
	v_or_b32_e32 v23, 0x1400, v0
	v_cmp_gt_u32_e32 vcc, s56, v23
                                        ; implicit-def: $vgpr24
	s_and_saveexec_b64 s[4:5], vcc
	s_cbranch_execz .LBB143_29
; %bb.28:
	v_readfirstlane_b32 s8, v10
	v_readfirstlane_b32 s9, v11
	s_nop 4
	global_load_ubyte v24, v23, s[8:9]
.LBB143_29:
	s_or_b64 exec, exec, s[4:5]
	v_or_b32_e32 v25, 0x1600, v0
	v_cmp_gt_u32_e32 vcc, s56, v25
                                        ; implicit-def: $vgpr26
	s_and_saveexec_b64 s[4:5], vcc
	s_cbranch_execz .LBB143_31
; %bb.30:
	v_readfirstlane_b32 s8, v10
	v_readfirstlane_b32 s9, v11
	s_nop 4
	global_load_ubyte v26, v25, s[8:9]
.LBB143_31:
	s_or_b64 exec, exec, s[4:5]
	v_or_b32_e32 v27, 0x1800, v0
	v_cmp_gt_u32_e32 vcc, s56, v27
                                        ; implicit-def: $vgpr28
	s_and_saveexec_b64 s[4:5], vcc
	s_cbranch_execz .LBB143_33
; %bb.32:
	v_readfirstlane_b32 s8, v10
	v_readfirstlane_b32 s9, v11
	s_nop 4
	global_load_ubyte v28, v27, s[8:9]
.LBB143_33:
	s_or_b64 exec, exec, s[4:5]
	v_or_b32_e32 v29, 0x1a00, v0
	v_cmp_gt_u32_e32 vcc, s56, v29
                                        ; implicit-def: $vgpr30
	s_and_saveexec_b64 s[4:5], vcc
	s_cbranch_execz .LBB143_35
; %bb.34:
	v_readfirstlane_b32 s8, v10
	v_readfirstlane_b32 s9, v11
	s_nop 4
	global_load_ubyte v30, v29, s[8:9]
.LBB143_35:
	s_or_b64 exec, exec, s[4:5]
	v_or_b32_e32 v31, 0x1c00, v0
	v_cmp_gt_u32_e32 vcc, s56, v31
                                        ; implicit-def: $vgpr32
	s_and_saveexec_b64 s[4:5], vcc
	s_cbranch_execz .LBB143_37
; %bb.36:
	v_readfirstlane_b32 s8, v10
	v_readfirstlane_b32 s9, v11
	s_nop 4
	global_load_ubyte v32, v31, s[8:9]
.LBB143_37:
	s_or_b64 exec, exec, s[4:5]
	v_or_b32_e32 v33, 0x1e00, v0
	v_cmp_gt_u32_e32 vcc, s56, v33
                                        ; implicit-def: $vgpr34
	s_and_saveexec_b64 s[4:5], vcc
	s_cbranch_execz .LBB143_39
; %bb.38:
	v_readfirstlane_b32 s8, v10
	v_readfirstlane_b32 s9, v11
	s_nop 4
	global_load_ubyte v34, v33, s[8:9]
.LBB143_39:
	s_or_b64 exec, exec, s[4:5]
	v_or_b32_e32 v35, 0x2000, v0
	v_cmp_gt_u32_e32 vcc, s56, v35
                                        ; implicit-def: $vgpr36
	s_and_saveexec_b64 s[4:5], vcc
	s_cbranch_execz .LBB143_41
; %bb.40:
	v_readfirstlane_b32 s8, v10
	v_readfirstlane_b32 s9, v11
	s_nop 4
	global_load_ubyte v36, v35, s[8:9]
.LBB143_41:
	s_or_b64 exec, exec, s[4:5]
	v_or_b32_e32 v37, 0x2200, v0
	v_cmp_gt_u32_e32 vcc, s56, v37
                                        ; implicit-def: $vgpr38
	s_and_saveexec_b64 s[4:5], vcc
	s_cbranch_execz .LBB143_43
; %bb.42:
	v_readfirstlane_b32 s8, v10
	v_readfirstlane_b32 s9, v11
	s_nop 4
	global_load_ubyte v38, v37, s[8:9]
.LBB143_43:
	s_or_b64 exec, exec, s[4:5]
	v_or_b32_e32 v39, 0x2400, v0
	v_cmp_gt_u32_e32 vcc, s56, v39
                                        ; implicit-def: $vgpr40
	s_and_saveexec_b64 s[4:5], vcc
	s_cbranch_execz .LBB143_45
; %bb.44:
	v_readfirstlane_b32 s8, v10
	v_readfirstlane_b32 s9, v11
	s_nop 4
	global_load_ubyte v40, v39, s[8:9]
.LBB143_45:
	s_or_b64 exec, exec, s[4:5]
	v_or_b32_e32 v41, 0x2600, v0
	v_cmp_gt_u32_e32 vcc, s56, v41
                                        ; implicit-def: $vgpr42
	s_and_saveexec_b64 s[4:5], vcc
	s_cbranch_execz .LBB143_47
; %bb.46:
	v_readfirstlane_b32 s8, v10
	v_readfirstlane_b32 s9, v11
	s_nop 4
	global_load_ubyte v42, v41, s[8:9]
.LBB143_47:
	s_or_b64 exec, exec, s[4:5]
	v_or_b32_e32 v43, 0x2800, v0
	v_cmp_gt_u32_e32 vcc, s56, v43
                                        ; implicit-def: $vgpr44
	s_and_saveexec_b64 s[4:5], vcc
	s_cbranch_execz .LBB143_49
; %bb.48:
	v_readfirstlane_b32 s8, v10
	v_readfirstlane_b32 s9, v11
	s_nop 4
	global_load_ubyte v44, v43, s[8:9]
.LBB143_49:
	s_or_b64 exec, exec, s[4:5]
	v_or_b32_e32 v45, 0x2a00, v0
	v_cmp_gt_u32_e32 vcc, s56, v45
                                        ; implicit-def: $vgpr46
	s_and_saveexec_b64 s[4:5], vcc
	s_cbranch_execz .LBB143_51
; %bb.50:
	v_readfirstlane_b32 s8, v10
	v_readfirstlane_b32 s9, v11
	s_nop 4
	global_load_ubyte v46, v45, s[8:9]
.LBB143_51:
	s_or_b64 exec, exec, s[4:5]
	v_or_b32_e32 v47, 0x2c00, v0
	v_cmp_gt_u32_e32 vcc, s56, v47
                                        ; implicit-def: $vgpr48
	s_and_saveexec_b64 s[4:5], vcc
	s_cbranch_execz .LBB143_53
; %bb.52:
	v_readfirstlane_b32 s8, v10
	v_readfirstlane_b32 s9, v11
	s_nop 4
	global_load_ubyte v48, v47, s[8:9]
.LBB143_53:
	s_or_b64 exec, exec, s[4:5]
	v_or_b32_e32 v49, 0x2e00, v0
	v_cmp_gt_u32_e32 vcc, s56, v49
                                        ; implicit-def: $vgpr50
	s_and_saveexec_b64 s[4:5], vcc
	s_cbranch_execz .LBB143_55
; %bb.54:
	v_readfirstlane_b32 s8, v10
	v_readfirstlane_b32 s9, v11
	s_nop 4
	global_load_ubyte v50, v49, s[8:9]
.LBB143_55:
	s_or_b64 exec, exec, s[4:5]
	v_or_b32_e32 v51, 0x3000, v0
	v_cmp_gt_u32_e32 vcc, s56, v51
                                        ; implicit-def: $vgpr52
	s_and_saveexec_b64 s[4:5], vcc
	s_cbranch_execz .LBB143_57
; %bb.56:
	v_readfirstlane_b32 s8, v10
	v_readfirstlane_b32 s9, v11
	s_nop 4
	global_load_ubyte v52, v51, s[8:9]
.LBB143_57:
	s_or_b64 exec, exec, s[4:5]
	v_or_b32_e32 v53, 0x3200, v0
	v_cmp_gt_u32_e32 vcc, s56, v53
                                        ; implicit-def: $vgpr54
	s_and_saveexec_b64 s[4:5], vcc
	s_cbranch_execz .LBB143_59
; %bb.58:
	v_readfirstlane_b32 s8, v10
	v_readfirstlane_b32 s9, v11
	s_nop 4
	global_load_ubyte v54, v53, s[8:9]
.LBB143_59:
	s_or_b64 exec, exec, s[4:5]
	v_or_b32_e32 v55, 0x3400, v0
	v_cmp_gt_u32_e32 vcc, s56, v55
                                        ; implicit-def: $vgpr56
	s_and_saveexec_b64 s[4:5], vcc
	s_cbranch_execz .LBB143_61
; %bb.60:
	v_readfirstlane_b32 s8, v10
	v_readfirstlane_b32 s9, v11
	s_nop 4
	global_load_ubyte v56, v55, s[8:9]
.LBB143_61:
	s_or_b64 exec, exec, s[4:5]
	v_or_b32_e32 v57, 0x3600, v0
	v_cmp_gt_u32_e32 vcc, s56, v57
                                        ; implicit-def: $vgpr58
	s_and_saveexec_b64 s[4:5], vcc
	s_cbranch_execz .LBB143_63
; %bb.62:
	v_readfirstlane_b32 s8, v10
	v_readfirstlane_b32 s9, v11
	s_nop 4
	global_load_ubyte v58, v57, s[8:9]
.LBB143_63:
	s_or_b64 exec, exec, s[4:5]
	v_or_b32_e32 v59, 0x3800, v0
	v_cmp_gt_u32_e32 vcc, s56, v59
                                        ; implicit-def: $vgpr60
	s_and_saveexec_b64 s[4:5], vcc
	s_cbranch_execz .LBB143_65
; %bb.64:
	v_readfirstlane_b32 s8, v10
	v_readfirstlane_b32 s9, v11
	s_nop 4
	global_load_ubyte v60, v59, s[8:9]
.LBB143_65:
	s_or_b64 exec, exec, s[4:5]
	v_or_b32_e32 v61, 0x3a00, v0
	v_cmp_gt_u32_e32 vcc, s56, v61
                                        ; implicit-def: $vgpr62
	s_and_saveexec_b64 s[4:5], vcc
	s_cbranch_execz .LBB143_67
; %bb.66:
	v_readfirstlane_b32 s8, v10
	v_readfirstlane_b32 s9, v11
	s_nop 4
	global_load_ubyte v62, v61, s[8:9]
.LBB143_67:
	s_or_b64 exec, exec, s[4:5]
	v_or_b32_e32 v63, 0x3c00, v0
	v_cmp_gt_u32_e32 vcc, s56, v63
                                        ; implicit-def: $vgpr64
	s_and_saveexec_b64 s[4:5], vcc
	s_cbranch_execz .LBB143_69
; %bb.68:
	v_readfirstlane_b32 s8, v10
	v_readfirstlane_b32 s9, v11
	s_nop 4
	global_load_ubyte v64, v63, s[8:9]
.LBB143_69:
	s_or_b64 exec, exec, s[4:5]
	v_or_b32_e32 v65, 0x3e00, v0
	v_cmp_gt_u32_e32 vcc, s56, v65
                                        ; implicit-def: $vgpr66
	s_and_saveexec_b64 s[4:5], vcc
	s_cbranch_execz .LBB143_71
; %bb.70:
	v_readfirstlane_b32 s8, v10
	v_readfirstlane_b32 s9, v11
	s_nop 4
	global_load_ubyte v66, v65, s[8:9]
.LBB143_71:
	s_or_b64 exec, exec, s[4:5]
	v_and_b32_e32 v4, 12, v4
	v_add_u32_e32 v4, v4, v0
	s_waitcnt vmcnt(0)
	ds_write_b8 v4, v1
	v_lshrrev_b32_e32 v1, 5, v2
	v_and_b32_e32 v1, 28, v1
	v_add_u32_e32 v1, v1, v0
	ds_write_b8 v1, v3 offset:512
	v_lshrrev_b32_e32 v1, 5, v5
	v_and_b32_e32 v1, 60, v1
	v_add_u32_e32 v1, v1, v0
	ds_write_b8 v1, v6 offset:1024
	;; [unrolled: 4-line block ×31, first 2 shown]
	s_waitcnt lgkmcnt(0)
	s_barrier
.LBB143_72:
	v_lshlrev_b32_e32 v12, 5, v0
	v_and_b32_e32 v1, 0x1fc, v0
	v_add_u32_e32 v1, v1, v12
	ds_read2_b32 v[2:3], v1 offset0:6 offset1:7
	ds_read2_b32 v[8:9], v1 offset1:1
	ds_read2_b32 v[6:7], v1 offset0:2 offset1:3
	ds_read2_b32 v[4:5], v1 offset0:4 offset1:5
	s_cmp_lg_u32 s33, 0
	s_cselect_b64 s[16:17], -1, 0
	s_cmp_lg_u64 s[6:7], 0
	s_cselect_b64 s[6:7], -1, 0
	s_or_b64 s[6:7], s[6:7], s[16:17]
	s_waitcnt lgkmcnt(3)
	v_lshrrev_b32_e32 v24, 8, v2
	v_lshrrev_b32_e32 v23, 16, v2
	v_lshrrev_b32_e32 v22, 24, v2
	v_lshrrev_b32_e32 v21, 8, v3
	v_lshrrev_b32_e32 v20, 16, v3
	v_lshrrev_b32_e32 v1, 24, v3
	s_waitcnt lgkmcnt(2)
	v_lshrrev_b32_e32 v49, 8, v8
	v_lshrrev_b32_e32 v47, 16, v8
	v_lshrrev_b32_e32 v46, 24, v8
	v_lshrrev_b32_e32 v44, 8, v9
	v_lshrrev_b32_e32 v42, 16, v9
	v_lshrrev_b32_e32 v41, 24, v9
	;; [unrolled: 7-line block ×4, first 2 shown]
	s_mov_b64 s[4:5], 0
	s_and_b64 vcc, exec, s[6:7]
	s_barrier
	s_cbranch_vccz .LBB143_77
; %bb.73:
	global_load_ubyte v10, v[10:11], off offset:-1
	s_and_b64 vcc, exec, s[28:29]
	ds_write_b8 v0, v1
	s_cbranch_vccz .LBB143_79
; %bb.74:
	s_waitcnt vmcnt(0)
	v_mov_b32_e32 v11, v10
	s_waitcnt lgkmcnt(0)
	s_barrier
	s_and_saveexec_b64 s[4:5], s[2:3]
	s_cbranch_execz .LBB143_76
; %bb.75:
	v_add_u32_e32 v11, -1, v0
	ds_read_u8 v11, v11
.LBB143_76:
	s_or_b64 exec, exec, s[4:5]
	v_cmp_ne_u16_sdwa s[4:5], v20, v1 src0_sel:BYTE_0 src1_sel:DWORD
	s_waitcnt lgkmcnt(0)
	v_cmp_ne_u16_sdwa s[6:7], v11, v8 src0_sel:BYTE_0 src1_sel:BYTE_0
	v_cndmask_b32_e64 v33, 0, 1, s[4:5]
	v_cmp_ne_u16_sdwa s[4:5], v21, v20 src0_sel:BYTE_0 src1_sel:BYTE_0
	s_nop 1
	v_cndmask_b32_e64 v35, 0, 1, s[4:5]
	v_cmp_ne_u16_sdwa s[4:5], v3, v21 src0_sel:BYTE_0 src1_sel:BYTE_0
	s_nop 1
	v_cndmask_b32_e64 v38, 0, 1, s[4:5]
	v_cmp_ne_u16_sdwa s[4:5], v22, v3 src0_sel:DWORD src1_sel:BYTE_0
	s_nop 1
	v_cndmask_b32_e64 v40, 0, 1, s[4:5]
	v_cmp_ne_u16_sdwa s[4:5], v23, v22 src0_sel:BYTE_0 src1_sel:DWORD
	s_nop 1
	v_cndmask_b32_e64 v43, 0, 1, s[4:5]
	v_cmp_ne_u16_sdwa s[4:5], v24, v23 src0_sel:BYTE_0 src1_sel:BYTE_0
	s_nop 1
	v_cndmask_b32_e64 v45, 0, 1, s[4:5]
	v_cmp_ne_u16_sdwa s[4:5], v2, v24 src0_sel:BYTE_0 src1_sel:BYTE_0
	s_nop 1
	v_cndmask_b32_e64 v48, 0, 1, s[4:5]
	v_cmp_ne_u16_sdwa s[4:5], v25, v2 src0_sel:DWORD src1_sel:BYTE_0
	s_nop 1
	v_cndmask_b32_e64 v50, 0, 1, s[4:5]
	v_cmp_ne_u16_sdwa s[4:5], v26, v25 src0_sel:BYTE_0 src1_sel:DWORD
	s_nop 1
	;; [unrolled: 12-line block ×7, first 2 shown]
	v_cndmask_b32_e64 v71, 0, 1, s[4:5]
	v_cmp_ne_u16_sdwa s[4:5], v49, v47 src0_sel:BYTE_0 src1_sel:BYTE_0
	s_nop 1
	v_cndmask_b32_e64 v72, 0, 1, s[4:5]
	v_cmp_ne_u16_sdwa s[4:5], v8, v49 src0_sel:BYTE_0 src1_sel:BYTE_0
	s_nop 1
	v_cndmask_b32_e64 v73, 0, 1, s[4:5]
	s_branch .LBB143_83
.LBB143_77:
                                        ; implicit-def: $sgpr6_sgpr7
                                        ; implicit-def: $vgpr73
                                        ; implicit-def: $vgpr72
                                        ; implicit-def: $vgpr71
                                        ; implicit-def: $vgpr70
                                        ; implicit-def: $vgpr69
                                        ; implicit-def: $vgpr68
                                        ; implicit-def: $vgpr67
                                        ; implicit-def: $vgpr66
                                        ; implicit-def: $vgpr65
                                        ; implicit-def: $vgpr64
                                        ; implicit-def: $vgpr63
                                        ; implicit-def: $vgpr62
                                        ; implicit-def: $vgpr61
                                        ; implicit-def: $vgpr60
                                        ; implicit-def: $vgpr59
                                        ; implicit-def: $vgpr58
                                        ; implicit-def: $vgpr57
                                        ; implicit-def: $vgpr56
                                        ; implicit-def: $vgpr55
                                        ; implicit-def: $vgpr54
                                        ; implicit-def: $vgpr53
                                        ; implicit-def: $vgpr52
                                        ; implicit-def: $vgpr51
                                        ; implicit-def: $vgpr50
                                        ; implicit-def: $vgpr48
                                        ; implicit-def: $vgpr45
                                        ; implicit-def: $vgpr43
                                        ; implicit-def: $vgpr40
                                        ; implicit-def: $vgpr38
                                        ; implicit-def: $vgpr35
                                        ; implicit-def: $vgpr33
	s_branch .LBB143_84
.LBB143_78:
                                        ; implicit-def: $sgpr10
	v_mov_b32_e32 v74, s10
	s_and_saveexec_b64 s[2:3], s[4:5]
	s_cbranch_execnz .LBB143_92
	s_branch .LBB143_93
.LBB143_79:
                                        ; implicit-def: $sgpr6_sgpr7
                                        ; implicit-def: $vgpr73
                                        ; implicit-def: $vgpr72
                                        ; implicit-def: $vgpr71
                                        ; implicit-def: $vgpr70
                                        ; implicit-def: $vgpr69
                                        ; implicit-def: $vgpr68
                                        ; implicit-def: $vgpr67
                                        ; implicit-def: $vgpr66
                                        ; implicit-def: $vgpr65
                                        ; implicit-def: $vgpr64
                                        ; implicit-def: $vgpr63
                                        ; implicit-def: $vgpr62
                                        ; implicit-def: $vgpr61
                                        ; implicit-def: $vgpr60
                                        ; implicit-def: $vgpr59
                                        ; implicit-def: $vgpr58
                                        ; implicit-def: $vgpr57
                                        ; implicit-def: $vgpr56
                                        ; implicit-def: $vgpr55
                                        ; implicit-def: $vgpr54
                                        ; implicit-def: $vgpr53
                                        ; implicit-def: $vgpr52
                                        ; implicit-def: $vgpr51
                                        ; implicit-def: $vgpr50
                                        ; implicit-def: $vgpr48
                                        ; implicit-def: $vgpr45
                                        ; implicit-def: $vgpr43
                                        ; implicit-def: $vgpr40
                                        ; implicit-def: $vgpr38
                                        ; implicit-def: $vgpr35
                                        ; implicit-def: $vgpr33
	s_cbranch_execz .LBB143_83
; %bb.80:
	s_waitcnt lgkmcnt(0)
	s_barrier
	s_and_saveexec_b64 s[4:5], s[2:3]
	s_cbranch_execz .LBB143_82
; %bb.81:
	s_waitcnt vmcnt(0)
	v_add_u32_e32 v10, -1, v0
	ds_read_u8 v10, v10
.LBB143_82:
	s_or_b64 exec, exec, s[4:5]
	v_or_b32_e32 v11, 31, v12
	v_cmp_gt_u32_e32 vcc, s56, v11
	v_cmp_ne_u16_sdwa s[4:5], v20, v1 src0_sel:BYTE_0 src1_sel:BYTE_0
	s_and_b64 s[4:5], vcc, s[4:5]
	v_or_b32_e32 v11, 30, v12
	v_cndmask_b32_e64 v33, 0, 1, s[4:5]
	v_cmp_gt_u32_e32 vcc, s56, v11
	v_cmp_ne_u16_sdwa s[4:5], v21, v20 src0_sel:BYTE_0 src1_sel:BYTE_0
	s_and_b64 s[4:5], vcc, s[4:5]
	v_or_b32_e32 v11, 29, v12
	v_cndmask_b32_e64 v35, 0, 1, s[4:5]
	;; [unrolled: 5-line block ×30, first 2 shown]
	v_cmp_gt_u32_e32 vcc, s56, v11
	v_cmp_ne_u16_sdwa s[4:5], v8, v49 src0_sel:BYTE_0 src1_sel:BYTE_0
	s_and_b64 s[4:5], vcc, s[4:5]
	v_cmp_gt_u32_e32 vcc, s56, v12
	v_cndmask_b32_e64 v73, 0, 1, s[4:5]
	s_waitcnt vmcnt(0) lgkmcnt(0)
	v_cmp_ne_u16_sdwa s[4:5], v10, v8 src0_sel:BYTE_0 src1_sel:BYTE_0
	s_and_b64 s[6:7], vcc, s[4:5]
.LBB143_83:
	s_mov_b64 s[4:5], -1
	s_cbranch_execnz .LBB143_78
.LBB143_84:
	s_and_b64 vcc, exec, s[28:29]
	v_cmp_ne_u16_sdwa s[52:53], v21, v20 src0_sel:BYTE_0 src1_sel:BYTE_0
	v_cmp_ne_u16_sdwa s[54:55], v3, v21 src0_sel:BYTE_0 src1_sel:BYTE_0
	;; [unrolled: 1-line block ×16, first 2 shown]
	ds_write_b8 v0, v1
	s_cbranch_vccz .LBB143_88
; %bb.85:
	v_cndmask_b32_e64 v35, 0, 1, s[52:53]
	v_cmp_ne_u16_sdwa s[52:53], v22, v3 src0_sel:DWORD src1_sel:BYTE_0
	v_cndmask_b32_e64 v45, 0, 1, s[48:49]
	v_cmp_ne_u16_sdwa s[48:49], v25, v2 src0_sel:DWORD src1_sel:BYTE_0
	;; [unrolled: 2-line block ×7, first 2 shown]
	v_cmp_ne_u16_sdwa s[58:59], v20, v1 src0_sel:BYTE_0 src1_sel:DWORD
	v_cndmask_b32_e64 v40, 0, 1, s[52:53]
	v_cmp_ne_u16_sdwa s[52:53], v23, v22 src0_sel:BYTE_0 src1_sel:DWORD
	v_cndmask_b32_e64 v50, 0, 1, s[48:49]
	;; [unrolled: 2-line block ×8, first 2 shown]
	v_cndmask_b32_e64 v38, 0, 1, s[54:55]
	v_cndmask_b32_e64 v43, 0, 1, s[52:53]
	;; [unrolled: 1-line block ×16, first 2 shown]
	s_waitcnt lgkmcnt(0)
	s_barrier
	s_waitcnt lgkmcnt(0)
                                        ; implicit-def: $sgpr6_sgpr7
	s_and_saveexec_b64 s[8:9], s[2:3]
	s_xor_b64 s[8:9], exec, s[8:9]
	s_cbranch_execz .LBB143_87
; %bb.86:
	s_waitcnt vmcnt(0)
	v_add_u32_e32 v10, -1, v0
	ds_read_u8 v10, v10
	s_or_b64 s[4:5], s[4:5], exec
	s_waitcnt lgkmcnt(0)
	v_cmp_ne_u16_sdwa s[6:7], v10, v8 src0_sel:DWORD src1_sel:BYTE_0
	s_and_b64 s[6:7], s[6:7], exec
.LBB143_87:
	s_or_b64 exec, exec, s[8:9]
	s_mov_b32 s10, 1
	s_branch .LBB143_91
.LBB143_88:
                                        ; implicit-def: $sgpr6_sgpr7
                                        ; implicit-def: $vgpr73
                                        ; implicit-def: $vgpr72
                                        ; implicit-def: $vgpr71
                                        ; implicit-def: $vgpr70
                                        ; implicit-def: $vgpr69
                                        ; implicit-def: $vgpr68
                                        ; implicit-def: $vgpr67
                                        ; implicit-def: $vgpr66
                                        ; implicit-def: $vgpr65
                                        ; implicit-def: $vgpr64
                                        ; implicit-def: $vgpr63
                                        ; implicit-def: $vgpr62
                                        ; implicit-def: $vgpr61
                                        ; implicit-def: $vgpr60
                                        ; implicit-def: $vgpr59
                                        ; implicit-def: $vgpr58
                                        ; implicit-def: $vgpr57
                                        ; implicit-def: $vgpr56
                                        ; implicit-def: $vgpr55
                                        ; implicit-def: $vgpr54
                                        ; implicit-def: $vgpr53
                                        ; implicit-def: $vgpr52
                                        ; implicit-def: $vgpr51
                                        ; implicit-def: $vgpr50
                                        ; implicit-def: $vgpr48
                                        ; implicit-def: $vgpr45
                                        ; implicit-def: $vgpr43
                                        ; implicit-def: $vgpr40
                                        ; implicit-def: $vgpr38
                                        ; implicit-def: $vgpr35
                                        ; implicit-def: $vgpr33
                                        ; implicit-def: $sgpr10
	s_cbranch_execz .LBB143_91
; %bb.89:
	s_waitcnt vmcnt(0)
	v_or_b32_e32 v10, 31, v12
	v_cmp_gt_u32_e32 vcc, s56, v10
	v_cmp_ne_u16_sdwa s[6:7], v20, v1 src0_sel:BYTE_0 src1_sel:BYTE_0
	s_and_b64 s[6:7], vcc, s[6:7]
	v_or_b32_e32 v10, 30, v12
	v_cndmask_b32_e64 v33, 0, 1, s[6:7]
	v_cmp_gt_u32_e32 vcc, s56, v10
	v_cmp_ne_u16_sdwa s[6:7], v21, v20 src0_sel:BYTE_0 src1_sel:BYTE_0
	s_and_b64 s[6:7], vcc, s[6:7]
	v_or_b32_e32 v10, 29, v12
	v_cndmask_b32_e64 v35, 0, 1, s[6:7]
	;; [unrolled: 5-line block ×30, first 2 shown]
	v_cmp_gt_u32_e32 vcc, s56, v10
	v_cmp_ne_u16_sdwa s[6:7], v8, v49 src0_sel:BYTE_0 src1_sel:BYTE_0
	s_and_b64 s[6:7], vcc, s[6:7]
	s_mov_b32 s10, 1
	v_cndmask_b32_e64 v73, 0, 1, s[6:7]
	s_waitcnt lgkmcnt(0)
	s_barrier
	s_waitcnt lgkmcnt(0)
                                        ; implicit-def: $sgpr6_sgpr7
	s_and_saveexec_b64 s[8:9], s[2:3]
	s_cbranch_execz .LBB143_315
; %bb.90:
	v_add_u32_e32 v10, -1, v0
	ds_read_u8 v10, v10
	v_cmp_gt_u32_e32 vcc, s56, v12
	s_or_b64 s[4:5], s[4:5], exec
	s_waitcnt lgkmcnt(0)
	v_and_b32_e32 v10, 0xff, v10
	v_cmp_ne_u16_sdwa s[2:3], v10, v8 src0_sel:DWORD src1_sel:BYTE_0
	s_and_b64 s[2:3], vcc, s[2:3]
	s_and_b64 s[6:7], s[2:3], exec
	s_or_b64 exec, exec, s[8:9]
.LBB143_91:
	v_mov_b32_e32 v74, s10
	s_and_saveexec_b64 s[2:3], s[4:5]
.LBB143_92:
	v_cndmask_b32_e64 v74, 0, 1, s[6:7]
.LBB143_93:
	s_or_b64 exec, exec, s[2:3]
	s_andn2_b64 vcc, exec, s[0:1]
	s_cbranch_vccnz .LBB143_95
; %bb.94:
	v_cmp_gt_u32_e32 vcc, s56, v12
	s_waitcnt vmcnt(0)
	v_or_b32_e32 v10, 1, v12
	v_cndmask_b32_e32 v74, 0, v74, vcc
	v_cmp_gt_u32_e32 vcc, s56, v10
	v_or_b32_e32 v10, 2, v12
	s_nop 0
	v_cndmask_b32_e32 v73, 0, v73, vcc
	v_cmp_gt_u32_e32 vcc, s56, v10
	v_or_b32_e32 v10, 3, v12
	s_nop 0
	v_cndmask_b32_e32 v72, 0, v72, vcc
	v_cmp_gt_u32_e32 vcc, s56, v10
	v_or_b32_e32 v10, 4, v12
	s_nop 0
	v_cndmask_b32_e32 v71, 0, v71, vcc
	v_cmp_gt_u32_e32 vcc, s56, v10
	v_or_b32_e32 v10, 5, v12
	s_nop 0
	v_cndmask_b32_e32 v70, 0, v70, vcc
	v_cmp_gt_u32_e32 vcc, s56, v10
	v_or_b32_e32 v10, 6, v12
	s_nop 0
	v_cndmask_b32_e32 v69, 0, v69, vcc
	v_cmp_gt_u32_e32 vcc, s56, v10
	v_or_b32_e32 v10, 7, v12
	s_nop 0
	v_cndmask_b32_e32 v68, 0, v68, vcc
	v_cmp_gt_u32_e32 vcc, s56, v10
	v_or_b32_e32 v10, 8, v12
	s_nop 0
	v_cndmask_b32_e32 v67, 0, v67, vcc
	v_cmp_gt_u32_e32 vcc, s56, v10
	v_or_b32_e32 v10, 9, v12
	s_nop 0
	v_cndmask_b32_e32 v66, 0, v66, vcc
	v_cmp_gt_u32_e32 vcc, s56, v10
	v_or_b32_e32 v10, 10, v12
	s_nop 0
	v_cndmask_b32_e32 v65, 0, v65, vcc
	v_cmp_gt_u32_e32 vcc, s56, v10
	v_or_b32_e32 v10, 11, v12
	s_nop 0
	v_cndmask_b32_e32 v64, 0, v64, vcc
	v_cmp_gt_u32_e32 vcc, s56, v10
	v_or_b32_e32 v10, 12, v12
	s_nop 0
	v_cndmask_b32_e32 v63, 0, v63, vcc
	v_cmp_gt_u32_e32 vcc, s56, v10
	v_or_b32_e32 v10, 13, v12
	s_nop 0
	v_cndmask_b32_e32 v62, 0, v62, vcc
	v_cmp_gt_u32_e32 vcc, s56, v10
	v_or_b32_e32 v10, 14, v12
	s_nop 0
	v_cndmask_b32_e32 v61, 0, v61, vcc
	v_cmp_gt_u32_e32 vcc, s56, v10
	v_or_b32_e32 v10, 15, v12
	s_nop 0
	v_cndmask_b32_e32 v60, 0, v60, vcc
	v_cmp_gt_u32_e32 vcc, s56, v10
	v_or_b32_e32 v10, 16, v12
	s_nop 0
	v_cndmask_b32_e32 v59, 0, v59, vcc
	v_cmp_gt_u32_e32 vcc, s56, v10
	v_or_b32_e32 v10, 17, v12
	s_nop 0
	v_cndmask_b32_e32 v58, 0, v58, vcc
	v_cmp_gt_u32_e32 vcc, s56, v10
	v_or_b32_e32 v10, 18, v12
	s_nop 0
	v_cndmask_b32_e32 v57, 0, v57, vcc
	v_cmp_gt_u32_e32 vcc, s56, v10
	v_or_b32_e32 v10, 19, v12
	s_nop 0
	v_cndmask_b32_e32 v56, 0, v56, vcc
	v_cmp_gt_u32_e32 vcc, s56, v10
	v_or_b32_e32 v10, 20, v12
	s_nop 0
	v_cndmask_b32_e32 v55, 0, v55, vcc
	v_cmp_gt_u32_e32 vcc, s56, v10
	v_or_b32_e32 v10, 21, v12
	s_nop 0
	v_cndmask_b32_e32 v54, 0, v54, vcc
	v_cmp_gt_u32_e32 vcc, s56, v10
	v_or_b32_e32 v10, 22, v12
	s_nop 0
	v_cndmask_b32_e32 v53, 0, v53, vcc
	v_cmp_gt_u32_e32 vcc, s56, v10
	v_or_b32_e32 v10, 23, v12
	s_nop 0
	v_cndmask_b32_e32 v52, 0, v52, vcc
	v_cmp_gt_u32_e32 vcc, s56, v10
	v_or_b32_e32 v10, 24, v12
	s_nop 0
	v_cndmask_b32_e32 v51, 0, v51, vcc
	v_cmp_gt_u32_e32 vcc, s56, v10
	v_or_b32_e32 v10, 25, v12
	s_nop 0
	v_cndmask_b32_e32 v50, 0, v50, vcc
	v_cmp_gt_u32_e32 vcc, s56, v10
	v_or_b32_e32 v10, 26, v12
	s_nop 0
	v_cndmask_b32_e32 v48, 0, v48, vcc
	v_cmp_gt_u32_e32 vcc, s56, v10
	v_or_b32_e32 v10, 27, v12
	s_nop 0
	v_cndmask_b32_e32 v45, 0, v45, vcc
	v_cmp_gt_u32_e32 vcc, s56, v10
	v_or_b32_e32 v10, 28, v12
	s_nop 0
	v_cndmask_b32_e32 v43, 0, v43, vcc
	v_cmp_gt_u32_e32 vcc, s56, v10
	v_or_b32_e32 v10, 29, v12
	s_nop 0
	v_cndmask_b32_e32 v40, 0, v40, vcc
	v_cmp_gt_u32_e32 vcc, s56, v10
	v_or_b32_e32 v10, 30, v12
	s_nop 0
	v_cndmask_b32_e32 v38, 0, v38, vcc
	v_cmp_gt_u32_e32 vcc, s56, v10
	v_or_b32_e32 v10, 31, v12
	s_nop 0
	v_cndmask_b32_e32 v35, 0, v35, vcc
	v_cmp_gt_u32_e32 vcc, s56, v10
	s_nop 1
	v_cndmask_b32_e32 v33, 0, v33, vcc
.LBB143_95:
	v_and_b32_e32 v115, 0xff, v40
	v_and_b32_e32 v116, 0xff, v38
	s_waitcnt vmcnt(0)
	v_add_u32_sdwa v10, v35, v33 dst_sel:DWORD dst_unused:UNUSED_PAD src0_sel:BYTE_0 src1_sel:BYTE_0
	v_and_b32_e32 v113, 0xff, v45
	v_and_b32_e32 v114, 0xff, v43
	v_add3_u32 v10, v10, v116, v115
	v_and_b32_e32 v111, 0xff, v50
	v_and_b32_e32 v112, 0xff, v48
	v_add3_u32 v10, v10, v114, v113
	;; [unrolled: 3-line block ×14, first 2 shown]
	v_add3_u32 v89, v10, v76, v75
	v_mbcnt_lo_u32_b32 v10, -1, 0
	v_mbcnt_hi_u32_b32 v87, -1, v10
	v_and_b32_e32 v10, 15, v87
	v_cmp_eq_u32_e64 s[14:15], 0, v10
	v_cmp_lt_u32_e64 s[12:13], 1, v10
	v_cmp_lt_u32_e64 s[10:11], 3, v10
	;; [unrolled: 1-line block ×3, first 2 shown]
	v_and_b32_e32 v10, 16, v87
	v_cmp_eq_u32_e64 s[6:7], 0, v10
	v_or_b32_e32 v10, 63, v0
	v_cmp_lt_u32_e64 s[2:3], 31, v87
	v_lshrrev_b32_e32 v88, 6, v0
	v_cmp_eq_u32_e64 s[4:5], v10, v0
	s_and_b64 vcc, exec, s[16:17]
	s_waitcnt lgkmcnt(0)
	s_barrier
	s_cbranch_vccz .LBB143_126
; %bb.96:
	v_mov_b32_dpp v10, v89 row_shr:1 row_mask:0xf bank_mask:0xf
	v_cndmask_b32_e64 v10, v10, 0, s[14:15]
	v_add_u32_e32 v10, v10, v89
	s_nop 1
	v_mov_b32_dpp v11, v10 row_shr:2 row_mask:0xf bank_mask:0xf
	v_cndmask_b32_e64 v11, 0, v11, s[12:13]
	v_add_u32_e32 v10, v10, v11
	s_nop 1
	;; [unrolled: 4-line block ×4, first 2 shown]
	v_mov_b32_dpp v11, v10 row_bcast:15 row_mask:0xf bank_mask:0xf
	v_cndmask_b32_e64 v11, v11, 0, s[6:7]
	v_add_u32_e32 v10, v10, v11
	s_nop 1
	v_mov_b32_dpp v11, v10 row_bcast:31 row_mask:0xf bank_mask:0xf
	v_cndmask_b32_e64 v11, 0, v11, s[2:3]
	v_add_u32_e32 v10, v10, v11
	s_and_saveexec_b64 s[0:1], s[4:5]
	s_cbranch_execz .LBB143_98
; %bb.97:
	v_lshlrev_b32_e32 v11, 2, v88
	ds_write_b32 v11, v10
.LBB143_98:
	s_or_b64 exec, exec, s[0:1]
	v_cmp_gt_u32_e32 vcc, 8, v0
	s_waitcnt lgkmcnt(0)
	s_barrier
	s_and_saveexec_b64 s[0:1], vcc
	s_cbranch_execz .LBB143_100
; %bb.99:
	v_lshlrev_b32_e32 v11, 2, v0
	ds_read_b32 v12, v11
	v_and_b32_e32 v13, 7, v87
	v_cmp_ne_u32_e32 vcc, 0, v13
	s_waitcnt lgkmcnt(0)
	v_mov_b32_dpp v14, v12 row_shr:1 row_mask:0xf bank_mask:0xf
	v_cndmask_b32_e32 v14, 0, v14, vcc
	v_add_u32_e32 v12, v14, v12
	v_cmp_lt_u32_e32 vcc, 1, v13
	s_nop 0
	v_mov_b32_dpp v14, v12 row_shr:2 row_mask:0xf bank_mask:0xf
	v_cndmask_b32_e32 v14, 0, v14, vcc
	v_add_u32_e32 v12, v12, v14
	v_cmp_lt_u32_e32 vcc, 3, v13
	s_nop 0
	v_mov_b32_dpp v14, v12 row_shr:4 row_mask:0xf bank_mask:0xf
	v_cndmask_b32_e32 v13, 0, v14, vcc
	v_add_u32_e32 v12, v12, v13
	ds_write_b32 v11, v12
.LBB143_100:
	s_or_b64 exec, exec, s[0:1]
	v_cmp_gt_u32_e32 vcc, 64, v0
	v_cmp_lt_u32_e64 s[0:1], 63, v0
	s_waitcnt lgkmcnt(0)
	s_barrier
	s_waitcnt lgkmcnt(0)
                                        ; implicit-def: $vgpr90
	s_and_saveexec_b64 s[16:17], s[0:1]
	s_cbranch_execz .LBB143_102
; %bb.101:
	v_lshl_add_u32 v11, v88, 2, -4
	ds_read_b32 v90, v11
	s_waitcnt lgkmcnt(0)
	v_add_u32_e32 v10, v90, v10
.LBB143_102:
	s_or_b64 exec, exec, s[16:17]
	v_add_u32_e32 v11, -1, v87
	v_and_b32_e32 v12, 64, v87
	v_cmp_lt_i32_e64 s[0:1], v11, v12
	v_cmp_eq_u32_e64 s[16:17], 0, v87
	s_nop 0
	v_cndmask_b32_e64 v11, v11, v87, s[0:1]
	v_lshlrev_b32_e32 v11, 2, v11
	ds_bpermute_b32 v91, v11, v10
	s_and_saveexec_b64 s[0:1], vcc
	s_cbranch_execz .LBB143_125
; %bb.103:
	v_mov_b32_e32 v19, 0
	ds_read_b32 v10, v19 offset:28
	s_and_saveexec_b64 s[34:35], s[16:17]
	s_cbranch_execz .LBB143_105
; %bb.104:
	s_add_i32 s36, s33, 64
	s_mov_b32 s37, 0
	s_lshl_b64 s[36:37], s[36:37], 3
	s_add_u32 s36, s30, s36
	v_mov_b32_e32 v11, 1
	s_addc_u32 s37, s31, s37
	s_waitcnt lgkmcnt(0)
	global_store_dwordx2 v19, v[10:11], s[36:37] sc1
.LBB143_105:
	s_or_b64 exec, exec, s[34:35]
	v_xad_u32 v12, v87, -1, s33
	v_add_u32_e32 v18, 64, v12
	v_lshl_add_u64 v[14:15], v[18:19], 3, s[30:31]
	global_load_dwordx2 v[16:17], v[14:15], off sc1
	s_waitcnt vmcnt(0)
	v_cmp_eq_u16_sdwa s[36:37], v17, v19 src0_sel:BYTE_0 src1_sel:DWORD
	s_and_saveexec_b64 s[34:35], s[36:37]
	s_cbranch_execz .LBB143_111
; %bb.106:
	s_mov_b32 s38, 1
	s_mov_b64 s[36:37], 0
	v_mov_b32_e32 v11, 0
.LBB143_107:                            ; =>This Loop Header: Depth=1
                                        ;     Child Loop BB143_108 Depth 2
	s_max_u32 s39, s38, 1
.LBB143_108:                            ;   Parent Loop BB143_107 Depth=1
                                        ; =>  This Inner Loop Header: Depth=2
	s_add_i32 s39, s39, -1
	s_cmp_eq_u32 s39, 0
	s_sleep 1
	s_cbranch_scc0 .LBB143_108
; %bb.109:                              ;   in Loop: Header=BB143_107 Depth=1
	global_load_dwordx2 v[16:17], v[14:15], off sc1
	s_cmp_lt_u32 s38, 32
	s_cselect_b64 s[40:41], -1, 0
	s_cmp_lg_u64 s[40:41], 0
	s_addc_u32 s38, s38, 0
	s_waitcnt vmcnt(0)
	v_cmp_ne_u16_sdwa s[40:41], v17, v11 src0_sel:BYTE_0 src1_sel:DWORD
	s_or_b64 s[36:37], s[40:41], s[36:37]
	s_andn2_b64 exec, exec, s[36:37]
	s_cbranch_execnz .LBB143_107
; %bb.110:
	s_or_b64 exec, exec, s[36:37]
.LBB143_111:
	s_or_b64 exec, exec, s[34:35]
	v_and_b32_e32 v93, 63, v87
	v_mov_b32_e32 v92, 2
	v_cmp_ne_u32_e32 vcc, 63, v93
	v_cmp_eq_u16_sdwa s[34:35], v17, v92 src0_sel:BYTE_0 src1_sel:DWORD
	v_lshlrev_b64 v[14:15], v87, -1
	v_addc_co_u32_e32 v18, vcc, 0, v87, vcc
	v_and_b32_e32 v11, s35, v15
	v_lshlrev_b32_e32 v94, 2, v18
	v_or_b32_e32 v11, 0x80000000, v11
	ds_bpermute_b32 v18, v94, v16
	v_and_b32_e32 v13, s34, v14
	v_ffbl_b32_e32 v11, v11
	v_add_u32_e32 v11, 32, v11
	v_ffbl_b32_e32 v13, v13
	v_min_u32_e32 v11, v13, v11
	v_cmp_lt_u32_e32 vcc, v93, v11
	v_add_u32_e32 v96, 2, v93
	v_add_u32_e32 v98, 4, v93
	s_waitcnt lgkmcnt(0)
	v_cndmask_b32_e32 v13, 0, v18, vcc
	v_cmp_gt_u32_e32 vcc, 62, v93
	v_add_u32_e32 v13, v13, v16
	v_add_u32_e32 v118, 8, v93
	v_cndmask_b32_e64 v16, 0, 1, vcc
	v_lshlrev_b32_e32 v16, 1, v16
	v_add_lshl_u32 v95, v16, v87, 2
	ds_bpermute_b32 v16, v95, v13
	v_cmp_le_u32_e32 vcc, v96, v11
	v_add_u32_e32 v120, 16, v93
	v_add_u32_e32 v122, 32, v93
	s_waitcnt lgkmcnt(0)
	v_cndmask_b32_e32 v16, 0, v16, vcc
	v_cmp_gt_u32_e32 vcc, 60, v93
	v_add_u32_e32 v13, v13, v16
	s_nop 0
	v_cndmask_b32_e64 v16, 0, 1, vcc
	v_lshlrev_b32_e32 v16, 2, v16
	v_add_lshl_u32 v97, v16, v87, 2
	ds_bpermute_b32 v16, v97, v13
	v_cmp_le_u32_e32 vcc, v98, v11
	s_waitcnt lgkmcnt(0)
	s_nop 0
	v_cndmask_b32_e32 v16, 0, v16, vcc
	v_cmp_gt_u32_e32 vcc, 56, v93
	v_add_u32_e32 v13, v13, v16
	s_nop 0
	v_cndmask_b32_e64 v16, 0, 1, vcc
	v_lshlrev_b32_e32 v16, 3, v16
	v_add_lshl_u32 v117, v16, v87, 2
	ds_bpermute_b32 v16, v117, v13
	v_cmp_le_u32_e32 vcc, v118, v11
	s_waitcnt lgkmcnt(0)
	s_nop 0
	;; [unrolled: 11-line block ×4, first 2 shown]
	v_cndmask_b32_e32 v11, 0, v16, vcc
	v_add_u32_e32 v16, v13, v11
	v_mov_b32_e32 v13, 0
	s_branch .LBB143_113
.LBB143_112:                            ;   in Loop: Header=BB143_113 Depth=1
	s_or_b64 exec, exec, s[34:35]
	v_cmp_eq_u16_sdwa s[34:35], v17, v92 src0_sel:BYTE_0 src1_sel:DWORD
	ds_bpermute_b32 v123, v94, v16
	v_subrev_u32_e32 v12, 64, v12
	v_and_b32_e32 v18, s35, v15
	v_or_b32_e32 v18, 0x80000000, v18
	v_and_b32_e32 v19, s34, v14
	v_ffbl_b32_e32 v18, v18
	v_add_u32_e32 v18, 32, v18
	v_ffbl_b32_e32 v19, v19
	v_min_u32_e32 v18, v19, v18
	v_cmp_lt_u32_e32 vcc, v93, v18
	s_waitcnt lgkmcnt(0)
	s_nop 0
	v_cndmask_b32_e32 v19, 0, v123, vcc
	v_add_u32_e32 v16, v19, v16
	ds_bpermute_b32 v19, v95, v16
	v_cmp_le_u32_e32 vcc, v96, v18
	s_waitcnt lgkmcnt(0)
	s_nop 0
	v_cndmask_b32_e32 v19, 0, v19, vcc
	v_add_u32_e32 v16, v16, v19
	ds_bpermute_b32 v19, v97, v16
	v_cmp_le_u32_e32 vcc, v98, v18
	;; [unrolled: 6-line block ×5, first 2 shown]
	s_waitcnt lgkmcnt(0)
	s_nop 0
	v_cndmask_b32_e32 v18, 0, v19, vcc
	v_add3_u32 v16, v18, v11, v16
.LBB143_113:                            ; =>This Loop Header: Depth=1
                                        ;     Child Loop BB143_116 Depth 2
                                        ;       Child Loop BB143_117 Depth 3
	v_cmp_ne_u16_sdwa s[34:35], v17, v92 src0_sel:BYTE_0 src1_sel:DWORD
	s_nop 1
	v_cndmask_b32_e64 v11, 0, 1, s[34:35]
	;;#ASMSTART
	;;#ASMEND
	s_nop 0
	v_cmp_ne_u32_e32 vcc, 0, v11
	s_cmp_lg_u64 vcc, exec
	v_mov_b32_e32 v11, v16
	s_cbranch_scc1 .LBB143_120
; %bb.114:                              ;   in Loop: Header=BB143_113 Depth=1
	v_lshl_add_u64 v[18:19], v[12:13], 3, s[30:31]
	global_load_dwordx2 v[16:17], v[18:19], off sc1
	s_waitcnt vmcnt(0)
	v_cmp_eq_u16_sdwa s[36:37], v17, v13 src0_sel:BYTE_0 src1_sel:DWORD
	s_and_saveexec_b64 s[34:35], s[36:37]
	s_cbranch_execz .LBB143_112
; %bb.115:                              ;   in Loop: Header=BB143_113 Depth=1
	s_mov_b32 s38, 1
	s_mov_b64 s[36:37], 0
.LBB143_116:                            ;   Parent Loop BB143_113 Depth=1
                                        ; =>  This Loop Header: Depth=2
                                        ;       Child Loop BB143_117 Depth 3
	s_max_u32 s39, s38, 1
.LBB143_117:                            ;   Parent Loop BB143_113 Depth=1
                                        ;     Parent Loop BB143_116 Depth=2
                                        ; =>    This Inner Loop Header: Depth=3
	s_add_i32 s39, s39, -1
	s_cmp_eq_u32 s39, 0
	s_sleep 1
	s_cbranch_scc0 .LBB143_117
; %bb.118:                              ;   in Loop: Header=BB143_116 Depth=2
	global_load_dwordx2 v[16:17], v[18:19], off sc1
	s_cmp_lt_u32 s38, 32
	s_cselect_b64 s[40:41], -1, 0
	s_cmp_lg_u64 s[40:41], 0
	s_addc_u32 s38, s38, 0
	s_waitcnt vmcnt(0)
	v_cmp_ne_u16_sdwa s[40:41], v17, v13 src0_sel:BYTE_0 src1_sel:DWORD
	s_or_b64 s[36:37], s[40:41], s[36:37]
	s_andn2_b64 exec, exec, s[36:37]
	s_cbranch_execnz .LBB143_116
; %bb.119:                              ;   in Loop: Header=BB143_113 Depth=1
	s_or_b64 exec, exec, s[36:37]
	s_branch .LBB143_112
.LBB143_120:                            ;   in Loop: Header=BB143_113 Depth=1
                                        ; implicit-def: $vgpr16
                                        ; implicit-def: $vgpr17
	s_cbranch_execz .LBB143_113
; %bb.121:
	s_and_saveexec_b64 s[34:35], s[16:17]
	s_cbranch_execz .LBB143_123
; %bb.122:
	s_add_i32 s36, s33, 64
	s_mov_b32 s37, 0
	s_lshl_b64 s[36:37], s[36:37], 3
	s_add_u32 s36, s30, s36
	v_add_u32_e32 v12, v11, v10
	v_mov_b32_e32 v13, 2
	s_addc_u32 s37, s31, s37
	v_mov_b32_e32 v14, 0
	global_store_dwordx2 v14, v[12:13], s[36:37] sc1
	ds_write_b64 v14, v[10:11] offset:16896
.LBB143_123:
	s_or_b64 exec, exec, s[34:35]
	s_and_b64 exec, exec, s[18:19]
	s_cbranch_execz .LBB143_125
; %bb.124:
	v_mov_b32_e32 v10, 0
	ds_write_b32 v10, v11 offset:28
.LBB143_125:
	s_or_b64 exec, exec, s[0:1]
	v_mov_b32_e32 v10, 0
	s_waitcnt lgkmcnt(0)
	s_barrier
	ds_read_b32 v11, v10 offset:28
	s_waitcnt lgkmcnt(0)
	s_barrier
	ds_read_b64 v[16:17], v10 offset:16896
	v_cndmask_b32_e64 v10, v91, v90, s[16:17]
	v_cndmask_b32_e64 v10, v10, 0, s[18:19]
	v_add_u32_e32 v95, v11, v10
	s_waitcnt lgkmcnt(0)
	v_mov_b32_e32 v18, v17
	s_branch .LBB143_136
.LBB143_126:
                                        ; implicit-def: $vgpr18
                                        ; implicit-def: $vgpr16
                                        ; implicit-def: $vgpr95
	s_cbranch_execz .LBB143_136
; %bb.127:
	v_mov_b32_dpp v10, v89 row_shr:1 row_mask:0xf bank_mask:0xf
	v_cndmask_b32_e64 v10, v10, 0, s[14:15]
	v_add_u32_e32 v10, v10, v89
	s_nop 1
	v_mov_b32_dpp v11, v10 row_shr:2 row_mask:0xf bank_mask:0xf
	v_cndmask_b32_e64 v11, 0, v11, s[12:13]
	v_add_u32_e32 v10, v10, v11
	s_nop 1
	;; [unrolled: 4-line block ×4, first 2 shown]
	v_mov_b32_dpp v11, v10 row_bcast:15 row_mask:0xf bank_mask:0xf
	v_cndmask_b32_e64 v11, v11, 0, s[6:7]
	v_add_u32_e32 v10, v10, v11
	s_nop 1
	v_mov_b32_dpp v11, v10 row_bcast:31 row_mask:0xf bank_mask:0xf
	v_cndmask_b32_e64 v11, 0, v11, s[2:3]
	v_add_u32_e32 v10, v10, v11
	s_and_saveexec_b64 s[0:1], s[4:5]
	s_cbranch_execz .LBB143_129
; %bb.128:
	v_lshlrev_b32_e32 v11, 2, v88
	ds_write_b32 v11, v10
.LBB143_129:
	s_or_b64 exec, exec, s[0:1]
	v_cmp_gt_u32_e32 vcc, 8, v0
	s_waitcnt lgkmcnt(0)
	s_barrier
	s_and_saveexec_b64 s[0:1], vcc
	s_cbranch_execz .LBB143_131
; %bb.130:
	v_lshlrev_b32_e32 v11, 2, v0
	ds_read_b32 v12, v11
	v_and_b32_e32 v13, 7, v87
	v_cmp_ne_u32_e32 vcc, 0, v13
	s_waitcnt lgkmcnt(0)
	v_mov_b32_dpp v14, v12 row_shr:1 row_mask:0xf bank_mask:0xf
	v_cndmask_b32_e32 v14, 0, v14, vcc
	v_add_u32_e32 v12, v14, v12
	v_cmp_lt_u32_e32 vcc, 1, v13
	s_nop 0
	v_mov_b32_dpp v14, v12 row_shr:2 row_mask:0xf bank_mask:0xf
	v_cndmask_b32_e32 v14, 0, v14, vcc
	v_add_u32_e32 v12, v12, v14
	v_cmp_lt_u32_e32 vcc, 3, v13
	s_nop 0
	v_mov_b32_dpp v14, v12 row_shr:4 row_mask:0xf bank_mask:0xf
	v_cndmask_b32_e32 v13, 0, v14, vcc
	v_add_u32_e32 v12, v12, v13
	ds_write_b32 v11, v12
.LBB143_131:
	s_or_b64 exec, exec, s[0:1]
	v_cmp_lt_u32_e32 vcc, 63, v0
	v_mov_b32_e32 v12, 0
	v_mov_b32_e32 v11, 0
	s_waitcnt lgkmcnt(0)
	s_barrier
	s_and_saveexec_b64 s[0:1], vcc
	s_cbranch_execz .LBB143_133
; %bb.132:
	v_lshl_add_u32 v11, v88, 2, -4
	ds_read_b32 v11, v11
.LBB143_133:
	s_or_b64 exec, exec, s[0:1]
	v_add_u32_e32 v13, -1, v87
	v_and_b32_e32 v14, 64, v87
	v_cmp_lt_i32_e32 vcc, v13, v14
	s_waitcnt lgkmcnt(0)
	v_add_u32_e32 v10, v11, v10
	ds_read_b32 v16, v12 offset:28
	v_cndmask_b32_e32 v13, v13, v87, vcc
	v_lshlrev_b32_e32 v13, 2, v13
	ds_bpermute_b32 v10, v13, v10
	s_and_saveexec_b64 s[0:1], s[18:19]
	s_cbranch_execz .LBB143_135
; %bb.134:
	v_mov_b32_e32 v12, 0
	v_mov_b32_e32 v17, 2
	s_waitcnt lgkmcnt(1)
	global_store_dwordx2 v12, v[16:17], s[30:31] offset:512 sc1
.LBB143_135:
	s_or_b64 exec, exec, s[0:1]
	v_cmp_eq_u32_e32 vcc, 0, v87
	v_mov_b32_e32 v18, 0
	s_waitcnt lgkmcnt(0)
	v_cndmask_b32_e32 v10, v10, v11, vcc
	v_cndmask_b32_e64 v95, v10, 0, s[18:19]
	s_barrier
.LBB143_136:
	v_add_u32_e32 v98, v95, v75
	v_add_u32_e32 v97, v98, v76
	v_add_u32_e32 v96, v97, v77
	v_add_u32_e32 v94, v96, v78
	v_add_u32_e32 v93, v94, v79
	v_add_u32_e32 v92, v93, v80
	v_add_u32_e32 v91, v92, v81
	v_add_u32_e32 v90, v91, v82
	v_add_u32_e32 v89, v90, v83
	v_add_u32_e32 v88, v89, v84
	v_add_u32_e32 v87, v88, v85
	v_add_u32_e32 v86, v87, v86
	v_add_u32_e32 v85, v86, v99
	v_add_u32_e32 v84, v85, v100
	v_add_u32_e32 v83, v84, v101
	v_add_u32_e32 v82, v83, v102
	v_add_u32_e32 v81, v82, v103
	v_add_u32_e32 v80, v81, v104
	v_add_u32_e32 v79, v80, v105
	v_add_u32_e32 v78, v79, v106
	v_add_u32_e32 v77, v78, v107
	v_add_u32_e32 v76, v77, v108
	v_add_u32_e32 v75, v76, v109
	v_add_u32_e32 v19, v75, v110
	v_add_u32_e32 v17, v19, v111
	v_add_u32_e32 v15, v17, v112
	v_add_u32_e32 v14, v15, v113
	v_add_u32_e32 v13, v14, v114
	v_add_u32_e32 v12, v13, v115
	s_movk_i32 s0, 0x201
	v_add_u32_e32 v11, v12, v116
	v_cmp_gt_u32_e32 vcc, s0, v16
	v_add_u32_sdwa v10, v11, v35 dst_sel:DWORD dst_unused:UNUSED_PAD src0_sel:DWORD src1_sel:BYTE_0
	s_mov_b64 s[0:1], -1
	s_cbranch_vccnz .LBB143_140
; %bb.137:
	s_and_b64 vcc, exec, s[0:1]
	s_cbranch_vccnz .LBB143_237
.LBB143_138:
	s_and_b64 s[0:1], s[18:19], s[24:25]
	s_and_saveexec_b64 s[2:3], s[0:1]
	s_cbranch_execnz .LBB143_314
.LBB143_139:
	s_endpgm
.LBB143_140:
	v_add_u32_e32 v99, v18, v16
	v_cmp_lt_u32_e32 vcc, v95, v99
	s_or_b64 s[2:3], s[28:29], vcc
	s_and_saveexec_b64 s[0:1], s[2:3]
	s_cbranch_execz .LBB143_143
; %bb.141:
	v_and_b32_e32 v100, 1, v74
	v_cmp_eq_u32_e32 vcc, 1, v100
	s_and_b64 exec, exec, vcc
	s_cbranch_execz .LBB143_143
; %bb.142:
	s_add_u32 s2, s26, s22
	s_addc_u32 s3, s27, s23
	global_store_byte v95, v8, s[2:3]
.LBB143_143:
	s_or_b64 exec, exec, s[0:1]
	v_cmp_lt_u32_e32 vcc, v98, v99
	s_or_b64 s[2:3], s[28:29], vcc
	s_and_saveexec_b64 s[0:1], s[2:3]
	s_cbranch_execz .LBB143_146
; %bb.144:
	v_and_b32_e32 v100, 1, v73
	v_cmp_eq_u32_e32 vcc, 1, v100
	s_and_b64 exec, exec, vcc
	s_cbranch_execz .LBB143_146
; %bb.145:
	s_add_u32 s2, s26, s22
	s_addc_u32 s3, s27, s23
	global_store_byte v98, v49, s[2:3]
.LBB143_146:
	s_or_b64 exec, exec, s[0:1]
	;; [unrolled: 15-line block ×32, first 2 shown]
	s_branch .LBB143_138
.LBB143_237:
	v_and_b32_e32 v74, 1, v74
	v_cmp_eq_u32_e32 vcc, 1, v74
	s_and_saveexec_b64 s[0:1], vcc
	s_cbranch_execz .LBB143_239
; %bb.238:
	v_sub_u32_e32 v74, v95, v18
	ds_write_b8 v74, v8
.LBB143_239:
	s_or_b64 exec, exec, s[0:1]
	v_and_b32_e32 v8, 1, v73
	v_cmp_eq_u32_e32 vcc, 1, v8
	s_and_saveexec_b64 s[0:1], vcc
	s_cbranch_execz .LBB143_241
; %bb.240:
	v_sub_u32_e32 v8, v98, v18
	ds_write_b8 v8, v49
.LBB143_241:
	s_or_b64 exec, exec, s[0:1]
	;; [unrolled: 9-line block ×32, first 2 shown]
	v_cmp_lt_u32_e32 vcc, v0, v16
	s_waitcnt lgkmcnt(0)
	s_barrier
	s_and_saveexec_b64 s[0:1], vcc
	s_cbranch_execz .LBB143_313
; %bb.302:
	v_mov_b32_e32 v19, 0
	v_lshl_add_u64 v[2:3], s[26:27], 0, v[18:19]
	v_xad_u32 v1, v0, -1, v16
	s_movk_i32 s2, 0xdff
	v_lshl_add_u64 v[20:21], v[2:3], 0, s[22:23]
	v_cmp_lt_u32_e32 vcc, s2, v1
	s_mov_b64 s[4:5], -1
	s_and_saveexec_b64 s[2:3], vcc
	s_cbranch_execz .LBB143_310
; %bb.303:
	v_lshrrev_b32_e32 v17, 9, v1
	v_or_b32_e32 v7, 0xe00, v0
	v_or_b32_e32 v6, 0xc00, v0
	;; [unrolled: 1-line block ×7, first 2 shown]
	v_add_u32_e32 v24, -7, v17
	v_mov_b64_e32 v[14:15], v[6:7]
	v_cmp_lt_u32_e32 vcc, 7, v24
	v_mov_b64_e32 v[12:13], v[4:5]
	v_mov_b64_e32 v[10:11], v[2:3]
	;; [unrolled: 1-line block ×3, first 2 shown]
	s_and_saveexec_b64 s[4:5], vcc
	s_cbranch_execz .LBB143_307
; %bb.304:
	v_lshrrev_b32_e32 v8, 3, v24
	v_add_u32_e32 v8, 1, v8
	v_and_b32_e32 v19, 0x3ffffffe, v8
	v_mov_b64_e32 v[14:15], v[6:7]
	s_mov_b32 s8, 0
	s_mov_b64 s[6:7], 0
	v_mov_b32_e32 v23, 0
	v_mov_b32_e32 v25, v0
	v_mov_b64_e32 v[12:13], v[4:5]
	v_mov_b64_e32 v[10:11], v[2:3]
	;; [unrolled: 1-line block ×3, first 2 shown]
.LBB143_305:                            ; =>This Inner Loop Header: Depth=1
	v_mov_b32_e32 v22, v8
	v_lshl_add_u64 v[34:35], v[20:21], 0, v[22:23]
	v_mov_b32_e32 v22, v9
	v_lshl_add_u64 v[36:37], v[20:21], 0, v[22:23]
	;; [unrolled: 2-line block ×3, first 2 shown]
	v_mov_b32_e32 v22, v11
	ds_read_u8 v44, v25
	ds_read_u8 v45, v25 offset:512
	ds_read_u8 v46, v25 offset:1024
	;; [unrolled: 1-line block ×7, first 2 shown]
	v_lshl_add_u64 v[40:41], v[20:21], 0, v[22:23]
	v_mov_b32_e32 v22, v12
	ds_read_u8 v52, v25 offset:4096
	ds_read_u8 v53, v25 offset:4608
	ds_read_u8 v54, v25 offset:5120
	ds_read_u8 v55, v25 offset:5632
	ds_read_u8 v56, v25 offset:6144
	ds_read_u8 v57, v25 offset:6656
	ds_read_u8 v58, v25 offset:7168
	ds_read_u8 v59, v25 offset:7680
	v_lshl_add_u64 v[42:43], v[20:21], 0, v[22:23]
	v_mov_b32_e32 v22, v13
	s_waitcnt lgkmcnt(14)
	global_store_byte v[34:35], v44, off
	global_store_byte v[36:37], v45, off
	s_waitcnt lgkmcnt(13)
	global_store_byte v[38:39], v46, off
	s_waitcnt lgkmcnt(12)
	global_store_byte v[40:41], v47, off
	v_lshl_add_u64 v[34:35], v[20:21], 0, v[22:23]
	v_mov_b32_e32 v22, v14
	v_add_u32_e32 v19, -2, v19
	v_lshl_add_u64 v[36:37], v[20:21], 0, v[22:23]
	v_mov_b32_e32 v22, v15
	s_add_i32 s8, s8, 16
	v_cmp_eq_u32_e32 vcc, 0, v19
	s_waitcnt lgkmcnt(11)
	global_store_byte v[42:43], v48, off
	s_waitcnt lgkmcnt(10)
	global_store_byte v[34:35], v49, off
	v_lshl_add_u64 v[34:35], v[20:21], 0, v[22:23]
	v_add_u32_e32 v22, 0x1000, v8
	v_add_u32_e32 v2, 0x1000, v15
	;; [unrolled: 1-line block ×8, first 2 shown]
	v_mov_b32_e32 v33, v23
	v_mov_b32_e32 v31, v23
	;; [unrolled: 1-line block ×7, first 2 shown]
	v_add_u32_e32 v25, 0x2000, v25
	v_add_u32_e32 v9, 0x2000, v9
	v_mov_b32_e32 v1, s8
	v_add_u32_e32 v10, 0x2000, v10
	s_or_b64 s[6:7], vcc, s[6:7]
	v_add_u32_e32 v11, 0x2000, v11
	v_add_u32_e32 v12, 0x2000, v12
	;; [unrolled: 1-line block ×5, first 2 shown]
	s_waitcnt lgkmcnt(9)
	global_store_byte v[36:37], v50, off
	v_add_u32_e32 v8, 0x2000, v8
	s_waitcnt lgkmcnt(8)
	global_store_byte v[34:35], v51, off
	v_lshl_add_u64 v[34:35], v[20:21], 0, v[22:23]
	v_lshl_add_u64 v[32:33], v[20:21], 0, v[32:33]
	;; [unrolled: 1-line block ×8, first 2 shown]
	s_waitcnt lgkmcnt(7)
	global_store_byte v[34:35], v52, off
	s_waitcnt lgkmcnt(6)
	global_store_byte v[32:33], v53, off
	;; [unrolled: 2-line block ×8, first 2 shown]
	s_andn2_b64 exec, exec, s[6:7]
	s_cbranch_execnz .LBB143_305
; %bb.306:
	s_or_b64 exec, exec, s[6:7]
	v_lshlrev_b32_e32 v19, 9, v1
.LBB143_307:
	s_or_b64 exec, exec, s[4:5]
	v_and_b32_e32 v1, 8, v24
	v_cmp_eq_u32_e32 vcc, 0, v1
	s_and_saveexec_b64 s[4:5], vcc
	s_cbranch_execz .LBB143_309
; %bb.308:
	v_mov_b32_e32 v3, 0
	v_mov_b32_e32 v2, v8
	v_lshl_add_u64 v[4:5], v[20:21], 0, v[2:3]
	v_mov_b32_e32 v2, v9
	v_or_b32_e32 v1, v0, v19
	v_lshl_add_u64 v[6:7], v[20:21], 0, v[2:3]
	v_mov_b32_e32 v2, v10
	ds_read_u8 v19, v1
	ds_read_u8 v26, v1 offset:512
	ds_read_u8 v27, v1 offset:1024
	;; [unrolled: 1-line block ×7, first 2 shown]
	v_lshl_add_u64 v[8:9], v[20:21], 0, v[2:3]
	v_mov_b32_e32 v2, v11
	v_lshl_add_u64 v[10:11], v[20:21], 0, v[2:3]
	v_mov_b32_e32 v2, v12
	;; [unrolled: 2-line block ×5, first 2 shown]
	v_lshl_add_u64 v[2:3], v[20:21], 0, v[2:3]
	s_waitcnt lgkmcnt(7)
	global_store_byte v[4:5], v19, off
	s_waitcnt lgkmcnt(6)
	global_store_byte v[6:7], v26, off
	;; [unrolled: 2-line block ×8, first 2 shown]
.LBB143_309:
	s_or_b64 exec, exec, s[4:5]
	v_add_u32_e32 v1, 1, v17
	v_and_b32_e32 v2, 0xfffff8, v1
	v_cmp_ne_u32_e32 vcc, v1, v2
	v_lshl_or_b32 v0, v2, 9, v0
	s_orn2_b64 s[4:5], vcc, exec
.LBB143_310:
	s_or_b64 exec, exec, s[2:3]
	s_and_b64 exec, exec, s[4:5]
	s_cbranch_execz .LBB143_313
; %bb.311:
	s_mov_b64 s[2:3], 0
.LBB143_312:                            ; =>This Inner Loop Header: Depth=1
	ds_read_u8 v1, v0
	v_readfirstlane_b32 s4, v20
	v_readfirstlane_b32 s5, v21
	s_waitcnt lgkmcnt(0)
	s_nop 3
	global_store_byte v0, v1, s[4:5]
	v_add_u32_e32 v0, 0x200, v0
	v_cmp_ge_u32_e32 vcc, v0, v16
	s_or_b64 s[2:3], vcc, s[2:3]
	s_andn2_b64 exec, exec, s[2:3]
	s_cbranch_execnz .LBB143_312
.LBB143_313:
	s_or_b64 exec, exec, s[0:1]
	s_and_b64 s[0:1], s[18:19], s[24:25]
	s_and_saveexec_b64 s[2:3], s[0:1]
	s_cbranch_execz .LBB143_139
.LBB143_314:
	v_mov_b32_e32 v17, 0
	v_lshl_add_u64 v[0:1], s[22:23], 0, v[16:17]
	v_mov_b32_e32 v19, v17
	v_lshl_add_u64 v[0:1], v[0:1], 0, v[18:19]
	global_store_dwordx2 v17, v[0:1], s[20:21]
	s_endpgm
.LBB143_315:
	s_or_b64 exec, exec, s[8:9]
	v_mov_b32_e32 v74, s10
	s_and_saveexec_b64 s[2:3], s[4:5]
	s_cbranch_execnz .LBB143_92
	s_branch .LBB143_93
	.section	.rodata,"a",@progbits
	.p2align	6, 0x0
	.amdhsa_kernel _ZN7rocprim17ROCPRIM_400000_NS6detail17trampoline_kernelINS0_14default_configENS1_25partition_config_selectorILNS1_17partition_subalgoE8EhNS0_10empty_typeEbEEZZNS1_14partition_implILS5_8ELb0ES3_jPKhPS6_PKS6_NS0_5tupleIJPhS6_EEENSE_IJSB_SB_EEENS0_18inequality_wrapperIN6hipcub16HIPCUB_304000_NS8EqualityEEEPlJS6_EEE10hipError_tPvRmT3_T4_T5_T6_T7_T9_mT8_P12ihipStream_tbDpT10_ENKUlT_T0_E_clISt17integral_constantIbLb1EES17_EEDaS12_S13_EUlS12_E_NS1_11comp_targetILNS1_3genE5ELNS1_11target_archE942ELNS1_3gpuE9ELNS1_3repE0EEENS1_30default_config_static_selectorELNS0_4arch9wavefront6targetE1EEEvT1_
		.amdhsa_group_segment_fixed_size 16904
		.amdhsa_private_segment_fixed_size 0
		.amdhsa_kernarg_size 128
		.amdhsa_user_sgpr_count 2
		.amdhsa_user_sgpr_dispatch_ptr 0
		.amdhsa_user_sgpr_queue_ptr 0
		.amdhsa_user_sgpr_kernarg_segment_ptr 1
		.amdhsa_user_sgpr_dispatch_id 0
		.amdhsa_user_sgpr_kernarg_preload_length 0
		.amdhsa_user_sgpr_kernarg_preload_offset 0
		.amdhsa_user_sgpr_private_segment_size 0
		.amdhsa_uses_dynamic_stack 0
		.amdhsa_enable_private_segment 0
		.amdhsa_system_sgpr_workgroup_id_x 1
		.amdhsa_system_sgpr_workgroup_id_y 0
		.amdhsa_system_sgpr_workgroup_id_z 0
		.amdhsa_system_sgpr_workgroup_info 0
		.amdhsa_system_vgpr_workitem_id 0
		.amdhsa_next_free_vgpr 124
		.amdhsa_next_free_sgpr 60
		.amdhsa_accum_offset 124
		.amdhsa_reserve_vcc 1
		.amdhsa_float_round_mode_32 0
		.amdhsa_float_round_mode_16_64 0
		.amdhsa_float_denorm_mode_32 3
		.amdhsa_float_denorm_mode_16_64 3
		.amdhsa_dx10_clamp 1
		.amdhsa_ieee_mode 1
		.amdhsa_fp16_overflow 0
		.amdhsa_tg_split 0
		.amdhsa_exception_fp_ieee_invalid_op 0
		.amdhsa_exception_fp_denorm_src 0
		.amdhsa_exception_fp_ieee_div_zero 0
		.amdhsa_exception_fp_ieee_overflow 0
		.amdhsa_exception_fp_ieee_underflow 0
		.amdhsa_exception_fp_ieee_inexact 0
		.amdhsa_exception_int_div_zero 0
	.end_amdhsa_kernel
	.section	.text._ZN7rocprim17ROCPRIM_400000_NS6detail17trampoline_kernelINS0_14default_configENS1_25partition_config_selectorILNS1_17partition_subalgoE8EhNS0_10empty_typeEbEEZZNS1_14partition_implILS5_8ELb0ES3_jPKhPS6_PKS6_NS0_5tupleIJPhS6_EEENSE_IJSB_SB_EEENS0_18inequality_wrapperIN6hipcub16HIPCUB_304000_NS8EqualityEEEPlJS6_EEE10hipError_tPvRmT3_T4_T5_T6_T7_T9_mT8_P12ihipStream_tbDpT10_ENKUlT_T0_E_clISt17integral_constantIbLb1EES17_EEDaS12_S13_EUlS12_E_NS1_11comp_targetILNS1_3genE5ELNS1_11target_archE942ELNS1_3gpuE9ELNS1_3repE0EEENS1_30default_config_static_selectorELNS0_4arch9wavefront6targetE1EEEvT1_,"axG",@progbits,_ZN7rocprim17ROCPRIM_400000_NS6detail17trampoline_kernelINS0_14default_configENS1_25partition_config_selectorILNS1_17partition_subalgoE8EhNS0_10empty_typeEbEEZZNS1_14partition_implILS5_8ELb0ES3_jPKhPS6_PKS6_NS0_5tupleIJPhS6_EEENSE_IJSB_SB_EEENS0_18inequality_wrapperIN6hipcub16HIPCUB_304000_NS8EqualityEEEPlJS6_EEE10hipError_tPvRmT3_T4_T5_T6_T7_T9_mT8_P12ihipStream_tbDpT10_ENKUlT_T0_E_clISt17integral_constantIbLb1EES17_EEDaS12_S13_EUlS12_E_NS1_11comp_targetILNS1_3genE5ELNS1_11target_archE942ELNS1_3gpuE9ELNS1_3repE0EEENS1_30default_config_static_selectorELNS0_4arch9wavefront6targetE1EEEvT1_,comdat
.Lfunc_end143:
	.size	_ZN7rocprim17ROCPRIM_400000_NS6detail17trampoline_kernelINS0_14default_configENS1_25partition_config_selectorILNS1_17partition_subalgoE8EhNS0_10empty_typeEbEEZZNS1_14partition_implILS5_8ELb0ES3_jPKhPS6_PKS6_NS0_5tupleIJPhS6_EEENSE_IJSB_SB_EEENS0_18inequality_wrapperIN6hipcub16HIPCUB_304000_NS8EqualityEEEPlJS6_EEE10hipError_tPvRmT3_T4_T5_T6_T7_T9_mT8_P12ihipStream_tbDpT10_ENKUlT_T0_E_clISt17integral_constantIbLb1EES17_EEDaS12_S13_EUlS12_E_NS1_11comp_targetILNS1_3genE5ELNS1_11target_archE942ELNS1_3gpuE9ELNS1_3repE0EEENS1_30default_config_static_selectorELNS0_4arch9wavefront6targetE1EEEvT1_, .Lfunc_end143-_ZN7rocprim17ROCPRIM_400000_NS6detail17trampoline_kernelINS0_14default_configENS1_25partition_config_selectorILNS1_17partition_subalgoE8EhNS0_10empty_typeEbEEZZNS1_14partition_implILS5_8ELb0ES3_jPKhPS6_PKS6_NS0_5tupleIJPhS6_EEENSE_IJSB_SB_EEENS0_18inequality_wrapperIN6hipcub16HIPCUB_304000_NS8EqualityEEEPlJS6_EEE10hipError_tPvRmT3_T4_T5_T6_T7_T9_mT8_P12ihipStream_tbDpT10_ENKUlT_T0_E_clISt17integral_constantIbLb1EES17_EEDaS12_S13_EUlS12_E_NS1_11comp_targetILNS1_3genE5ELNS1_11target_archE942ELNS1_3gpuE9ELNS1_3repE0EEENS1_30default_config_static_selectorELNS0_4arch9wavefront6targetE1EEEvT1_
                                        ; -- End function
	.section	.AMDGPU.csdata,"",@progbits
; Kernel info:
; codeLenInByte = 14508
; NumSgprs: 66
; NumVgprs: 124
; NumAgprs: 0
; TotalNumVgprs: 124
; ScratchSize: 0
; MemoryBound: 0
; FloatMode: 240
; IeeeMode: 1
; LDSByteSize: 16904 bytes/workgroup (compile time only)
; SGPRBlocks: 8
; VGPRBlocks: 15
; NumSGPRsForWavesPerEU: 66
; NumVGPRsForWavesPerEU: 124
; AccumOffset: 124
; Occupancy: 4
; WaveLimiterHint : 1
; COMPUTE_PGM_RSRC2:SCRATCH_EN: 0
; COMPUTE_PGM_RSRC2:USER_SGPR: 2
; COMPUTE_PGM_RSRC2:TRAP_HANDLER: 0
; COMPUTE_PGM_RSRC2:TGID_X_EN: 1
; COMPUTE_PGM_RSRC2:TGID_Y_EN: 0
; COMPUTE_PGM_RSRC2:TGID_Z_EN: 0
; COMPUTE_PGM_RSRC2:TIDIG_COMP_CNT: 0
; COMPUTE_PGM_RSRC3_GFX90A:ACCUM_OFFSET: 30
; COMPUTE_PGM_RSRC3_GFX90A:TG_SPLIT: 0
	.section	.text._ZN7rocprim17ROCPRIM_400000_NS6detail17trampoline_kernelINS0_14default_configENS1_25partition_config_selectorILNS1_17partition_subalgoE8EhNS0_10empty_typeEbEEZZNS1_14partition_implILS5_8ELb0ES3_jPKhPS6_PKS6_NS0_5tupleIJPhS6_EEENSE_IJSB_SB_EEENS0_18inequality_wrapperIN6hipcub16HIPCUB_304000_NS8EqualityEEEPlJS6_EEE10hipError_tPvRmT3_T4_T5_T6_T7_T9_mT8_P12ihipStream_tbDpT10_ENKUlT_T0_E_clISt17integral_constantIbLb1EES17_EEDaS12_S13_EUlS12_E_NS1_11comp_targetILNS1_3genE4ELNS1_11target_archE910ELNS1_3gpuE8ELNS1_3repE0EEENS1_30default_config_static_selectorELNS0_4arch9wavefront6targetE1EEEvT1_,"axG",@progbits,_ZN7rocprim17ROCPRIM_400000_NS6detail17trampoline_kernelINS0_14default_configENS1_25partition_config_selectorILNS1_17partition_subalgoE8EhNS0_10empty_typeEbEEZZNS1_14partition_implILS5_8ELb0ES3_jPKhPS6_PKS6_NS0_5tupleIJPhS6_EEENSE_IJSB_SB_EEENS0_18inequality_wrapperIN6hipcub16HIPCUB_304000_NS8EqualityEEEPlJS6_EEE10hipError_tPvRmT3_T4_T5_T6_T7_T9_mT8_P12ihipStream_tbDpT10_ENKUlT_T0_E_clISt17integral_constantIbLb1EES17_EEDaS12_S13_EUlS12_E_NS1_11comp_targetILNS1_3genE4ELNS1_11target_archE910ELNS1_3gpuE8ELNS1_3repE0EEENS1_30default_config_static_selectorELNS0_4arch9wavefront6targetE1EEEvT1_,comdat
	.protected	_ZN7rocprim17ROCPRIM_400000_NS6detail17trampoline_kernelINS0_14default_configENS1_25partition_config_selectorILNS1_17partition_subalgoE8EhNS0_10empty_typeEbEEZZNS1_14partition_implILS5_8ELb0ES3_jPKhPS6_PKS6_NS0_5tupleIJPhS6_EEENSE_IJSB_SB_EEENS0_18inequality_wrapperIN6hipcub16HIPCUB_304000_NS8EqualityEEEPlJS6_EEE10hipError_tPvRmT3_T4_T5_T6_T7_T9_mT8_P12ihipStream_tbDpT10_ENKUlT_T0_E_clISt17integral_constantIbLb1EES17_EEDaS12_S13_EUlS12_E_NS1_11comp_targetILNS1_3genE4ELNS1_11target_archE910ELNS1_3gpuE8ELNS1_3repE0EEENS1_30default_config_static_selectorELNS0_4arch9wavefront6targetE1EEEvT1_ ; -- Begin function _ZN7rocprim17ROCPRIM_400000_NS6detail17trampoline_kernelINS0_14default_configENS1_25partition_config_selectorILNS1_17partition_subalgoE8EhNS0_10empty_typeEbEEZZNS1_14partition_implILS5_8ELb0ES3_jPKhPS6_PKS6_NS0_5tupleIJPhS6_EEENSE_IJSB_SB_EEENS0_18inequality_wrapperIN6hipcub16HIPCUB_304000_NS8EqualityEEEPlJS6_EEE10hipError_tPvRmT3_T4_T5_T6_T7_T9_mT8_P12ihipStream_tbDpT10_ENKUlT_T0_E_clISt17integral_constantIbLb1EES17_EEDaS12_S13_EUlS12_E_NS1_11comp_targetILNS1_3genE4ELNS1_11target_archE910ELNS1_3gpuE8ELNS1_3repE0EEENS1_30default_config_static_selectorELNS0_4arch9wavefront6targetE1EEEvT1_
	.globl	_ZN7rocprim17ROCPRIM_400000_NS6detail17trampoline_kernelINS0_14default_configENS1_25partition_config_selectorILNS1_17partition_subalgoE8EhNS0_10empty_typeEbEEZZNS1_14partition_implILS5_8ELb0ES3_jPKhPS6_PKS6_NS0_5tupleIJPhS6_EEENSE_IJSB_SB_EEENS0_18inequality_wrapperIN6hipcub16HIPCUB_304000_NS8EqualityEEEPlJS6_EEE10hipError_tPvRmT3_T4_T5_T6_T7_T9_mT8_P12ihipStream_tbDpT10_ENKUlT_T0_E_clISt17integral_constantIbLb1EES17_EEDaS12_S13_EUlS12_E_NS1_11comp_targetILNS1_3genE4ELNS1_11target_archE910ELNS1_3gpuE8ELNS1_3repE0EEENS1_30default_config_static_selectorELNS0_4arch9wavefront6targetE1EEEvT1_
	.p2align	8
	.type	_ZN7rocprim17ROCPRIM_400000_NS6detail17trampoline_kernelINS0_14default_configENS1_25partition_config_selectorILNS1_17partition_subalgoE8EhNS0_10empty_typeEbEEZZNS1_14partition_implILS5_8ELb0ES3_jPKhPS6_PKS6_NS0_5tupleIJPhS6_EEENSE_IJSB_SB_EEENS0_18inequality_wrapperIN6hipcub16HIPCUB_304000_NS8EqualityEEEPlJS6_EEE10hipError_tPvRmT3_T4_T5_T6_T7_T9_mT8_P12ihipStream_tbDpT10_ENKUlT_T0_E_clISt17integral_constantIbLb1EES17_EEDaS12_S13_EUlS12_E_NS1_11comp_targetILNS1_3genE4ELNS1_11target_archE910ELNS1_3gpuE8ELNS1_3repE0EEENS1_30default_config_static_selectorELNS0_4arch9wavefront6targetE1EEEvT1_,@function
_ZN7rocprim17ROCPRIM_400000_NS6detail17trampoline_kernelINS0_14default_configENS1_25partition_config_selectorILNS1_17partition_subalgoE8EhNS0_10empty_typeEbEEZZNS1_14partition_implILS5_8ELb0ES3_jPKhPS6_PKS6_NS0_5tupleIJPhS6_EEENSE_IJSB_SB_EEENS0_18inequality_wrapperIN6hipcub16HIPCUB_304000_NS8EqualityEEEPlJS6_EEE10hipError_tPvRmT3_T4_T5_T6_T7_T9_mT8_P12ihipStream_tbDpT10_ENKUlT_T0_E_clISt17integral_constantIbLb1EES17_EEDaS12_S13_EUlS12_E_NS1_11comp_targetILNS1_3genE4ELNS1_11target_archE910ELNS1_3gpuE8ELNS1_3repE0EEENS1_30default_config_static_selectorELNS0_4arch9wavefront6targetE1EEEvT1_: ; @_ZN7rocprim17ROCPRIM_400000_NS6detail17trampoline_kernelINS0_14default_configENS1_25partition_config_selectorILNS1_17partition_subalgoE8EhNS0_10empty_typeEbEEZZNS1_14partition_implILS5_8ELb0ES3_jPKhPS6_PKS6_NS0_5tupleIJPhS6_EEENSE_IJSB_SB_EEENS0_18inequality_wrapperIN6hipcub16HIPCUB_304000_NS8EqualityEEEPlJS6_EEE10hipError_tPvRmT3_T4_T5_T6_T7_T9_mT8_P12ihipStream_tbDpT10_ENKUlT_T0_E_clISt17integral_constantIbLb1EES17_EEDaS12_S13_EUlS12_E_NS1_11comp_targetILNS1_3genE4ELNS1_11target_archE910ELNS1_3gpuE8ELNS1_3repE0EEENS1_30default_config_static_selectorELNS0_4arch9wavefront6targetE1EEEvT1_
; %bb.0:
	.section	.rodata,"a",@progbits
	.p2align	6, 0x0
	.amdhsa_kernel _ZN7rocprim17ROCPRIM_400000_NS6detail17trampoline_kernelINS0_14default_configENS1_25partition_config_selectorILNS1_17partition_subalgoE8EhNS0_10empty_typeEbEEZZNS1_14partition_implILS5_8ELb0ES3_jPKhPS6_PKS6_NS0_5tupleIJPhS6_EEENSE_IJSB_SB_EEENS0_18inequality_wrapperIN6hipcub16HIPCUB_304000_NS8EqualityEEEPlJS6_EEE10hipError_tPvRmT3_T4_T5_T6_T7_T9_mT8_P12ihipStream_tbDpT10_ENKUlT_T0_E_clISt17integral_constantIbLb1EES17_EEDaS12_S13_EUlS12_E_NS1_11comp_targetILNS1_3genE4ELNS1_11target_archE910ELNS1_3gpuE8ELNS1_3repE0EEENS1_30default_config_static_selectorELNS0_4arch9wavefront6targetE1EEEvT1_
		.amdhsa_group_segment_fixed_size 0
		.amdhsa_private_segment_fixed_size 0
		.amdhsa_kernarg_size 128
		.amdhsa_user_sgpr_count 2
		.amdhsa_user_sgpr_dispatch_ptr 0
		.amdhsa_user_sgpr_queue_ptr 0
		.amdhsa_user_sgpr_kernarg_segment_ptr 1
		.amdhsa_user_sgpr_dispatch_id 0
		.amdhsa_user_sgpr_kernarg_preload_length 0
		.amdhsa_user_sgpr_kernarg_preload_offset 0
		.amdhsa_user_sgpr_private_segment_size 0
		.amdhsa_uses_dynamic_stack 0
		.amdhsa_enable_private_segment 0
		.amdhsa_system_sgpr_workgroup_id_x 1
		.amdhsa_system_sgpr_workgroup_id_y 0
		.amdhsa_system_sgpr_workgroup_id_z 0
		.amdhsa_system_sgpr_workgroup_info 0
		.amdhsa_system_vgpr_workitem_id 0
		.amdhsa_next_free_vgpr 1
		.amdhsa_next_free_sgpr 0
		.amdhsa_accum_offset 4
		.amdhsa_reserve_vcc 0
		.amdhsa_float_round_mode_32 0
		.amdhsa_float_round_mode_16_64 0
		.amdhsa_float_denorm_mode_32 3
		.amdhsa_float_denorm_mode_16_64 3
		.amdhsa_dx10_clamp 1
		.amdhsa_ieee_mode 1
		.amdhsa_fp16_overflow 0
		.amdhsa_tg_split 0
		.amdhsa_exception_fp_ieee_invalid_op 0
		.amdhsa_exception_fp_denorm_src 0
		.amdhsa_exception_fp_ieee_div_zero 0
		.amdhsa_exception_fp_ieee_overflow 0
		.amdhsa_exception_fp_ieee_underflow 0
		.amdhsa_exception_fp_ieee_inexact 0
		.amdhsa_exception_int_div_zero 0
	.end_amdhsa_kernel
	.section	.text._ZN7rocprim17ROCPRIM_400000_NS6detail17trampoline_kernelINS0_14default_configENS1_25partition_config_selectorILNS1_17partition_subalgoE8EhNS0_10empty_typeEbEEZZNS1_14partition_implILS5_8ELb0ES3_jPKhPS6_PKS6_NS0_5tupleIJPhS6_EEENSE_IJSB_SB_EEENS0_18inequality_wrapperIN6hipcub16HIPCUB_304000_NS8EqualityEEEPlJS6_EEE10hipError_tPvRmT3_T4_T5_T6_T7_T9_mT8_P12ihipStream_tbDpT10_ENKUlT_T0_E_clISt17integral_constantIbLb1EES17_EEDaS12_S13_EUlS12_E_NS1_11comp_targetILNS1_3genE4ELNS1_11target_archE910ELNS1_3gpuE8ELNS1_3repE0EEENS1_30default_config_static_selectorELNS0_4arch9wavefront6targetE1EEEvT1_,"axG",@progbits,_ZN7rocprim17ROCPRIM_400000_NS6detail17trampoline_kernelINS0_14default_configENS1_25partition_config_selectorILNS1_17partition_subalgoE8EhNS0_10empty_typeEbEEZZNS1_14partition_implILS5_8ELb0ES3_jPKhPS6_PKS6_NS0_5tupleIJPhS6_EEENSE_IJSB_SB_EEENS0_18inequality_wrapperIN6hipcub16HIPCUB_304000_NS8EqualityEEEPlJS6_EEE10hipError_tPvRmT3_T4_T5_T6_T7_T9_mT8_P12ihipStream_tbDpT10_ENKUlT_T0_E_clISt17integral_constantIbLb1EES17_EEDaS12_S13_EUlS12_E_NS1_11comp_targetILNS1_3genE4ELNS1_11target_archE910ELNS1_3gpuE8ELNS1_3repE0EEENS1_30default_config_static_selectorELNS0_4arch9wavefront6targetE1EEEvT1_,comdat
.Lfunc_end144:
	.size	_ZN7rocprim17ROCPRIM_400000_NS6detail17trampoline_kernelINS0_14default_configENS1_25partition_config_selectorILNS1_17partition_subalgoE8EhNS0_10empty_typeEbEEZZNS1_14partition_implILS5_8ELb0ES3_jPKhPS6_PKS6_NS0_5tupleIJPhS6_EEENSE_IJSB_SB_EEENS0_18inequality_wrapperIN6hipcub16HIPCUB_304000_NS8EqualityEEEPlJS6_EEE10hipError_tPvRmT3_T4_T5_T6_T7_T9_mT8_P12ihipStream_tbDpT10_ENKUlT_T0_E_clISt17integral_constantIbLb1EES17_EEDaS12_S13_EUlS12_E_NS1_11comp_targetILNS1_3genE4ELNS1_11target_archE910ELNS1_3gpuE8ELNS1_3repE0EEENS1_30default_config_static_selectorELNS0_4arch9wavefront6targetE1EEEvT1_, .Lfunc_end144-_ZN7rocprim17ROCPRIM_400000_NS6detail17trampoline_kernelINS0_14default_configENS1_25partition_config_selectorILNS1_17partition_subalgoE8EhNS0_10empty_typeEbEEZZNS1_14partition_implILS5_8ELb0ES3_jPKhPS6_PKS6_NS0_5tupleIJPhS6_EEENSE_IJSB_SB_EEENS0_18inequality_wrapperIN6hipcub16HIPCUB_304000_NS8EqualityEEEPlJS6_EEE10hipError_tPvRmT3_T4_T5_T6_T7_T9_mT8_P12ihipStream_tbDpT10_ENKUlT_T0_E_clISt17integral_constantIbLb1EES17_EEDaS12_S13_EUlS12_E_NS1_11comp_targetILNS1_3genE4ELNS1_11target_archE910ELNS1_3gpuE8ELNS1_3repE0EEENS1_30default_config_static_selectorELNS0_4arch9wavefront6targetE1EEEvT1_
                                        ; -- End function
	.section	.AMDGPU.csdata,"",@progbits
; Kernel info:
; codeLenInByte = 0
; NumSgprs: 6
; NumVgprs: 0
; NumAgprs: 0
; TotalNumVgprs: 0
; ScratchSize: 0
; MemoryBound: 0
; FloatMode: 240
; IeeeMode: 1
; LDSByteSize: 0 bytes/workgroup (compile time only)
; SGPRBlocks: 0
; VGPRBlocks: 0
; NumSGPRsForWavesPerEU: 6
; NumVGPRsForWavesPerEU: 1
; AccumOffset: 4
; Occupancy: 8
; WaveLimiterHint : 0
; COMPUTE_PGM_RSRC2:SCRATCH_EN: 0
; COMPUTE_PGM_RSRC2:USER_SGPR: 2
; COMPUTE_PGM_RSRC2:TRAP_HANDLER: 0
; COMPUTE_PGM_RSRC2:TGID_X_EN: 1
; COMPUTE_PGM_RSRC2:TGID_Y_EN: 0
; COMPUTE_PGM_RSRC2:TGID_Z_EN: 0
; COMPUTE_PGM_RSRC2:TIDIG_COMP_CNT: 0
; COMPUTE_PGM_RSRC3_GFX90A:ACCUM_OFFSET: 0
; COMPUTE_PGM_RSRC3_GFX90A:TG_SPLIT: 0
	.section	.text._ZN7rocprim17ROCPRIM_400000_NS6detail17trampoline_kernelINS0_14default_configENS1_25partition_config_selectorILNS1_17partition_subalgoE8EhNS0_10empty_typeEbEEZZNS1_14partition_implILS5_8ELb0ES3_jPKhPS6_PKS6_NS0_5tupleIJPhS6_EEENSE_IJSB_SB_EEENS0_18inequality_wrapperIN6hipcub16HIPCUB_304000_NS8EqualityEEEPlJS6_EEE10hipError_tPvRmT3_T4_T5_T6_T7_T9_mT8_P12ihipStream_tbDpT10_ENKUlT_T0_E_clISt17integral_constantIbLb1EES17_EEDaS12_S13_EUlS12_E_NS1_11comp_targetILNS1_3genE3ELNS1_11target_archE908ELNS1_3gpuE7ELNS1_3repE0EEENS1_30default_config_static_selectorELNS0_4arch9wavefront6targetE1EEEvT1_,"axG",@progbits,_ZN7rocprim17ROCPRIM_400000_NS6detail17trampoline_kernelINS0_14default_configENS1_25partition_config_selectorILNS1_17partition_subalgoE8EhNS0_10empty_typeEbEEZZNS1_14partition_implILS5_8ELb0ES3_jPKhPS6_PKS6_NS0_5tupleIJPhS6_EEENSE_IJSB_SB_EEENS0_18inequality_wrapperIN6hipcub16HIPCUB_304000_NS8EqualityEEEPlJS6_EEE10hipError_tPvRmT3_T4_T5_T6_T7_T9_mT8_P12ihipStream_tbDpT10_ENKUlT_T0_E_clISt17integral_constantIbLb1EES17_EEDaS12_S13_EUlS12_E_NS1_11comp_targetILNS1_3genE3ELNS1_11target_archE908ELNS1_3gpuE7ELNS1_3repE0EEENS1_30default_config_static_selectorELNS0_4arch9wavefront6targetE1EEEvT1_,comdat
	.protected	_ZN7rocprim17ROCPRIM_400000_NS6detail17trampoline_kernelINS0_14default_configENS1_25partition_config_selectorILNS1_17partition_subalgoE8EhNS0_10empty_typeEbEEZZNS1_14partition_implILS5_8ELb0ES3_jPKhPS6_PKS6_NS0_5tupleIJPhS6_EEENSE_IJSB_SB_EEENS0_18inequality_wrapperIN6hipcub16HIPCUB_304000_NS8EqualityEEEPlJS6_EEE10hipError_tPvRmT3_T4_T5_T6_T7_T9_mT8_P12ihipStream_tbDpT10_ENKUlT_T0_E_clISt17integral_constantIbLb1EES17_EEDaS12_S13_EUlS12_E_NS1_11comp_targetILNS1_3genE3ELNS1_11target_archE908ELNS1_3gpuE7ELNS1_3repE0EEENS1_30default_config_static_selectorELNS0_4arch9wavefront6targetE1EEEvT1_ ; -- Begin function _ZN7rocprim17ROCPRIM_400000_NS6detail17trampoline_kernelINS0_14default_configENS1_25partition_config_selectorILNS1_17partition_subalgoE8EhNS0_10empty_typeEbEEZZNS1_14partition_implILS5_8ELb0ES3_jPKhPS6_PKS6_NS0_5tupleIJPhS6_EEENSE_IJSB_SB_EEENS0_18inequality_wrapperIN6hipcub16HIPCUB_304000_NS8EqualityEEEPlJS6_EEE10hipError_tPvRmT3_T4_T5_T6_T7_T9_mT8_P12ihipStream_tbDpT10_ENKUlT_T0_E_clISt17integral_constantIbLb1EES17_EEDaS12_S13_EUlS12_E_NS1_11comp_targetILNS1_3genE3ELNS1_11target_archE908ELNS1_3gpuE7ELNS1_3repE0EEENS1_30default_config_static_selectorELNS0_4arch9wavefront6targetE1EEEvT1_
	.globl	_ZN7rocprim17ROCPRIM_400000_NS6detail17trampoline_kernelINS0_14default_configENS1_25partition_config_selectorILNS1_17partition_subalgoE8EhNS0_10empty_typeEbEEZZNS1_14partition_implILS5_8ELb0ES3_jPKhPS6_PKS6_NS0_5tupleIJPhS6_EEENSE_IJSB_SB_EEENS0_18inequality_wrapperIN6hipcub16HIPCUB_304000_NS8EqualityEEEPlJS6_EEE10hipError_tPvRmT3_T4_T5_T6_T7_T9_mT8_P12ihipStream_tbDpT10_ENKUlT_T0_E_clISt17integral_constantIbLb1EES17_EEDaS12_S13_EUlS12_E_NS1_11comp_targetILNS1_3genE3ELNS1_11target_archE908ELNS1_3gpuE7ELNS1_3repE0EEENS1_30default_config_static_selectorELNS0_4arch9wavefront6targetE1EEEvT1_
	.p2align	8
	.type	_ZN7rocprim17ROCPRIM_400000_NS6detail17trampoline_kernelINS0_14default_configENS1_25partition_config_selectorILNS1_17partition_subalgoE8EhNS0_10empty_typeEbEEZZNS1_14partition_implILS5_8ELb0ES3_jPKhPS6_PKS6_NS0_5tupleIJPhS6_EEENSE_IJSB_SB_EEENS0_18inequality_wrapperIN6hipcub16HIPCUB_304000_NS8EqualityEEEPlJS6_EEE10hipError_tPvRmT3_T4_T5_T6_T7_T9_mT8_P12ihipStream_tbDpT10_ENKUlT_T0_E_clISt17integral_constantIbLb1EES17_EEDaS12_S13_EUlS12_E_NS1_11comp_targetILNS1_3genE3ELNS1_11target_archE908ELNS1_3gpuE7ELNS1_3repE0EEENS1_30default_config_static_selectorELNS0_4arch9wavefront6targetE1EEEvT1_,@function
_ZN7rocprim17ROCPRIM_400000_NS6detail17trampoline_kernelINS0_14default_configENS1_25partition_config_selectorILNS1_17partition_subalgoE8EhNS0_10empty_typeEbEEZZNS1_14partition_implILS5_8ELb0ES3_jPKhPS6_PKS6_NS0_5tupleIJPhS6_EEENSE_IJSB_SB_EEENS0_18inequality_wrapperIN6hipcub16HIPCUB_304000_NS8EqualityEEEPlJS6_EEE10hipError_tPvRmT3_T4_T5_T6_T7_T9_mT8_P12ihipStream_tbDpT10_ENKUlT_T0_E_clISt17integral_constantIbLb1EES17_EEDaS12_S13_EUlS12_E_NS1_11comp_targetILNS1_3genE3ELNS1_11target_archE908ELNS1_3gpuE7ELNS1_3repE0EEENS1_30default_config_static_selectorELNS0_4arch9wavefront6targetE1EEEvT1_: ; @_ZN7rocprim17ROCPRIM_400000_NS6detail17trampoline_kernelINS0_14default_configENS1_25partition_config_selectorILNS1_17partition_subalgoE8EhNS0_10empty_typeEbEEZZNS1_14partition_implILS5_8ELb0ES3_jPKhPS6_PKS6_NS0_5tupleIJPhS6_EEENSE_IJSB_SB_EEENS0_18inequality_wrapperIN6hipcub16HIPCUB_304000_NS8EqualityEEEPlJS6_EEE10hipError_tPvRmT3_T4_T5_T6_T7_T9_mT8_P12ihipStream_tbDpT10_ENKUlT_T0_E_clISt17integral_constantIbLb1EES17_EEDaS12_S13_EUlS12_E_NS1_11comp_targetILNS1_3genE3ELNS1_11target_archE908ELNS1_3gpuE7ELNS1_3repE0EEENS1_30default_config_static_selectorELNS0_4arch9wavefront6targetE1EEEvT1_
; %bb.0:
	.section	.rodata,"a",@progbits
	.p2align	6, 0x0
	.amdhsa_kernel _ZN7rocprim17ROCPRIM_400000_NS6detail17trampoline_kernelINS0_14default_configENS1_25partition_config_selectorILNS1_17partition_subalgoE8EhNS0_10empty_typeEbEEZZNS1_14partition_implILS5_8ELb0ES3_jPKhPS6_PKS6_NS0_5tupleIJPhS6_EEENSE_IJSB_SB_EEENS0_18inequality_wrapperIN6hipcub16HIPCUB_304000_NS8EqualityEEEPlJS6_EEE10hipError_tPvRmT3_T4_T5_T6_T7_T9_mT8_P12ihipStream_tbDpT10_ENKUlT_T0_E_clISt17integral_constantIbLb1EES17_EEDaS12_S13_EUlS12_E_NS1_11comp_targetILNS1_3genE3ELNS1_11target_archE908ELNS1_3gpuE7ELNS1_3repE0EEENS1_30default_config_static_selectorELNS0_4arch9wavefront6targetE1EEEvT1_
		.amdhsa_group_segment_fixed_size 0
		.amdhsa_private_segment_fixed_size 0
		.amdhsa_kernarg_size 128
		.amdhsa_user_sgpr_count 2
		.amdhsa_user_sgpr_dispatch_ptr 0
		.amdhsa_user_sgpr_queue_ptr 0
		.amdhsa_user_sgpr_kernarg_segment_ptr 1
		.amdhsa_user_sgpr_dispatch_id 0
		.amdhsa_user_sgpr_kernarg_preload_length 0
		.amdhsa_user_sgpr_kernarg_preload_offset 0
		.amdhsa_user_sgpr_private_segment_size 0
		.amdhsa_uses_dynamic_stack 0
		.amdhsa_enable_private_segment 0
		.amdhsa_system_sgpr_workgroup_id_x 1
		.amdhsa_system_sgpr_workgroup_id_y 0
		.amdhsa_system_sgpr_workgroup_id_z 0
		.amdhsa_system_sgpr_workgroup_info 0
		.amdhsa_system_vgpr_workitem_id 0
		.amdhsa_next_free_vgpr 1
		.amdhsa_next_free_sgpr 0
		.amdhsa_accum_offset 4
		.amdhsa_reserve_vcc 0
		.amdhsa_float_round_mode_32 0
		.amdhsa_float_round_mode_16_64 0
		.amdhsa_float_denorm_mode_32 3
		.amdhsa_float_denorm_mode_16_64 3
		.amdhsa_dx10_clamp 1
		.amdhsa_ieee_mode 1
		.amdhsa_fp16_overflow 0
		.amdhsa_tg_split 0
		.amdhsa_exception_fp_ieee_invalid_op 0
		.amdhsa_exception_fp_denorm_src 0
		.amdhsa_exception_fp_ieee_div_zero 0
		.amdhsa_exception_fp_ieee_overflow 0
		.amdhsa_exception_fp_ieee_underflow 0
		.amdhsa_exception_fp_ieee_inexact 0
		.amdhsa_exception_int_div_zero 0
	.end_amdhsa_kernel
	.section	.text._ZN7rocprim17ROCPRIM_400000_NS6detail17trampoline_kernelINS0_14default_configENS1_25partition_config_selectorILNS1_17partition_subalgoE8EhNS0_10empty_typeEbEEZZNS1_14partition_implILS5_8ELb0ES3_jPKhPS6_PKS6_NS0_5tupleIJPhS6_EEENSE_IJSB_SB_EEENS0_18inequality_wrapperIN6hipcub16HIPCUB_304000_NS8EqualityEEEPlJS6_EEE10hipError_tPvRmT3_T4_T5_T6_T7_T9_mT8_P12ihipStream_tbDpT10_ENKUlT_T0_E_clISt17integral_constantIbLb1EES17_EEDaS12_S13_EUlS12_E_NS1_11comp_targetILNS1_3genE3ELNS1_11target_archE908ELNS1_3gpuE7ELNS1_3repE0EEENS1_30default_config_static_selectorELNS0_4arch9wavefront6targetE1EEEvT1_,"axG",@progbits,_ZN7rocprim17ROCPRIM_400000_NS6detail17trampoline_kernelINS0_14default_configENS1_25partition_config_selectorILNS1_17partition_subalgoE8EhNS0_10empty_typeEbEEZZNS1_14partition_implILS5_8ELb0ES3_jPKhPS6_PKS6_NS0_5tupleIJPhS6_EEENSE_IJSB_SB_EEENS0_18inequality_wrapperIN6hipcub16HIPCUB_304000_NS8EqualityEEEPlJS6_EEE10hipError_tPvRmT3_T4_T5_T6_T7_T9_mT8_P12ihipStream_tbDpT10_ENKUlT_T0_E_clISt17integral_constantIbLb1EES17_EEDaS12_S13_EUlS12_E_NS1_11comp_targetILNS1_3genE3ELNS1_11target_archE908ELNS1_3gpuE7ELNS1_3repE0EEENS1_30default_config_static_selectorELNS0_4arch9wavefront6targetE1EEEvT1_,comdat
.Lfunc_end145:
	.size	_ZN7rocprim17ROCPRIM_400000_NS6detail17trampoline_kernelINS0_14default_configENS1_25partition_config_selectorILNS1_17partition_subalgoE8EhNS0_10empty_typeEbEEZZNS1_14partition_implILS5_8ELb0ES3_jPKhPS6_PKS6_NS0_5tupleIJPhS6_EEENSE_IJSB_SB_EEENS0_18inequality_wrapperIN6hipcub16HIPCUB_304000_NS8EqualityEEEPlJS6_EEE10hipError_tPvRmT3_T4_T5_T6_T7_T9_mT8_P12ihipStream_tbDpT10_ENKUlT_T0_E_clISt17integral_constantIbLb1EES17_EEDaS12_S13_EUlS12_E_NS1_11comp_targetILNS1_3genE3ELNS1_11target_archE908ELNS1_3gpuE7ELNS1_3repE0EEENS1_30default_config_static_selectorELNS0_4arch9wavefront6targetE1EEEvT1_, .Lfunc_end145-_ZN7rocprim17ROCPRIM_400000_NS6detail17trampoline_kernelINS0_14default_configENS1_25partition_config_selectorILNS1_17partition_subalgoE8EhNS0_10empty_typeEbEEZZNS1_14partition_implILS5_8ELb0ES3_jPKhPS6_PKS6_NS0_5tupleIJPhS6_EEENSE_IJSB_SB_EEENS0_18inequality_wrapperIN6hipcub16HIPCUB_304000_NS8EqualityEEEPlJS6_EEE10hipError_tPvRmT3_T4_T5_T6_T7_T9_mT8_P12ihipStream_tbDpT10_ENKUlT_T0_E_clISt17integral_constantIbLb1EES17_EEDaS12_S13_EUlS12_E_NS1_11comp_targetILNS1_3genE3ELNS1_11target_archE908ELNS1_3gpuE7ELNS1_3repE0EEENS1_30default_config_static_selectorELNS0_4arch9wavefront6targetE1EEEvT1_
                                        ; -- End function
	.section	.AMDGPU.csdata,"",@progbits
; Kernel info:
; codeLenInByte = 0
; NumSgprs: 6
; NumVgprs: 0
; NumAgprs: 0
; TotalNumVgprs: 0
; ScratchSize: 0
; MemoryBound: 0
; FloatMode: 240
; IeeeMode: 1
; LDSByteSize: 0 bytes/workgroup (compile time only)
; SGPRBlocks: 0
; VGPRBlocks: 0
; NumSGPRsForWavesPerEU: 6
; NumVGPRsForWavesPerEU: 1
; AccumOffset: 4
; Occupancy: 8
; WaveLimiterHint : 0
; COMPUTE_PGM_RSRC2:SCRATCH_EN: 0
; COMPUTE_PGM_RSRC2:USER_SGPR: 2
; COMPUTE_PGM_RSRC2:TRAP_HANDLER: 0
; COMPUTE_PGM_RSRC2:TGID_X_EN: 1
; COMPUTE_PGM_RSRC2:TGID_Y_EN: 0
; COMPUTE_PGM_RSRC2:TGID_Z_EN: 0
; COMPUTE_PGM_RSRC2:TIDIG_COMP_CNT: 0
; COMPUTE_PGM_RSRC3_GFX90A:ACCUM_OFFSET: 0
; COMPUTE_PGM_RSRC3_GFX90A:TG_SPLIT: 0
	.section	.text._ZN7rocprim17ROCPRIM_400000_NS6detail17trampoline_kernelINS0_14default_configENS1_25partition_config_selectorILNS1_17partition_subalgoE8EhNS0_10empty_typeEbEEZZNS1_14partition_implILS5_8ELb0ES3_jPKhPS6_PKS6_NS0_5tupleIJPhS6_EEENSE_IJSB_SB_EEENS0_18inequality_wrapperIN6hipcub16HIPCUB_304000_NS8EqualityEEEPlJS6_EEE10hipError_tPvRmT3_T4_T5_T6_T7_T9_mT8_P12ihipStream_tbDpT10_ENKUlT_T0_E_clISt17integral_constantIbLb1EES17_EEDaS12_S13_EUlS12_E_NS1_11comp_targetILNS1_3genE2ELNS1_11target_archE906ELNS1_3gpuE6ELNS1_3repE0EEENS1_30default_config_static_selectorELNS0_4arch9wavefront6targetE1EEEvT1_,"axG",@progbits,_ZN7rocprim17ROCPRIM_400000_NS6detail17trampoline_kernelINS0_14default_configENS1_25partition_config_selectorILNS1_17partition_subalgoE8EhNS0_10empty_typeEbEEZZNS1_14partition_implILS5_8ELb0ES3_jPKhPS6_PKS6_NS0_5tupleIJPhS6_EEENSE_IJSB_SB_EEENS0_18inequality_wrapperIN6hipcub16HIPCUB_304000_NS8EqualityEEEPlJS6_EEE10hipError_tPvRmT3_T4_T5_T6_T7_T9_mT8_P12ihipStream_tbDpT10_ENKUlT_T0_E_clISt17integral_constantIbLb1EES17_EEDaS12_S13_EUlS12_E_NS1_11comp_targetILNS1_3genE2ELNS1_11target_archE906ELNS1_3gpuE6ELNS1_3repE0EEENS1_30default_config_static_selectorELNS0_4arch9wavefront6targetE1EEEvT1_,comdat
	.protected	_ZN7rocprim17ROCPRIM_400000_NS6detail17trampoline_kernelINS0_14default_configENS1_25partition_config_selectorILNS1_17partition_subalgoE8EhNS0_10empty_typeEbEEZZNS1_14partition_implILS5_8ELb0ES3_jPKhPS6_PKS6_NS0_5tupleIJPhS6_EEENSE_IJSB_SB_EEENS0_18inequality_wrapperIN6hipcub16HIPCUB_304000_NS8EqualityEEEPlJS6_EEE10hipError_tPvRmT3_T4_T5_T6_T7_T9_mT8_P12ihipStream_tbDpT10_ENKUlT_T0_E_clISt17integral_constantIbLb1EES17_EEDaS12_S13_EUlS12_E_NS1_11comp_targetILNS1_3genE2ELNS1_11target_archE906ELNS1_3gpuE6ELNS1_3repE0EEENS1_30default_config_static_selectorELNS0_4arch9wavefront6targetE1EEEvT1_ ; -- Begin function _ZN7rocprim17ROCPRIM_400000_NS6detail17trampoline_kernelINS0_14default_configENS1_25partition_config_selectorILNS1_17partition_subalgoE8EhNS0_10empty_typeEbEEZZNS1_14partition_implILS5_8ELb0ES3_jPKhPS6_PKS6_NS0_5tupleIJPhS6_EEENSE_IJSB_SB_EEENS0_18inequality_wrapperIN6hipcub16HIPCUB_304000_NS8EqualityEEEPlJS6_EEE10hipError_tPvRmT3_T4_T5_T6_T7_T9_mT8_P12ihipStream_tbDpT10_ENKUlT_T0_E_clISt17integral_constantIbLb1EES17_EEDaS12_S13_EUlS12_E_NS1_11comp_targetILNS1_3genE2ELNS1_11target_archE906ELNS1_3gpuE6ELNS1_3repE0EEENS1_30default_config_static_selectorELNS0_4arch9wavefront6targetE1EEEvT1_
	.globl	_ZN7rocprim17ROCPRIM_400000_NS6detail17trampoline_kernelINS0_14default_configENS1_25partition_config_selectorILNS1_17partition_subalgoE8EhNS0_10empty_typeEbEEZZNS1_14partition_implILS5_8ELb0ES3_jPKhPS6_PKS6_NS0_5tupleIJPhS6_EEENSE_IJSB_SB_EEENS0_18inequality_wrapperIN6hipcub16HIPCUB_304000_NS8EqualityEEEPlJS6_EEE10hipError_tPvRmT3_T4_T5_T6_T7_T9_mT8_P12ihipStream_tbDpT10_ENKUlT_T0_E_clISt17integral_constantIbLb1EES17_EEDaS12_S13_EUlS12_E_NS1_11comp_targetILNS1_3genE2ELNS1_11target_archE906ELNS1_3gpuE6ELNS1_3repE0EEENS1_30default_config_static_selectorELNS0_4arch9wavefront6targetE1EEEvT1_
	.p2align	8
	.type	_ZN7rocprim17ROCPRIM_400000_NS6detail17trampoline_kernelINS0_14default_configENS1_25partition_config_selectorILNS1_17partition_subalgoE8EhNS0_10empty_typeEbEEZZNS1_14partition_implILS5_8ELb0ES3_jPKhPS6_PKS6_NS0_5tupleIJPhS6_EEENSE_IJSB_SB_EEENS0_18inequality_wrapperIN6hipcub16HIPCUB_304000_NS8EqualityEEEPlJS6_EEE10hipError_tPvRmT3_T4_T5_T6_T7_T9_mT8_P12ihipStream_tbDpT10_ENKUlT_T0_E_clISt17integral_constantIbLb1EES17_EEDaS12_S13_EUlS12_E_NS1_11comp_targetILNS1_3genE2ELNS1_11target_archE906ELNS1_3gpuE6ELNS1_3repE0EEENS1_30default_config_static_selectorELNS0_4arch9wavefront6targetE1EEEvT1_,@function
_ZN7rocprim17ROCPRIM_400000_NS6detail17trampoline_kernelINS0_14default_configENS1_25partition_config_selectorILNS1_17partition_subalgoE8EhNS0_10empty_typeEbEEZZNS1_14partition_implILS5_8ELb0ES3_jPKhPS6_PKS6_NS0_5tupleIJPhS6_EEENSE_IJSB_SB_EEENS0_18inequality_wrapperIN6hipcub16HIPCUB_304000_NS8EqualityEEEPlJS6_EEE10hipError_tPvRmT3_T4_T5_T6_T7_T9_mT8_P12ihipStream_tbDpT10_ENKUlT_T0_E_clISt17integral_constantIbLb1EES17_EEDaS12_S13_EUlS12_E_NS1_11comp_targetILNS1_3genE2ELNS1_11target_archE906ELNS1_3gpuE6ELNS1_3repE0EEENS1_30default_config_static_selectorELNS0_4arch9wavefront6targetE1EEEvT1_: ; @_ZN7rocprim17ROCPRIM_400000_NS6detail17trampoline_kernelINS0_14default_configENS1_25partition_config_selectorILNS1_17partition_subalgoE8EhNS0_10empty_typeEbEEZZNS1_14partition_implILS5_8ELb0ES3_jPKhPS6_PKS6_NS0_5tupleIJPhS6_EEENSE_IJSB_SB_EEENS0_18inequality_wrapperIN6hipcub16HIPCUB_304000_NS8EqualityEEEPlJS6_EEE10hipError_tPvRmT3_T4_T5_T6_T7_T9_mT8_P12ihipStream_tbDpT10_ENKUlT_T0_E_clISt17integral_constantIbLb1EES17_EEDaS12_S13_EUlS12_E_NS1_11comp_targetILNS1_3genE2ELNS1_11target_archE906ELNS1_3gpuE6ELNS1_3repE0EEENS1_30default_config_static_selectorELNS0_4arch9wavefront6targetE1EEEvT1_
; %bb.0:
	.section	.rodata,"a",@progbits
	.p2align	6, 0x0
	.amdhsa_kernel _ZN7rocprim17ROCPRIM_400000_NS6detail17trampoline_kernelINS0_14default_configENS1_25partition_config_selectorILNS1_17partition_subalgoE8EhNS0_10empty_typeEbEEZZNS1_14partition_implILS5_8ELb0ES3_jPKhPS6_PKS6_NS0_5tupleIJPhS6_EEENSE_IJSB_SB_EEENS0_18inequality_wrapperIN6hipcub16HIPCUB_304000_NS8EqualityEEEPlJS6_EEE10hipError_tPvRmT3_T4_T5_T6_T7_T9_mT8_P12ihipStream_tbDpT10_ENKUlT_T0_E_clISt17integral_constantIbLb1EES17_EEDaS12_S13_EUlS12_E_NS1_11comp_targetILNS1_3genE2ELNS1_11target_archE906ELNS1_3gpuE6ELNS1_3repE0EEENS1_30default_config_static_selectorELNS0_4arch9wavefront6targetE1EEEvT1_
		.amdhsa_group_segment_fixed_size 0
		.amdhsa_private_segment_fixed_size 0
		.amdhsa_kernarg_size 128
		.amdhsa_user_sgpr_count 2
		.amdhsa_user_sgpr_dispatch_ptr 0
		.amdhsa_user_sgpr_queue_ptr 0
		.amdhsa_user_sgpr_kernarg_segment_ptr 1
		.amdhsa_user_sgpr_dispatch_id 0
		.amdhsa_user_sgpr_kernarg_preload_length 0
		.amdhsa_user_sgpr_kernarg_preload_offset 0
		.amdhsa_user_sgpr_private_segment_size 0
		.amdhsa_uses_dynamic_stack 0
		.amdhsa_enable_private_segment 0
		.amdhsa_system_sgpr_workgroup_id_x 1
		.amdhsa_system_sgpr_workgroup_id_y 0
		.amdhsa_system_sgpr_workgroup_id_z 0
		.amdhsa_system_sgpr_workgroup_info 0
		.amdhsa_system_vgpr_workitem_id 0
		.amdhsa_next_free_vgpr 1
		.amdhsa_next_free_sgpr 0
		.amdhsa_accum_offset 4
		.amdhsa_reserve_vcc 0
		.amdhsa_float_round_mode_32 0
		.amdhsa_float_round_mode_16_64 0
		.amdhsa_float_denorm_mode_32 3
		.amdhsa_float_denorm_mode_16_64 3
		.amdhsa_dx10_clamp 1
		.amdhsa_ieee_mode 1
		.amdhsa_fp16_overflow 0
		.amdhsa_tg_split 0
		.amdhsa_exception_fp_ieee_invalid_op 0
		.amdhsa_exception_fp_denorm_src 0
		.amdhsa_exception_fp_ieee_div_zero 0
		.amdhsa_exception_fp_ieee_overflow 0
		.amdhsa_exception_fp_ieee_underflow 0
		.amdhsa_exception_fp_ieee_inexact 0
		.amdhsa_exception_int_div_zero 0
	.end_amdhsa_kernel
	.section	.text._ZN7rocprim17ROCPRIM_400000_NS6detail17trampoline_kernelINS0_14default_configENS1_25partition_config_selectorILNS1_17partition_subalgoE8EhNS0_10empty_typeEbEEZZNS1_14partition_implILS5_8ELb0ES3_jPKhPS6_PKS6_NS0_5tupleIJPhS6_EEENSE_IJSB_SB_EEENS0_18inequality_wrapperIN6hipcub16HIPCUB_304000_NS8EqualityEEEPlJS6_EEE10hipError_tPvRmT3_T4_T5_T6_T7_T9_mT8_P12ihipStream_tbDpT10_ENKUlT_T0_E_clISt17integral_constantIbLb1EES17_EEDaS12_S13_EUlS12_E_NS1_11comp_targetILNS1_3genE2ELNS1_11target_archE906ELNS1_3gpuE6ELNS1_3repE0EEENS1_30default_config_static_selectorELNS0_4arch9wavefront6targetE1EEEvT1_,"axG",@progbits,_ZN7rocprim17ROCPRIM_400000_NS6detail17trampoline_kernelINS0_14default_configENS1_25partition_config_selectorILNS1_17partition_subalgoE8EhNS0_10empty_typeEbEEZZNS1_14partition_implILS5_8ELb0ES3_jPKhPS6_PKS6_NS0_5tupleIJPhS6_EEENSE_IJSB_SB_EEENS0_18inequality_wrapperIN6hipcub16HIPCUB_304000_NS8EqualityEEEPlJS6_EEE10hipError_tPvRmT3_T4_T5_T6_T7_T9_mT8_P12ihipStream_tbDpT10_ENKUlT_T0_E_clISt17integral_constantIbLb1EES17_EEDaS12_S13_EUlS12_E_NS1_11comp_targetILNS1_3genE2ELNS1_11target_archE906ELNS1_3gpuE6ELNS1_3repE0EEENS1_30default_config_static_selectorELNS0_4arch9wavefront6targetE1EEEvT1_,comdat
.Lfunc_end146:
	.size	_ZN7rocprim17ROCPRIM_400000_NS6detail17trampoline_kernelINS0_14default_configENS1_25partition_config_selectorILNS1_17partition_subalgoE8EhNS0_10empty_typeEbEEZZNS1_14partition_implILS5_8ELb0ES3_jPKhPS6_PKS6_NS0_5tupleIJPhS6_EEENSE_IJSB_SB_EEENS0_18inequality_wrapperIN6hipcub16HIPCUB_304000_NS8EqualityEEEPlJS6_EEE10hipError_tPvRmT3_T4_T5_T6_T7_T9_mT8_P12ihipStream_tbDpT10_ENKUlT_T0_E_clISt17integral_constantIbLb1EES17_EEDaS12_S13_EUlS12_E_NS1_11comp_targetILNS1_3genE2ELNS1_11target_archE906ELNS1_3gpuE6ELNS1_3repE0EEENS1_30default_config_static_selectorELNS0_4arch9wavefront6targetE1EEEvT1_, .Lfunc_end146-_ZN7rocprim17ROCPRIM_400000_NS6detail17trampoline_kernelINS0_14default_configENS1_25partition_config_selectorILNS1_17partition_subalgoE8EhNS0_10empty_typeEbEEZZNS1_14partition_implILS5_8ELb0ES3_jPKhPS6_PKS6_NS0_5tupleIJPhS6_EEENSE_IJSB_SB_EEENS0_18inequality_wrapperIN6hipcub16HIPCUB_304000_NS8EqualityEEEPlJS6_EEE10hipError_tPvRmT3_T4_T5_T6_T7_T9_mT8_P12ihipStream_tbDpT10_ENKUlT_T0_E_clISt17integral_constantIbLb1EES17_EEDaS12_S13_EUlS12_E_NS1_11comp_targetILNS1_3genE2ELNS1_11target_archE906ELNS1_3gpuE6ELNS1_3repE0EEENS1_30default_config_static_selectorELNS0_4arch9wavefront6targetE1EEEvT1_
                                        ; -- End function
	.section	.AMDGPU.csdata,"",@progbits
; Kernel info:
; codeLenInByte = 0
; NumSgprs: 6
; NumVgprs: 0
; NumAgprs: 0
; TotalNumVgprs: 0
; ScratchSize: 0
; MemoryBound: 0
; FloatMode: 240
; IeeeMode: 1
; LDSByteSize: 0 bytes/workgroup (compile time only)
; SGPRBlocks: 0
; VGPRBlocks: 0
; NumSGPRsForWavesPerEU: 6
; NumVGPRsForWavesPerEU: 1
; AccumOffset: 4
; Occupancy: 8
; WaveLimiterHint : 0
; COMPUTE_PGM_RSRC2:SCRATCH_EN: 0
; COMPUTE_PGM_RSRC2:USER_SGPR: 2
; COMPUTE_PGM_RSRC2:TRAP_HANDLER: 0
; COMPUTE_PGM_RSRC2:TGID_X_EN: 1
; COMPUTE_PGM_RSRC2:TGID_Y_EN: 0
; COMPUTE_PGM_RSRC2:TGID_Z_EN: 0
; COMPUTE_PGM_RSRC2:TIDIG_COMP_CNT: 0
; COMPUTE_PGM_RSRC3_GFX90A:ACCUM_OFFSET: 0
; COMPUTE_PGM_RSRC3_GFX90A:TG_SPLIT: 0
	.section	.text._ZN7rocprim17ROCPRIM_400000_NS6detail17trampoline_kernelINS0_14default_configENS1_25partition_config_selectorILNS1_17partition_subalgoE8EhNS0_10empty_typeEbEEZZNS1_14partition_implILS5_8ELb0ES3_jPKhPS6_PKS6_NS0_5tupleIJPhS6_EEENSE_IJSB_SB_EEENS0_18inequality_wrapperIN6hipcub16HIPCUB_304000_NS8EqualityEEEPlJS6_EEE10hipError_tPvRmT3_T4_T5_T6_T7_T9_mT8_P12ihipStream_tbDpT10_ENKUlT_T0_E_clISt17integral_constantIbLb1EES17_EEDaS12_S13_EUlS12_E_NS1_11comp_targetILNS1_3genE10ELNS1_11target_archE1200ELNS1_3gpuE4ELNS1_3repE0EEENS1_30default_config_static_selectorELNS0_4arch9wavefront6targetE1EEEvT1_,"axG",@progbits,_ZN7rocprim17ROCPRIM_400000_NS6detail17trampoline_kernelINS0_14default_configENS1_25partition_config_selectorILNS1_17partition_subalgoE8EhNS0_10empty_typeEbEEZZNS1_14partition_implILS5_8ELb0ES3_jPKhPS6_PKS6_NS0_5tupleIJPhS6_EEENSE_IJSB_SB_EEENS0_18inequality_wrapperIN6hipcub16HIPCUB_304000_NS8EqualityEEEPlJS6_EEE10hipError_tPvRmT3_T4_T5_T6_T7_T9_mT8_P12ihipStream_tbDpT10_ENKUlT_T0_E_clISt17integral_constantIbLb1EES17_EEDaS12_S13_EUlS12_E_NS1_11comp_targetILNS1_3genE10ELNS1_11target_archE1200ELNS1_3gpuE4ELNS1_3repE0EEENS1_30default_config_static_selectorELNS0_4arch9wavefront6targetE1EEEvT1_,comdat
	.protected	_ZN7rocprim17ROCPRIM_400000_NS6detail17trampoline_kernelINS0_14default_configENS1_25partition_config_selectorILNS1_17partition_subalgoE8EhNS0_10empty_typeEbEEZZNS1_14partition_implILS5_8ELb0ES3_jPKhPS6_PKS6_NS0_5tupleIJPhS6_EEENSE_IJSB_SB_EEENS0_18inequality_wrapperIN6hipcub16HIPCUB_304000_NS8EqualityEEEPlJS6_EEE10hipError_tPvRmT3_T4_T5_T6_T7_T9_mT8_P12ihipStream_tbDpT10_ENKUlT_T0_E_clISt17integral_constantIbLb1EES17_EEDaS12_S13_EUlS12_E_NS1_11comp_targetILNS1_3genE10ELNS1_11target_archE1200ELNS1_3gpuE4ELNS1_3repE0EEENS1_30default_config_static_selectorELNS0_4arch9wavefront6targetE1EEEvT1_ ; -- Begin function _ZN7rocprim17ROCPRIM_400000_NS6detail17trampoline_kernelINS0_14default_configENS1_25partition_config_selectorILNS1_17partition_subalgoE8EhNS0_10empty_typeEbEEZZNS1_14partition_implILS5_8ELb0ES3_jPKhPS6_PKS6_NS0_5tupleIJPhS6_EEENSE_IJSB_SB_EEENS0_18inequality_wrapperIN6hipcub16HIPCUB_304000_NS8EqualityEEEPlJS6_EEE10hipError_tPvRmT3_T4_T5_T6_T7_T9_mT8_P12ihipStream_tbDpT10_ENKUlT_T0_E_clISt17integral_constantIbLb1EES17_EEDaS12_S13_EUlS12_E_NS1_11comp_targetILNS1_3genE10ELNS1_11target_archE1200ELNS1_3gpuE4ELNS1_3repE0EEENS1_30default_config_static_selectorELNS0_4arch9wavefront6targetE1EEEvT1_
	.globl	_ZN7rocprim17ROCPRIM_400000_NS6detail17trampoline_kernelINS0_14default_configENS1_25partition_config_selectorILNS1_17partition_subalgoE8EhNS0_10empty_typeEbEEZZNS1_14partition_implILS5_8ELb0ES3_jPKhPS6_PKS6_NS0_5tupleIJPhS6_EEENSE_IJSB_SB_EEENS0_18inequality_wrapperIN6hipcub16HIPCUB_304000_NS8EqualityEEEPlJS6_EEE10hipError_tPvRmT3_T4_T5_T6_T7_T9_mT8_P12ihipStream_tbDpT10_ENKUlT_T0_E_clISt17integral_constantIbLb1EES17_EEDaS12_S13_EUlS12_E_NS1_11comp_targetILNS1_3genE10ELNS1_11target_archE1200ELNS1_3gpuE4ELNS1_3repE0EEENS1_30default_config_static_selectorELNS0_4arch9wavefront6targetE1EEEvT1_
	.p2align	8
	.type	_ZN7rocprim17ROCPRIM_400000_NS6detail17trampoline_kernelINS0_14default_configENS1_25partition_config_selectorILNS1_17partition_subalgoE8EhNS0_10empty_typeEbEEZZNS1_14partition_implILS5_8ELb0ES3_jPKhPS6_PKS6_NS0_5tupleIJPhS6_EEENSE_IJSB_SB_EEENS0_18inequality_wrapperIN6hipcub16HIPCUB_304000_NS8EqualityEEEPlJS6_EEE10hipError_tPvRmT3_T4_T5_T6_T7_T9_mT8_P12ihipStream_tbDpT10_ENKUlT_T0_E_clISt17integral_constantIbLb1EES17_EEDaS12_S13_EUlS12_E_NS1_11comp_targetILNS1_3genE10ELNS1_11target_archE1200ELNS1_3gpuE4ELNS1_3repE0EEENS1_30default_config_static_selectorELNS0_4arch9wavefront6targetE1EEEvT1_,@function
_ZN7rocprim17ROCPRIM_400000_NS6detail17trampoline_kernelINS0_14default_configENS1_25partition_config_selectorILNS1_17partition_subalgoE8EhNS0_10empty_typeEbEEZZNS1_14partition_implILS5_8ELb0ES3_jPKhPS6_PKS6_NS0_5tupleIJPhS6_EEENSE_IJSB_SB_EEENS0_18inequality_wrapperIN6hipcub16HIPCUB_304000_NS8EqualityEEEPlJS6_EEE10hipError_tPvRmT3_T4_T5_T6_T7_T9_mT8_P12ihipStream_tbDpT10_ENKUlT_T0_E_clISt17integral_constantIbLb1EES17_EEDaS12_S13_EUlS12_E_NS1_11comp_targetILNS1_3genE10ELNS1_11target_archE1200ELNS1_3gpuE4ELNS1_3repE0EEENS1_30default_config_static_selectorELNS0_4arch9wavefront6targetE1EEEvT1_: ; @_ZN7rocprim17ROCPRIM_400000_NS6detail17trampoline_kernelINS0_14default_configENS1_25partition_config_selectorILNS1_17partition_subalgoE8EhNS0_10empty_typeEbEEZZNS1_14partition_implILS5_8ELb0ES3_jPKhPS6_PKS6_NS0_5tupleIJPhS6_EEENSE_IJSB_SB_EEENS0_18inequality_wrapperIN6hipcub16HIPCUB_304000_NS8EqualityEEEPlJS6_EEE10hipError_tPvRmT3_T4_T5_T6_T7_T9_mT8_P12ihipStream_tbDpT10_ENKUlT_T0_E_clISt17integral_constantIbLb1EES17_EEDaS12_S13_EUlS12_E_NS1_11comp_targetILNS1_3genE10ELNS1_11target_archE1200ELNS1_3gpuE4ELNS1_3repE0EEENS1_30default_config_static_selectorELNS0_4arch9wavefront6targetE1EEEvT1_
; %bb.0:
	.section	.rodata,"a",@progbits
	.p2align	6, 0x0
	.amdhsa_kernel _ZN7rocprim17ROCPRIM_400000_NS6detail17trampoline_kernelINS0_14default_configENS1_25partition_config_selectorILNS1_17partition_subalgoE8EhNS0_10empty_typeEbEEZZNS1_14partition_implILS5_8ELb0ES3_jPKhPS6_PKS6_NS0_5tupleIJPhS6_EEENSE_IJSB_SB_EEENS0_18inequality_wrapperIN6hipcub16HIPCUB_304000_NS8EqualityEEEPlJS6_EEE10hipError_tPvRmT3_T4_T5_T6_T7_T9_mT8_P12ihipStream_tbDpT10_ENKUlT_T0_E_clISt17integral_constantIbLb1EES17_EEDaS12_S13_EUlS12_E_NS1_11comp_targetILNS1_3genE10ELNS1_11target_archE1200ELNS1_3gpuE4ELNS1_3repE0EEENS1_30default_config_static_selectorELNS0_4arch9wavefront6targetE1EEEvT1_
		.amdhsa_group_segment_fixed_size 0
		.amdhsa_private_segment_fixed_size 0
		.amdhsa_kernarg_size 128
		.amdhsa_user_sgpr_count 2
		.amdhsa_user_sgpr_dispatch_ptr 0
		.amdhsa_user_sgpr_queue_ptr 0
		.amdhsa_user_sgpr_kernarg_segment_ptr 1
		.amdhsa_user_sgpr_dispatch_id 0
		.amdhsa_user_sgpr_kernarg_preload_length 0
		.amdhsa_user_sgpr_kernarg_preload_offset 0
		.amdhsa_user_sgpr_private_segment_size 0
		.amdhsa_uses_dynamic_stack 0
		.amdhsa_enable_private_segment 0
		.amdhsa_system_sgpr_workgroup_id_x 1
		.amdhsa_system_sgpr_workgroup_id_y 0
		.amdhsa_system_sgpr_workgroup_id_z 0
		.amdhsa_system_sgpr_workgroup_info 0
		.amdhsa_system_vgpr_workitem_id 0
		.amdhsa_next_free_vgpr 1
		.amdhsa_next_free_sgpr 0
		.amdhsa_accum_offset 4
		.amdhsa_reserve_vcc 0
		.amdhsa_float_round_mode_32 0
		.amdhsa_float_round_mode_16_64 0
		.amdhsa_float_denorm_mode_32 3
		.amdhsa_float_denorm_mode_16_64 3
		.amdhsa_dx10_clamp 1
		.amdhsa_ieee_mode 1
		.amdhsa_fp16_overflow 0
		.amdhsa_tg_split 0
		.amdhsa_exception_fp_ieee_invalid_op 0
		.amdhsa_exception_fp_denorm_src 0
		.amdhsa_exception_fp_ieee_div_zero 0
		.amdhsa_exception_fp_ieee_overflow 0
		.amdhsa_exception_fp_ieee_underflow 0
		.amdhsa_exception_fp_ieee_inexact 0
		.amdhsa_exception_int_div_zero 0
	.end_amdhsa_kernel
	.section	.text._ZN7rocprim17ROCPRIM_400000_NS6detail17trampoline_kernelINS0_14default_configENS1_25partition_config_selectorILNS1_17partition_subalgoE8EhNS0_10empty_typeEbEEZZNS1_14partition_implILS5_8ELb0ES3_jPKhPS6_PKS6_NS0_5tupleIJPhS6_EEENSE_IJSB_SB_EEENS0_18inequality_wrapperIN6hipcub16HIPCUB_304000_NS8EqualityEEEPlJS6_EEE10hipError_tPvRmT3_T4_T5_T6_T7_T9_mT8_P12ihipStream_tbDpT10_ENKUlT_T0_E_clISt17integral_constantIbLb1EES17_EEDaS12_S13_EUlS12_E_NS1_11comp_targetILNS1_3genE10ELNS1_11target_archE1200ELNS1_3gpuE4ELNS1_3repE0EEENS1_30default_config_static_selectorELNS0_4arch9wavefront6targetE1EEEvT1_,"axG",@progbits,_ZN7rocprim17ROCPRIM_400000_NS6detail17trampoline_kernelINS0_14default_configENS1_25partition_config_selectorILNS1_17partition_subalgoE8EhNS0_10empty_typeEbEEZZNS1_14partition_implILS5_8ELb0ES3_jPKhPS6_PKS6_NS0_5tupleIJPhS6_EEENSE_IJSB_SB_EEENS0_18inequality_wrapperIN6hipcub16HIPCUB_304000_NS8EqualityEEEPlJS6_EEE10hipError_tPvRmT3_T4_T5_T6_T7_T9_mT8_P12ihipStream_tbDpT10_ENKUlT_T0_E_clISt17integral_constantIbLb1EES17_EEDaS12_S13_EUlS12_E_NS1_11comp_targetILNS1_3genE10ELNS1_11target_archE1200ELNS1_3gpuE4ELNS1_3repE0EEENS1_30default_config_static_selectorELNS0_4arch9wavefront6targetE1EEEvT1_,comdat
.Lfunc_end147:
	.size	_ZN7rocprim17ROCPRIM_400000_NS6detail17trampoline_kernelINS0_14default_configENS1_25partition_config_selectorILNS1_17partition_subalgoE8EhNS0_10empty_typeEbEEZZNS1_14partition_implILS5_8ELb0ES3_jPKhPS6_PKS6_NS0_5tupleIJPhS6_EEENSE_IJSB_SB_EEENS0_18inequality_wrapperIN6hipcub16HIPCUB_304000_NS8EqualityEEEPlJS6_EEE10hipError_tPvRmT3_T4_T5_T6_T7_T9_mT8_P12ihipStream_tbDpT10_ENKUlT_T0_E_clISt17integral_constantIbLb1EES17_EEDaS12_S13_EUlS12_E_NS1_11comp_targetILNS1_3genE10ELNS1_11target_archE1200ELNS1_3gpuE4ELNS1_3repE0EEENS1_30default_config_static_selectorELNS0_4arch9wavefront6targetE1EEEvT1_, .Lfunc_end147-_ZN7rocprim17ROCPRIM_400000_NS6detail17trampoline_kernelINS0_14default_configENS1_25partition_config_selectorILNS1_17partition_subalgoE8EhNS0_10empty_typeEbEEZZNS1_14partition_implILS5_8ELb0ES3_jPKhPS6_PKS6_NS0_5tupleIJPhS6_EEENSE_IJSB_SB_EEENS0_18inequality_wrapperIN6hipcub16HIPCUB_304000_NS8EqualityEEEPlJS6_EEE10hipError_tPvRmT3_T4_T5_T6_T7_T9_mT8_P12ihipStream_tbDpT10_ENKUlT_T0_E_clISt17integral_constantIbLb1EES17_EEDaS12_S13_EUlS12_E_NS1_11comp_targetILNS1_3genE10ELNS1_11target_archE1200ELNS1_3gpuE4ELNS1_3repE0EEENS1_30default_config_static_selectorELNS0_4arch9wavefront6targetE1EEEvT1_
                                        ; -- End function
	.section	.AMDGPU.csdata,"",@progbits
; Kernel info:
; codeLenInByte = 0
; NumSgprs: 6
; NumVgprs: 0
; NumAgprs: 0
; TotalNumVgprs: 0
; ScratchSize: 0
; MemoryBound: 0
; FloatMode: 240
; IeeeMode: 1
; LDSByteSize: 0 bytes/workgroup (compile time only)
; SGPRBlocks: 0
; VGPRBlocks: 0
; NumSGPRsForWavesPerEU: 6
; NumVGPRsForWavesPerEU: 1
; AccumOffset: 4
; Occupancy: 8
; WaveLimiterHint : 0
; COMPUTE_PGM_RSRC2:SCRATCH_EN: 0
; COMPUTE_PGM_RSRC2:USER_SGPR: 2
; COMPUTE_PGM_RSRC2:TRAP_HANDLER: 0
; COMPUTE_PGM_RSRC2:TGID_X_EN: 1
; COMPUTE_PGM_RSRC2:TGID_Y_EN: 0
; COMPUTE_PGM_RSRC2:TGID_Z_EN: 0
; COMPUTE_PGM_RSRC2:TIDIG_COMP_CNT: 0
; COMPUTE_PGM_RSRC3_GFX90A:ACCUM_OFFSET: 0
; COMPUTE_PGM_RSRC3_GFX90A:TG_SPLIT: 0
	.section	.text._ZN7rocprim17ROCPRIM_400000_NS6detail17trampoline_kernelINS0_14default_configENS1_25partition_config_selectorILNS1_17partition_subalgoE8EhNS0_10empty_typeEbEEZZNS1_14partition_implILS5_8ELb0ES3_jPKhPS6_PKS6_NS0_5tupleIJPhS6_EEENSE_IJSB_SB_EEENS0_18inequality_wrapperIN6hipcub16HIPCUB_304000_NS8EqualityEEEPlJS6_EEE10hipError_tPvRmT3_T4_T5_T6_T7_T9_mT8_P12ihipStream_tbDpT10_ENKUlT_T0_E_clISt17integral_constantIbLb1EES17_EEDaS12_S13_EUlS12_E_NS1_11comp_targetILNS1_3genE9ELNS1_11target_archE1100ELNS1_3gpuE3ELNS1_3repE0EEENS1_30default_config_static_selectorELNS0_4arch9wavefront6targetE1EEEvT1_,"axG",@progbits,_ZN7rocprim17ROCPRIM_400000_NS6detail17trampoline_kernelINS0_14default_configENS1_25partition_config_selectorILNS1_17partition_subalgoE8EhNS0_10empty_typeEbEEZZNS1_14partition_implILS5_8ELb0ES3_jPKhPS6_PKS6_NS0_5tupleIJPhS6_EEENSE_IJSB_SB_EEENS0_18inequality_wrapperIN6hipcub16HIPCUB_304000_NS8EqualityEEEPlJS6_EEE10hipError_tPvRmT3_T4_T5_T6_T7_T9_mT8_P12ihipStream_tbDpT10_ENKUlT_T0_E_clISt17integral_constantIbLb1EES17_EEDaS12_S13_EUlS12_E_NS1_11comp_targetILNS1_3genE9ELNS1_11target_archE1100ELNS1_3gpuE3ELNS1_3repE0EEENS1_30default_config_static_selectorELNS0_4arch9wavefront6targetE1EEEvT1_,comdat
	.protected	_ZN7rocprim17ROCPRIM_400000_NS6detail17trampoline_kernelINS0_14default_configENS1_25partition_config_selectorILNS1_17partition_subalgoE8EhNS0_10empty_typeEbEEZZNS1_14partition_implILS5_8ELb0ES3_jPKhPS6_PKS6_NS0_5tupleIJPhS6_EEENSE_IJSB_SB_EEENS0_18inequality_wrapperIN6hipcub16HIPCUB_304000_NS8EqualityEEEPlJS6_EEE10hipError_tPvRmT3_T4_T5_T6_T7_T9_mT8_P12ihipStream_tbDpT10_ENKUlT_T0_E_clISt17integral_constantIbLb1EES17_EEDaS12_S13_EUlS12_E_NS1_11comp_targetILNS1_3genE9ELNS1_11target_archE1100ELNS1_3gpuE3ELNS1_3repE0EEENS1_30default_config_static_selectorELNS0_4arch9wavefront6targetE1EEEvT1_ ; -- Begin function _ZN7rocprim17ROCPRIM_400000_NS6detail17trampoline_kernelINS0_14default_configENS1_25partition_config_selectorILNS1_17partition_subalgoE8EhNS0_10empty_typeEbEEZZNS1_14partition_implILS5_8ELb0ES3_jPKhPS6_PKS6_NS0_5tupleIJPhS6_EEENSE_IJSB_SB_EEENS0_18inequality_wrapperIN6hipcub16HIPCUB_304000_NS8EqualityEEEPlJS6_EEE10hipError_tPvRmT3_T4_T5_T6_T7_T9_mT8_P12ihipStream_tbDpT10_ENKUlT_T0_E_clISt17integral_constantIbLb1EES17_EEDaS12_S13_EUlS12_E_NS1_11comp_targetILNS1_3genE9ELNS1_11target_archE1100ELNS1_3gpuE3ELNS1_3repE0EEENS1_30default_config_static_selectorELNS0_4arch9wavefront6targetE1EEEvT1_
	.globl	_ZN7rocprim17ROCPRIM_400000_NS6detail17trampoline_kernelINS0_14default_configENS1_25partition_config_selectorILNS1_17partition_subalgoE8EhNS0_10empty_typeEbEEZZNS1_14partition_implILS5_8ELb0ES3_jPKhPS6_PKS6_NS0_5tupleIJPhS6_EEENSE_IJSB_SB_EEENS0_18inequality_wrapperIN6hipcub16HIPCUB_304000_NS8EqualityEEEPlJS6_EEE10hipError_tPvRmT3_T4_T5_T6_T7_T9_mT8_P12ihipStream_tbDpT10_ENKUlT_T0_E_clISt17integral_constantIbLb1EES17_EEDaS12_S13_EUlS12_E_NS1_11comp_targetILNS1_3genE9ELNS1_11target_archE1100ELNS1_3gpuE3ELNS1_3repE0EEENS1_30default_config_static_selectorELNS0_4arch9wavefront6targetE1EEEvT1_
	.p2align	8
	.type	_ZN7rocprim17ROCPRIM_400000_NS6detail17trampoline_kernelINS0_14default_configENS1_25partition_config_selectorILNS1_17partition_subalgoE8EhNS0_10empty_typeEbEEZZNS1_14partition_implILS5_8ELb0ES3_jPKhPS6_PKS6_NS0_5tupleIJPhS6_EEENSE_IJSB_SB_EEENS0_18inequality_wrapperIN6hipcub16HIPCUB_304000_NS8EqualityEEEPlJS6_EEE10hipError_tPvRmT3_T4_T5_T6_T7_T9_mT8_P12ihipStream_tbDpT10_ENKUlT_T0_E_clISt17integral_constantIbLb1EES17_EEDaS12_S13_EUlS12_E_NS1_11comp_targetILNS1_3genE9ELNS1_11target_archE1100ELNS1_3gpuE3ELNS1_3repE0EEENS1_30default_config_static_selectorELNS0_4arch9wavefront6targetE1EEEvT1_,@function
_ZN7rocprim17ROCPRIM_400000_NS6detail17trampoline_kernelINS0_14default_configENS1_25partition_config_selectorILNS1_17partition_subalgoE8EhNS0_10empty_typeEbEEZZNS1_14partition_implILS5_8ELb0ES3_jPKhPS6_PKS6_NS0_5tupleIJPhS6_EEENSE_IJSB_SB_EEENS0_18inequality_wrapperIN6hipcub16HIPCUB_304000_NS8EqualityEEEPlJS6_EEE10hipError_tPvRmT3_T4_T5_T6_T7_T9_mT8_P12ihipStream_tbDpT10_ENKUlT_T0_E_clISt17integral_constantIbLb1EES17_EEDaS12_S13_EUlS12_E_NS1_11comp_targetILNS1_3genE9ELNS1_11target_archE1100ELNS1_3gpuE3ELNS1_3repE0EEENS1_30default_config_static_selectorELNS0_4arch9wavefront6targetE1EEEvT1_: ; @_ZN7rocprim17ROCPRIM_400000_NS6detail17trampoline_kernelINS0_14default_configENS1_25partition_config_selectorILNS1_17partition_subalgoE8EhNS0_10empty_typeEbEEZZNS1_14partition_implILS5_8ELb0ES3_jPKhPS6_PKS6_NS0_5tupleIJPhS6_EEENSE_IJSB_SB_EEENS0_18inequality_wrapperIN6hipcub16HIPCUB_304000_NS8EqualityEEEPlJS6_EEE10hipError_tPvRmT3_T4_T5_T6_T7_T9_mT8_P12ihipStream_tbDpT10_ENKUlT_T0_E_clISt17integral_constantIbLb1EES17_EEDaS12_S13_EUlS12_E_NS1_11comp_targetILNS1_3genE9ELNS1_11target_archE1100ELNS1_3gpuE3ELNS1_3repE0EEENS1_30default_config_static_selectorELNS0_4arch9wavefront6targetE1EEEvT1_
; %bb.0:
	.section	.rodata,"a",@progbits
	.p2align	6, 0x0
	.amdhsa_kernel _ZN7rocprim17ROCPRIM_400000_NS6detail17trampoline_kernelINS0_14default_configENS1_25partition_config_selectorILNS1_17partition_subalgoE8EhNS0_10empty_typeEbEEZZNS1_14partition_implILS5_8ELb0ES3_jPKhPS6_PKS6_NS0_5tupleIJPhS6_EEENSE_IJSB_SB_EEENS0_18inequality_wrapperIN6hipcub16HIPCUB_304000_NS8EqualityEEEPlJS6_EEE10hipError_tPvRmT3_T4_T5_T6_T7_T9_mT8_P12ihipStream_tbDpT10_ENKUlT_T0_E_clISt17integral_constantIbLb1EES17_EEDaS12_S13_EUlS12_E_NS1_11comp_targetILNS1_3genE9ELNS1_11target_archE1100ELNS1_3gpuE3ELNS1_3repE0EEENS1_30default_config_static_selectorELNS0_4arch9wavefront6targetE1EEEvT1_
		.amdhsa_group_segment_fixed_size 0
		.amdhsa_private_segment_fixed_size 0
		.amdhsa_kernarg_size 128
		.amdhsa_user_sgpr_count 2
		.amdhsa_user_sgpr_dispatch_ptr 0
		.amdhsa_user_sgpr_queue_ptr 0
		.amdhsa_user_sgpr_kernarg_segment_ptr 1
		.amdhsa_user_sgpr_dispatch_id 0
		.amdhsa_user_sgpr_kernarg_preload_length 0
		.amdhsa_user_sgpr_kernarg_preload_offset 0
		.amdhsa_user_sgpr_private_segment_size 0
		.amdhsa_uses_dynamic_stack 0
		.amdhsa_enable_private_segment 0
		.amdhsa_system_sgpr_workgroup_id_x 1
		.amdhsa_system_sgpr_workgroup_id_y 0
		.amdhsa_system_sgpr_workgroup_id_z 0
		.amdhsa_system_sgpr_workgroup_info 0
		.amdhsa_system_vgpr_workitem_id 0
		.amdhsa_next_free_vgpr 1
		.amdhsa_next_free_sgpr 0
		.amdhsa_accum_offset 4
		.amdhsa_reserve_vcc 0
		.amdhsa_float_round_mode_32 0
		.amdhsa_float_round_mode_16_64 0
		.amdhsa_float_denorm_mode_32 3
		.amdhsa_float_denorm_mode_16_64 3
		.amdhsa_dx10_clamp 1
		.amdhsa_ieee_mode 1
		.amdhsa_fp16_overflow 0
		.amdhsa_tg_split 0
		.amdhsa_exception_fp_ieee_invalid_op 0
		.amdhsa_exception_fp_denorm_src 0
		.amdhsa_exception_fp_ieee_div_zero 0
		.amdhsa_exception_fp_ieee_overflow 0
		.amdhsa_exception_fp_ieee_underflow 0
		.amdhsa_exception_fp_ieee_inexact 0
		.amdhsa_exception_int_div_zero 0
	.end_amdhsa_kernel
	.section	.text._ZN7rocprim17ROCPRIM_400000_NS6detail17trampoline_kernelINS0_14default_configENS1_25partition_config_selectorILNS1_17partition_subalgoE8EhNS0_10empty_typeEbEEZZNS1_14partition_implILS5_8ELb0ES3_jPKhPS6_PKS6_NS0_5tupleIJPhS6_EEENSE_IJSB_SB_EEENS0_18inequality_wrapperIN6hipcub16HIPCUB_304000_NS8EqualityEEEPlJS6_EEE10hipError_tPvRmT3_T4_T5_T6_T7_T9_mT8_P12ihipStream_tbDpT10_ENKUlT_T0_E_clISt17integral_constantIbLb1EES17_EEDaS12_S13_EUlS12_E_NS1_11comp_targetILNS1_3genE9ELNS1_11target_archE1100ELNS1_3gpuE3ELNS1_3repE0EEENS1_30default_config_static_selectorELNS0_4arch9wavefront6targetE1EEEvT1_,"axG",@progbits,_ZN7rocprim17ROCPRIM_400000_NS6detail17trampoline_kernelINS0_14default_configENS1_25partition_config_selectorILNS1_17partition_subalgoE8EhNS0_10empty_typeEbEEZZNS1_14partition_implILS5_8ELb0ES3_jPKhPS6_PKS6_NS0_5tupleIJPhS6_EEENSE_IJSB_SB_EEENS0_18inequality_wrapperIN6hipcub16HIPCUB_304000_NS8EqualityEEEPlJS6_EEE10hipError_tPvRmT3_T4_T5_T6_T7_T9_mT8_P12ihipStream_tbDpT10_ENKUlT_T0_E_clISt17integral_constantIbLb1EES17_EEDaS12_S13_EUlS12_E_NS1_11comp_targetILNS1_3genE9ELNS1_11target_archE1100ELNS1_3gpuE3ELNS1_3repE0EEENS1_30default_config_static_selectorELNS0_4arch9wavefront6targetE1EEEvT1_,comdat
.Lfunc_end148:
	.size	_ZN7rocprim17ROCPRIM_400000_NS6detail17trampoline_kernelINS0_14default_configENS1_25partition_config_selectorILNS1_17partition_subalgoE8EhNS0_10empty_typeEbEEZZNS1_14partition_implILS5_8ELb0ES3_jPKhPS6_PKS6_NS0_5tupleIJPhS6_EEENSE_IJSB_SB_EEENS0_18inequality_wrapperIN6hipcub16HIPCUB_304000_NS8EqualityEEEPlJS6_EEE10hipError_tPvRmT3_T4_T5_T6_T7_T9_mT8_P12ihipStream_tbDpT10_ENKUlT_T0_E_clISt17integral_constantIbLb1EES17_EEDaS12_S13_EUlS12_E_NS1_11comp_targetILNS1_3genE9ELNS1_11target_archE1100ELNS1_3gpuE3ELNS1_3repE0EEENS1_30default_config_static_selectorELNS0_4arch9wavefront6targetE1EEEvT1_, .Lfunc_end148-_ZN7rocprim17ROCPRIM_400000_NS6detail17trampoline_kernelINS0_14default_configENS1_25partition_config_selectorILNS1_17partition_subalgoE8EhNS0_10empty_typeEbEEZZNS1_14partition_implILS5_8ELb0ES3_jPKhPS6_PKS6_NS0_5tupleIJPhS6_EEENSE_IJSB_SB_EEENS0_18inequality_wrapperIN6hipcub16HIPCUB_304000_NS8EqualityEEEPlJS6_EEE10hipError_tPvRmT3_T4_T5_T6_T7_T9_mT8_P12ihipStream_tbDpT10_ENKUlT_T0_E_clISt17integral_constantIbLb1EES17_EEDaS12_S13_EUlS12_E_NS1_11comp_targetILNS1_3genE9ELNS1_11target_archE1100ELNS1_3gpuE3ELNS1_3repE0EEENS1_30default_config_static_selectorELNS0_4arch9wavefront6targetE1EEEvT1_
                                        ; -- End function
	.section	.AMDGPU.csdata,"",@progbits
; Kernel info:
; codeLenInByte = 0
; NumSgprs: 6
; NumVgprs: 0
; NumAgprs: 0
; TotalNumVgprs: 0
; ScratchSize: 0
; MemoryBound: 0
; FloatMode: 240
; IeeeMode: 1
; LDSByteSize: 0 bytes/workgroup (compile time only)
; SGPRBlocks: 0
; VGPRBlocks: 0
; NumSGPRsForWavesPerEU: 6
; NumVGPRsForWavesPerEU: 1
; AccumOffset: 4
; Occupancy: 8
; WaveLimiterHint : 0
; COMPUTE_PGM_RSRC2:SCRATCH_EN: 0
; COMPUTE_PGM_RSRC2:USER_SGPR: 2
; COMPUTE_PGM_RSRC2:TRAP_HANDLER: 0
; COMPUTE_PGM_RSRC2:TGID_X_EN: 1
; COMPUTE_PGM_RSRC2:TGID_Y_EN: 0
; COMPUTE_PGM_RSRC2:TGID_Z_EN: 0
; COMPUTE_PGM_RSRC2:TIDIG_COMP_CNT: 0
; COMPUTE_PGM_RSRC3_GFX90A:ACCUM_OFFSET: 0
; COMPUTE_PGM_RSRC3_GFX90A:TG_SPLIT: 0
	.section	.text._ZN7rocprim17ROCPRIM_400000_NS6detail17trampoline_kernelINS0_14default_configENS1_25partition_config_selectorILNS1_17partition_subalgoE8EhNS0_10empty_typeEbEEZZNS1_14partition_implILS5_8ELb0ES3_jPKhPS6_PKS6_NS0_5tupleIJPhS6_EEENSE_IJSB_SB_EEENS0_18inequality_wrapperIN6hipcub16HIPCUB_304000_NS8EqualityEEEPlJS6_EEE10hipError_tPvRmT3_T4_T5_T6_T7_T9_mT8_P12ihipStream_tbDpT10_ENKUlT_T0_E_clISt17integral_constantIbLb1EES17_EEDaS12_S13_EUlS12_E_NS1_11comp_targetILNS1_3genE8ELNS1_11target_archE1030ELNS1_3gpuE2ELNS1_3repE0EEENS1_30default_config_static_selectorELNS0_4arch9wavefront6targetE1EEEvT1_,"axG",@progbits,_ZN7rocprim17ROCPRIM_400000_NS6detail17trampoline_kernelINS0_14default_configENS1_25partition_config_selectorILNS1_17partition_subalgoE8EhNS0_10empty_typeEbEEZZNS1_14partition_implILS5_8ELb0ES3_jPKhPS6_PKS6_NS0_5tupleIJPhS6_EEENSE_IJSB_SB_EEENS0_18inequality_wrapperIN6hipcub16HIPCUB_304000_NS8EqualityEEEPlJS6_EEE10hipError_tPvRmT3_T4_T5_T6_T7_T9_mT8_P12ihipStream_tbDpT10_ENKUlT_T0_E_clISt17integral_constantIbLb1EES17_EEDaS12_S13_EUlS12_E_NS1_11comp_targetILNS1_3genE8ELNS1_11target_archE1030ELNS1_3gpuE2ELNS1_3repE0EEENS1_30default_config_static_selectorELNS0_4arch9wavefront6targetE1EEEvT1_,comdat
	.protected	_ZN7rocprim17ROCPRIM_400000_NS6detail17trampoline_kernelINS0_14default_configENS1_25partition_config_selectorILNS1_17partition_subalgoE8EhNS0_10empty_typeEbEEZZNS1_14partition_implILS5_8ELb0ES3_jPKhPS6_PKS6_NS0_5tupleIJPhS6_EEENSE_IJSB_SB_EEENS0_18inequality_wrapperIN6hipcub16HIPCUB_304000_NS8EqualityEEEPlJS6_EEE10hipError_tPvRmT3_T4_T5_T6_T7_T9_mT8_P12ihipStream_tbDpT10_ENKUlT_T0_E_clISt17integral_constantIbLb1EES17_EEDaS12_S13_EUlS12_E_NS1_11comp_targetILNS1_3genE8ELNS1_11target_archE1030ELNS1_3gpuE2ELNS1_3repE0EEENS1_30default_config_static_selectorELNS0_4arch9wavefront6targetE1EEEvT1_ ; -- Begin function _ZN7rocprim17ROCPRIM_400000_NS6detail17trampoline_kernelINS0_14default_configENS1_25partition_config_selectorILNS1_17partition_subalgoE8EhNS0_10empty_typeEbEEZZNS1_14partition_implILS5_8ELb0ES3_jPKhPS6_PKS6_NS0_5tupleIJPhS6_EEENSE_IJSB_SB_EEENS0_18inequality_wrapperIN6hipcub16HIPCUB_304000_NS8EqualityEEEPlJS6_EEE10hipError_tPvRmT3_T4_T5_T6_T7_T9_mT8_P12ihipStream_tbDpT10_ENKUlT_T0_E_clISt17integral_constantIbLb1EES17_EEDaS12_S13_EUlS12_E_NS1_11comp_targetILNS1_3genE8ELNS1_11target_archE1030ELNS1_3gpuE2ELNS1_3repE0EEENS1_30default_config_static_selectorELNS0_4arch9wavefront6targetE1EEEvT1_
	.globl	_ZN7rocprim17ROCPRIM_400000_NS6detail17trampoline_kernelINS0_14default_configENS1_25partition_config_selectorILNS1_17partition_subalgoE8EhNS0_10empty_typeEbEEZZNS1_14partition_implILS5_8ELb0ES3_jPKhPS6_PKS6_NS0_5tupleIJPhS6_EEENSE_IJSB_SB_EEENS0_18inequality_wrapperIN6hipcub16HIPCUB_304000_NS8EqualityEEEPlJS6_EEE10hipError_tPvRmT3_T4_T5_T6_T7_T9_mT8_P12ihipStream_tbDpT10_ENKUlT_T0_E_clISt17integral_constantIbLb1EES17_EEDaS12_S13_EUlS12_E_NS1_11comp_targetILNS1_3genE8ELNS1_11target_archE1030ELNS1_3gpuE2ELNS1_3repE0EEENS1_30default_config_static_selectorELNS0_4arch9wavefront6targetE1EEEvT1_
	.p2align	8
	.type	_ZN7rocprim17ROCPRIM_400000_NS6detail17trampoline_kernelINS0_14default_configENS1_25partition_config_selectorILNS1_17partition_subalgoE8EhNS0_10empty_typeEbEEZZNS1_14partition_implILS5_8ELb0ES3_jPKhPS6_PKS6_NS0_5tupleIJPhS6_EEENSE_IJSB_SB_EEENS0_18inequality_wrapperIN6hipcub16HIPCUB_304000_NS8EqualityEEEPlJS6_EEE10hipError_tPvRmT3_T4_T5_T6_T7_T9_mT8_P12ihipStream_tbDpT10_ENKUlT_T0_E_clISt17integral_constantIbLb1EES17_EEDaS12_S13_EUlS12_E_NS1_11comp_targetILNS1_3genE8ELNS1_11target_archE1030ELNS1_3gpuE2ELNS1_3repE0EEENS1_30default_config_static_selectorELNS0_4arch9wavefront6targetE1EEEvT1_,@function
_ZN7rocprim17ROCPRIM_400000_NS6detail17trampoline_kernelINS0_14default_configENS1_25partition_config_selectorILNS1_17partition_subalgoE8EhNS0_10empty_typeEbEEZZNS1_14partition_implILS5_8ELb0ES3_jPKhPS6_PKS6_NS0_5tupleIJPhS6_EEENSE_IJSB_SB_EEENS0_18inequality_wrapperIN6hipcub16HIPCUB_304000_NS8EqualityEEEPlJS6_EEE10hipError_tPvRmT3_T4_T5_T6_T7_T9_mT8_P12ihipStream_tbDpT10_ENKUlT_T0_E_clISt17integral_constantIbLb1EES17_EEDaS12_S13_EUlS12_E_NS1_11comp_targetILNS1_3genE8ELNS1_11target_archE1030ELNS1_3gpuE2ELNS1_3repE0EEENS1_30default_config_static_selectorELNS0_4arch9wavefront6targetE1EEEvT1_: ; @_ZN7rocprim17ROCPRIM_400000_NS6detail17trampoline_kernelINS0_14default_configENS1_25partition_config_selectorILNS1_17partition_subalgoE8EhNS0_10empty_typeEbEEZZNS1_14partition_implILS5_8ELb0ES3_jPKhPS6_PKS6_NS0_5tupleIJPhS6_EEENSE_IJSB_SB_EEENS0_18inequality_wrapperIN6hipcub16HIPCUB_304000_NS8EqualityEEEPlJS6_EEE10hipError_tPvRmT3_T4_T5_T6_T7_T9_mT8_P12ihipStream_tbDpT10_ENKUlT_T0_E_clISt17integral_constantIbLb1EES17_EEDaS12_S13_EUlS12_E_NS1_11comp_targetILNS1_3genE8ELNS1_11target_archE1030ELNS1_3gpuE2ELNS1_3repE0EEENS1_30default_config_static_selectorELNS0_4arch9wavefront6targetE1EEEvT1_
; %bb.0:
	.section	.rodata,"a",@progbits
	.p2align	6, 0x0
	.amdhsa_kernel _ZN7rocprim17ROCPRIM_400000_NS6detail17trampoline_kernelINS0_14default_configENS1_25partition_config_selectorILNS1_17partition_subalgoE8EhNS0_10empty_typeEbEEZZNS1_14partition_implILS5_8ELb0ES3_jPKhPS6_PKS6_NS0_5tupleIJPhS6_EEENSE_IJSB_SB_EEENS0_18inequality_wrapperIN6hipcub16HIPCUB_304000_NS8EqualityEEEPlJS6_EEE10hipError_tPvRmT3_T4_T5_T6_T7_T9_mT8_P12ihipStream_tbDpT10_ENKUlT_T0_E_clISt17integral_constantIbLb1EES17_EEDaS12_S13_EUlS12_E_NS1_11comp_targetILNS1_3genE8ELNS1_11target_archE1030ELNS1_3gpuE2ELNS1_3repE0EEENS1_30default_config_static_selectorELNS0_4arch9wavefront6targetE1EEEvT1_
		.amdhsa_group_segment_fixed_size 0
		.amdhsa_private_segment_fixed_size 0
		.amdhsa_kernarg_size 128
		.amdhsa_user_sgpr_count 2
		.amdhsa_user_sgpr_dispatch_ptr 0
		.amdhsa_user_sgpr_queue_ptr 0
		.amdhsa_user_sgpr_kernarg_segment_ptr 1
		.amdhsa_user_sgpr_dispatch_id 0
		.amdhsa_user_sgpr_kernarg_preload_length 0
		.amdhsa_user_sgpr_kernarg_preload_offset 0
		.amdhsa_user_sgpr_private_segment_size 0
		.amdhsa_uses_dynamic_stack 0
		.amdhsa_enable_private_segment 0
		.amdhsa_system_sgpr_workgroup_id_x 1
		.amdhsa_system_sgpr_workgroup_id_y 0
		.amdhsa_system_sgpr_workgroup_id_z 0
		.amdhsa_system_sgpr_workgroup_info 0
		.amdhsa_system_vgpr_workitem_id 0
		.amdhsa_next_free_vgpr 1
		.amdhsa_next_free_sgpr 0
		.amdhsa_accum_offset 4
		.amdhsa_reserve_vcc 0
		.amdhsa_float_round_mode_32 0
		.amdhsa_float_round_mode_16_64 0
		.amdhsa_float_denorm_mode_32 3
		.amdhsa_float_denorm_mode_16_64 3
		.amdhsa_dx10_clamp 1
		.amdhsa_ieee_mode 1
		.amdhsa_fp16_overflow 0
		.amdhsa_tg_split 0
		.amdhsa_exception_fp_ieee_invalid_op 0
		.amdhsa_exception_fp_denorm_src 0
		.amdhsa_exception_fp_ieee_div_zero 0
		.amdhsa_exception_fp_ieee_overflow 0
		.amdhsa_exception_fp_ieee_underflow 0
		.amdhsa_exception_fp_ieee_inexact 0
		.amdhsa_exception_int_div_zero 0
	.end_amdhsa_kernel
	.section	.text._ZN7rocprim17ROCPRIM_400000_NS6detail17trampoline_kernelINS0_14default_configENS1_25partition_config_selectorILNS1_17partition_subalgoE8EhNS0_10empty_typeEbEEZZNS1_14partition_implILS5_8ELb0ES3_jPKhPS6_PKS6_NS0_5tupleIJPhS6_EEENSE_IJSB_SB_EEENS0_18inequality_wrapperIN6hipcub16HIPCUB_304000_NS8EqualityEEEPlJS6_EEE10hipError_tPvRmT3_T4_T5_T6_T7_T9_mT8_P12ihipStream_tbDpT10_ENKUlT_T0_E_clISt17integral_constantIbLb1EES17_EEDaS12_S13_EUlS12_E_NS1_11comp_targetILNS1_3genE8ELNS1_11target_archE1030ELNS1_3gpuE2ELNS1_3repE0EEENS1_30default_config_static_selectorELNS0_4arch9wavefront6targetE1EEEvT1_,"axG",@progbits,_ZN7rocprim17ROCPRIM_400000_NS6detail17trampoline_kernelINS0_14default_configENS1_25partition_config_selectorILNS1_17partition_subalgoE8EhNS0_10empty_typeEbEEZZNS1_14partition_implILS5_8ELb0ES3_jPKhPS6_PKS6_NS0_5tupleIJPhS6_EEENSE_IJSB_SB_EEENS0_18inequality_wrapperIN6hipcub16HIPCUB_304000_NS8EqualityEEEPlJS6_EEE10hipError_tPvRmT3_T4_T5_T6_T7_T9_mT8_P12ihipStream_tbDpT10_ENKUlT_T0_E_clISt17integral_constantIbLb1EES17_EEDaS12_S13_EUlS12_E_NS1_11comp_targetILNS1_3genE8ELNS1_11target_archE1030ELNS1_3gpuE2ELNS1_3repE0EEENS1_30default_config_static_selectorELNS0_4arch9wavefront6targetE1EEEvT1_,comdat
.Lfunc_end149:
	.size	_ZN7rocprim17ROCPRIM_400000_NS6detail17trampoline_kernelINS0_14default_configENS1_25partition_config_selectorILNS1_17partition_subalgoE8EhNS0_10empty_typeEbEEZZNS1_14partition_implILS5_8ELb0ES3_jPKhPS6_PKS6_NS0_5tupleIJPhS6_EEENSE_IJSB_SB_EEENS0_18inequality_wrapperIN6hipcub16HIPCUB_304000_NS8EqualityEEEPlJS6_EEE10hipError_tPvRmT3_T4_T5_T6_T7_T9_mT8_P12ihipStream_tbDpT10_ENKUlT_T0_E_clISt17integral_constantIbLb1EES17_EEDaS12_S13_EUlS12_E_NS1_11comp_targetILNS1_3genE8ELNS1_11target_archE1030ELNS1_3gpuE2ELNS1_3repE0EEENS1_30default_config_static_selectorELNS0_4arch9wavefront6targetE1EEEvT1_, .Lfunc_end149-_ZN7rocprim17ROCPRIM_400000_NS6detail17trampoline_kernelINS0_14default_configENS1_25partition_config_selectorILNS1_17partition_subalgoE8EhNS0_10empty_typeEbEEZZNS1_14partition_implILS5_8ELb0ES3_jPKhPS6_PKS6_NS0_5tupleIJPhS6_EEENSE_IJSB_SB_EEENS0_18inequality_wrapperIN6hipcub16HIPCUB_304000_NS8EqualityEEEPlJS6_EEE10hipError_tPvRmT3_T4_T5_T6_T7_T9_mT8_P12ihipStream_tbDpT10_ENKUlT_T0_E_clISt17integral_constantIbLb1EES17_EEDaS12_S13_EUlS12_E_NS1_11comp_targetILNS1_3genE8ELNS1_11target_archE1030ELNS1_3gpuE2ELNS1_3repE0EEENS1_30default_config_static_selectorELNS0_4arch9wavefront6targetE1EEEvT1_
                                        ; -- End function
	.section	.AMDGPU.csdata,"",@progbits
; Kernel info:
; codeLenInByte = 0
; NumSgprs: 6
; NumVgprs: 0
; NumAgprs: 0
; TotalNumVgprs: 0
; ScratchSize: 0
; MemoryBound: 0
; FloatMode: 240
; IeeeMode: 1
; LDSByteSize: 0 bytes/workgroup (compile time only)
; SGPRBlocks: 0
; VGPRBlocks: 0
; NumSGPRsForWavesPerEU: 6
; NumVGPRsForWavesPerEU: 1
; AccumOffset: 4
; Occupancy: 8
; WaveLimiterHint : 0
; COMPUTE_PGM_RSRC2:SCRATCH_EN: 0
; COMPUTE_PGM_RSRC2:USER_SGPR: 2
; COMPUTE_PGM_RSRC2:TRAP_HANDLER: 0
; COMPUTE_PGM_RSRC2:TGID_X_EN: 1
; COMPUTE_PGM_RSRC2:TGID_Y_EN: 0
; COMPUTE_PGM_RSRC2:TGID_Z_EN: 0
; COMPUTE_PGM_RSRC2:TIDIG_COMP_CNT: 0
; COMPUTE_PGM_RSRC3_GFX90A:ACCUM_OFFSET: 0
; COMPUTE_PGM_RSRC3_GFX90A:TG_SPLIT: 0
	.section	.text._ZN7rocprim17ROCPRIM_400000_NS6detail17trampoline_kernelINS0_14default_configENS1_25partition_config_selectorILNS1_17partition_subalgoE8EhNS0_10empty_typeEbEEZZNS1_14partition_implILS5_8ELb0ES3_jPKhPS6_PKS6_NS0_5tupleIJPhS6_EEENSE_IJSB_SB_EEENS0_18inequality_wrapperIN6hipcub16HIPCUB_304000_NS8EqualityEEEPlJS6_EEE10hipError_tPvRmT3_T4_T5_T6_T7_T9_mT8_P12ihipStream_tbDpT10_ENKUlT_T0_E_clISt17integral_constantIbLb1EES16_IbLb0EEEEDaS12_S13_EUlS12_E_NS1_11comp_targetILNS1_3genE0ELNS1_11target_archE4294967295ELNS1_3gpuE0ELNS1_3repE0EEENS1_30default_config_static_selectorELNS0_4arch9wavefront6targetE1EEEvT1_,"axG",@progbits,_ZN7rocprim17ROCPRIM_400000_NS6detail17trampoline_kernelINS0_14default_configENS1_25partition_config_selectorILNS1_17partition_subalgoE8EhNS0_10empty_typeEbEEZZNS1_14partition_implILS5_8ELb0ES3_jPKhPS6_PKS6_NS0_5tupleIJPhS6_EEENSE_IJSB_SB_EEENS0_18inequality_wrapperIN6hipcub16HIPCUB_304000_NS8EqualityEEEPlJS6_EEE10hipError_tPvRmT3_T4_T5_T6_T7_T9_mT8_P12ihipStream_tbDpT10_ENKUlT_T0_E_clISt17integral_constantIbLb1EES16_IbLb0EEEEDaS12_S13_EUlS12_E_NS1_11comp_targetILNS1_3genE0ELNS1_11target_archE4294967295ELNS1_3gpuE0ELNS1_3repE0EEENS1_30default_config_static_selectorELNS0_4arch9wavefront6targetE1EEEvT1_,comdat
	.protected	_ZN7rocprim17ROCPRIM_400000_NS6detail17trampoline_kernelINS0_14default_configENS1_25partition_config_selectorILNS1_17partition_subalgoE8EhNS0_10empty_typeEbEEZZNS1_14partition_implILS5_8ELb0ES3_jPKhPS6_PKS6_NS0_5tupleIJPhS6_EEENSE_IJSB_SB_EEENS0_18inequality_wrapperIN6hipcub16HIPCUB_304000_NS8EqualityEEEPlJS6_EEE10hipError_tPvRmT3_T4_T5_T6_T7_T9_mT8_P12ihipStream_tbDpT10_ENKUlT_T0_E_clISt17integral_constantIbLb1EES16_IbLb0EEEEDaS12_S13_EUlS12_E_NS1_11comp_targetILNS1_3genE0ELNS1_11target_archE4294967295ELNS1_3gpuE0ELNS1_3repE0EEENS1_30default_config_static_selectorELNS0_4arch9wavefront6targetE1EEEvT1_ ; -- Begin function _ZN7rocprim17ROCPRIM_400000_NS6detail17trampoline_kernelINS0_14default_configENS1_25partition_config_selectorILNS1_17partition_subalgoE8EhNS0_10empty_typeEbEEZZNS1_14partition_implILS5_8ELb0ES3_jPKhPS6_PKS6_NS0_5tupleIJPhS6_EEENSE_IJSB_SB_EEENS0_18inequality_wrapperIN6hipcub16HIPCUB_304000_NS8EqualityEEEPlJS6_EEE10hipError_tPvRmT3_T4_T5_T6_T7_T9_mT8_P12ihipStream_tbDpT10_ENKUlT_T0_E_clISt17integral_constantIbLb1EES16_IbLb0EEEEDaS12_S13_EUlS12_E_NS1_11comp_targetILNS1_3genE0ELNS1_11target_archE4294967295ELNS1_3gpuE0ELNS1_3repE0EEENS1_30default_config_static_selectorELNS0_4arch9wavefront6targetE1EEEvT1_
	.globl	_ZN7rocprim17ROCPRIM_400000_NS6detail17trampoline_kernelINS0_14default_configENS1_25partition_config_selectorILNS1_17partition_subalgoE8EhNS0_10empty_typeEbEEZZNS1_14partition_implILS5_8ELb0ES3_jPKhPS6_PKS6_NS0_5tupleIJPhS6_EEENSE_IJSB_SB_EEENS0_18inequality_wrapperIN6hipcub16HIPCUB_304000_NS8EqualityEEEPlJS6_EEE10hipError_tPvRmT3_T4_T5_T6_T7_T9_mT8_P12ihipStream_tbDpT10_ENKUlT_T0_E_clISt17integral_constantIbLb1EES16_IbLb0EEEEDaS12_S13_EUlS12_E_NS1_11comp_targetILNS1_3genE0ELNS1_11target_archE4294967295ELNS1_3gpuE0ELNS1_3repE0EEENS1_30default_config_static_selectorELNS0_4arch9wavefront6targetE1EEEvT1_
	.p2align	8
	.type	_ZN7rocprim17ROCPRIM_400000_NS6detail17trampoline_kernelINS0_14default_configENS1_25partition_config_selectorILNS1_17partition_subalgoE8EhNS0_10empty_typeEbEEZZNS1_14partition_implILS5_8ELb0ES3_jPKhPS6_PKS6_NS0_5tupleIJPhS6_EEENSE_IJSB_SB_EEENS0_18inequality_wrapperIN6hipcub16HIPCUB_304000_NS8EqualityEEEPlJS6_EEE10hipError_tPvRmT3_T4_T5_T6_T7_T9_mT8_P12ihipStream_tbDpT10_ENKUlT_T0_E_clISt17integral_constantIbLb1EES16_IbLb0EEEEDaS12_S13_EUlS12_E_NS1_11comp_targetILNS1_3genE0ELNS1_11target_archE4294967295ELNS1_3gpuE0ELNS1_3repE0EEENS1_30default_config_static_selectorELNS0_4arch9wavefront6targetE1EEEvT1_,@function
_ZN7rocprim17ROCPRIM_400000_NS6detail17trampoline_kernelINS0_14default_configENS1_25partition_config_selectorILNS1_17partition_subalgoE8EhNS0_10empty_typeEbEEZZNS1_14partition_implILS5_8ELb0ES3_jPKhPS6_PKS6_NS0_5tupleIJPhS6_EEENSE_IJSB_SB_EEENS0_18inequality_wrapperIN6hipcub16HIPCUB_304000_NS8EqualityEEEPlJS6_EEE10hipError_tPvRmT3_T4_T5_T6_T7_T9_mT8_P12ihipStream_tbDpT10_ENKUlT_T0_E_clISt17integral_constantIbLb1EES16_IbLb0EEEEDaS12_S13_EUlS12_E_NS1_11comp_targetILNS1_3genE0ELNS1_11target_archE4294967295ELNS1_3gpuE0ELNS1_3repE0EEENS1_30default_config_static_selectorELNS0_4arch9wavefront6targetE1EEEvT1_: ; @_ZN7rocprim17ROCPRIM_400000_NS6detail17trampoline_kernelINS0_14default_configENS1_25partition_config_selectorILNS1_17partition_subalgoE8EhNS0_10empty_typeEbEEZZNS1_14partition_implILS5_8ELb0ES3_jPKhPS6_PKS6_NS0_5tupleIJPhS6_EEENSE_IJSB_SB_EEENS0_18inequality_wrapperIN6hipcub16HIPCUB_304000_NS8EqualityEEEPlJS6_EEE10hipError_tPvRmT3_T4_T5_T6_T7_T9_mT8_P12ihipStream_tbDpT10_ENKUlT_T0_E_clISt17integral_constantIbLb1EES16_IbLb0EEEEDaS12_S13_EUlS12_E_NS1_11comp_targetILNS1_3genE0ELNS1_11target_archE4294967295ELNS1_3gpuE0ELNS1_3repE0EEENS1_30default_config_static_selectorELNS0_4arch9wavefront6targetE1EEEvT1_
; %bb.0:
	.section	.rodata,"a",@progbits
	.p2align	6, 0x0
	.amdhsa_kernel _ZN7rocprim17ROCPRIM_400000_NS6detail17trampoline_kernelINS0_14default_configENS1_25partition_config_selectorILNS1_17partition_subalgoE8EhNS0_10empty_typeEbEEZZNS1_14partition_implILS5_8ELb0ES3_jPKhPS6_PKS6_NS0_5tupleIJPhS6_EEENSE_IJSB_SB_EEENS0_18inequality_wrapperIN6hipcub16HIPCUB_304000_NS8EqualityEEEPlJS6_EEE10hipError_tPvRmT3_T4_T5_T6_T7_T9_mT8_P12ihipStream_tbDpT10_ENKUlT_T0_E_clISt17integral_constantIbLb1EES16_IbLb0EEEEDaS12_S13_EUlS12_E_NS1_11comp_targetILNS1_3genE0ELNS1_11target_archE4294967295ELNS1_3gpuE0ELNS1_3repE0EEENS1_30default_config_static_selectorELNS0_4arch9wavefront6targetE1EEEvT1_
		.amdhsa_group_segment_fixed_size 0
		.amdhsa_private_segment_fixed_size 0
		.amdhsa_kernarg_size 112
		.amdhsa_user_sgpr_count 2
		.amdhsa_user_sgpr_dispatch_ptr 0
		.amdhsa_user_sgpr_queue_ptr 0
		.amdhsa_user_sgpr_kernarg_segment_ptr 1
		.amdhsa_user_sgpr_dispatch_id 0
		.amdhsa_user_sgpr_kernarg_preload_length 0
		.amdhsa_user_sgpr_kernarg_preload_offset 0
		.amdhsa_user_sgpr_private_segment_size 0
		.amdhsa_uses_dynamic_stack 0
		.amdhsa_enable_private_segment 0
		.amdhsa_system_sgpr_workgroup_id_x 1
		.amdhsa_system_sgpr_workgroup_id_y 0
		.amdhsa_system_sgpr_workgroup_id_z 0
		.amdhsa_system_sgpr_workgroup_info 0
		.amdhsa_system_vgpr_workitem_id 0
		.amdhsa_next_free_vgpr 1
		.amdhsa_next_free_sgpr 0
		.amdhsa_accum_offset 4
		.amdhsa_reserve_vcc 0
		.amdhsa_float_round_mode_32 0
		.amdhsa_float_round_mode_16_64 0
		.amdhsa_float_denorm_mode_32 3
		.amdhsa_float_denorm_mode_16_64 3
		.amdhsa_dx10_clamp 1
		.amdhsa_ieee_mode 1
		.amdhsa_fp16_overflow 0
		.amdhsa_tg_split 0
		.amdhsa_exception_fp_ieee_invalid_op 0
		.amdhsa_exception_fp_denorm_src 0
		.amdhsa_exception_fp_ieee_div_zero 0
		.amdhsa_exception_fp_ieee_overflow 0
		.amdhsa_exception_fp_ieee_underflow 0
		.amdhsa_exception_fp_ieee_inexact 0
		.amdhsa_exception_int_div_zero 0
	.end_amdhsa_kernel
	.section	.text._ZN7rocprim17ROCPRIM_400000_NS6detail17trampoline_kernelINS0_14default_configENS1_25partition_config_selectorILNS1_17partition_subalgoE8EhNS0_10empty_typeEbEEZZNS1_14partition_implILS5_8ELb0ES3_jPKhPS6_PKS6_NS0_5tupleIJPhS6_EEENSE_IJSB_SB_EEENS0_18inequality_wrapperIN6hipcub16HIPCUB_304000_NS8EqualityEEEPlJS6_EEE10hipError_tPvRmT3_T4_T5_T6_T7_T9_mT8_P12ihipStream_tbDpT10_ENKUlT_T0_E_clISt17integral_constantIbLb1EES16_IbLb0EEEEDaS12_S13_EUlS12_E_NS1_11comp_targetILNS1_3genE0ELNS1_11target_archE4294967295ELNS1_3gpuE0ELNS1_3repE0EEENS1_30default_config_static_selectorELNS0_4arch9wavefront6targetE1EEEvT1_,"axG",@progbits,_ZN7rocprim17ROCPRIM_400000_NS6detail17trampoline_kernelINS0_14default_configENS1_25partition_config_selectorILNS1_17partition_subalgoE8EhNS0_10empty_typeEbEEZZNS1_14partition_implILS5_8ELb0ES3_jPKhPS6_PKS6_NS0_5tupleIJPhS6_EEENSE_IJSB_SB_EEENS0_18inequality_wrapperIN6hipcub16HIPCUB_304000_NS8EqualityEEEPlJS6_EEE10hipError_tPvRmT3_T4_T5_T6_T7_T9_mT8_P12ihipStream_tbDpT10_ENKUlT_T0_E_clISt17integral_constantIbLb1EES16_IbLb0EEEEDaS12_S13_EUlS12_E_NS1_11comp_targetILNS1_3genE0ELNS1_11target_archE4294967295ELNS1_3gpuE0ELNS1_3repE0EEENS1_30default_config_static_selectorELNS0_4arch9wavefront6targetE1EEEvT1_,comdat
.Lfunc_end150:
	.size	_ZN7rocprim17ROCPRIM_400000_NS6detail17trampoline_kernelINS0_14default_configENS1_25partition_config_selectorILNS1_17partition_subalgoE8EhNS0_10empty_typeEbEEZZNS1_14partition_implILS5_8ELb0ES3_jPKhPS6_PKS6_NS0_5tupleIJPhS6_EEENSE_IJSB_SB_EEENS0_18inequality_wrapperIN6hipcub16HIPCUB_304000_NS8EqualityEEEPlJS6_EEE10hipError_tPvRmT3_T4_T5_T6_T7_T9_mT8_P12ihipStream_tbDpT10_ENKUlT_T0_E_clISt17integral_constantIbLb1EES16_IbLb0EEEEDaS12_S13_EUlS12_E_NS1_11comp_targetILNS1_3genE0ELNS1_11target_archE4294967295ELNS1_3gpuE0ELNS1_3repE0EEENS1_30default_config_static_selectorELNS0_4arch9wavefront6targetE1EEEvT1_, .Lfunc_end150-_ZN7rocprim17ROCPRIM_400000_NS6detail17trampoline_kernelINS0_14default_configENS1_25partition_config_selectorILNS1_17partition_subalgoE8EhNS0_10empty_typeEbEEZZNS1_14partition_implILS5_8ELb0ES3_jPKhPS6_PKS6_NS0_5tupleIJPhS6_EEENSE_IJSB_SB_EEENS0_18inequality_wrapperIN6hipcub16HIPCUB_304000_NS8EqualityEEEPlJS6_EEE10hipError_tPvRmT3_T4_T5_T6_T7_T9_mT8_P12ihipStream_tbDpT10_ENKUlT_T0_E_clISt17integral_constantIbLb1EES16_IbLb0EEEEDaS12_S13_EUlS12_E_NS1_11comp_targetILNS1_3genE0ELNS1_11target_archE4294967295ELNS1_3gpuE0ELNS1_3repE0EEENS1_30default_config_static_selectorELNS0_4arch9wavefront6targetE1EEEvT1_
                                        ; -- End function
	.section	.AMDGPU.csdata,"",@progbits
; Kernel info:
; codeLenInByte = 0
; NumSgprs: 6
; NumVgprs: 0
; NumAgprs: 0
; TotalNumVgprs: 0
; ScratchSize: 0
; MemoryBound: 0
; FloatMode: 240
; IeeeMode: 1
; LDSByteSize: 0 bytes/workgroup (compile time only)
; SGPRBlocks: 0
; VGPRBlocks: 0
; NumSGPRsForWavesPerEU: 6
; NumVGPRsForWavesPerEU: 1
; AccumOffset: 4
; Occupancy: 8
; WaveLimiterHint : 0
; COMPUTE_PGM_RSRC2:SCRATCH_EN: 0
; COMPUTE_PGM_RSRC2:USER_SGPR: 2
; COMPUTE_PGM_RSRC2:TRAP_HANDLER: 0
; COMPUTE_PGM_RSRC2:TGID_X_EN: 1
; COMPUTE_PGM_RSRC2:TGID_Y_EN: 0
; COMPUTE_PGM_RSRC2:TGID_Z_EN: 0
; COMPUTE_PGM_RSRC2:TIDIG_COMP_CNT: 0
; COMPUTE_PGM_RSRC3_GFX90A:ACCUM_OFFSET: 0
; COMPUTE_PGM_RSRC3_GFX90A:TG_SPLIT: 0
	.section	.text._ZN7rocprim17ROCPRIM_400000_NS6detail17trampoline_kernelINS0_14default_configENS1_25partition_config_selectorILNS1_17partition_subalgoE8EhNS0_10empty_typeEbEEZZNS1_14partition_implILS5_8ELb0ES3_jPKhPS6_PKS6_NS0_5tupleIJPhS6_EEENSE_IJSB_SB_EEENS0_18inequality_wrapperIN6hipcub16HIPCUB_304000_NS8EqualityEEEPlJS6_EEE10hipError_tPvRmT3_T4_T5_T6_T7_T9_mT8_P12ihipStream_tbDpT10_ENKUlT_T0_E_clISt17integral_constantIbLb1EES16_IbLb0EEEEDaS12_S13_EUlS12_E_NS1_11comp_targetILNS1_3genE5ELNS1_11target_archE942ELNS1_3gpuE9ELNS1_3repE0EEENS1_30default_config_static_selectorELNS0_4arch9wavefront6targetE1EEEvT1_,"axG",@progbits,_ZN7rocprim17ROCPRIM_400000_NS6detail17trampoline_kernelINS0_14default_configENS1_25partition_config_selectorILNS1_17partition_subalgoE8EhNS0_10empty_typeEbEEZZNS1_14partition_implILS5_8ELb0ES3_jPKhPS6_PKS6_NS0_5tupleIJPhS6_EEENSE_IJSB_SB_EEENS0_18inequality_wrapperIN6hipcub16HIPCUB_304000_NS8EqualityEEEPlJS6_EEE10hipError_tPvRmT3_T4_T5_T6_T7_T9_mT8_P12ihipStream_tbDpT10_ENKUlT_T0_E_clISt17integral_constantIbLb1EES16_IbLb0EEEEDaS12_S13_EUlS12_E_NS1_11comp_targetILNS1_3genE5ELNS1_11target_archE942ELNS1_3gpuE9ELNS1_3repE0EEENS1_30default_config_static_selectorELNS0_4arch9wavefront6targetE1EEEvT1_,comdat
	.protected	_ZN7rocprim17ROCPRIM_400000_NS6detail17trampoline_kernelINS0_14default_configENS1_25partition_config_selectorILNS1_17partition_subalgoE8EhNS0_10empty_typeEbEEZZNS1_14partition_implILS5_8ELb0ES3_jPKhPS6_PKS6_NS0_5tupleIJPhS6_EEENSE_IJSB_SB_EEENS0_18inequality_wrapperIN6hipcub16HIPCUB_304000_NS8EqualityEEEPlJS6_EEE10hipError_tPvRmT3_T4_T5_T6_T7_T9_mT8_P12ihipStream_tbDpT10_ENKUlT_T0_E_clISt17integral_constantIbLb1EES16_IbLb0EEEEDaS12_S13_EUlS12_E_NS1_11comp_targetILNS1_3genE5ELNS1_11target_archE942ELNS1_3gpuE9ELNS1_3repE0EEENS1_30default_config_static_selectorELNS0_4arch9wavefront6targetE1EEEvT1_ ; -- Begin function _ZN7rocprim17ROCPRIM_400000_NS6detail17trampoline_kernelINS0_14default_configENS1_25partition_config_selectorILNS1_17partition_subalgoE8EhNS0_10empty_typeEbEEZZNS1_14partition_implILS5_8ELb0ES3_jPKhPS6_PKS6_NS0_5tupleIJPhS6_EEENSE_IJSB_SB_EEENS0_18inequality_wrapperIN6hipcub16HIPCUB_304000_NS8EqualityEEEPlJS6_EEE10hipError_tPvRmT3_T4_T5_T6_T7_T9_mT8_P12ihipStream_tbDpT10_ENKUlT_T0_E_clISt17integral_constantIbLb1EES16_IbLb0EEEEDaS12_S13_EUlS12_E_NS1_11comp_targetILNS1_3genE5ELNS1_11target_archE942ELNS1_3gpuE9ELNS1_3repE0EEENS1_30default_config_static_selectorELNS0_4arch9wavefront6targetE1EEEvT1_
	.globl	_ZN7rocprim17ROCPRIM_400000_NS6detail17trampoline_kernelINS0_14default_configENS1_25partition_config_selectorILNS1_17partition_subalgoE8EhNS0_10empty_typeEbEEZZNS1_14partition_implILS5_8ELb0ES3_jPKhPS6_PKS6_NS0_5tupleIJPhS6_EEENSE_IJSB_SB_EEENS0_18inequality_wrapperIN6hipcub16HIPCUB_304000_NS8EqualityEEEPlJS6_EEE10hipError_tPvRmT3_T4_T5_T6_T7_T9_mT8_P12ihipStream_tbDpT10_ENKUlT_T0_E_clISt17integral_constantIbLb1EES16_IbLb0EEEEDaS12_S13_EUlS12_E_NS1_11comp_targetILNS1_3genE5ELNS1_11target_archE942ELNS1_3gpuE9ELNS1_3repE0EEENS1_30default_config_static_selectorELNS0_4arch9wavefront6targetE1EEEvT1_
	.p2align	8
	.type	_ZN7rocprim17ROCPRIM_400000_NS6detail17trampoline_kernelINS0_14default_configENS1_25partition_config_selectorILNS1_17partition_subalgoE8EhNS0_10empty_typeEbEEZZNS1_14partition_implILS5_8ELb0ES3_jPKhPS6_PKS6_NS0_5tupleIJPhS6_EEENSE_IJSB_SB_EEENS0_18inequality_wrapperIN6hipcub16HIPCUB_304000_NS8EqualityEEEPlJS6_EEE10hipError_tPvRmT3_T4_T5_T6_T7_T9_mT8_P12ihipStream_tbDpT10_ENKUlT_T0_E_clISt17integral_constantIbLb1EES16_IbLb0EEEEDaS12_S13_EUlS12_E_NS1_11comp_targetILNS1_3genE5ELNS1_11target_archE942ELNS1_3gpuE9ELNS1_3repE0EEENS1_30default_config_static_selectorELNS0_4arch9wavefront6targetE1EEEvT1_,@function
_ZN7rocprim17ROCPRIM_400000_NS6detail17trampoline_kernelINS0_14default_configENS1_25partition_config_selectorILNS1_17partition_subalgoE8EhNS0_10empty_typeEbEEZZNS1_14partition_implILS5_8ELb0ES3_jPKhPS6_PKS6_NS0_5tupleIJPhS6_EEENSE_IJSB_SB_EEENS0_18inequality_wrapperIN6hipcub16HIPCUB_304000_NS8EqualityEEEPlJS6_EEE10hipError_tPvRmT3_T4_T5_T6_T7_T9_mT8_P12ihipStream_tbDpT10_ENKUlT_T0_E_clISt17integral_constantIbLb1EES16_IbLb0EEEEDaS12_S13_EUlS12_E_NS1_11comp_targetILNS1_3genE5ELNS1_11target_archE942ELNS1_3gpuE9ELNS1_3repE0EEENS1_30default_config_static_selectorELNS0_4arch9wavefront6targetE1EEEvT1_: ; @_ZN7rocprim17ROCPRIM_400000_NS6detail17trampoline_kernelINS0_14default_configENS1_25partition_config_selectorILNS1_17partition_subalgoE8EhNS0_10empty_typeEbEEZZNS1_14partition_implILS5_8ELb0ES3_jPKhPS6_PKS6_NS0_5tupleIJPhS6_EEENSE_IJSB_SB_EEENS0_18inequality_wrapperIN6hipcub16HIPCUB_304000_NS8EqualityEEEPlJS6_EEE10hipError_tPvRmT3_T4_T5_T6_T7_T9_mT8_P12ihipStream_tbDpT10_ENKUlT_T0_E_clISt17integral_constantIbLb1EES16_IbLb0EEEEDaS12_S13_EUlS12_E_NS1_11comp_targetILNS1_3genE5ELNS1_11target_archE942ELNS1_3gpuE9ELNS1_3repE0EEENS1_30default_config_static_selectorELNS0_4arch9wavefront6targetE1EEEvT1_
; %bb.0:
	s_load_dwordx2 s[8:9], s[0:1], 0x50
	s_load_dwordx4 s[4:7], s[0:1], 0x8
	s_load_dwordx4 s[20:23], s[0:1], 0x40
	s_load_dword s10, s[0:1], 0x68
	v_mov_b32_e32 v22, v0
	s_waitcnt lgkmcnt(0)
	v_mov_b32_e32 v3, s9
	s_add_u32 s9, s4, s6
	s_addc_u32 s11, s5, s7
	s_add_i32 s12, s10, -1
	s_lshl_b32 s3, s12, 14
	s_lshl_b32 s14, s2, 14
	s_add_i32 s3, s6, s3
	s_lshl_b32 s4, s10, 14
	s_add_u32 s4, s6, s4
	s_addc_u32 s5, s7, 0
	v_mov_b32_e32 v2, s8
	s_cmp_eq_u32 s2, s12
	s_load_dwordx2 s[22:23], s[22:23], 0x0
	v_cmp_ge_u64_e32 vcc, s[4:5], v[2:3]
	s_cselect_b64 s[24:25], -1, 0
	s_and_b64 s[4:5], s[24:25], vcc
	s_xor_b64 s[26:27], s[4:5], -1
	s_add_u32 s10, s9, s14
	s_mov_b64 s[12:13], -1
	s_addc_u32 s11, s11, 0
	s_and_b64 vcc, exec, s[26:27]
	v_lshrrev_b32_e32 v2, 5, v0
	s_cbranch_vccz .LBB151_2
; %bb.1:
	global_load_ubyte v3, v0, s[10:11]
	global_load_ubyte v10, v0, s[10:11] offset:512
	global_load_ubyte v11, v0, s[10:11] offset:1024
	;; [unrolled: 1-line block ×7, first 2 shown]
	v_mov_b32_e32 v1, 0
	v_lshl_add_u64 v[4:5], s[10:11], 0, v[0:1]
	v_add_co_u32_e32 v6, vcc, 0x1000, v4
	v_and_b32_e32 v8, 12, v2
	s_nop 0
	v_addc_co_u32_e32 v7, vcc, 0, v5, vcc
	global_load_ubyte v1, v[6:7], off
	global_load_ubyte v17, v[6:7], off offset:512
	global_load_ubyte v20, v[6:7], off offset:1024
	;; [unrolled: 1-line block ×3, first 2 shown]
	v_or_b32_e32 v9, 0x200, v0
	v_or_b32_e32 v18, 0x400, v0
	;; [unrolled: 1-line block ×4, first 2 shown]
	v_add_u32_e32 v25, v8, v0
	v_lshrrev_b32_e32 v8, 5, v9
	v_lshrrev_b32_e32 v9, 5, v18
	;; [unrolled: 1-line block ×4, first 2 shown]
	global_load_ubyte v21, v[6:7], off offset:2048
	global_load_ubyte v28, v[6:7], off offset:2560
	global_load_ubyte v29, v[6:7], off offset:3072
	v_and_b32_e32 v27, 28, v8
	v_and_b32_e32 v9, 44, v9
	v_add_co_u32_e32 v8, vcc, 0x2000, v4
	v_add_u32_e32 v30, v9, v0
	s_nop 0
	v_addc_co_u32_e32 v9, vcc, 0, v5, vcc
	global_load_ubyte v31, v[8:9], off offset:512
	v_and_b32_e32 v18, 60, v18
	global_load_ubyte v6, v[6:7], off offset:3584
	v_add_u32_e32 v7, v18, v0
	global_load_ubyte v18, v[8:9], off
	global_load_ubyte v32, v[8:9], off offset:1024
	global_load_ubyte v33, v[8:9], off offset:1536
	;; [unrolled: 1-line block ×6, first 2 shown]
	v_or_b32_e32 v23, 0xa00, v0
	v_or_b32_e32 v24, 0xc00, v0
	v_add_co_u32_e32 v4, vcc, 0x3000, v4
	v_lshrrev_b32_e32 v23, 5, v23
	v_lshrrev_b32_e32 v24, 5, v24
	v_addc_co_u32_e32 v5, vcc, 0, v5, vcc
	v_and_b32_e32 v19, 0x4c, v19
	v_and_b32_e32 v23, 0x5c, v23
	;; [unrolled: 1-line block ×3, first 2 shown]
	global_load_ubyte v8, v[4:5], off
	global_load_ubyte v9, v[4:5], off offset:512
	global_load_ubyte v38, v[4:5], off offset:1024
	;; [unrolled: 1-line block ×7, first 2 shown]
	v_add_u32_e32 v27, v27, v0
	v_add_u32_e32 v19, v19, v0
	;; [unrolled: 1-line block ×4, first 2 shown]
	s_mov_b64 s[12:13], 0
	s_waitcnt vmcnt(31)
	ds_write_b8 v25, v3
	s_waitcnt vmcnt(30)
	ds_write_b8 v27, v10 offset:512
	s_waitcnt vmcnt(29)
	ds_write_b8 v30, v11 offset:1024
	;; [unrolled: 2-line block ×6, first 2 shown]
	v_or_b32_e32 v3, 0xe00, v0
	v_lshrrev_b32_e32 v3, 5, v3
	v_and_b32_e32 v3, 0x7c, v3
	v_add_u32_e32 v3, v3, v0
	s_waitcnt vmcnt(24)
	ds_write_b8 v3, v16 offset:3584
	v_or_b32_e32 v3, 0x1000, v0
	v_lshrrev_b32_e32 v3, 5, v3
	v_and_b32_e32 v3, 0x8c, v3
	v_add_u32_e32 v3, v3, v0
	s_waitcnt vmcnt(23)
	ds_write_b8 v3, v1 offset:4096
	;; [unrolled: 6-line block ×10, first 2 shown]
	v_or_b32_e32 v1, 0x2200, v0
	v_lshrrev_b32_e32 v1, 5, v1
	v_and_b32_e32 v1, 0x11c, v1
	v_add_u32_e32 v1, v1, v0
	ds_write_b8 v1, v31 offset:8704
	v_or_b32_e32 v1, 0x2400, v0
	v_lshrrev_b32_e32 v1, 5, v1
	v_and_b32_e32 v1, 0x12c, v1
	v_add_u32_e32 v1, v1, v0
	s_waitcnt vmcnt(13)
	ds_write_b8 v1, v32 offset:9216
	v_or_b32_e32 v1, 0x2600, v0
	v_lshrrev_b32_e32 v1, 5, v1
	v_and_b32_e32 v1, 0x13c, v1
	v_add_u32_e32 v1, v1, v0
	s_waitcnt vmcnt(12)
	ds_write_b8 v1, v33 offset:9728
	v_or_b32_e32 v1, 0x2800, v0
	v_lshrrev_b32_e32 v1, 5, v1
	v_and_b32_e32 v1, 0x14c, v1
	v_add_u32_e32 v1, v1, v0
	s_waitcnt vmcnt(11)
	ds_write_b8 v1, v34 offset:10240
	v_or_b32_e32 v1, 0x2a00, v0
	v_lshrrev_b32_e32 v1, 5, v1
	v_and_b32_e32 v1, 0x15c, v1
	v_add_u32_e32 v1, v1, v0
	s_waitcnt vmcnt(10)
	ds_write_b8 v1, v35 offset:10752
	v_or_b32_e32 v1, 0x2c00, v0
	v_lshrrev_b32_e32 v1, 5, v1
	v_and_b32_e32 v1, 0x16c, v1
	v_add_u32_e32 v1, v1, v0
	s_waitcnt vmcnt(9)
	ds_write_b8 v1, v36 offset:11264
	v_or_b32_e32 v1, 0x2e00, v0
	v_lshrrev_b32_e32 v1, 5, v1
	v_and_b32_e32 v1, 0x17c, v1
	v_add_u32_e32 v1, v1, v0
	s_waitcnt vmcnt(8)
	ds_write_b8 v1, v37 offset:11776
	v_or_b32_e32 v1, 0x3000, v0
	v_lshrrev_b32_e32 v1, 5, v1
	v_and_b32_e32 v1, 0x18c, v1
	v_add_u32_e32 v1, v1, v0
	s_waitcnt vmcnt(7)
	ds_write_b8 v1, v8 offset:12288
	v_or_b32_e32 v1, 0x3200, v0
	v_lshrrev_b32_e32 v1, 5, v1
	v_and_b32_e32 v1, 0x19c, v1
	v_add_u32_e32 v1, v1, v0
	s_waitcnt vmcnt(6)
	ds_write_b8 v1, v9 offset:12800
	v_or_b32_e32 v1, 0x3400, v0
	v_lshrrev_b32_e32 v1, 5, v1
	v_and_b32_e32 v1, 0x1ac, v1
	v_add_u32_e32 v1, v1, v0
	s_waitcnt vmcnt(5)
	ds_write_b8 v1, v38 offset:13312
	v_or_b32_e32 v1, 0x3600, v0
	v_lshrrev_b32_e32 v1, 5, v1
	v_and_b32_e32 v1, 0x1bc, v1
	v_add_u32_e32 v1, v1, v0
	s_waitcnt vmcnt(4)
	ds_write_b8 v1, v39 offset:13824
	v_or_b32_e32 v1, 0x3800, v0
	v_lshrrev_b32_e32 v1, 5, v1
	v_and_b32_e32 v1, 0x1cc, v1
	v_add_u32_e32 v1, v1, v0
	s_waitcnt vmcnt(3)
	ds_write_b8 v1, v40 offset:14336
	v_or_b32_e32 v1, 0x3a00, v0
	v_lshrrev_b32_e32 v1, 5, v1
	v_and_b32_e32 v1, 0x1dc, v1
	v_add_u32_e32 v1, v1, v0
	s_waitcnt vmcnt(2)
	ds_write_b8 v1, v41 offset:14848
	v_or_b32_e32 v1, 0x3c00, v0
	v_lshrrev_b32_e32 v1, 5, v1
	v_and_b32_e32 v1, 0x1ec, v1
	v_add_u32_e32 v1, v1, v0
	s_waitcnt vmcnt(1)
	ds_write_b8 v1, v42 offset:15360
	v_or_b32_e32 v1, 0x3e00, v0
	v_lshrrev_b32_e32 v1, 5, v1
	v_and_b32_e32 v1, 0x1fc, v1
	v_add_u32_e32 v1, v1, v0
	s_waitcnt vmcnt(0)
	ds_write_b8 v1, v43 offset:15872
	s_waitcnt lgkmcnt(0)
	s_barrier
.LBB151_2:
	s_andn2_b64 vcc, exec, s[12:13]
	s_sub_i32 s3, s8, s3
	s_cbranch_vccnz .LBB151_68
; %bb.3:
	v_cmp_gt_u32_e32 vcc, s3, v0
                                        ; implicit-def: $vgpr1
	s_and_saveexec_b64 s[8:9], vcc
	s_cbranch_execz .LBB151_5
; %bb.4:
	global_load_ubyte v1, v0, s[10:11]
.LBB151_5:
	s_or_b64 exec, exec, s[8:9]
	v_or_b32_e32 v3, 0x200, v0
	v_cmp_gt_u32_e32 vcc, s3, v3
                                        ; implicit-def: $vgpr4
	s_and_saveexec_b64 s[8:9], vcc
	s_cbranch_execz .LBB151_7
; %bb.6:
	global_load_ubyte v4, v0, s[10:11] offset:512
.LBB151_7:
	s_or_b64 exec, exec, s[8:9]
	v_or_b32_e32 v5, 0x400, v0
	v_cmp_gt_u32_e32 vcc, s3, v5
                                        ; implicit-def: $vgpr6
	s_and_saveexec_b64 s[8:9], vcc
	s_cbranch_execz .LBB151_9
; %bb.8:
	global_load_ubyte v6, v0, s[10:11] offset:1024
.LBB151_9:
	s_or_b64 exec, exec, s[8:9]
	v_or_b32_e32 v7, 0x600, v0
	v_cmp_gt_u32_e32 vcc, s3, v7
                                        ; implicit-def: $vgpr8
	s_and_saveexec_b64 s[8:9], vcc
	s_cbranch_execz .LBB151_11
; %bb.10:
	global_load_ubyte v8, v0, s[10:11] offset:1536
.LBB151_11:
	s_or_b64 exec, exec, s[8:9]
	v_or_b32_e32 v9, 0x800, v0
	v_cmp_gt_u32_e32 vcc, s3, v9
                                        ; implicit-def: $vgpr10
	s_and_saveexec_b64 s[8:9], vcc
	s_cbranch_execz .LBB151_13
; %bb.12:
	global_load_ubyte v10, v0, s[10:11] offset:2048
.LBB151_13:
	s_or_b64 exec, exec, s[8:9]
	v_or_b32_e32 v11, 0xa00, v0
	v_cmp_gt_u32_e32 vcc, s3, v11
                                        ; implicit-def: $vgpr12
	s_and_saveexec_b64 s[8:9], vcc
	s_cbranch_execz .LBB151_15
; %bb.14:
	global_load_ubyte v12, v0, s[10:11] offset:2560
.LBB151_15:
	s_or_b64 exec, exec, s[8:9]
	v_or_b32_e32 v13, 0xc00, v0
	v_cmp_gt_u32_e32 vcc, s3, v13
                                        ; implicit-def: $vgpr14
	s_and_saveexec_b64 s[8:9], vcc
	s_cbranch_execz .LBB151_17
; %bb.16:
	global_load_ubyte v14, v0, s[10:11] offset:3072
.LBB151_17:
	s_or_b64 exec, exec, s[8:9]
	v_or_b32_e32 v15, 0xe00, v0
	v_cmp_gt_u32_e32 vcc, s3, v15
                                        ; implicit-def: $vgpr16
	s_and_saveexec_b64 s[8:9], vcc
	s_cbranch_execz .LBB151_19
; %bb.18:
	global_load_ubyte v16, v0, s[10:11] offset:3584
.LBB151_19:
	s_or_b64 exec, exec, s[8:9]
	v_or_b32_e32 v17, 0x1000, v0
	v_cmp_gt_u32_e32 vcc, s3, v17
                                        ; implicit-def: $vgpr18
	s_and_saveexec_b64 s[8:9], vcc
	s_cbranch_execz .LBB151_21
; %bb.20:
	global_load_ubyte v18, v17, s[10:11]
.LBB151_21:
	s_or_b64 exec, exec, s[8:9]
	v_or_b32_e32 v19, 0x1200, v0
	v_cmp_gt_u32_e32 vcc, s3, v19
                                        ; implicit-def: $vgpr20
	s_and_saveexec_b64 s[8:9], vcc
	s_cbranch_execz .LBB151_23
; %bb.22:
	global_load_ubyte v20, v19, s[10:11]
.LBB151_23:
	s_or_b64 exec, exec, s[8:9]
	v_or_b32_e32 v21, 0x1400, v0
	v_cmp_gt_u32_e32 vcc, s3, v21
                                        ; implicit-def: $vgpr23
	s_and_saveexec_b64 s[8:9], vcc
	s_cbranch_execz .LBB151_25
; %bb.24:
	global_load_ubyte v23, v21, s[10:11]
.LBB151_25:
	s_or_b64 exec, exec, s[8:9]
	v_or_b32_e32 v24, 0x1600, v0
	v_cmp_gt_u32_e32 vcc, s3, v24
                                        ; implicit-def: $vgpr25
	s_and_saveexec_b64 s[8:9], vcc
	s_cbranch_execz .LBB151_27
; %bb.26:
	global_load_ubyte v25, v24, s[10:11]
.LBB151_27:
	s_or_b64 exec, exec, s[8:9]
	v_or_b32_e32 v26, 0x1800, v0
	v_cmp_gt_u32_e32 vcc, s3, v26
                                        ; implicit-def: $vgpr27
	s_and_saveexec_b64 s[8:9], vcc
	s_cbranch_execz .LBB151_29
; %bb.28:
	global_load_ubyte v27, v26, s[10:11]
.LBB151_29:
	s_or_b64 exec, exec, s[8:9]
	v_or_b32_e32 v28, 0x1a00, v0
	v_cmp_gt_u32_e32 vcc, s3, v28
                                        ; implicit-def: $vgpr29
	s_and_saveexec_b64 s[8:9], vcc
	s_cbranch_execz .LBB151_31
; %bb.30:
	global_load_ubyte v29, v28, s[10:11]
.LBB151_31:
	s_or_b64 exec, exec, s[8:9]
	v_or_b32_e32 v30, 0x1c00, v0
	v_cmp_gt_u32_e32 vcc, s3, v30
                                        ; implicit-def: $vgpr31
	s_and_saveexec_b64 s[8:9], vcc
	s_cbranch_execz .LBB151_33
; %bb.32:
	global_load_ubyte v31, v30, s[10:11]
.LBB151_33:
	s_or_b64 exec, exec, s[8:9]
	v_or_b32_e32 v32, 0x1e00, v0
	v_cmp_gt_u32_e32 vcc, s3, v32
                                        ; implicit-def: $vgpr33
	s_and_saveexec_b64 s[8:9], vcc
	s_cbranch_execz .LBB151_35
; %bb.34:
	global_load_ubyte v33, v32, s[10:11]
.LBB151_35:
	s_or_b64 exec, exec, s[8:9]
	v_or_b32_e32 v34, 0x2000, v0
	v_cmp_gt_u32_e32 vcc, s3, v34
                                        ; implicit-def: $vgpr35
	s_and_saveexec_b64 s[8:9], vcc
	s_cbranch_execz .LBB151_37
; %bb.36:
	global_load_ubyte v35, v34, s[10:11]
.LBB151_37:
	s_or_b64 exec, exec, s[8:9]
	v_or_b32_e32 v36, 0x2200, v0
	v_cmp_gt_u32_e32 vcc, s3, v36
                                        ; implicit-def: $vgpr37
	s_and_saveexec_b64 s[8:9], vcc
	s_cbranch_execz .LBB151_39
; %bb.38:
	global_load_ubyte v37, v36, s[10:11]
.LBB151_39:
	s_or_b64 exec, exec, s[8:9]
	v_or_b32_e32 v38, 0x2400, v0
	v_cmp_gt_u32_e32 vcc, s3, v38
                                        ; implicit-def: $vgpr39
	s_and_saveexec_b64 s[8:9], vcc
	s_cbranch_execz .LBB151_41
; %bb.40:
	global_load_ubyte v39, v38, s[10:11]
.LBB151_41:
	s_or_b64 exec, exec, s[8:9]
	v_or_b32_e32 v40, 0x2600, v0
	v_cmp_gt_u32_e32 vcc, s3, v40
                                        ; implicit-def: $vgpr41
	s_and_saveexec_b64 s[8:9], vcc
	s_cbranch_execz .LBB151_43
; %bb.42:
	global_load_ubyte v41, v40, s[10:11]
.LBB151_43:
	s_or_b64 exec, exec, s[8:9]
	v_or_b32_e32 v42, 0x2800, v0
	v_cmp_gt_u32_e32 vcc, s3, v42
                                        ; implicit-def: $vgpr43
	s_and_saveexec_b64 s[8:9], vcc
	s_cbranch_execz .LBB151_45
; %bb.44:
	global_load_ubyte v43, v42, s[10:11]
.LBB151_45:
	s_or_b64 exec, exec, s[8:9]
	v_or_b32_e32 v44, 0x2a00, v0
	v_cmp_gt_u32_e32 vcc, s3, v44
                                        ; implicit-def: $vgpr45
	s_and_saveexec_b64 s[8:9], vcc
	s_cbranch_execz .LBB151_47
; %bb.46:
	global_load_ubyte v45, v44, s[10:11]
.LBB151_47:
	s_or_b64 exec, exec, s[8:9]
	v_or_b32_e32 v46, 0x2c00, v0
	v_cmp_gt_u32_e32 vcc, s3, v46
                                        ; implicit-def: $vgpr47
	s_and_saveexec_b64 s[8:9], vcc
	s_cbranch_execz .LBB151_49
; %bb.48:
	global_load_ubyte v47, v46, s[10:11]
.LBB151_49:
	s_or_b64 exec, exec, s[8:9]
	v_or_b32_e32 v48, 0x2e00, v0
	v_cmp_gt_u32_e32 vcc, s3, v48
                                        ; implicit-def: $vgpr49
	s_and_saveexec_b64 s[8:9], vcc
	s_cbranch_execz .LBB151_51
; %bb.50:
	global_load_ubyte v49, v48, s[10:11]
.LBB151_51:
	s_or_b64 exec, exec, s[8:9]
	v_or_b32_e32 v50, 0x3000, v0
	v_cmp_gt_u32_e32 vcc, s3, v50
                                        ; implicit-def: $vgpr51
	s_and_saveexec_b64 s[8:9], vcc
	s_cbranch_execz .LBB151_53
; %bb.52:
	global_load_ubyte v51, v50, s[10:11]
.LBB151_53:
	s_or_b64 exec, exec, s[8:9]
	v_or_b32_e32 v52, 0x3200, v0
	v_cmp_gt_u32_e32 vcc, s3, v52
                                        ; implicit-def: $vgpr53
	s_and_saveexec_b64 s[8:9], vcc
	s_cbranch_execz .LBB151_55
; %bb.54:
	global_load_ubyte v53, v52, s[10:11]
.LBB151_55:
	s_or_b64 exec, exec, s[8:9]
	v_or_b32_e32 v54, 0x3400, v0
	v_cmp_gt_u32_e32 vcc, s3, v54
                                        ; implicit-def: $vgpr55
	s_and_saveexec_b64 s[8:9], vcc
	s_cbranch_execz .LBB151_57
; %bb.56:
	global_load_ubyte v55, v54, s[10:11]
.LBB151_57:
	s_or_b64 exec, exec, s[8:9]
	v_or_b32_e32 v56, 0x3600, v0
	v_cmp_gt_u32_e32 vcc, s3, v56
                                        ; implicit-def: $vgpr57
	s_and_saveexec_b64 s[8:9], vcc
	s_cbranch_execz .LBB151_59
; %bb.58:
	global_load_ubyte v57, v56, s[10:11]
.LBB151_59:
	s_or_b64 exec, exec, s[8:9]
	v_or_b32_e32 v58, 0x3800, v0
	v_cmp_gt_u32_e32 vcc, s3, v58
                                        ; implicit-def: $vgpr59
	s_and_saveexec_b64 s[8:9], vcc
	s_cbranch_execz .LBB151_61
; %bb.60:
	global_load_ubyte v59, v58, s[10:11]
.LBB151_61:
	s_or_b64 exec, exec, s[8:9]
	v_or_b32_e32 v60, 0x3a00, v0
	v_cmp_gt_u32_e32 vcc, s3, v60
                                        ; implicit-def: $vgpr61
	s_and_saveexec_b64 s[8:9], vcc
	s_cbranch_execz .LBB151_63
; %bb.62:
	global_load_ubyte v61, v60, s[10:11]
.LBB151_63:
	s_or_b64 exec, exec, s[8:9]
	v_or_b32_e32 v62, 0x3c00, v0
	v_cmp_gt_u32_e32 vcc, s3, v62
                                        ; implicit-def: $vgpr63
	s_and_saveexec_b64 s[8:9], vcc
	s_cbranch_execz .LBB151_65
; %bb.64:
	global_load_ubyte v63, v62, s[10:11]
.LBB151_65:
	s_or_b64 exec, exec, s[8:9]
	v_or_b32_e32 v64, 0x3e00, v0
	v_cmp_gt_u32_e32 vcc, s3, v64
                                        ; implicit-def: $vgpr65
	s_and_saveexec_b64 s[8:9], vcc
	s_cbranch_execz .LBB151_67
; %bb.66:
	global_load_ubyte v65, v64, s[10:11]
.LBB151_67:
	s_or_b64 exec, exec, s[8:9]
	v_and_b32_e32 v2, 12, v2
	v_add_u32_e32 v2, v2, v0
	s_waitcnt vmcnt(0)
	ds_write_b8 v2, v1
	v_lshrrev_b32_e32 v1, 5, v3
	v_and_b32_e32 v1, 28, v1
	v_add_u32_e32 v1, v1, v0
	ds_write_b8 v1, v4 offset:512
	v_lshrrev_b32_e32 v1, 5, v5
	v_and_b32_e32 v1, 60, v1
	v_add_u32_e32 v1, v1, v0
	ds_write_b8 v1, v6 offset:1024
	;; [unrolled: 4-line block ×31, first 2 shown]
	s_waitcnt lgkmcnt(0)
	s_barrier
.LBB151_68:
	v_lshlrev_b32_e32 v10, 5, v0
	v_and_b32_e32 v1, 0x1fc, v0
	v_add_u32_e32 v1, v1, v10
	s_waitcnt lgkmcnt(0)
	ds_read2_b32 v[2:3], v1 offset0:6 offset1:7
	ds_read2_b32 v[8:9], v1 offset1:1
	ds_read2_b32 v[6:7], v1 offset0:2 offset1:3
	ds_read2_b32 v[4:5], v1 offset0:4 offset1:5
	s_cmp_lg_u32 s2, 0
	s_cselect_b64 s[16:17], -1, 0
	s_cmp_lg_u64 s[6:7], 0
	s_cselect_b64 s[6:7], -1, 0
	s_or_b64 s[6:7], s[16:17], s[6:7]
	s_waitcnt lgkmcnt(3)
	v_lshrrev_b32_e32 v25, 8, v2
	v_lshrrev_b32_e32 v24, 16, v2
	v_lshrrev_b32_e32 v23, 24, v2
	v_lshrrev_b32_e32 v21, 8, v3
	v_lshrrev_b32_e32 v20, 16, v3
	v_lshrrev_b32_e32 v1, 24, v3
	s_waitcnt lgkmcnt(2)
	v_lshrrev_b32_e32 v50, 8, v8
	v_lshrrev_b32_e32 v48, 16, v8
	v_lshrrev_b32_e32 v47, 24, v8
	v_lshrrev_b32_e32 v45, 8, v9
	v_lshrrev_b32_e32 v43, 16, v9
	v_lshrrev_b32_e32 v42, 24, v9
	;; [unrolled: 7-line block ×4, first 2 shown]
	s_mov_b64 s[8:9], 0
	s_and_b64 vcc, exec, s[6:7]
	s_barrier
	s_cbranch_vccz .LBB151_73
; %bb.69:
	v_mov_b32_e32 v11, 0
	global_load_ubyte v11, v11, s[10:11] offset:-1
	s_and_b64 vcc, exec, s[26:27]
	ds_write_b8 v0, v1
	s_cbranch_vccz .LBB151_75
; %bb.70:
	v_cmp_ne_u32_e32 vcc, 0, v0
	s_waitcnt vmcnt(0)
	v_mov_b32_e32 v12, v11
	s_waitcnt lgkmcnt(0)
	s_barrier
	s_and_saveexec_b64 s[6:7], vcc
	s_cbranch_execz .LBB151_72
; %bb.71:
	v_add_u32_e32 v12, -1, v0
	ds_read_u8 v12, v12
.LBB151_72:
	s_or_b64 exec, exec, s[6:7]
	v_cmp_ne_u16_sdwa s[6:7], v20, v1 src0_sel:BYTE_0 src1_sel:DWORD
	s_nop 1
	v_cndmask_b32_e64 v34, 0, 1, s[6:7]
	v_cmp_ne_u16_sdwa s[6:7], v21, v20 src0_sel:BYTE_0 src1_sel:BYTE_0
	s_nop 1
	v_cndmask_b32_e64 v36, 0, 1, s[6:7]
	v_cmp_ne_u16_sdwa s[6:7], v3, v21 src0_sel:BYTE_0 src1_sel:BYTE_0
	s_nop 1
	v_cndmask_b32_e64 v39, 0, 1, s[6:7]
	v_cmp_ne_u16_sdwa s[6:7], v23, v3 src0_sel:DWORD src1_sel:BYTE_0
	s_nop 1
	v_cndmask_b32_e64 v41, 0, 1, s[6:7]
	v_cmp_ne_u16_sdwa s[6:7], v24, v23 src0_sel:BYTE_0 src1_sel:DWORD
	s_nop 1
	v_cndmask_b32_e64 v44, 0, 1, s[6:7]
	v_cmp_ne_u16_sdwa s[6:7], v25, v24 src0_sel:BYTE_0 src1_sel:BYTE_0
	s_nop 1
	v_cndmask_b32_e64 v46, 0, 1, s[6:7]
	v_cmp_ne_u16_sdwa s[6:7], v2, v25 src0_sel:BYTE_0 src1_sel:BYTE_0
	s_nop 1
	v_cndmask_b32_e64 v49, 0, 1, s[6:7]
	v_cmp_ne_u16_sdwa s[6:7], v26, v2 src0_sel:DWORD src1_sel:BYTE_0
	s_nop 1
	v_cndmask_b32_e64 v51, 0, 1, s[6:7]
	;; [unrolled: 12-line block ×7, first 2 shown]
	v_cmp_ne_u16_sdwa s[6:7], v48, v47 src0_sel:BYTE_0 src1_sel:DWORD
	s_nop 1
	v_cndmask_b32_e64 v72, 0, 1, s[6:7]
	v_cmp_ne_u16_sdwa s[6:7], v50, v48 src0_sel:BYTE_0 src1_sel:BYTE_0
	s_nop 1
	v_cndmask_b32_e64 v73, 0, 1, s[6:7]
	v_cmp_ne_u16_sdwa s[6:7], v8, v50 src0_sel:BYTE_0 src1_sel:BYTE_0
	s_nop 1
	v_cndmask_b32_e64 v74, 0, 1, s[6:7]
	s_waitcnt lgkmcnt(0)
	v_cmp_ne_u16_sdwa s[6:7], v12, v8 src0_sel:BYTE_0 src1_sel:BYTE_0
	s_and_b64 vcc, exec, s[8:9]
	s_cbranch_vccnz .LBB151_76
	s_branch .LBB151_79
.LBB151_73:
                                        ; implicit-def: $sgpr6_sgpr7
                                        ; implicit-def: $vgpr74
                                        ; implicit-def: $vgpr73
                                        ; implicit-def: $vgpr72
                                        ; implicit-def: $vgpr71
                                        ; implicit-def: $vgpr70
                                        ; implicit-def: $vgpr69
                                        ; implicit-def: $vgpr68
                                        ; implicit-def: $vgpr67
                                        ; implicit-def: $vgpr66
                                        ; implicit-def: $vgpr65
                                        ; implicit-def: $vgpr64
                                        ; implicit-def: $vgpr63
                                        ; implicit-def: $vgpr62
                                        ; implicit-def: $vgpr61
                                        ; implicit-def: $vgpr60
                                        ; implicit-def: $vgpr59
                                        ; implicit-def: $vgpr58
                                        ; implicit-def: $vgpr57
                                        ; implicit-def: $vgpr56
                                        ; implicit-def: $vgpr55
                                        ; implicit-def: $vgpr54
                                        ; implicit-def: $vgpr53
                                        ; implicit-def: $vgpr52
                                        ; implicit-def: $vgpr51
                                        ; implicit-def: $vgpr49
                                        ; implicit-def: $vgpr46
                                        ; implicit-def: $vgpr44
                                        ; implicit-def: $vgpr41
                                        ; implicit-def: $vgpr39
                                        ; implicit-def: $vgpr36
                                        ; implicit-def: $vgpr34
	s_branch .LBB151_80
.LBB151_74:
                                        ; implicit-def: $sgpr12
	v_mov_b32_e32 v75, s12
	s_and_saveexec_b64 s[10:11], s[8:9]
	s_cbranch_execnz .LBB151_88
	s_branch .LBB151_89
.LBB151_75:
                                        ; implicit-def: $sgpr6_sgpr7
                                        ; implicit-def: $vgpr74
                                        ; implicit-def: $vgpr73
                                        ; implicit-def: $vgpr72
                                        ; implicit-def: $vgpr71
                                        ; implicit-def: $vgpr70
                                        ; implicit-def: $vgpr69
                                        ; implicit-def: $vgpr68
                                        ; implicit-def: $vgpr67
                                        ; implicit-def: $vgpr66
                                        ; implicit-def: $vgpr65
                                        ; implicit-def: $vgpr64
                                        ; implicit-def: $vgpr63
                                        ; implicit-def: $vgpr62
                                        ; implicit-def: $vgpr61
                                        ; implicit-def: $vgpr60
                                        ; implicit-def: $vgpr59
                                        ; implicit-def: $vgpr58
                                        ; implicit-def: $vgpr57
                                        ; implicit-def: $vgpr56
                                        ; implicit-def: $vgpr55
                                        ; implicit-def: $vgpr54
                                        ; implicit-def: $vgpr53
                                        ; implicit-def: $vgpr52
                                        ; implicit-def: $vgpr51
                                        ; implicit-def: $vgpr49
                                        ; implicit-def: $vgpr46
                                        ; implicit-def: $vgpr44
                                        ; implicit-def: $vgpr41
                                        ; implicit-def: $vgpr39
                                        ; implicit-def: $vgpr36
                                        ; implicit-def: $vgpr34
	s_cbranch_execz .LBB151_79
.LBB151_76:
	v_cmp_ne_u32_e32 vcc, 0, v0
	s_waitcnt lgkmcnt(0)
	s_barrier
	s_and_saveexec_b64 s[6:7], vcc
	s_cbranch_execz .LBB151_78
; %bb.77:
	s_waitcnt vmcnt(0)
	v_add_u32_e32 v11, -1, v0
	ds_read_u8 v11, v11
.LBB151_78:
	s_or_b64 exec, exec, s[6:7]
	v_or_b32_e32 v12, 31, v10
	v_cmp_gt_u32_e32 vcc, s3, v12
	v_cmp_ne_u16_sdwa s[6:7], v20, v1 src0_sel:BYTE_0 src1_sel:BYTE_0
	s_and_b64 s[6:7], vcc, s[6:7]
	v_or_b32_e32 v12, 30, v10
	v_cndmask_b32_e64 v34, 0, 1, s[6:7]
	v_cmp_gt_u32_e32 vcc, s3, v12
	v_cmp_ne_u16_sdwa s[6:7], v21, v20 src0_sel:BYTE_0 src1_sel:BYTE_0
	s_and_b64 s[6:7], vcc, s[6:7]
	v_or_b32_e32 v12, 29, v10
	v_cndmask_b32_e64 v36, 0, 1, s[6:7]
	;; [unrolled: 5-line block ×30, first 2 shown]
	v_cmp_gt_u32_e32 vcc, s3, v12
	v_cmp_ne_u16_sdwa s[6:7], v8, v50 src0_sel:BYTE_0 src1_sel:BYTE_0
	s_and_b64 s[6:7], vcc, s[6:7]
	v_cmp_gt_u32_e32 vcc, s3, v10
	v_cndmask_b32_e64 v74, 0, 1, s[6:7]
	s_waitcnt vmcnt(0) lgkmcnt(0)
	v_cmp_ne_u16_sdwa s[6:7], v11, v8 src0_sel:BYTE_0 src1_sel:BYTE_0
	s_and_b64 s[6:7], vcc, s[6:7]
.LBB151_79:
	s_mov_b64 s[8:9], -1
	s_cbranch_execnz .LBB151_74
.LBB151_80:
	s_and_b64 vcc, exec, s[26:27]
	v_cmp_ne_u16_sdwa s[48:49], v21, v20 src0_sel:BYTE_0 src1_sel:BYTE_0
	v_cmp_ne_u16_sdwa s[50:51], v3, v21 src0_sel:BYTE_0 src1_sel:BYTE_0
	;; [unrolled: 1-line block ×16, first 2 shown]
	ds_write_b8 v0, v1
	s_cbranch_vccz .LBB151_84
; %bb.81:
	v_cndmask_b32_e64 v36, 0, 1, s[48:49]
	v_cmp_ne_u16_sdwa s[48:49], v23, v3 src0_sel:DWORD src1_sel:BYTE_0
	v_cndmask_b32_e64 v46, 0, 1, s[44:45]
	v_cmp_ne_u16_sdwa s[44:45], v26, v2 src0_sel:DWORD src1_sel:BYTE_0
	v_cndmask_b32_e64 v53, 0, 1, s[40:41]
	v_cmp_ne_u16_sdwa s[40:41], v29, v5 src0_sel:DWORD src1_sel:BYTE_0
	v_cndmask_b32_e64 v57, 0, 1, s[36:37]
	v_cmp_ne_u16_sdwa s[36:37], v32, v4 src0_sel:DWORD src1_sel:BYTE_0
	v_cndmask_b32_e64 v61, 0, 1, s[30:31]
	v_cmp_ne_u16_sdwa s[30:31], v37, v7 src0_sel:DWORD src1_sel:BYTE_0
	v_cndmask_b32_e64 v65, 0, 1, s[18:19]
	v_cmp_ne_u16_sdwa s[18:19], v42, v6 src0_sel:DWORD src1_sel:BYTE_0
	v_cndmask_b32_e64 v69, 0, 1, s[12:13]
	v_cmp_ne_u16_sdwa s[12:13], v47, v9 src0_sel:DWORD src1_sel:BYTE_0
	v_cmp_ne_u16_sdwa s[52:53], v20, v1 src0_sel:BYTE_0 src1_sel:DWORD
	v_cndmask_b32_e64 v41, 0, 1, s[48:49]
	v_cmp_ne_u16_sdwa s[48:49], v24, v23 src0_sel:BYTE_0 src1_sel:DWORD
	v_cndmask_b32_e64 v51, 0, 1, s[44:45]
	;; [unrolled: 2-line block ×8, first 2 shown]
	v_cndmask_b32_e64 v39, 0, 1, s[50:51]
	v_cndmask_b32_e64 v44, 0, 1, s[48:49]
	v_cndmask_b32_e64 v49, 0, 1, s[46:47]
	v_cndmask_b32_e64 v52, 0, 1, s[44:45]
	v_cndmask_b32_e64 v54, 0, 1, s[42:43]
	v_cndmask_b32_e64 v56, 0, 1, s[40:41]
	v_cndmask_b32_e64 v58, 0, 1, s[38:39]
	v_cndmask_b32_e64 v60, 0, 1, s[36:37]
	v_cndmask_b32_e64 v62, 0, 1, s[34:35]
	v_cndmask_b32_e64 v64, 0, 1, s[30:31]
	v_cndmask_b32_e64 v66, 0, 1, s[28:29]
	v_cndmask_b32_e64 v68, 0, 1, s[18:19]
	v_cndmask_b32_e64 v70, 0, 1, s[14:15]
	v_cndmask_b32_e64 v72, 0, 1, s[12:13]
	v_cndmask_b32_e64 v73, 0, 1, s[6:7]
	v_cndmask_b32_e64 v74, 0, 1, s[10:11]
	v_cmp_ne_u32_e32 vcc, 0, v0
	s_waitcnt lgkmcnt(0)
	s_barrier
	s_waitcnt lgkmcnt(0)
                                        ; implicit-def: $sgpr6_sgpr7
	s_and_saveexec_b64 s[10:11], vcc
	s_xor_b64 s[10:11], exec, s[10:11]
	s_cbranch_execz .LBB151_83
; %bb.82:
	s_waitcnt vmcnt(0)
	v_add_u32_e32 v11, -1, v0
	ds_read_u8 v11, v11
	s_or_b64 s[8:9], s[8:9], exec
	s_waitcnt lgkmcnt(0)
	v_cmp_ne_u16_sdwa s[6:7], v11, v8 src0_sel:DWORD src1_sel:BYTE_0
	s_and_b64 s[6:7], s[6:7], exec
.LBB151_83:
	s_or_b64 exec, exec, s[10:11]
	s_mov_b32 s12, 1
	s_branch .LBB151_87
.LBB151_84:
                                        ; implicit-def: $sgpr6_sgpr7
                                        ; implicit-def: $vgpr74
                                        ; implicit-def: $vgpr73
                                        ; implicit-def: $vgpr72
                                        ; implicit-def: $vgpr71
                                        ; implicit-def: $vgpr70
                                        ; implicit-def: $vgpr69
                                        ; implicit-def: $vgpr68
                                        ; implicit-def: $vgpr67
                                        ; implicit-def: $vgpr66
                                        ; implicit-def: $vgpr65
                                        ; implicit-def: $vgpr64
                                        ; implicit-def: $vgpr63
                                        ; implicit-def: $vgpr62
                                        ; implicit-def: $vgpr61
                                        ; implicit-def: $vgpr60
                                        ; implicit-def: $vgpr59
                                        ; implicit-def: $vgpr58
                                        ; implicit-def: $vgpr57
                                        ; implicit-def: $vgpr56
                                        ; implicit-def: $vgpr55
                                        ; implicit-def: $vgpr54
                                        ; implicit-def: $vgpr53
                                        ; implicit-def: $vgpr52
                                        ; implicit-def: $vgpr51
                                        ; implicit-def: $vgpr49
                                        ; implicit-def: $vgpr46
                                        ; implicit-def: $vgpr44
                                        ; implicit-def: $vgpr41
                                        ; implicit-def: $vgpr39
                                        ; implicit-def: $vgpr36
                                        ; implicit-def: $vgpr34
                                        ; implicit-def: $sgpr12
	s_cbranch_execz .LBB151_87
; %bb.85:
	s_waitcnt vmcnt(0)
	v_or_b32_e32 v11, 31, v10
	v_cmp_gt_u32_e32 vcc, s3, v11
	v_cmp_ne_u16_sdwa s[6:7], v20, v1 src0_sel:BYTE_0 src1_sel:BYTE_0
	s_and_b64 s[6:7], vcc, s[6:7]
	v_or_b32_e32 v11, 30, v10
	v_cndmask_b32_e64 v34, 0, 1, s[6:7]
	v_cmp_gt_u32_e32 vcc, s3, v11
	v_cmp_ne_u16_sdwa s[6:7], v21, v20 src0_sel:BYTE_0 src1_sel:BYTE_0
	s_and_b64 s[6:7], vcc, s[6:7]
	v_or_b32_e32 v11, 29, v10
	v_cndmask_b32_e64 v36, 0, 1, s[6:7]
	v_cmp_gt_u32_e32 vcc, s3, v11
	v_cmp_ne_u16_sdwa s[6:7], v3, v21 src0_sel:BYTE_0 src1_sel:BYTE_0
	s_and_b64 s[6:7], vcc, s[6:7]
	v_or_b32_e32 v11, 28, v10
	v_cndmask_b32_e64 v39, 0, 1, s[6:7]
	v_cmp_gt_u32_e32 vcc, s3, v11
	v_cmp_ne_u16_sdwa s[6:7], v23, v3 src0_sel:BYTE_0 src1_sel:BYTE_0
	s_and_b64 s[6:7], vcc, s[6:7]
	v_or_b32_e32 v11, 27, v10
	v_cndmask_b32_e64 v41, 0, 1, s[6:7]
	v_cmp_gt_u32_e32 vcc, s3, v11
	v_cmp_ne_u16_sdwa s[6:7], v24, v23 src0_sel:BYTE_0 src1_sel:BYTE_0
	s_and_b64 s[6:7], vcc, s[6:7]
	v_or_b32_e32 v11, 26, v10
	v_cndmask_b32_e64 v44, 0, 1, s[6:7]
	v_cmp_gt_u32_e32 vcc, s3, v11
	v_cmp_ne_u16_sdwa s[6:7], v25, v24 src0_sel:BYTE_0 src1_sel:BYTE_0
	s_and_b64 s[6:7], vcc, s[6:7]
	v_or_b32_e32 v11, 25, v10
	v_cndmask_b32_e64 v46, 0, 1, s[6:7]
	v_cmp_gt_u32_e32 vcc, s3, v11
	v_cmp_ne_u16_sdwa s[6:7], v2, v25 src0_sel:BYTE_0 src1_sel:BYTE_0
	s_and_b64 s[6:7], vcc, s[6:7]
	v_or_b32_e32 v11, 24, v10
	v_cndmask_b32_e64 v49, 0, 1, s[6:7]
	v_cmp_gt_u32_e32 vcc, s3, v11
	v_cmp_ne_u16_sdwa s[6:7], v26, v2 src0_sel:BYTE_0 src1_sel:BYTE_0
	s_and_b64 s[6:7], vcc, s[6:7]
	v_or_b32_e32 v11, 23, v10
	v_cndmask_b32_e64 v51, 0, 1, s[6:7]
	v_cmp_gt_u32_e32 vcc, s3, v11
	v_cmp_ne_u16_sdwa s[6:7], v27, v26 src0_sel:BYTE_0 src1_sel:BYTE_0
	s_and_b64 s[6:7], vcc, s[6:7]
	v_or_b32_e32 v11, 22, v10
	v_cndmask_b32_e64 v52, 0, 1, s[6:7]
	v_cmp_gt_u32_e32 vcc, s3, v11
	v_cmp_ne_u16_sdwa s[6:7], v28, v27 src0_sel:BYTE_0 src1_sel:BYTE_0
	s_and_b64 s[6:7], vcc, s[6:7]
	v_or_b32_e32 v11, 21, v10
	v_cndmask_b32_e64 v53, 0, 1, s[6:7]
	v_cmp_gt_u32_e32 vcc, s3, v11
	v_cmp_ne_u16_sdwa s[6:7], v5, v28 src0_sel:BYTE_0 src1_sel:BYTE_0
	s_and_b64 s[6:7], vcc, s[6:7]
	v_or_b32_e32 v11, 20, v10
	v_cndmask_b32_e64 v54, 0, 1, s[6:7]
	v_cmp_gt_u32_e32 vcc, s3, v11
	v_cmp_ne_u16_sdwa s[6:7], v29, v5 src0_sel:BYTE_0 src1_sel:BYTE_0
	s_and_b64 s[6:7], vcc, s[6:7]
	v_or_b32_e32 v11, 19, v10
	v_cndmask_b32_e64 v55, 0, 1, s[6:7]
	v_cmp_gt_u32_e32 vcc, s3, v11
	v_cmp_ne_u16_sdwa s[6:7], v30, v29 src0_sel:BYTE_0 src1_sel:BYTE_0
	s_and_b64 s[6:7], vcc, s[6:7]
	v_or_b32_e32 v11, 18, v10
	v_cndmask_b32_e64 v56, 0, 1, s[6:7]
	v_cmp_gt_u32_e32 vcc, s3, v11
	v_cmp_ne_u16_sdwa s[6:7], v31, v30 src0_sel:BYTE_0 src1_sel:BYTE_0
	s_and_b64 s[6:7], vcc, s[6:7]
	v_or_b32_e32 v11, 17, v10
	v_cndmask_b32_e64 v57, 0, 1, s[6:7]
	v_cmp_gt_u32_e32 vcc, s3, v11
	v_cmp_ne_u16_sdwa s[6:7], v4, v31 src0_sel:BYTE_0 src1_sel:BYTE_0
	s_and_b64 s[6:7], vcc, s[6:7]
	v_or_b32_e32 v11, 16, v10
	v_cndmask_b32_e64 v58, 0, 1, s[6:7]
	v_cmp_gt_u32_e32 vcc, s3, v11
	v_cmp_ne_u16_sdwa s[6:7], v32, v4 src0_sel:BYTE_0 src1_sel:BYTE_0
	s_and_b64 s[6:7], vcc, s[6:7]
	v_or_b32_e32 v11, 15, v10
	v_cndmask_b32_e64 v59, 0, 1, s[6:7]
	v_cmp_gt_u32_e32 vcc, s3, v11
	v_cmp_ne_u16_sdwa s[6:7], v33, v32 src0_sel:BYTE_0 src1_sel:BYTE_0
	s_and_b64 s[6:7], vcc, s[6:7]
	v_or_b32_e32 v11, 14, v10
	v_cndmask_b32_e64 v60, 0, 1, s[6:7]
	v_cmp_gt_u32_e32 vcc, s3, v11
	v_cmp_ne_u16_sdwa s[6:7], v35, v33 src0_sel:BYTE_0 src1_sel:BYTE_0
	s_and_b64 s[6:7], vcc, s[6:7]
	v_or_b32_e32 v11, 13, v10
	v_cndmask_b32_e64 v61, 0, 1, s[6:7]
	v_cmp_gt_u32_e32 vcc, s3, v11
	v_cmp_ne_u16_sdwa s[6:7], v7, v35 src0_sel:BYTE_0 src1_sel:BYTE_0
	s_and_b64 s[6:7], vcc, s[6:7]
	v_or_b32_e32 v11, 12, v10
	v_cndmask_b32_e64 v62, 0, 1, s[6:7]
	v_cmp_gt_u32_e32 vcc, s3, v11
	v_cmp_ne_u16_sdwa s[6:7], v37, v7 src0_sel:BYTE_0 src1_sel:BYTE_0
	s_and_b64 s[6:7], vcc, s[6:7]
	v_or_b32_e32 v11, 11, v10
	v_cndmask_b32_e64 v63, 0, 1, s[6:7]
	v_cmp_gt_u32_e32 vcc, s3, v11
	v_cmp_ne_u16_sdwa s[6:7], v38, v37 src0_sel:BYTE_0 src1_sel:BYTE_0
	s_and_b64 s[6:7], vcc, s[6:7]
	v_or_b32_e32 v11, 10, v10
	v_cndmask_b32_e64 v64, 0, 1, s[6:7]
	v_cmp_gt_u32_e32 vcc, s3, v11
	v_cmp_ne_u16_sdwa s[6:7], v40, v38 src0_sel:BYTE_0 src1_sel:BYTE_0
	s_and_b64 s[6:7], vcc, s[6:7]
	v_or_b32_e32 v11, 9, v10
	v_cndmask_b32_e64 v65, 0, 1, s[6:7]
	v_cmp_gt_u32_e32 vcc, s3, v11
	v_cmp_ne_u16_sdwa s[6:7], v6, v40 src0_sel:BYTE_0 src1_sel:BYTE_0
	s_and_b64 s[6:7], vcc, s[6:7]
	v_or_b32_e32 v11, 8, v10
	v_cndmask_b32_e64 v66, 0, 1, s[6:7]
	v_cmp_gt_u32_e32 vcc, s3, v11
	v_cmp_ne_u16_sdwa s[6:7], v42, v6 src0_sel:BYTE_0 src1_sel:BYTE_0
	s_and_b64 s[6:7], vcc, s[6:7]
	v_or_b32_e32 v11, 7, v10
	v_cndmask_b32_e64 v67, 0, 1, s[6:7]
	v_cmp_gt_u32_e32 vcc, s3, v11
	v_cmp_ne_u16_sdwa s[6:7], v43, v42 src0_sel:BYTE_0 src1_sel:BYTE_0
	s_and_b64 s[6:7], vcc, s[6:7]
	v_or_b32_e32 v11, 6, v10
	v_cndmask_b32_e64 v68, 0, 1, s[6:7]
	v_cmp_gt_u32_e32 vcc, s3, v11
	v_cmp_ne_u16_sdwa s[6:7], v45, v43 src0_sel:BYTE_0 src1_sel:BYTE_0
	s_and_b64 s[6:7], vcc, s[6:7]
	v_or_b32_e32 v11, 5, v10
	v_cndmask_b32_e64 v69, 0, 1, s[6:7]
	v_cmp_gt_u32_e32 vcc, s3, v11
	v_cmp_ne_u16_sdwa s[6:7], v9, v45 src0_sel:BYTE_0 src1_sel:BYTE_0
	s_and_b64 s[6:7], vcc, s[6:7]
	v_or_b32_e32 v11, 4, v10
	v_cndmask_b32_e64 v70, 0, 1, s[6:7]
	v_cmp_gt_u32_e32 vcc, s3, v11
	v_cmp_ne_u16_sdwa s[6:7], v47, v9 src0_sel:BYTE_0 src1_sel:BYTE_0
	s_and_b64 s[6:7], vcc, s[6:7]
	v_or_b32_e32 v11, 3, v10
	v_cndmask_b32_e64 v71, 0, 1, s[6:7]
	v_cmp_gt_u32_e32 vcc, s3, v11
	v_cmp_ne_u16_sdwa s[6:7], v48, v47 src0_sel:BYTE_0 src1_sel:BYTE_0
	s_and_b64 s[6:7], vcc, s[6:7]
	v_or_b32_e32 v11, 2, v10
	v_cndmask_b32_e64 v72, 0, 1, s[6:7]
	v_cmp_gt_u32_e32 vcc, s3, v11
	v_cmp_ne_u16_sdwa s[6:7], v50, v48 src0_sel:BYTE_0 src1_sel:BYTE_0
	s_and_b64 s[6:7], vcc, s[6:7]
	v_or_b32_e32 v11, 1, v10
	v_cndmask_b32_e64 v73, 0, 1, s[6:7]
	v_cmp_gt_u32_e32 vcc, s3, v11
	v_cmp_ne_u16_sdwa s[6:7], v8, v50 src0_sel:BYTE_0 src1_sel:BYTE_0
	s_and_b64 s[6:7], vcc, s[6:7]
	s_mov_b32 s12, 1
	v_cndmask_b32_e64 v74, 0, 1, s[6:7]
	v_cmp_ne_u32_e32 vcc, 0, v0
	s_waitcnt lgkmcnt(0)
	s_barrier
	s_waitcnt lgkmcnt(0)
                                        ; implicit-def: $sgpr6_sgpr7
	s_and_saveexec_b64 s[10:11], vcc
	s_cbranch_execz .LBB151_311
; %bb.86:
	v_add_u32_e32 v11, -1, v0
	ds_read_u8 v11, v11
	v_cmp_gt_u32_e32 vcc, s3, v10
	s_or_b64 s[8:9], s[8:9], exec
	s_waitcnt lgkmcnt(0)
	v_and_b32_e32 v11, 0xff, v11
	v_cmp_ne_u16_sdwa s[6:7], v11, v8 src0_sel:DWORD src1_sel:BYTE_0
	s_and_b64 s[6:7], vcc, s[6:7]
	s_and_b64 s[6:7], s[6:7], exec
	s_or_b64 exec, exec, s[10:11]
.LBB151_87:
	v_mov_b32_e32 v75, s12
	s_and_saveexec_b64 s[10:11], s[8:9]
.LBB151_88:
	v_cndmask_b32_e64 v75, 0, 1, s[6:7]
.LBB151_89:
	s_or_b64 exec, exec, s[10:11]
	s_load_dwordx2 s[28:29], s[0:1], 0x60
	s_andn2_b64 vcc, exec, s[4:5]
	s_cbranch_vccnz .LBB151_91
; %bb.90:
	v_cmp_gt_u32_e32 vcc, s3, v10
	s_waitcnt vmcnt(0)
	v_or_b32_e32 v11, 1, v10
	v_cndmask_b32_e32 v75, 0, v75, vcc
	v_cmp_gt_u32_e32 vcc, s3, v11
	v_or_b32_e32 v11, 2, v10
	s_nop 0
	v_cndmask_b32_e32 v74, 0, v74, vcc
	v_cmp_gt_u32_e32 vcc, s3, v11
	v_or_b32_e32 v11, 3, v10
	s_nop 0
	;; [unrolled: 4-line block ×28, first 2 shown]
	v_cndmask_b32_e32 v41, 0, v41, vcc
	v_cmp_gt_u32_e32 vcc, s3, v11
	v_or_b32_e32 v11, 30, v10
	v_or_b32_e32 v10, 31, v10
	v_cndmask_b32_e32 v39, 0, v39, vcc
	v_cmp_gt_u32_e32 vcc, s3, v11
	s_nop 1
	v_cndmask_b32_e32 v36, 0, v36, vcc
	v_cmp_gt_u32_e32 vcc, s3, v10
	s_nop 1
	v_cndmask_b32_e32 v34, 0, v34, vcc
.LBB151_91:
	v_and_b32_e32 v116, 0xff, v41
	v_and_b32_e32 v117, 0xff, v39
	v_add_u32_sdwa v10, v36, v34 dst_sel:DWORD dst_unused:UNUSED_PAD src0_sel:BYTE_0 src1_sel:BYTE_0
	v_and_b32_e32 v114, 0xff, v46
	v_and_b32_e32 v115, 0xff, v44
	v_add3_u32 v10, v10, v117, v116
	v_and_b32_e32 v112, 0xff, v51
	v_and_b32_e32 v113, 0xff, v49
	v_add3_u32 v10, v10, v115, v114
	;; [unrolled: 3-line block ×14, first 2 shown]
	v_add3_u32 v90, v10, v77, v76
	v_mbcnt_lo_u32_b32 v10, -1, 0
	v_mbcnt_hi_u32_b32 v88, -1, v10
	v_and_b32_e32 v10, 15, v88
	v_cmp_eq_u32_e64 s[14:15], 0, v10
	v_cmp_lt_u32_e64 s[12:13], 1, v10
	v_cmp_lt_u32_e64 s[10:11], 3, v10
	;; [unrolled: 1-line block ×3, first 2 shown]
	v_and_b32_e32 v10, 16, v88
	v_cmp_eq_u32_e64 s[6:7], 0, v10
	v_or_b32_e32 v10, 63, v0
	v_cmp_lt_u32_e64 s[18:19], 31, v88
	v_lshrrev_b32_e32 v89, 6, v0
	v_cmp_eq_u32_e64 s[4:5], v10, v0
	s_and_b64 vcc, exec, s[16:17]
	s_waitcnt lgkmcnt(0)
	s_barrier
	s_cbranch_vccz .LBB151_122
; %bb.92:
	v_mov_b32_dpp v10, v90 row_shr:1 row_mask:0xf bank_mask:0xf
	v_cndmask_b32_e64 v10, v10, 0, s[14:15]
	v_add_u32_e32 v10, v10, v90
	s_waitcnt vmcnt(0)
	s_nop 0
	v_mov_b32_dpp v11, v10 row_shr:2 row_mask:0xf bank_mask:0xf
	v_cndmask_b32_e64 v11, 0, v11, s[12:13]
	v_add_u32_e32 v10, v10, v11
	s_nop 1
	v_mov_b32_dpp v11, v10 row_shr:4 row_mask:0xf bank_mask:0xf
	v_cndmask_b32_e64 v11, 0, v11, s[10:11]
	v_add_u32_e32 v10, v10, v11
	;; [unrolled: 4-line block ×3, first 2 shown]
	s_nop 1
	v_mov_b32_dpp v11, v10 row_bcast:15 row_mask:0xf bank_mask:0xf
	v_cndmask_b32_e64 v11, v11, 0, s[6:7]
	v_add_u32_e32 v10, v10, v11
	s_nop 1
	v_mov_b32_dpp v11, v10 row_bcast:31 row_mask:0xf bank_mask:0xf
	v_cndmask_b32_e64 v11, 0, v11, s[18:19]
	v_add_u32_e32 v10, v10, v11
	s_and_saveexec_b64 s[16:17], s[4:5]
	s_cbranch_execz .LBB151_94
; %bb.93:
	v_lshlrev_b32_e32 v11, 2, v89
	ds_write_b32 v11, v10
.LBB151_94:
	s_or_b64 exec, exec, s[16:17]
	v_cmp_gt_u32_e32 vcc, 8, v0
	s_waitcnt lgkmcnt(0)
	s_barrier
	s_and_saveexec_b64 s[16:17], vcc
	s_cbranch_execz .LBB151_96
; %bb.95:
	v_lshlrev_b32_e32 v11, 2, v0
	ds_read_b32 v12, v11
	v_and_b32_e32 v13, 7, v88
	v_cmp_ne_u32_e32 vcc, 0, v13
	s_waitcnt lgkmcnt(0)
	v_mov_b32_dpp v14, v12 row_shr:1 row_mask:0xf bank_mask:0xf
	v_cndmask_b32_e32 v14, 0, v14, vcc
	v_add_u32_e32 v12, v14, v12
	v_cmp_lt_u32_e32 vcc, 1, v13
	s_nop 0
	v_mov_b32_dpp v14, v12 row_shr:2 row_mask:0xf bank_mask:0xf
	v_cndmask_b32_e32 v14, 0, v14, vcc
	v_add_u32_e32 v12, v12, v14
	v_cmp_lt_u32_e32 vcc, 3, v13
	s_nop 0
	v_mov_b32_dpp v14, v12 row_shr:4 row_mask:0xf bank_mask:0xf
	v_cndmask_b32_e32 v13, 0, v14, vcc
	v_add_u32_e32 v12, v12, v13
	ds_write_b32 v11, v12
.LBB151_96:
	s_or_b64 exec, exec, s[16:17]
	v_cmp_gt_u32_e32 vcc, 64, v0
	v_cmp_lt_u32_e64 s[16:17], 63, v0
	s_waitcnt lgkmcnt(0)
	s_barrier
	s_waitcnt lgkmcnt(0)
                                        ; implicit-def: $vgpr91
	s_and_saveexec_b64 s[30:31], s[16:17]
	s_cbranch_execz .LBB151_98
; %bb.97:
	v_lshl_add_u32 v11, v89, 2, -4
	ds_read_b32 v91, v11
	s_waitcnt lgkmcnt(0)
	v_add_u32_e32 v10, v91, v10
.LBB151_98:
	s_or_b64 exec, exec, s[30:31]
	v_add_u32_e32 v11, -1, v88
	v_and_b32_e32 v12, 64, v88
	v_cmp_lt_i32_e64 s[16:17], v11, v12
	s_nop 1
	v_cndmask_b32_e64 v11, v11, v88, s[16:17]
	v_lshlrev_b32_e32 v11, 2, v11
	ds_bpermute_b32 v92, v11, v10
	v_cmp_eq_u32_e64 s[16:17], 0, v88
	s_and_saveexec_b64 s[30:31], vcc
	s_cbranch_execz .LBB151_121
; %bb.99:
	v_mov_b32_e32 v19, 0
	ds_read_b32 v10, v19 offset:28
	s_and_saveexec_b64 s[34:35], s[16:17]
	s_cbranch_execz .LBB151_101
; %bb.100:
	s_add_i32 s36, s2, 64
	s_mov_b32 s37, 0
	s_lshl_b64 s[36:37], s[36:37], 3
	s_add_u32 s36, s28, s36
	v_mov_b32_e32 v11, 1
	s_addc_u32 s37, s29, s37
	s_waitcnt lgkmcnt(0)
	global_store_dwordx2 v19, v[10:11], s[36:37] sc1
.LBB151_101:
	s_or_b64 exec, exec, s[34:35]
	v_xad_u32 v12, v88, -1, s2
	v_add_u32_e32 v18, 64, v12
	v_lshl_add_u64 v[14:15], v[18:19], 3, s[28:29]
	global_load_dwordx2 v[16:17], v[14:15], off sc1
	s_waitcnt vmcnt(0)
	v_cmp_eq_u16_sdwa s[36:37], v17, v19 src0_sel:BYTE_0 src1_sel:DWORD
	s_and_saveexec_b64 s[34:35], s[36:37]
	s_cbranch_execz .LBB151_107
; %bb.102:
	s_mov_b32 s3, 1
	s_mov_b64 s[36:37], 0
	v_mov_b32_e32 v11, 0
.LBB151_103:                            ; =>This Loop Header: Depth=1
                                        ;     Child Loop BB151_104 Depth 2
	s_max_u32 s33, s3, 1
.LBB151_104:                            ;   Parent Loop BB151_103 Depth=1
                                        ; =>  This Inner Loop Header: Depth=2
	s_add_i32 s33, s33, -1
	s_cmp_eq_u32 s33, 0
	s_sleep 1
	s_cbranch_scc0 .LBB151_104
; %bb.105:                              ;   in Loop: Header=BB151_103 Depth=1
	global_load_dwordx2 v[16:17], v[14:15], off sc1
	s_cmp_lt_u32 s3, 32
	s_cselect_b64 s[38:39], -1, 0
	s_cmp_lg_u64 s[38:39], 0
	s_addc_u32 s3, s3, 0
	s_waitcnt vmcnt(0)
	v_cmp_ne_u16_sdwa s[38:39], v17, v11 src0_sel:BYTE_0 src1_sel:DWORD
	s_or_b64 s[36:37], s[38:39], s[36:37]
	s_andn2_b64 exec, exec, s[36:37]
	s_cbranch_execnz .LBB151_103
; %bb.106:
	s_or_b64 exec, exec, s[36:37]
.LBB151_107:
	s_or_b64 exec, exec, s[34:35]
	v_and_b32_e32 v94, 63, v88
	v_mov_b32_e32 v93, 2
	v_cmp_ne_u32_e32 vcc, 63, v94
	v_cmp_eq_u16_sdwa s[34:35], v17, v93 src0_sel:BYTE_0 src1_sel:DWORD
	v_lshlrev_b64 v[14:15], v88, -1
	v_addc_co_u32_e32 v18, vcc, 0, v88, vcc
	v_and_b32_e32 v11, s35, v15
	v_lshlrev_b32_e32 v95, 2, v18
	v_or_b32_e32 v11, 0x80000000, v11
	ds_bpermute_b32 v18, v95, v16
	v_and_b32_e32 v13, s34, v14
	v_ffbl_b32_e32 v11, v11
	v_add_u32_e32 v11, 32, v11
	v_ffbl_b32_e32 v13, v13
	v_min_u32_e32 v11, v13, v11
	v_cmp_lt_u32_e32 vcc, v94, v11
	v_add_u32_e32 v97, 2, v94
	v_add_u32_e32 v99, 4, v94
	s_waitcnt lgkmcnt(0)
	v_cndmask_b32_e32 v13, 0, v18, vcc
	v_cmp_gt_u32_e32 vcc, 62, v94
	v_add_u32_e32 v13, v13, v16
	v_add_u32_e32 v119, 8, v94
	v_cndmask_b32_e64 v16, 0, 1, vcc
	v_lshlrev_b32_e32 v16, 1, v16
	v_add_lshl_u32 v96, v16, v88, 2
	ds_bpermute_b32 v16, v96, v13
	v_cmp_le_u32_e32 vcc, v97, v11
	v_add_u32_e32 v121, 16, v94
	v_add_u32_e32 v123, 32, v94
	s_waitcnt lgkmcnt(0)
	v_cndmask_b32_e32 v16, 0, v16, vcc
	v_cmp_gt_u32_e32 vcc, 60, v94
	v_add_u32_e32 v13, v13, v16
	s_nop 0
	v_cndmask_b32_e64 v16, 0, 1, vcc
	v_lshlrev_b32_e32 v16, 2, v16
	v_add_lshl_u32 v98, v16, v88, 2
	ds_bpermute_b32 v16, v98, v13
	v_cmp_le_u32_e32 vcc, v99, v11
	s_waitcnt lgkmcnt(0)
	s_nop 0
	v_cndmask_b32_e32 v16, 0, v16, vcc
	v_cmp_gt_u32_e32 vcc, 56, v94
	v_add_u32_e32 v13, v13, v16
	s_nop 0
	v_cndmask_b32_e64 v16, 0, 1, vcc
	v_lshlrev_b32_e32 v16, 3, v16
	v_add_lshl_u32 v118, v16, v88, 2
	ds_bpermute_b32 v16, v118, v13
	v_cmp_le_u32_e32 vcc, v119, v11
	s_waitcnt lgkmcnt(0)
	s_nop 0
	;; [unrolled: 11-line block ×4, first 2 shown]
	v_cndmask_b32_e32 v11, 0, v16, vcc
	v_add_u32_e32 v16, v13, v11
	v_mov_b32_e32 v13, 0
	s_branch .LBB151_109
.LBB151_108:                            ;   in Loop: Header=BB151_109 Depth=1
	s_or_b64 exec, exec, s[34:35]
	v_cmp_eq_u16_sdwa s[34:35], v17, v93 src0_sel:BYTE_0 src1_sel:DWORD
	ds_bpermute_b32 v124, v95, v16
	v_subrev_u32_e32 v12, 64, v12
	v_and_b32_e32 v18, s35, v15
	v_or_b32_e32 v18, 0x80000000, v18
	v_and_b32_e32 v19, s34, v14
	v_ffbl_b32_e32 v18, v18
	v_add_u32_e32 v18, 32, v18
	v_ffbl_b32_e32 v19, v19
	v_min_u32_e32 v18, v19, v18
	v_cmp_lt_u32_e32 vcc, v94, v18
	s_waitcnt lgkmcnt(0)
	s_nop 0
	v_cndmask_b32_e32 v19, 0, v124, vcc
	v_add_u32_e32 v16, v19, v16
	ds_bpermute_b32 v19, v96, v16
	v_cmp_le_u32_e32 vcc, v97, v18
	s_waitcnt lgkmcnt(0)
	s_nop 0
	v_cndmask_b32_e32 v19, 0, v19, vcc
	v_add_u32_e32 v16, v16, v19
	ds_bpermute_b32 v19, v98, v16
	v_cmp_le_u32_e32 vcc, v99, v18
	s_waitcnt lgkmcnt(0)
	s_nop 0
	v_cndmask_b32_e32 v19, 0, v19, vcc
	v_add_u32_e32 v16, v16, v19
	ds_bpermute_b32 v19, v118, v16
	v_cmp_le_u32_e32 vcc, v119, v18
	s_waitcnt lgkmcnt(0)
	s_nop 0
	v_cndmask_b32_e32 v19, 0, v19, vcc
	v_add_u32_e32 v16, v16, v19
	ds_bpermute_b32 v19, v120, v16
	v_cmp_le_u32_e32 vcc, v121, v18
	s_waitcnt lgkmcnt(0)
	s_nop 0
	v_cndmask_b32_e32 v19, 0, v19, vcc
	v_add_u32_e32 v16, v16, v19
	ds_bpermute_b32 v19, v122, v16
	v_cmp_le_u32_e32 vcc, v123, v18
	s_waitcnt lgkmcnt(0)
	s_nop 0
	v_cndmask_b32_e32 v18, 0, v19, vcc
	v_add3_u32 v16, v18, v11, v16
.LBB151_109:                            ; =>This Loop Header: Depth=1
                                        ;     Child Loop BB151_112 Depth 2
                                        ;       Child Loop BB151_113 Depth 3
	v_cmp_ne_u16_sdwa s[34:35], v17, v93 src0_sel:BYTE_0 src1_sel:DWORD
	s_nop 1
	v_cndmask_b32_e64 v11, 0, 1, s[34:35]
	;;#ASMSTART
	;;#ASMEND
	s_nop 0
	v_cmp_ne_u32_e32 vcc, 0, v11
	s_cmp_lg_u64 vcc, exec
	v_mov_b32_e32 v11, v16
	s_cbranch_scc1 .LBB151_116
; %bb.110:                              ;   in Loop: Header=BB151_109 Depth=1
	v_lshl_add_u64 v[18:19], v[12:13], 3, s[28:29]
	global_load_dwordx2 v[16:17], v[18:19], off sc1
	s_waitcnt vmcnt(0)
	v_cmp_eq_u16_sdwa s[36:37], v17, v13 src0_sel:BYTE_0 src1_sel:DWORD
	s_and_saveexec_b64 s[34:35], s[36:37]
	s_cbranch_execz .LBB151_108
; %bb.111:                              ;   in Loop: Header=BB151_109 Depth=1
	s_mov_b32 s3, 1
	s_mov_b64 s[36:37], 0
.LBB151_112:                            ;   Parent Loop BB151_109 Depth=1
                                        ; =>  This Loop Header: Depth=2
                                        ;       Child Loop BB151_113 Depth 3
	s_max_u32 s33, s3, 1
.LBB151_113:                            ;   Parent Loop BB151_109 Depth=1
                                        ;     Parent Loop BB151_112 Depth=2
                                        ; =>    This Inner Loop Header: Depth=3
	s_add_i32 s33, s33, -1
	s_cmp_eq_u32 s33, 0
	s_sleep 1
	s_cbranch_scc0 .LBB151_113
; %bb.114:                              ;   in Loop: Header=BB151_112 Depth=2
	global_load_dwordx2 v[16:17], v[18:19], off sc1
	s_cmp_lt_u32 s3, 32
	s_cselect_b64 s[38:39], -1, 0
	s_cmp_lg_u64 s[38:39], 0
	s_addc_u32 s3, s3, 0
	s_waitcnt vmcnt(0)
	v_cmp_ne_u16_sdwa s[38:39], v17, v13 src0_sel:BYTE_0 src1_sel:DWORD
	s_or_b64 s[36:37], s[38:39], s[36:37]
	s_andn2_b64 exec, exec, s[36:37]
	s_cbranch_execnz .LBB151_112
; %bb.115:                              ;   in Loop: Header=BB151_109 Depth=1
	s_or_b64 exec, exec, s[36:37]
	s_branch .LBB151_108
.LBB151_116:                            ;   in Loop: Header=BB151_109 Depth=1
                                        ; implicit-def: $vgpr16
                                        ; implicit-def: $vgpr17
	s_cbranch_execz .LBB151_109
; %bb.117:
	s_and_saveexec_b64 s[34:35], s[16:17]
	s_cbranch_execz .LBB151_119
; %bb.118:
	s_add_i32 s2, s2, 64
	s_mov_b32 s3, 0
	s_lshl_b64 s[2:3], s[2:3], 3
	s_add_u32 s2, s28, s2
	v_add_u32_e32 v12, v11, v10
	v_mov_b32_e32 v13, 2
	s_addc_u32 s3, s29, s3
	v_mov_b32_e32 v14, 0
	global_store_dwordx2 v14, v[12:13], s[2:3] sc1
	ds_write_b64 v14, v[10:11] offset:16896
.LBB151_119:
	s_or_b64 exec, exec, s[34:35]
	v_cmp_eq_u32_e32 vcc, 0, v0
	s_and_b64 exec, exec, vcc
	s_cbranch_execz .LBB151_121
; %bb.120:
	v_mov_b32_e32 v10, 0
	ds_write_b32 v10, v11 offset:28
.LBB151_121:
	s_or_b64 exec, exec, s[30:31]
	v_mov_b32_e32 v11, 0
	s_waitcnt lgkmcnt(0)
	s_barrier
	ds_read_b32 v12, v11 offset:28
	s_waitcnt lgkmcnt(0)
	s_barrier
	ds_read_b64 v[16:17], v11 offset:16896
	v_cndmask_b32_e64 v10, v92, v91, s[16:17]
	v_cmp_ne_u32_e32 vcc, 0, v0
	s_waitcnt lgkmcnt(0)
	v_mov_b32_e32 v18, v17
	v_cndmask_b32_e32 v10, 0, v10, vcc
	v_add_u32_e32 v96, v12, v10
	s_load_dwordx2 s[2:3], s[0:1], 0x28
	s_branch .LBB151_132
.LBB151_122:
                                        ; implicit-def: $vgpr18
                                        ; implicit-def: $vgpr16
                                        ; implicit-def: $vgpr96
	s_load_dwordx2 s[2:3], s[0:1], 0x28
	s_cbranch_execz .LBB151_132
; %bb.123:
	v_mov_b32_dpp v10, v90 row_shr:1 row_mask:0xf bank_mask:0xf
	v_cndmask_b32_e64 v10, v10, 0, s[14:15]
	v_add_u32_e32 v10, v10, v90
	s_waitcnt vmcnt(0)
	s_nop 0
	v_mov_b32_dpp v11, v10 row_shr:2 row_mask:0xf bank_mask:0xf
	v_cndmask_b32_e64 v11, 0, v11, s[12:13]
	v_add_u32_e32 v10, v10, v11
	s_nop 1
	v_mov_b32_dpp v11, v10 row_shr:4 row_mask:0xf bank_mask:0xf
	v_cndmask_b32_e64 v11, 0, v11, s[10:11]
	v_add_u32_e32 v10, v10, v11
	;; [unrolled: 4-line block ×3, first 2 shown]
	s_nop 1
	v_mov_b32_dpp v11, v10 row_bcast:15 row_mask:0xf bank_mask:0xf
	v_cndmask_b32_e64 v11, v11, 0, s[6:7]
	v_add_u32_e32 v10, v10, v11
	s_nop 1
	v_mov_b32_dpp v11, v10 row_bcast:31 row_mask:0xf bank_mask:0xf
	v_cndmask_b32_e64 v11, 0, v11, s[18:19]
	v_add_u32_e32 v10, v10, v11
	s_and_saveexec_b64 s[0:1], s[4:5]
	s_cbranch_execz .LBB151_125
; %bb.124:
	v_lshlrev_b32_e32 v11, 2, v89
	ds_write_b32 v11, v10
.LBB151_125:
	s_or_b64 exec, exec, s[0:1]
	v_cmp_gt_u32_e32 vcc, 8, v0
	s_waitcnt lgkmcnt(0)
	s_barrier
	s_and_saveexec_b64 s[0:1], vcc
	s_cbranch_execz .LBB151_127
; %bb.126:
	v_lshlrev_b32_e32 v11, 2, v0
	ds_read_b32 v12, v11
	v_and_b32_e32 v13, 7, v88
	v_cmp_ne_u32_e32 vcc, 0, v13
	s_waitcnt lgkmcnt(0)
	v_mov_b32_dpp v14, v12 row_shr:1 row_mask:0xf bank_mask:0xf
	v_cndmask_b32_e32 v14, 0, v14, vcc
	v_add_u32_e32 v12, v14, v12
	v_cmp_lt_u32_e32 vcc, 1, v13
	s_nop 0
	v_mov_b32_dpp v14, v12 row_shr:2 row_mask:0xf bank_mask:0xf
	v_cndmask_b32_e32 v14, 0, v14, vcc
	v_add_u32_e32 v12, v12, v14
	v_cmp_lt_u32_e32 vcc, 3, v13
	s_nop 0
	v_mov_b32_dpp v14, v12 row_shr:4 row_mask:0xf bank_mask:0xf
	v_cndmask_b32_e32 v13, 0, v14, vcc
	v_add_u32_e32 v12, v12, v13
	ds_write_b32 v11, v12
.LBB151_127:
	s_or_b64 exec, exec, s[0:1]
	v_cmp_lt_u32_e32 vcc, 63, v0
	v_mov_b32_e32 v12, 0
	v_mov_b32_e32 v11, 0
	s_waitcnt lgkmcnt(0)
	s_barrier
	s_and_saveexec_b64 s[0:1], vcc
	s_cbranch_execz .LBB151_129
; %bb.128:
	v_lshl_add_u32 v11, v89, 2, -4
	ds_read_b32 v11, v11
.LBB151_129:
	s_or_b64 exec, exec, s[0:1]
	v_add_u32_e32 v13, -1, v88
	v_and_b32_e32 v14, 64, v88
	v_cmp_lt_i32_e32 vcc, v13, v14
	s_waitcnt lgkmcnt(0)
	v_add_u32_e32 v10, v11, v10
	ds_read_b32 v16, v12 offset:28
	v_cndmask_b32_e32 v13, v13, v88, vcc
	v_lshlrev_b32_e32 v13, 2, v13
	ds_bpermute_b32 v10, v13, v10
	v_cmp_eq_u32_e32 vcc, 0, v0
	s_and_saveexec_b64 s[0:1], vcc
	s_cbranch_execz .LBB151_131
; %bb.130:
	v_mov_b32_e32 v12, 0
	v_mov_b32_e32 v17, 2
	s_waitcnt lgkmcnt(1)
	global_store_dwordx2 v12, v[16:17], s[28:29] offset:512 sc1
.LBB151_131:
	s_or_b64 exec, exec, s[0:1]
	v_cmp_eq_u32_e64 s[0:1], 0, v88
	v_mov_b32_e32 v18, 0
	s_waitcnt lgkmcnt(0)
	v_cndmask_b32_e64 v10, v10, v11, s[0:1]
	v_cndmask_b32_e64 v96, v10, 0, vcc
	s_barrier
.LBB151_132:
	v_add_u32_e32 v99, v96, v76
	v_add_u32_e32 v98, v99, v77
	;; [unrolled: 1-line block ×29, first 2 shown]
	s_movk_i32 s0, 0x201
	s_waitcnt vmcnt(0)
	v_add_u32_e32 v11, v12, v117
	v_cmp_gt_u32_e32 vcc, s0, v16
	v_add_u32_sdwa v10, v11, v36 dst_sel:DWORD dst_unused:UNUSED_PAD src0_sel:DWORD src1_sel:BYTE_0
	s_mov_b64 s[0:1], -1
	s_cbranch_vccnz .LBB151_136
; %bb.133:
	s_and_b64 vcc, exec, s[0:1]
	s_cbranch_vccnz .LBB151_233
.LBB151_134:
	v_cmp_eq_u32_e32 vcc, 0, v0
	s_and_b64 s[0:1], vcc, s[24:25]
	s_waitcnt lgkmcnt(0)
	s_and_saveexec_b64 s[2:3], s[0:1]
	s_cbranch_execnz .LBB151_310
.LBB151_135:
	s_endpgm
.LBB151_136:
	v_add_u32_e32 v100, v18, v16
	v_cmp_lt_u32_e32 vcc, v96, v100
	s_or_b64 s[4:5], s[26:27], vcc
	s_and_saveexec_b64 s[0:1], s[4:5]
	s_cbranch_execz .LBB151_139
; %bb.137:
	v_and_b32_e32 v101, 1, v75
	v_cmp_eq_u32_e32 vcc, 1, v101
	s_and_b64 exec, exec, vcc
	s_cbranch_execz .LBB151_139
; %bb.138:
	s_waitcnt lgkmcnt(0)
	s_add_u32 s4, s2, s22
	s_addc_u32 s5, s3, s23
	global_store_byte v96, v8, s[4:5]
.LBB151_139:
	s_or_b64 exec, exec, s[0:1]
	v_cmp_lt_u32_e32 vcc, v99, v100
	s_or_b64 s[4:5], s[26:27], vcc
	s_and_saveexec_b64 s[0:1], s[4:5]
	s_cbranch_execz .LBB151_142
; %bb.140:
	v_and_b32_e32 v101, 1, v74
	v_cmp_eq_u32_e32 vcc, 1, v101
	s_and_b64 exec, exec, vcc
	s_cbranch_execz .LBB151_142
; %bb.141:
	s_waitcnt lgkmcnt(0)
	s_add_u32 s4, s2, s22
	s_addc_u32 s5, s3, s23
	global_store_byte v99, v50, s[4:5]
.LBB151_142:
	s_or_b64 exec, exec, s[0:1]
	;; [unrolled: 16-line block ×32, first 2 shown]
	s_branch .LBB151_134
.LBB151_233:
	v_and_b32_e32 v75, 1, v75
	v_cmp_eq_u32_e32 vcc, 1, v75
	s_and_saveexec_b64 s[0:1], vcc
	s_cbranch_execz .LBB151_235
; %bb.234:
	v_sub_u32_e32 v75, v96, v18
	ds_write_b8 v75, v8
.LBB151_235:
	s_or_b64 exec, exec, s[0:1]
	v_and_b32_e32 v8, 1, v74
	v_cmp_eq_u32_e32 vcc, 1, v8
	s_and_saveexec_b64 s[0:1], vcc
	s_cbranch_execz .LBB151_237
; %bb.236:
	v_sub_u32_e32 v8, v99, v18
	ds_write_b8 v8, v50
.LBB151_237:
	s_or_b64 exec, exec, s[0:1]
	;; [unrolled: 9-line block ×32, first 2 shown]
	v_cmp_lt_u32_e32 vcc, v0, v16
	s_waitcnt lgkmcnt(0)
	s_barrier
	s_and_saveexec_b64 s[0:1], vcc
	s_cbranch_execz .LBB151_309
; %bb.298:
	v_mov_b32_e32 v19, 0
	v_lshl_add_u64 v[2:3], s[2:3], 0, v[18:19]
	v_xad_u32 v1, v0, -1, v16
	s_movk_i32 s2, 0xdff
	v_lshl_add_u64 v[20:21], v[2:3], 0, s[22:23]
	v_cmp_lt_u32_e32 vcc, s2, v1
	s_mov_b64 s[4:5], -1
	s_and_saveexec_b64 s[2:3], vcc
	s_cbranch_execz .LBB151_306
; %bb.299:
	v_lshrrev_b32_e32 v17, 9, v1
	v_or_b32_e32 v7, 0xe00, v0
	v_or_b32_e32 v6, 0xc00, v0
	;; [unrolled: 1-line block ×7, first 2 shown]
	v_add_u32_e32 v24, -7, v17
	v_mov_b64_e32 v[14:15], v[6:7]
	v_cmp_lt_u32_e32 vcc, 7, v24
	v_mov_b64_e32 v[12:13], v[4:5]
	v_mov_b64_e32 v[10:11], v[2:3]
	;; [unrolled: 1-line block ×3, first 2 shown]
	s_and_saveexec_b64 s[4:5], vcc
	s_cbranch_execz .LBB151_303
; %bb.300:
	v_lshrrev_b32_e32 v8, 3, v24
	v_add_u32_e32 v8, 1, v8
	v_and_b32_e32 v19, 0x3ffffffe, v8
	v_mov_b64_e32 v[14:15], v[6:7]
	s_mov_b32 s8, 0
	s_mov_b64 s[6:7], 0
	v_mov_b32_e32 v23, 0
	v_mov_b32_e32 v25, v0
	v_mov_b64_e32 v[12:13], v[4:5]
	v_mov_b64_e32 v[10:11], v[2:3]
	;; [unrolled: 1-line block ×3, first 2 shown]
.LBB151_301:                            ; =>This Inner Loop Header: Depth=1
	v_mov_b32_e32 v22, v8
	v_lshl_add_u64 v[34:35], v[20:21], 0, v[22:23]
	v_mov_b32_e32 v22, v9
	v_lshl_add_u64 v[36:37], v[20:21], 0, v[22:23]
	v_mov_b32_e32 v22, v10
	v_lshl_add_u64 v[38:39], v[20:21], 0, v[22:23]
	v_mov_b32_e32 v22, v11
	ds_read_u8 v44, v25
	ds_read_u8 v45, v25 offset:512
	ds_read_u8 v46, v25 offset:1024
	;; [unrolled: 1-line block ×7, first 2 shown]
	v_lshl_add_u64 v[40:41], v[20:21], 0, v[22:23]
	v_mov_b32_e32 v22, v12
	ds_read_u8 v52, v25 offset:4096
	ds_read_u8 v53, v25 offset:4608
	;; [unrolled: 1-line block ×8, first 2 shown]
	v_lshl_add_u64 v[42:43], v[20:21], 0, v[22:23]
	v_mov_b32_e32 v22, v13
	s_waitcnt lgkmcnt(14)
	global_store_byte v[34:35], v44, off
	global_store_byte v[36:37], v45, off
	s_waitcnt lgkmcnt(13)
	global_store_byte v[38:39], v46, off
	s_waitcnt lgkmcnt(12)
	global_store_byte v[40:41], v47, off
	v_lshl_add_u64 v[34:35], v[20:21], 0, v[22:23]
	v_mov_b32_e32 v22, v14
	v_add_u32_e32 v19, -2, v19
	v_lshl_add_u64 v[36:37], v[20:21], 0, v[22:23]
	v_mov_b32_e32 v22, v15
	s_add_i32 s8, s8, 16
	v_cmp_eq_u32_e32 vcc, 0, v19
	s_waitcnt lgkmcnt(11)
	global_store_byte v[42:43], v48, off
	s_waitcnt lgkmcnt(10)
	global_store_byte v[34:35], v49, off
	v_lshl_add_u64 v[34:35], v[20:21], 0, v[22:23]
	v_add_u32_e32 v22, 0x1000, v8
	v_add_u32_e32 v2, 0x1000, v15
	;; [unrolled: 1-line block ×8, first 2 shown]
	v_mov_b32_e32 v33, v23
	v_mov_b32_e32 v31, v23
	;; [unrolled: 1-line block ×7, first 2 shown]
	v_add_u32_e32 v25, 0x2000, v25
	v_add_u32_e32 v9, 0x2000, v9
	v_mov_b32_e32 v1, s8
	v_add_u32_e32 v10, 0x2000, v10
	s_or_b64 s[6:7], vcc, s[6:7]
	v_add_u32_e32 v11, 0x2000, v11
	v_add_u32_e32 v12, 0x2000, v12
	;; [unrolled: 1-line block ×5, first 2 shown]
	s_waitcnt lgkmcnt(9)
	global_store_byte v[36:37], v50, off
	v_add_u32_e32 v8, 0x2000, v8
	s_waitcnt lgkmcnt(8)
	global_store_byte v[34:35], v51, off
	v_lshl_add_u64 v[34:35], v[20:21], 0, v[22:23]
	v_lshl_add_u64 v[32:33], v[20:21], 0, v[32:33]
	;; [unrolled: 1-line block ×8, first 2 shown]
	s_waitcnt lgkmcnt(7)
	global_store_byte v[34:35], v52, off
	s_waitcnt lgkmcnt(6)
	global_store_byte v[32:33], v53, off
	;; [unrolled: 2-line block ×8, first 2 shown]
	s_andn2_b64 exec, exec, s[6:7]
	s_cbranch_execnz .LBB151_301
; %bb.302:
	s_or_b64 exec, exec, s[6:7]
	v_lshlrev_b32_e32 v19, 9, v1
.LBB151_303:
	s_or_b64 exec, exec, s[4:5]
	v_and_b32_e32 v1, 8, v24
	v_cmp_eq_u32_e32 vcc, 0, v1
	s_and_saveexec_b64 s[4:5], vcc
	s_cbranch_execz .LBB151_305
; %bb.304:
	v_mov_b32_e32 v3, 0
	v_mov_b32_e32 v2, v8
	v_lshl_add_u64 v[4:5], v[20:21], 0, v[2:3]
	v_mov_b32_e32 v2, v9
	v_or_b32_e32 v1, v0, v19
	v_lshl_add_u64 v[6:7], v[20:21], 0, v[2:3]
	v_mov_b32_e32 v2, v10
	ds_read_u8 v19, v1
	ds_read_u8 v26, v1 offset:512
	ds_read_u8 v27, v1 offset:1024
	ds_read_u8 v28, v1 offset:1536
	ds_read_u8 v29, v1 offset:2048
	ds_read_u8 v30, v1 offset:2560
	ds_read_u8 v31, v1 offset:3072
	ds_read_u8 v1, v1 offset:3584
	v_lshl_add_u64 v[8:9], v[20:21], 0, v[2:3]
	v_mov_b32_e32 v2, v11
	v_lshl_add_u64 v[10:11], v[20:21], 0, v[2:3]
	v_mov_b32_e32 v2, v12
	;; [unrolled: 2-line block ×5, first 2 shown]
	v_lshl_add_u64 v[2:3], v[20:21], 0, v[2:3]
	s_waitcnt lgkmcnt(7)
	global_store_byte v[4:5], v19, off
	s_waitcnt lgkmcnt(6)
	global_store_byte v[6:7], v26, off
	;; [unrolled: 2-line block ×8, first 2 shown]
.LBB151_305:
	s_or_b64 exec, exec, s[4:5]
	v_add_u32_e32 v1, 1, v17
	v_and_b32_e32 v2, 0xfffff8, v1
	v_cmp_ne_u32_e32 vcc, v1, v2
	v_lshl_or_b32 v22, v2, 9, v0
	s_orn2_b64 s[4:5], vcc, exec
.LBB151_306:
	s_or_b64 exec, exec, s[2:3]
	s_and_b64 exec, exec, s[4:5]
	s_cbranch_execz .LBB151_309
; %bb.307:
	s_mov_b64 s[2:3], 0
.LBB151_308:                            ; =>This Inner Loop Header: Depth=1
	ds_read_u8 v1, v22
	v_readfirstlane_b32 s4, v20
	v_readfirstlane_b32 s5, v21
	s_waitcnt lgkmcnt(0)
	s_nop 3
	global_store_byte v22, v1, s[4:5]
	v_add_u32_e32 v22, 0x200, v22
	v_cmp_ge_u32_e32 vcc, v22, v16
	s_or_b64 s[2:3], vcc, s[2:3]
	s_andn2_b64 exec, exec, s[2:3]
	s_cbranch_execnz .LBB151_308
.LBB151_309:
	s_or_b64 exec, exec, s[0:1]
	v_cmp_eq_u32_e32 vcc, 0, v0
	s_and_b64 s[0:1], vcc, s[24:25]
	s_and_saveexec_b64 s[2:3], s[0:1]
	s_cbranch_execz .LBB151_135
.LBB151_310:
	v_mov_b32_e32 v17, 0
	v_lshl_add_u64 v[0:1], s[22:23], 0, v[16:17]
	v_mov_b32_e32 v19, v17
	v_lshl_add_u64 v[0:1], v[0:1], 0, v[18:19]
	global_store_dwordx2 v17, v[0:1], s[20:21]
	s_endpgm
.LBB151_311:
	s_or_b64 exec, exec, s[10:11]
	v_mov_b32_e32 v75, s12
	s_and_saveexec_b64 s[10:11], s[8:9]
	s_cbranch_execnz .LBB151_88
	s_branch .LBB151_89
	.section	.rodata,"a",@progbits
	.p2align	6, 0x0
	.amdhsa_kernel _ZN7rocprim17ROCPRIM_400000_NS6detail17trampoline_kernelINS0_14default_configENS1_25partition_config_selectorILNS1_17partition_subalgoE8EhNS0_10empty_typeEbEEZZNS1_14partition_implILS5_8ELb0ES3_jPKhPS6_PKS6_NS0_5tupleIJPhS6_EEENSE_IJSB_SB_EEENS0_18inequality_wrapperIN6hipcub16HIPCUB_304000_NS8EqualityEEEPlJS6_EEE10hipError_tPvRmT3_T4_T5_T6_T7_T9_mT8_P12ihipStream_tbDpT10_ENKUlT_T0_E_clISt17integral_constantIbLb1EES16_IbLb0EEEEDaS12_S13_EUlS12_E_NS1_11comp_targetILNS1_3genE5ELNS1_11target_archE942ELNS1_3gpuE9ELNS1_3repE0EEENS1_30default_config_static_selectorELNS0_4arch9wavefront6targetE1EEEvT1_
		.amdhsa_group_segment_fixed_size 16904
		.amdhsa_private_segment_fixed_size 0
		.amdhsa_kernarg_size 112
		.amdhsa_user_sgpr_count 2
		.amdhsa_user_sgpr_dispatch_ptr 0
		.amdhsa_user_sgpr_queue_ptr 0
		.amdhsa_user_sgpr_kernarg_segment_ptr 1
		.amdhsa_user_sgpr_dispatch_id 0
		.amdhsa_user_sgpr_kernarg_preload_length 0
		.amdhsa_user_sgpr_kernarg_preload_offset 0
		.amdhsa_user_sgpr_private_segment_size 0
		.amdhsa_uses_dynamic_stack 0
		.amdhsa_enable_private_segment 0
		.amdhsa_system_sgpr_workgroup_id_x 1
		.amdhsa_system_sgpr_workgroup_id_y 0
		.amdhsa_system_sgpr_workgroup_id_z 0
		.amdhsa_system_sgpr_workgroup_info 0
		.amdhsa_system_vgpr_workitem_id 0
		.amdhsa_next_free_vgpr 125
		.amdhsa_next_free_sgpr 54
		.amdhsa_accum_offset 128
		.amdhsa_reserve_vcc 1
		.amdhsa_float_round_mode_32 0
		.amdhsa_float_round_mode_16_64 0
		.amdhsa_float_denorm_mode_32 3
		.amdhsa_float_denorm_mode_16_64 3
		.amdhsa_dx10_clamp 1
		.amdhsa_ieee_mode 1
		.amdhsa_fp16_overflow 0
		.amdhsa_tg_split 0
		.amdhsa_exception_fp_ieee_invalid_op 0
		.amdhsa_exception_fp_denorm_src 0
		.amdhsa_exception_fp_ieee_div_zero 0
		.amdhsa_exception_fp_ieee_overflow 0
		.amdhsa_exception_fp_ieee_underflow 0
		.amdhsa_exception_fp_ieee_inexact 0
		.amdhsa_exception_int_div_zero 0
	.end_amdhsa_kernel
	.section	.text._ZN7rocprim17ROCPRIM_400000_NS6detail17trampoline_kernelINS0_14default_configENS1_25partition_config_selectorILNS1_17partition_subalgoE8EhNS0_10empty_typeEbEEZZNS1_14partition_implILS5_8ELb0ES3_jPKhPS6_PKS6_NS0_5tupleIJPhS6_EEENSE_IJSB_SB_EEENS0_18inequality_wrapperIN6hipcub16HIPCUB_304000_NS8EqualityEEEPlJS6_EEE10hipError_tPvRmT3_T4_T5_T6_T7_T9_mT8_P12ihipStream_tbDpT10_ENKUlT_T0_E_clISt17integral_constantIbLb1EES16_IbLb0EEEEDaS12_S13_EUlS12_E_NS1_11comp_targetILNS1_3genE5ELNS1_11target_archE942ELNS1_3gpuE9ELNS1_3repE0EEENS1_30default_config_static_selectorELNS0_4arch9wavefront6targetE1EEEvT1_,"axG",@progbits,_ZN7rocprim17ROCPRIM_400000_NS6detail17trampoline_kernelINS0_14default_configENS1_25partition_config_selectorILNS1_17partition_subalgoE8EhNS0_10empty_typeEbEEZZNS1_14partition_implILS5_8ELb0ES3_jPKhPS6_PKS6_NS0_5tupleIJPhS6_EEENSE_IJSB_SB_EEENS0_18inequality_wrapperIN6hipcub16HIPCUB_304000_NS8EqualityEEEPlJS6_EEE10hipError_tPvRmT3_T4_T5_T6_T7_T9_mT8_P12ihipStream_tbDpT10_ENKUlT_T0_E_clISt17integral_constantIbLb1EES16_IbLb0EEEEDaS12_S13_EUlS12_E_NS1_11comp_targetILNS1_3genE5ELNS1_11target_archE942ELNS1_3gpuE9ELNS1_3repE0EEENS1_30default_config_static_selectorELNS0_4arch9wavefront6targetE1EEEvT1_,comdat
.Lfunc_end151:
	.size	_ZN7rocprim17ROCPRIM_400000_NS6detail17trampoline_kernelINS0_14default_configENS1_25partition_config_selectorILNS1_17partition_subalgoE8EhNS0_10empty_typeEbEEZZNS1_14partition_implILS5_8ELb0ES3_jPKhPS6_PKS6_NS0_5tupleIJPhS6_EEENSE_IJSB_SB_EEENS0_18inequality_wrapperIN6hipcub16HIPCUB_304000_NS8EqualityEEEPlJS6_EEE10hipError_tPvRmT3_T4_T5_T6_T7_T9_mT8_P12ihipStream_tbDpT10_ENKUlT_T0_E_clISt17integral_constantIbLb1EES16_IbLb0EEEEDaS12_S13_EUlS12_E_NS1_11comp_targetILNS1_3genE5ELNS1_11target_archE942ELNS1_3gpuE9ELNS1_3repE0EEENS1_30default_config_static_selectorELNS0_4arch9wavefront6targetE1EEEvT1_, .Lfunc_end151-_ZN7rocprim17ROCPRIM_400000_NS6detail17trampoline_kernelINS0_14default_configENS1_25partition_config_selectorILNS1_17partition_subalgoE8EhNS0_10empty_typeEbEEZZNS1_14partition_implILS5_8ELb0ES3_jPKhPS6_PKS6_NS0_5tupleIJPhS6_EEENSE_IJSB_SB_EEENS0_18inequality_wrapperIN6hipcub16HIPCUB_304000_NS8EqualityEEEPlJS6_EEE10hipError_tPvRmT3_T4_T5_T6_T7_T9_mT8_P12ihipStream_tbDpT10_ENKUlT_T0_E_clISt17integral_constantIbLb1EES16_IbLb0EEEEDaS12_S13_EUlS12_E_NS1_11comp_targetILNS1_3genE5ELNS1_11target_archE942ELNS1_3gpuE9ELNS1_3repE0EEENS1_30default_config_static_selectorELNS0_4arch9wavefront6targetE1EEEvT1_
                                        ; -- End function
	.section	.AMDGPU.csdata,"",@progbits
; Kernel info:
; codeLenInByte = 14156
; NumSgprs: 60
; NumVgprs: 125
; NumAgprs: 0
; TotalNumVgprs: 125
; ScratchSize: 0
; MemoryBound: 0
; FloatMode: 240
; IeeeMode: 1
; LDSByteSize: 16904 bytes/workgroup (compile time only)
; SGPRBlocks: 7
; VGPRBlocks: 15
; NumSGPRsForWavesPerEU: 60
; NumVGPRsForWavesPerEU: 125
; AccumOffset: 128
; Occupancy: 4
; WaveLimiterHint : 1
; COMPUTE_PGM_RSRC2:SCRATCH_EN: 0
; COMPUTE_PGM_RSRC2:USER_SGPR: 2
; COMPUTE_PGM_RSRC2:TRAP_HANDLER: 0
; COMPUTE_PGM_RSRC2:TGID_X_EN: 1
; COMPUTE_PGM_RSRC2:TGID_Y_EN: 0
; COMPUTE_PGM_RSRC2:TGID_Z_EN: 0
; COMPUTE_PGM_RSRC2:TIDIG_COMP_CNT: 0
; COMPUTE_PGM_RSRC3_GFX90A:ACCUM_OFFSET: 31
; COMPUTE_PGM_RSRC3_GFX90A:TG_SPLIT: 0
	.section	.text._ZN7rocprim17ROCPRIM_400000_NS6detail17trampoline_kernelINS0_14default_configENS1_25partition_config_selectorILNS1_17partition_subalgoE8EhNS0_10empty_typeEbEEZZNS1_14partition_implILS5_8ELb0ES3_jPKhPS6_PKS6_NS0_5tupleIJPhS6_EEENSE_IJSB_SB_EEENS0_18inequality_wrapperIN6hipcub16HIPCUB_304000_NS8EqualityEEEPlJS6_EEE10hipError_tPvRmT3_T4_T5_T6_T7_T9_mT8_P12ihipStream_tbDpT10_ENKUlT_T0_E_clISt17integral_constantIbLb1EES16_IbLb0EEEEDaS12_S13_EUlS12_E_NS1_11comp_targetILNS1_3genE4ELNS1_11target_archE910ELNS1_3gpuE8ELNS1_3repE0EEENS1_30default_config_static_selectorELNS0_4arch9wavefront6targetE1EEEvT1_,"axG",@progbits,_ZN7rocprim17ROCPRIM_400000_NS6detail17trampoline_kernelINS0_14default_configENS1_25partition_config_selectorILNS1_17partition_subalgoE8EhNS0_10empty_typeEbEEZZNS1_14partition_implILS5_8ELb0ES3_jPKhPS6_PKS6_NS0_5tupleIJPhS6_EEENSE_IJSB_SB_EEENS0_18inequality_wrapperIN6hipcub16HIPCUB_304000_NS8EqualityEEEPlJS6_EEE10hipError_tPvRmT3_T4_T5_T6_T7_T9_mT8_P12ihipStream_tbDpT10_ENKUlT_T0_E_clISt17integral_constantIbLb1EES16_IbLb0EEEEDaS12_S13_EUlS12_E_NS1_11comp_targetILNS1_3genE4ELNS1_11target_archE910ELNS1_3gpuE8ELNS1_3repE0EEENS1_30default_config_static_selectorELNS0_4arch9wavefront6targetE1EEEvT1_,comdat
	.protected	_ZN7rocprim17ROCPRIM_400000_NS6detail17trampoline_kernelINS0_14default_configENS1_25partition_config_selectorILNS1_17partition_subalgoE8EhNS0_10empty_typeEbEEZZNS1_14partition_implILS5_8ELb0ES3_jPKhPS6_PKS6_NS0_5tupleIJPhS6_EEENSE_IJSB_SB_EEENS0_18inequality_wrapperIN6hipcub16HIPCUB_304000_NS8EqualityEEEPlJS6_EEE10hipError_tPvRmT3_T4_T5_T6_T7_T9_mT8_P12ihipStream_tbDpT10_ENKUlT_T0_E_clISt17integral_constantIbLb1EES16_IbLb0EEEEDaS12_S13_EUlS12_E_NS1_11comp_targetILNS1_3genE4ELNS1_11target_archE910ELNS1_3gpuE8ELNS1_3repE0EEENS1_30default_config_static_selectorELNS0_4arch9wavefront6targetE1EEEvT1_ ; -- Begin function _ZN7rocprim17ROCPRIM_400000_NS6detail17trampoline_kernelINS0_14default_configENS1_25partition_config_selectorILNS1_17partition_subalgoE8EhNS0_10empty_typeEbEEZZNS1_14partition_implILS5_8ELb0ES3_jPKhPS6_PKS6_NS0_5tupleIJPhS6_EEENSE_IJSB_SB_EEENS0_18inequality_wrapperIN6hipcub16HIPCUB_304000_NS8EqualityEEEPlJS6_EEE10hipError_tPvRmT3_T4_T5_T6_T7_T9_mT8_P12ihipStream_tbDpT10_ENKUlT_T0_E_clISt17integral_constantIbLb1EES16_IbLb0EEEEDaS12_S13_EUlS12_E_NS1_11comp_targetILNS1_3genE4ELNS1_11target_archE910ELNS1_3gpuE8ELNS1_3repE0EEENS1_30default_config_static_selectorELNS0_4arch9wavefront6targetE1EEEvT1_
	.globl	_ZN7rocprim17ROCPRIM_400000_NS6detail17trampoline_kernelINS0_14default_configENS1_25partition_config_selectorILNS1_17partition_subalgoE8EhNS0_10empty_typeEbEEZZNS1_14partition_implILS5_8ELb0ES3_jPKhPS6_PKS6_NS0_5tupleIJPhS6_EEENSE_IJSB_SB_EEENS0_18inequality_wrapperIN6hipcub16HIPCUB_304000_NS8EqualityEEEPlJS6_EEE10hipError_tPvRmT3_T4_T5_T6_T7_T9_mT8_P12ihipStream_tbDpT10_ENKUlT_T0_E_clISt17integral_constantIbLb1EES16_IbLb0EEEEDaS12_S13_EUlS12_E_NS1_11comp_targetILNS1_3genE4ELNS1_11target_archE910ELNS1_3gpuE8ELNS1_3repE0EEENS1_30default_config_static_selectorELNS0_4arch9wavefront6targetE1EEEvT1_
	.p2align	8
	.type	_ZN7rocprim17ROCPRIM_400000_NS6detail17trampoline_kernelINS0_14default_configENS1_25partition_config_selectorILNS1_17partition_subalgoE8EhNS0_10empty_typeEbEEZZNS1_14partition_implILS5_8ELb0ES3_jPKhPS6_PKS6_NS0_5tupleIJPhS6_EEENSE_IJSB_SB_EEENS0_18inequality_wrapperIN6hipcub16HIPCUB_304000_NS8EqualityEEEPlJS6_EEE10hipError_tPvRmT3_T4_T5_T6_T7_T9_mT8_P12ihipStream_tbDpT10_ENKUlT_T0_E_clISt17integral_constantIbLb1EES16_IbLb0EEEEDaS12_S13_EUlS12_E_NS1_11comp_targetILNS1_3genE4ELNS1_11target_archE910ELNS1_3gpuE8ELNS1_3repE0EEENS1_30default_config_static_selectorELNS0_4arch9wavefront6targetE1EEEvT1_,@function
_ZN7rocprim17ROCPRIM_400000_NS6detail17trampoline_kernelINS0_14default_configENS1_25partition_config_selectorILNS1_17partition_subalgoE8EhNS0_10empty_typeEbEEZZNS1_14partition_implILS5_8ELb0ES3_jPKhPS6_PKS6_NS0_5tupleIJPhS6_EEENSE_IJSB_SB_EEENS0_18inequality_wrapperIN6hipcub16HIPCUB_304000_NS8EqualityEEEPlJS6_EEE10hipError_tPvRmT3_T4_T5_T6_T7_T9_mT8_P12ihipStream_tbDpT10_ENKUlT_T0_E_clISt17integral_constantIbLb1EES16_IbLb0EEEEDaS12_S13_EUlS12_E_NS1_11comp_targetILNS1_3genE4ELNS1_11target_archE910ELNS1_3gpuE8ELNS1_3repE0EEENS1_30default_config_static_selectorELNS0_4arch9wavefront6targetE1EEEvT1_: ; @_ZN7rocprim17ROCPRIM_400000_NS6detail17trampoline_kernelINS0_14default_configENS1_25partition_config_selectorILNS1_17partition_subalgoE8EhNS0_10empty_typeEbEEZZNS1_14partition_implILS5_8ELb0ES3_jPKhPS6_PKS6_NS0_5tupleIJPhS6_EEENSE_IJSB_SB_EEENS0_18inequality_wrapperIN6hipcub16HIPCUB_304000_NS8EqualityEEEPlJS6_EEE10hipError_tPvRmT3_T4_T5_T6_T7_T9_mT8_P12ihipStream_tbDpT10_ENKUlT_T0_E_clISt17integral_constantIbLb1EES16_IbLb0EEEEDaS12_S13_EUlS12_E_NS1_11comp_targetILNS1_3genE4ELNS1_11target_archE910ELNS1_3gpuE8ELNS1_3repE0EEENS1_30default_config_static_selectorELNS0_4arch9wavefront6targetE1EEEvT1_
; %bb.0:
	.section	.rodata,"a",@progbits
	.p2align	6, 0x0
	.amdhsa_kernel _ZN7rocprim17ROCPRIM_400000_NS6detail17trampoline_kernelINS0_14default_configENS1_25partition_config_selectorILNS1_17partition_subalgoE8EhNS0_10empty_typeEbEEZZNS1_14partition_implILS5_8ELb0ES3_jPKhPS6_PKS6_NS0_5tupleIJPhS6_EEENSE_IJSB_SB_EEENS0_18inequality_wrapperIN6hipcub16HIPCUB_304000_NS8EqualityEEEPlJS6_EEE10hipError_tPvRmT3_T4_T5_T6_T7_T9_mT8_P12ihipStream_tbDpT10_ENKUlT_T0_E_clISt17integral_constantIbLb1EES16_IbLb0EEEEDaS12_S13_EUlS12_E_NS1_11comp_targetILNS1_3genE4ELNS1_11target_archE910ELNS1_3gpuE8ELNS1_3repE0EEENS1_30default_config_static_selectorELNS0_4arch9wavefront6targetE1EEEvT1_
		.amdhsa_group_segment_fixed_size 0
		.amdhsa_private_segment_fixed_size 0
		.amdhsa_kernarg_size 112
		.amdhsa_user_sgpr_count 2
		.amdhsa_user_sgpr_dispatch_ptr 0
		.amdhsa_user_sgpr_queue_ptr 0
		.amdhsa_user_sgpr_kernarg_segment_ptr 1
		.amdhsa_user_sgpr_dispatch_id 0
		.amdhsa_user_sgpr_kernarg_preload_length 0
		.amdhsa_user_sgpr_kernarg_preload_offset 0
		.amdhsa_user_sgpr_private_segment_size 0
		.amdhsa_uses_dynamic_stack 0
		.amdhsa_enable_private_segment 0
		.amdhsa_system_sgpr_workgroup_id_x 1
		.amdhsa_system_sgpr_workgroup_id_y 0
		.amdhsa_system_sgpr_workgroup_id_z 0
		.amdhsa_system_sgpr_workgroup_info 0
		.amdhsa_system_vgpr_workitem_id 0
		.amdhsa_next_free_vgpr 1
		.amdhsa_next_free_sgpr 0
		.amdhsa_accum_offset 4
		.amdhsa_reserve_vcc 0
		.amdhsa_float_round_mode_32 0
		.amdhsa_float_round_mode_16_64 0
		.amdhsa_float_denorm_mode_32 3
		.amdhsa_float_denorm_mode_16_64 3
		.amdhsa_dx10_clamp 1
		.amdhsa_ieee_mode 1
		.amdhsa_fp16_overflow 0
		.amdhsa_tg_split 0
		.amdhsa_exception_fp_ieee_invalid_op 0
		.amdhsa_exception_fp_denorm_src 0
		.amdhsa_exception_fp_ieee_div_zero 0
		.amdhsa_exception_fp_ieee_overflow 0
		.amdhsa_exception_fp_ieee_underflow 0
		.amdhsa_exception_fp_ieee_inexact 0
		.amdhsa_exception_int_div_zero 0
	.end_amdhsa_kernel
	.section	.text._ZN7rocprim17ROCPRIM_400000_NS6detail17trampoline_kernelINS0_14default_configENS1_25partition_config_selectorILNS1_17partition_subalgoE8EhNS0_10empty_typeEbEEZZNS1_14partition_implILS5_8ELb0ES3_jPKhPS6_PKS6_NS0_5tupleIJPhS6_EEENSE_IJSB_SB_EEENS0_18inequality_wrapperIN6hipcub16HIPCUB_304000_NS8EqualityEEEPlJS6_EEE10hipError_tPvRmT3_T4_T5_T6_T7_T9_mT8_P12ihipStream_tbDpT10_ENKUlT_T0_E_clISt17integral_constantIbLb1EES16_IbLb0EEEEDaS12_S13_EUlS12_E_NS1_11comp_targetILNS1_3genE4ELNS1_11target_archE910ELNS1_3gpuE8ELNS1_3repE0EEENS1_30default_config_static_selectorELNS0_4arch9wavefront6targetE1EEEvT1_,"axG",@progbits,_ZN7rocprim17ROCPRIM_400000_NS6detail17trampoline_kernelINS0_14default_configENS1_25partition_config_selectorILNS1_17partition_subalgoE8EhNS0_10empty_typeEbEEZZNS1_14partition_implILS5_8ELb0ES3_jPKhPS6_PKS6_NS0_5tupleIJPhS6_EEENSE_IJSB_SB_EEENS0_18inequality_wrapperIN6hipcub16HIPCUB_304000_NS8EqualityEEEPlJS6_EEE10hipError_tPvRmT3_T4_T5_T6_T7_T9_mT8_P12ihipStream_tbDpT10_ENKUlT_T0_E_clISt17integral_constantIbLb1EES16_IbLb0EEEEDaS12_S13_EUlS12_E_NS1_11comp_targetILNS1_3genE4ELNS1_11target_archE910ELNS1_3gpuE8ELNS1_3repE0EEENS1_30default_config_static_selectorELNS0_4arch9wavefront6targetE1EEEvT1_,comdat
.Lfunc_end152:
	.size	_ZN7rocprim17ROCPRIM_400000_NS6detail17trampoline_kernelINS0_14default_configENS1_25partition_config_selectorILNS1_17partition_subalgoE8EhNS0_10empty_typeEbEEZZNS1_14partition_implILS5_8ELb0ES3_jPKhPS6_PKS6_NS0_5tupleIJPhS6_EEENSE_IJSB_SB_EEENS0_18inequality_wrapperIN6hipcub16HIPCUB_304000_NS8EqualityEEEPlJS6_EEE10hipError_tPvRmT3_T4_T5_T6_T7_T9_mT8_P12ihipStream_tbDpT10_ENKUlT_T0_E_clISt17integral_constantIbLb1EES16_IbLb0EEEEDaS12_S13_EUlS12_E_NS1_11comp_targetILNS1_3genE4ELNS1_11target_archE910ELNS1_3gpuE8ELNS1_3repE0EEENS1_30default_config_static_selectorELNS0_4arch9wavefront6targetE1EEEvT1_, .Lfunc_end152-_ZN7rocprim17ROCPRIM_400000_NS6detail17trampoline_kernelINS0_14default_configENS1_25partition_config_selectorILNS1_17partition_subalgoE8EhNS0_10empty_typeEbEEZZNS1_14partition_implILS5_8ELb0ES3_jPKhPS6_PKS6_NS0_5tupleIJPhS6_EEENSE_IJSB_SB_EEENS0_18inequality_wrapperIN6hipcub16HIPCUB_304000_NS8EqualityEEEPlJS6_EEE10hipError_tPvRmT3_T4_T5_T6_T7_T9_mT8_P12ihipStream_tbDpT10_ENKUlT_T0_E_clISt17integral_constantIbLb1EES16_IbLb0EEEEDaS12_S13_EUlS12_E_NS1_11comp_targetILNS1_3genE4ELNS1_11target_archE910ELNS1_3gpuE8ELNS1_3repE0EEENS1_30default_config_static_selectorELNS0_4arch9wavefront6targetE1EEEvT1_
                                        ; -- End function
	.section	.AMDGPU.csdata,"",@progbits
; Kernel info:
; codeLenInByte = 0
; NumSgprs: 6
; NumVgprs: 0
; NumAgprs: 0
; TotalNumVgprs: 0
; ScratchSize: 0
; MemoryBound: 0
; FloatMode: 240
; IeeeMode: 1
; LDSByteSize: 0 bytes/workgroup (compile time only)
; SGPRBlocks: 0
; VGPRBlocks: 0
; NumSGPRsForWavesPerEU: 6
; NumVGPRsForWavesPerEU: 1
; AccumOffset: 4
; Occupancy: 8
; WaveLimiterHint : 0
; COMPUTE_PGM_RSRC2:SCRATCH_EN: 0
; COMPUTE_PGM_RSRC2:USER_SGPR: 2
; COMPUTE_PGM_RSRC2:TRAP_HANDLER: 0
; COMPUTE_PGM_RSRC2:TGID_X_EN: 1
; COMPUTE_PGM_RSRC2:TGID_Y_EN: 0
; COMPUTE_PGM_RSRC2:TGID_Z_EN: 0
; COMPUTE_PGM_RSRC2:TIDIG_COMP_CNT: 0
; COMPUTE_PGM_RSRC3_GFX90A:ACCUM_OFFSET: 0
; COMPUTE_PGM_RSRC3_GFX90A:TG_SPLIT: 0
	.section	.text._ZN7rocprim17ROCPRIM_400000_NS6detail17trampoline_kernelINS0_14default_configENS1_25partition_config_selectorILNS1_17partition_subalgoE8EhNS0_10empty_typeEbEEZZNS1_14partition_implILS5_8ELb0ES3_jPKhPS6_PKS6_NS0_5tupleIJPhS6_EEENSE_IJSB_SB_EEENS0_18inequality_wrapperIN6hipcub16HIPCUB_304000_NS8EqualityEEEPlJS6_EEE10hipError_tPvRmT3_T4_T5_T6_T7_T9_mT8_P12ihipStream_tbDpT10_ENKUlT_T0_E_clISt17integral_constantIbLb1EES16_IbLb0EEEEDaS12_S13_EUlS12_E_NS1_11comp_targetILNS1_3genE3ELNS1_11target_archE908ELNS1_3gpuE7ELNS1_3repE0EEENS1_30default_config_static_selectorELNS0_4arch9wavefront6targetE1EEEvT1_,"axG",@progbits,_ZN7rocprim17ROCPRIM_400000_NS6detail17trampoline_kernelINS0_14default_configENS1_25partition_config_selectorILNS1_17partition_subalgoE8EhNS0_10empty_typeEbEEZZNS1_14partition_implILS5_8ELb0ES3_jPKhPS6_PKS6_NS0_5tupleIJPhS6_EEENSE_IJSB_SB_EEENS0_18inequality_wrapperIN6hipcub16HIPCUB_304000_NS8EqualityEEEPlJS6_EEE10hipError_tPvRmT3_T4_T5_T6_T7_T9_mT8_P12ihipStream_tbDpT10_ENKUlT_T0_E_clISt17integral_constantIbLb1EES16_IbLb0EEEEDaS12_S13_EUlS12_E_NS1_11comp_targetILNS1_3genE3ELNS1_11target_archE908ELNS1_3gpuE7ELNS1_3repE0EEENS1_30default_config_static_selectorELNS0_4arch9wavefront6targetE1EEEvT1_,comdat
	.protected	_ZN7rocprim17ROCPRIM_400000_NS6detail17trampoline_kernelINS0_14default_configENS1_25partition_config_selectorILNS1_17partition_subalgoE8EhNS0_10empty_typeEbEEZZNS1_14partition_implILS5_8ELb0ES3_jPKhPS6_PKS6_NS0_5tupleIJPhS6_EEENSE_IJSB_SB_EEENS0_18inequality_wrapperIN6hipcub16HIPCUB_304000_NS8EqualityEEEPlJS6_EEE10hipError_tPvRmT3_T4_T5_T6_T7_T9_mT8_P12ihipStream_tbDpT10_ENKUlT_T0_E_clISt17integral_constantIbLb1EES16_IbLb0EEEEDaS12_S13_EUlS12_E_NS1_11comp_targetILNS1_3genE3ELNS1_11target_archE908ELNS1_3gpuE7ELNS1_3repE0EEENS1_30default_config_static_selectorELNS0_4arch9wavefront6targetE1EEEvT1_ ; -- Begin function _ZN7rocprim17ROCPRIM_400000_NS6detail17trampoline_kernelINS0_14default_configENS1_25partition_config_selectorILNS1_17partition_subalgoE8EhNS0_10empty_typeEbEEZZNS1_14partition_implILS5_8ELb0ES3_jPKhPS6_PKS6_NS0_5tupleIJPhS6_EEENSE_IJSB_SB_EEENS0_18inequality_wrapperIN6hipcub16HIPCUB_304000_NS8EqualityEEEPlJS6_EEE10hipError_tPvRmT3_T4_T5_T6_T7_T9_mT8_P12ihipStream_tbDpT10_ENKUlT_T0_E_clISt17integral_constantIbLb1EES16_IbLb0EEEEDaS12_S13_EUlS12_E_NS1_11comp_targetILNS1_3genE3ELNS1_11target_archE908ELNS1_3gpuE7ELNS1_3repE0EEENS1_30default_config_static_selectorELNS0_4arch9wavefront6targetE1EEEvT1_
	.globl	_ZN7rocprim17ROCPRIM_400000_NS6detail17trampoline_kernelINS0_14default_configENS1_25partition_config_selectorILNS1_17partition_subalgoE8EhNS0_10empty_typeEbEEZZNS1_14partition_implILS5_8ELb0ES3_jPKhPS6_PKS6_NS0_5tupleIJPhS6_EEENSE_IJSB_SB_EEENS0_18inequality_wrapperIN6hipcub16HIPCUB_304000_NS8EqualityEEEPlJS6_EEE10hipError_tPvRmT3_T4_T5_T6_T7_T9_mT8_P12ihipStream_tbDpT10_ENKUlT_T0_E_clISt17integral_constantIbLb1EES16_IbLb0EEEEDaS12_S13_EUlS12_E_NS1_11comp_targetILNS1_3genE3ELNS1_11target_archE908ELNS1_3gpuE7ELNS1_3repE0EEENS1_30default_config_static_selectorELNS0_4arch9wavefront6targetE1EEEvT1_
	.p2align	8
	.type	_ZN7rocprim17ROCPRIM_400000_NS6detail17trampoline_kernelINS0_14default_configENS1_25partition_config_selectorILNS1_17partition_subalgoE8EhNS0_10empty_typeEbEEZZNS1_14partition_implILS5_8ELb0ES3_jPKhPS6_PKS6_NS0_5tupleIJPhS6_EEENSE_IJSB_SB_EEENS0_18inequality_wrapperIN6hipcub16HIPCUB_304000_NS8EqualityEEEPlJS6_EEE10hipError_tPvRmT3_T4_T5_T6_T7_T9_mT8_P12ihipStream_tbDpT10_ENKUlT_T0_E_clISt17integral_constantIbLb1EES16_IbLb0EEEEDaS12_S13_EUlS12_E_NS1_11comp_targetILNS1_3genE3ELNS1_11target_archE908ELNS1_3gpuE7ELNS1_3repE0EEENS1_30default_config_static_selectorELNS0_4arch9wavefront6targetE1EEEvT1_,@function
_ZN7rocprim17ROCPRIM_400000_NS6detail17trampoline_kernelINS0_14default_configENS1_25partition_config_selectorILNS1_17partition_subalgoE8EhNS0_10empty_typeEbEEZZNS1_14partition_implILS5_8ELb0ES3_jPKhPS6_PKS6_NS0_5tupleIJPhS6_EEENSE_IJSB_SB_EEENS0_18inequality_wrapperIN6hipcub16HIPCUB_304000_NS8EqualityEEEPlJS6_EEE10hipError_tPvRmT3_T4_T5_T6_T7_T9_mT8_P12ihipStream_tbDpT10_ENKUlT_T0_E_clISt17integral_constantIbLb1EES16_IbLb0EEEEDaS12_S13_EUlS12_E_NS1_11comp_targetILNS1_3genE3ELNS1_11target_archE908ELNS1_3gpuE7ELNS1_3repE0EEENS1_30default_config_static_selectorELNS0_4arch9wavefront6targetE1EEEvT1_: ; @_ZN7rocprim17ROCPRIM_400000_NS6detail17trampoline_kernelINS0_14default_configENS1_25partition_config_selectorILNS1_17partition_subalgoE8EhNS0_10empty_typeEbEEZZNS1_14partition_implILS5_8ELb0ES3_jPKhPS6_PKS6_NS0_5tupleIJPhS6_EEENSE_IJSB_SB_EEENS0_18inequality_wrapperIN6hipcub16HIPCUB_304000_NS8EqualityEEEPlJS6_EEE10hipError_tPvRmT3_T4_T5_T6_T7_T9_mT8_P12ihipStream_tbDpT10_ENKUlT_T0_E_clISt17integral_constantIbLb1EES16_IbLb0EEEEDaS12_S13_EUlS12_E_NS1_11comp_targetILNS1_3genE3ELNS1_11target_archE908ELNS1_3gpuE7ELNS1_3repE0EEENS1_30default_config_static_selectorELNS0_4arch9wavefront6targetE1EEEvT1_
; %bb.0:
	.section	.rodata,"a",@progbits
	.p2align	6, 0x0
	.amdhsa_kernel _ZN7rocprim17ROCPRIM_400000_NS6detail17trampoline_kernelINS0_14default_configENS1_25partition_config_selectorILNS1_17partition_subalgoE8EhNS0_10empty_typeEbEEZZNS1_14partition_implILS5_8ELb0ES3_jPKhPS6_PKS6_NS0_5tupleIJPhS6_EEENSE_IJSB_SB_EEENS0_18inequality_wrapperIN6hipcub16HIPCUB_304000_NS8EqualityEEEPlJS6_EEE10hipError_tPvRmT3_T4_T5_T6_T7_T9_mT8_P12ihipStream_tbDpT10_ENKUlT_T0_E_clISt17integral_constantIbLb1EES16_IbLb0EEEEDaS12_S13_EUlS12_E_NS1_11comp_targetILNS1_3genE3ELNS1_11target_archE908ELNS1_3gpuE7ELNS1_3repE0EEENS1_30default_config_static_selectorELNS0_4arch9wavefront6targetE1EEEvT1_
		.amdhsa_group_segment_fixed_size 0
		.amdhsa_private_segment_fixed_size 0
		.amdhsa_kernarg_size 112
		.amdhsa_user_sgpr_count 2
		.amdhsa_user_sgpr_dispatch_ptr 0
		.amdhsa_user_sgpr_queue_ptr 0
		.amdhsa_user_sgpr_kernarg_segment_ptr 1
		.amdhsa_user_sgpr_dispatch_id 0
		.amdhsa_user_sgpr_kernarg_preload_length 0
		.amdhsa_user_sgpr_kernarg_preload_offset 0
		.amdhsa_user_sgpr_private_segment_size 0
		.amdhsa_uses_dynamic_stack 0
		.amdhsa_enable_private_segment 0
		.amdhsa_system_sgpr_workgroup_id_x 1
		.amdhsa_system_sgpr_workgroup_id_y 0
		.amdhsa_system_sgpr_workgroup_id_z 0
		.amdhsa_system_sgpr_workgroup_info 0
		.amdhsa_system_vgpr_workitem_id 0
		.amdhsa_next_free_vgpr 1
		.amdhsa_next_free_sgpr 0
		.amdhsa_accum_offset 4
		.amdhsa_reserve_vcc 0
		.amdhsa_float_round_mode_32 0
		.amdhsa_float_round_mode_16_64 0
		.amdhsa_float_denorm_mode_32 3
		.amdhsa_float_denorm_mode_16_64 3
		.amdhsa_dx10_clamp 1
		.amdhsa_ieee_mode 1
		.amdhsa_fp16_overflow 0
		.amdhsa_tg_split 0
		.amdhsa_exception_fp_ieee_invalid_op 0
		.amdhsa_exception_fp_denorm_src 0
		.amdhsa_exception_fp_ieee_div_zero 0
		.amdhsa_exception_fp_ieee_overflow 0
		.amdhsa_exception_fp_ieee_underflow 0
		.amdhsa_exception_fp_ieee_inexact 0
		.amdhsa_exception_int_div_zero 0
	.end_amdhsa_kernel
	.section	.text._ZN7rocprim17ROCPRIM_400000_NS6detail17trampoline_kernelINS0_14default_configENS1_25partition_config_selectorILNS1_17partition_subalgoE8EhNS0_10empty_typeEbEEZZNS1_14partition_implILS5_8ELb0ES3_jPKhPS6_PKS6_NS0_5tupleIJPhS6_EEENSE_IJSB_SB_EEENS0_18inequality_wrapperIN6hipcub16HIPCUB_304000_NS8EqualityEEEPlJS6_EEE10hipError_tPvRmT3_T4_T5_T6_T7_T9_mT8_P12ihipStream_tbDpT10_ENKUlT_T0_E_clISt17integral_constantIbLb1EES16_IbLb0EEEEDaS12_S13_EUlS12_E_NS1_11comp_targetILNS1_3genE3ELNS1_11target_archE908ELNS1_3gpuE7ELNS1_3repE0EEENS1_30default_config_static_selectorELNS0_4arch9wavefront6targetE1EEEvT1_,"axG",@progbits,_ZN7rocprim17ROCPRIM_400000_NS6detail17trampoline_kernelINS0_14default_configENS1_25partition_config_selectorILNS1_17partition_subalgoE8EhNS0_10empty_typeEbEEZZNS1_14partition_implILS5_8ELb0ES3_jPKhPS6_PKS6_NS0_5tupleIJPhS6_EEENSE_IJSB_SB_EEENS0_18inequality_wrapperIN6hipcub16HIPCUB_304000_NS8EqualityEEEPlJS6_EEE10hipError_tPvRmT3_T4_T5_T6_T7_T9_mT8_P12ihipStream_tbDpT10_ENKUlT_T0_E_clISt17integral_constantIbLb1EES16_IbLb0EEEEDaS12_S13_EUlS12_E_NS1_11comp_targetILNS1_3genE3ELNS1_11target_archE908ELNS1_3gpuE7ELNS1_3repE0EEENS1_30default_config_static_selectorELNS0_4arch9wavefront6targetE1EEEvT1_,comdat
.Lfunc_end153:
	.size	_ZN7rocprim17ROCPRIM_400000_NS6detail17trampoline_kernelINS0_14default_configENS1_25partition_config_selectorILNS1_17partition_subalgoE8EhNS0_10empty_typeEbEEZZNS1_14partition_implILS5_8ELb0ES3_jPKhPS6_PKS6_NS0_5tupleIJPhS6_EEENSE_IJSB_SB_EEENS0_18inequality_wrapperIN6hipcub16HIPCUB_304000_NS8EqualityEEEPlJS6_EEE10hipError_tPvRmT3_T4_T5_T6_T7_T9_mT8_P12ihipStream_tbDpT10_ENKUlT_T0_E_clISt17integral_constantIbLb1EES16_IbLb0EEEEDaS12_S13_EUlS12_E_NS1_11comp_targetILNS1_3genE3ELNS1_11target_archE908ELNS1_3gpuE7ELNS1_3repE0EEENS1_30default_config_static_selectorELNS0_4arch9wavefront6targetE1EEEvT1_, .Lfunc_end153-_ZN7rocprim17ROCPRIM_400000_NS6detail17trampoline_kernelINS0_14default_configENS1_25partition_config_selectorILNS1_17partition_subalgoE8EhNS0_10empty_typeEbEEZZNS1_14partition_implILS5_8ELb0ES3_jPKhPS6_PKS6_NS0_5tupleIJPhS6_EEENSE_IJSB_SB_EEENS0_18inequality_wrapperIN6hipcub16HIPCUB_304000_NS8EqualityEEEPlJS6_EEE10hipError_tPvRmT3_T4_T5_T6_T7_T9_mT8_P12ihipStream_tbDpT10_ENKUlT_T0_E_clISt17integral_constantIbLb1EES16_IbLb0EEEEDaS12_S13_EUlS12_E_NS1_11comp_targetILNS1_3genE3ELNS1_11target_archE908ELNS1_3gpuE7ELNS1_3repE0EEENS1_30default_config_static_selectorELNS0_4arch9wavefront6targetE1EEEvT1_
                                        ; -- End function
	.section	.AMDGPU.csdata,"",@progbits
; Kernel info:
; codeLenInByte = 0
; NumSgprs: 6
; NumVgprs: 0
; NumAgprs: 0
; TotalNumVgprs: 0
; ScratchSize: 0
; MemoryBound: 0
; FloatMode: 240
; IeeeMode: 1
; LDSByteSize: 0 bytes/workgroup (compile time only)
; SGPRBlocks: 0
; VGPRBlocks: 0
; NumSGPRsForWavesPerEU: 6
; NumVGPRsForWavesPerEU: 1
; AccumOffset: 4
; Occupancy: 8
; WaveLimiterHint : 0
; COMPUTE_PGM_RSRC2:SCRATCH_EN: 0
; COMPUTE_PGM_RSRC2:USER_SGPR: 2
; COMPUTE_PGM_RSRC2:TRAP_HANDLER: 0
; COMPUTE_PGM_RSRC2:TGID_X_EN: 1
; COMPUTE_PGM_RSRC2:TGID_Y_EN: 0
; COMPUTE_PGM_RSRC2:TGID_Z_EN: 0
; COMPUTE_PGM_RSRC2:TIDIG_COMP_CNT: 0
; COMPUTE_PGM_RSRC3_GFX90A:ACCUM_OFFSET: 0
; COMPUTE_PGM_RSRC3_GFX90A:TG_SPLIT: 0
	.section	.text._ZN7rocprim17ROCPRIM_400000_NS6detail17trampoline_kernelINS0_14default_configENS1_25partition_config_selectorILNS1_17partition_subalgoE8EhNS0_10empty_typeEbEEZZNS1_14partition_implILS5_8ELb0ES3_jPKhPS6_PKS6_NS0_5tupleIJPhS6_EEENSE_IJSB_SB_EEENS0_18inequality_wrapperIN6hipcub16HIPCUB_304000_NS8EqualityEEEPlJS6_EEE10hipError_tPvRmT3_T4_T5_T6_T7_T9_mT8_P12ihipStream_tbDpT10_ENKUlT_T0_E_clISt17integral_constantIbLb1EES16_IbLb0EEEEDaS12_S13_EUlS12_E_NS1_11comp_targetILNS1_3genE2ELNS1_11target_archE906ELNS1_3gpuE6ELNS1_3repE0EEENS1_30default_config_static_selectorELNS0_4arch9wavefront6targetE1EEEvT1_,"axG",@progbits,_ZN7rocprim17ROCPRIM_400000_NS6detail17trampoline_kernelINS0_14default_configENS1_25partition_config_selectorILNS1_17partition_subalgoE8EhNS0_10empty_typeEbEEZZNS1_14partition_implILS5_8ELb0ES3_jPKhPS6_PKS6_NS0_5tupleIJPhS6_EEENSE_IJSB_SB_EEENS0_18inequality_wrapperIN6hipcub16HIPCUB_304000_NS8EqualityEEEPlJS6_EEE10hipError_tPvRmT3_T4_T5_T6_T7_T9_mT8_P12ihipStream_tbDpT10_ENKUlT_T0_E_clISt17integral_constantIbLb1EES16_IbLb0EEEEDaS12_S13_EUlS12_E_NS1_11comp_targetILNS1_3genE2ELNS1_11target_archE906ELNS1_3gpuE6ELNS1_3repE0EEENS1_30default_config_static_selectorELNS0_4arch9wavefront6targetE1EEEvT1_,comdat
	.protected	_ZN7rocprim17ROCPRIM_400000_NS6detail17trampoline_kernelINS0_14default_configENS1_25partition_config_selectorILNS1_17partition_subalgoE8EhNS0_10empty_typeEbEEZZNS1_14partition_implILS5_8ELb0ES3_jPKhPS6_PKS6_NS0_5tupleIJPhS6_EEENSE_IJSB_SB_EEENS0_18inequality_wrapperIN6hipcub16HIPCUB_304000_NS8EqualityEEEPlJS6_EEE10hipError_tPvRmT3_T4_T5_T6_T7_T9_mT8_P12ihipStream_tbDpT10_ENKUlT_T0_E_clISt17integral_constantIbLb1EES16_IbLb0EEEEDaS12_S13_EUlS12_E_NS1_11comp_targetILNS1_3genE2ELNS1_11target_archE906ELNS1_3gpuE6ELNS1_3repE0EEENS1_30default_config_static_selectorELNS0_4arch9wavefront6targetE1EEEvT1_ ; -- Begin function _ZN7rocprim17ROCPRIM_400000_NS6detail17trampoline_kernelINS0_14default_configENS1_25partition_config_selectorILNS1_17partition_subalgoE8EhNS0_10empty_typeEbEEZZNS1_14partition_implILS5_8ELb0ES3_jPKhPS6_PKS6_NS0_5tupleIJPhS6_EEENSE_IJSB_SB_EEENS0_18inequality_wrapperIN6hipcub16HIPCUB_304000_NS8EqualityEEEPlJS6_EEE10hipError_tPvRmT3_T4_T5_T6_T7_T9_mT8_P12ihipStream_tbDpT10_ENKUlT_T0_E_clISt17integral_constantIbLb1EES16_IbLb0EEEEDaS12_S13_EUlS12_E_NS1_11comp_targetILNS1_3genE2ELNS1_11target_archE906ELNS1_3gpuE6ELNS1_3repE0EEENS1_30default_config_static_selectorELNS0_4arch9wavefront6targetE1EEEvT1_
	.globl	_ZN7rocprim17ROCPRIM_400000_NS6detail17trampoline_kernelINS0_14default_configENS1_25partition_config_selectorILNS1_17partition_subalgoE8EhNS0_10empty_typeEbEEZZNS1_14partition_implILS5_8ELb0ES3_jPKhPS6_PKS6_NS0_5tupleIJPhS6_EEENSE_IJSB_SB_EEENS0_18inequality_wrapperIN6hipcub16HIPCUB_304000_NS8EqualityEEEPlJS6_EEE10hipError_tPvRmT3_T4_T5_T6_T7_T9_mT8_P12ihipStream_tbDpT10_ENKUlT_T0_E_clISt17integral_constantIbLb1EES16_IbLb0EEEEDaS12_S13_EUlS12_E_NS1_11comp_targetILNS1_3genE2ELNS1_11target_archE906ELNS1_3gpuE6ELNS1_3repE0EEENS1_30default_config_static_selectorELNS0_4arch9wavefront6targetE1EEEvT1_
	.p2align	8
	.type	_ZN7rocprim17ROCPRIM_400000_NS6detail17trampoline_kernelINS0_14default_configENS1_25partition_config_selectorILNS1_17partition_subalgoE8EhNS0_10empty_typeEbEEZZNS1_14partition_implILS5_8ELb0ES3_jPKhPS6_PKS6_NS0_5tupleIJPhS6_EEENSE_IJSB_SB_EEENS0_18inequality_wrapperIN6hipcub16HIPCUB_304000_NS8EqualityEEEPlJS6_EEE10hipError_tPvRmT3_T4_T5_T6_T7_T9_mT8_P12ihipStream_tbDpT10_ENKUlT_T0_E_clISt17integral_constantIbLb1EES16_IbLb0EEEEDaS12_S13_EUlS12_E_NS1_11comp_targetILNS1_3genE2ELNS1_11target_archE906ELNS1_3gpuE6ELNS1_3repE0EEENS1_30default_config_static_selectorELNS0_4arch9wavefront6targetE1EEEvT1_,@function
_ZN7rocprim17ROCPRIM_400000_NS6detail17trampoline_kernelINS0_14default_configENS1_25partition_config_selectorILNS1_17partition_subalgoE8EhNS0_10empty_typeEbEEZZNS1_14partition_implILS5_8ELb0ES3_jPKhPS6_PKS6_NS0_5tupleIJPhS6_EEENSE_IJSB_SB_EEENS0_18inequality_wrapperIN6hipcub16HIPCUB_304000_NS8EqualityEEEPlJS6_EEE10hipError_tPvRmT3_T4_T5_T6_T7_T9_mT8_P12ihipStream_tbDpT10_ENKUlT_T0_E_clISt17integral_constantIbLb1EES16_IbLb0EEEEDaS12_S13_EUlS12_E_NS1_11comp_targetILNS1_3genE2ELNS1_11target_archE906ELNS1_3gpuE6ELNS1_3repE0EEENS1_30default_config_static_selectorELNS0_4arch9wavefront6targetE1EEEvT1_: ; @_ZN7rocprim17ROCPRIM_400000_NS6detail17trampoline_kernelINS0_14default_configENS1_25partition_config_selectorILNS1_17partition_subalgoE8EhNS0_10empty_typeEbEEZZNS1_14partition_implILS5_8ELb0ES3_jPKhPS6_PKS6_NS0_5tupleIJPhS6_EEENSE_IJSB_SB_EEENS0_18inequality_wrapperIN6hipcub16HIPCUB_304000_NS8EqualityEEEPlJS6_EEE10hipError_tPvRmT3_T4_T5_T6_T7_T9_mT8_P12ihipStream_tbDpT10_ENKUlT_T0_E_clISt17integral_constantIbLb1EES16_IbLb0EEEEDaS12_S13_EUlS12_E_NS1_11comp_targetILNS1_3genE2ELNS1_11target_archE906ELNS1_3gpuE6ELNS1_3repE0EEENS1_30default_config_static_selectorELNS0_4arch9wavefront6targetE1EEEvT1_
; %bb.0:
	.section	.rodata,"a",@progbits
	.p2align	6, 0x0
	.amdhsa_kernel _ZN7rocprim17ROCPRIM_400000_NS6detail17trampoline_kernelINS0_14default_configENS1_25partition_config_selectorILNS1_17partition_subalgoE8EhNS0_10empty_typeEbEEZZNS1_14partition_implILS5_8ELb0ES3_jPKhPS6_PKS6_NS0_5tupleIJPhS6_EEENSE_IJSB_SB_EEENS0_18inequality_wrapperIN6hipcub16HIPCUB_304000_NS8EqualityEEEPlJS6_EEE10hipError_tPvRmT3_T4_T5_T6_T7_T9_mT8_P12ihipStream_tbDpT10_ENKUlT_T0_E_clISt17integral_constantIbLb1EES16_IbLb0EEEEDaS12_S13_EUlS12_E_NS1_11comp_targetILNS1_3genE2ELNS1_11target_archE906ELNS1_3gpuE6ELNS1_3repE0EEENS1_30default_config_static_selectorELNS0_4arch9wavefront6targetE1EEEvT1_
		.amdhsa_group_segment_fixed_size 0
		.amdhsa_private_segment_fixed_size 0
		.amdhsa_kernarg_size 112
		.amdhsa_user_sgpr_count 2
		.amdhsa_user_sgpr_dispatch_ptr 0
		.amdhsa_user_sgpr_queue_ptr 0
		.amdhsa_user_sgpr_kernarg_segment_ptr 1
		.amdhsa_user_sgpr_dispatch_id 0
		.amdhsa_user_sgpr_kernarg_preload_length 0
		.amdhsa_user_sgpr_kernarg_preload_offset 0
		.amdhsa_user_sgpr_private_segment_size 0
		.amdhsa_uses_dynamic_stack 0
		.amdhsa_enable_private_segment 0
		.amdhsa_system_sgpr_workgroup_id_x 1
		.amdhsa_system_sgpr_workgroup_id_y 0
		.amdhsa_system_sgpr_workgroup_id_z 0
		.amdhsa_system_sgpr_workgroup_info 0
		.amdhsa_system_vgpr_workitem_id 0
		.amdhsa_next_free_vgpr 1
		.amdhsa_next_free_sgpr 0
		.amdhsa_accum_offset 4
		.amdhsa_reserve_vcc 0
		.amdhsa_float_round_mode_32 0
		.amdhsa_float_round_mode_16_64 0
		.amdhsa_float_denorm_mode_32 3
		.amdhsa_float_denorm_mode_16_64 3
		.amdhsa_dx10_clamp 1
		.amdhsa_ieee_mode 1
		.amdhsa_fp16_overflow 0
		.amdhsa_tg_split 0
		.amdhsa_exception_fp_ieee_invalid_op 0
		.amdhsa_exception_fp_denorm_src 0
		.amdhsa_exception_fp_ieee_div_zero 0
		.amdhsa_exception_fp_ieee_overflow 0
		.amdhsa_exception_fp_ieee_underflow 0
		.amdhsa_exception_fp_ieee_inexact 0
		.amdhsa_exception_int_div_zero 0
	.end_amdhsa_kernel
	.section	.text._ZN7rocprim17ROCPRIM_400000_NS6detail17trampoline_kernelINS0_14default_configENS1_25partition_config_selectorILNS1_17partition_subalgoE8EhNS0_10empty_typeEbEEZZNS1_14partition_implILS5_8ELb0ES3_jPKhPS6_PKS6_NS0_5tupleIJPhS6_EEENSE_IJSB_SB_EEENS0_18inequality_wrapperIN6hipcub16HIPCUB_304000_NS8EqualityEEEPlJS6_EEE10hipError_tPvRmT3_T4_T5_T6_T7_T9_mT8_P12ihipStream_tbDpT10_ENKUlT_T0_E_clISt17integral_constantIbLb1EES16_IbLb0EEEEDaS12_S13_EUlS12_E_NS1_11comp_targetILNS1_3genE2ELNS1_11target_archE906ELNS1_3gpuE6ELNS1_3repE0EEENS1_30default_config_static_selectorELNS0_4arch9wavefront6targetE1EEEvT1_,"axG",@progbits,_ZN7rocprim17ROCPRIM_400000_NS6detail17trampoline_kernelINS0_14default_configENS1_25partition_config_selectorILNS1_17partition_subalgoE8EhNS0_10empty_typeEbEEZZNS1_14partition_implILS5_8ELb0ES3_jPKhPS6_PKS6_NS0_5tupleIJPhS6_EEENSE_IJSB_SB_EEENS0_18inequality_wrapperIN6hipcub16HIPCUB_304000_NS8EqualityEEEPlJS6_EEE10hipError_tPvRmT3_T4_T5_T6_T7_T9_mT8_P12ihipStream_tbDpT10_ENKUlT_T0_E_clISt17integral_constantIbLb1EES16_IbLb0EEEEDaS12_S13_EUlS12_E_NS1_11comp_targetILNS1_3genE2ELNS1_11target_archE906ELNS1_3gpuE6ELNS1_3repE0EEENS1_30default_config_static_selectorELNS0_4arch9wavefront6targetE1EEEvT1_,comdat
.Lfunc_end154:
	.size	_ZN7rocprim17ROCPRIM_400000_NS6detail17trampoline_kernelINS0_14default_configENS1_25partition_config_selectorILNS1_17partition_subalgoE8EhNS0_10empty_typeEbEEZZNS1_14partition_implILS5_8ELb0ES3_jPKhPS6_PKS6_NS0_5tupleIJPhS6_EEENSE_IJSB_SB_EEENS0_18inequality_wrapperIN6hipcub16HIPCUB_304000_NS8EqualityEEEPlJS6_EEE10hipError_tPvRmT3_T4_T5_T6_T7_T9_mT8_P12ihipStream_tbDpT10_ENKUlT_T0_E_clISt17integral_constantIbLb1EES16_IbLb0EEEEDaS12_S13_EUlS12_E_NS1_11comp_targetILNS1_3genE2ELNS1_11target_archE906ELNS1_3gpuE6ELNS1_3repE0EEENS1_30default_config_static_selectorELNS0_4arch9wavefront6targetE1EEEvT1_, .Lfunc_end154-_ZN7rocprim17ROCPRIM_400000_NS6detail17trampoline_kernelINS0_14default_configENS1_25partition_config_selectorILNS1_17partition_subalgoE8EhNS0_10empty_typeEbEEZZNS1_14partition_implILS5_8ELb0ES3_jPKhPS6_PKS6_NS0_5tupleIJPhS6_EEENSE_IJSB_SB_EEENS0_18inequality_wrapperIN6hipcub16HIPCUB_304000_NS8EqualityEEEPlJS6_EEE10hipError_tPvRmT3_T4_T5_T6_T7_T9_mT8_P12ihipStream_tbDpT10_ENKUlT_T0_E_clISt17integral_constantIbLb1EES16_IbLb0EEEEDaS12_S13_EUlS12_E_NS1_11comp_targetILNS1_3genE2ELNS1_11target_archE906ELNS1_3gpuE6ELNS1_3repE0EEENS1_30default_config_static_selectorELNS0_4arch9wavefront6targetE1EEEvT1_
                                        ; -- End function
	.section	.AMDGPU.csdata,"",@progbits
; Kernel info:
; codeLenInByte = 0
; NumSgprs: 6
; NumVgprs: 0
; NumAgprs: 0
; TotalNumVgprs: 0
; ScratchSize: 0
; MemoryBound: 0
; FloatMode: 240
; IeeeMode: 1
; LDSByteSize: 0 bytes/workgroup (compile time only)
; SGPRBlocks: 0
; VGPRBlocks: 0
; NumSGPRsForWavesPerEU: 6
; NumVGPRsForWavesPerEU: 1
; AccumOffset: 4
; Occupancy: 8
; WaveLimiterHint : 0
; COMPUTE_PGM_RSRC2:SCRATCH_EN: 0
; COMPUTE_PGM_RSRC2:USER_SGPR: 2
; COMPUTE_PGM_RSRC2:TRAP_HANDLER: 0
; COMPUTE_PGM_RSRC2:TGID_X_EN: 1
; COMPUTE_PGM_RSRC2:TGID_Y_EN: 0
; COMPUTE_PGM_RSRC2:TGID_Z_EN: 0
; COMPUTE_PGM_RSRC2:TIDIG_COMP_CNT: 0
; COMPUTE_PGM_RSRC3_GFX90A:ACCUM_OFFSET: 0
; COMPUTE_PGM_RSRC3_GFX90A:TG_SPLIT: 0
	.section	.text._ZN7rocprim17ROCPRIM_400000_NS6detail17trampoline_kernelINS0_14default_configENS1_25partition_config_selectorILNS1_17partition_subalgoE8EhNS0_10empty_typeEbEEZZNS1_14partition_implILS5_8ELb0ES3_jPKhPS6_PKS6_NS0_5tupleIJPhS6_EEENSE_IJSB_SB_EEENS0_18inequality_wrapperIN6hipcub16HIPCUB_304000_NS8EqualityEEEPlJS6_EEE10hipError_tPvRmT3_T4_T5_T6_T7_T9_mT8_P12ihipStream_tbDpT10_ENKUlT_T0_E_clISt17integral_constantIbLb1EES16_IbLb0EEEEDaS12_S13_EUlS12_E_NS1_11comp_targetILNS1_3genE10ELNS1_11target_archE1200ELNS1_3gpuE4ELNS1_3repE0EEENS1_30default_config_static_selectorELNS0_4arch9wavefront6targetE1EEEvT1_,"axG",@progbits,_ZN7rocprim17ROCPRIM_400000_NS6detail17trampoline_kernelINS0_14default_configENS1_25partition_config_selectorILNS1_17partition_subalgoE8EhNS0_10empty_typeEbEEZZNS1_14partition_implILS5_8ELb0ES3_jPKhPS6_PKS6_NS0_5tupleIJPhS6_EEENSE_IJSB_SB_EEENS0_18inequality_wrapperIN6hipcub16HIPCUB_304000_NS8EqualityEEEPlJS6_EEE10hipError_tPvRmT3_T4_T5_T6_T7_T9_mT8_P12ihipStream_tbDpT10_ENKUlT_T0_E_clISt17integral_constantIbLb1EES16_IbLb0EEEEDaS12_S13_EUlS12_E_NS1_11comp_targetILNS1_3genE10ELNS1_11target_archE1200ELNS1_3gpuE4ELNS1_3repE0EEENS1_30default_config_static_selectorELNS0_4arch9wavefront6targetE1EEEvT1_,comdat
	.protected	_ZN7rocprim17ROCPRIM_400000_NS6detail17trampoline_kernelINS0_14default_configENS1_25partition_config_selectorILNS1_17partition_subalgoE8EhNS0_10empty_typeEbEEZZNS1_14partition_implILS5_8ELb0ES3_jPKhPS6_PKS6_NS0_5tupleIJPhS6_EEENSE_IJSB_SB_EEENS0_18inequality_wrapperIN6hipcub16HIPCUB_304000_NS8EqualityEEEPlJS6_EEE10hipError_tPvRmT3_T4_T5_T6_T7_T9_mT8_P12ihipStream_tbDpT10_ENKUlT_T0_E_clISt17integral_constantIbLb1EES16_IbLb0EEEEDaS12_S13_EUlS12_E_NS1_11comp_targetILNS1_3genE10ELNS1_11target_archE1200ELNS1_3gpuE4ELNS1_3repE0EEENS1_30default_config_static_selectorELNS0_4arch9wavefront6targetE1EEEvT1_ ; -- Begin function _ZN7rocprim17ROCPRIM_400000_NS6detail17trampoline_kernelINS0_14default_configENS1_25partition_config_selectorILNS1_17partition_subalgoE8EhNS0_10empty_typeEbEEZZNS1_14partition_implILS5_8ELb0ES3_jPKhPS6_PKS6_NS0_5tupleIJPhS6_EEENSE_IJSB_SB_EEENS0_18inequality_wrapperIN6hipcub16HIPCUB_304000_NS8EqualityEEEPlJS6_EEE10hipError_tPvRmT3_T4_T5_T6_T7_T9_mT8_P12ihipStream_tbDpT10_ENKUlT_T0_E_clISt17integral_constantIbLb1EES16_IbLb0EEEEDaS12_S13_EUlS12_E_NS1_11comp_targetILNS1_3genE10ELNS1_11target_archE1200ELNS1_3gpuE4ELNS1_3repE0EEENS1_30default_config_static_selectorELNS0_4arch9wavefront6targetE1EEEvT1_
	.globl	_ZN7rocprim17ROCPRIM_400000_NS6detail17trampoline_kernelINS0_14default_configENS1_25partition_config_selectorILNS1_17partition_subalgoE8EhNS0_10empty_typeEbEEZZNS1_14partition_implILS5_8ELb0ES3_jPKhPS6_PKS6_NS0_5tupleIJPhS6_EEENSE_IJSB_SB_EEENS0_18inequality_wrapperIN6hipcub16HIPCUB_304000_NS8EqualityEEEPlJS6_EEE10hipError_tPvRmT3_T4_T5_T6_T7_T9_mT8_P12ihipStream_tbDpT10_ENKUlT_T0_E_clISt17integral_constantIbLb1EES16_IbLb0EEEEDaS12_S13_EUlS12_E_NS1_11comp_targetILNS1_3genE10ELNS1_11target_archE1200ELNS1_3gpuE4ELNS1_3repE0EEENS1_30default_config_static_selectorELNS0_4arch9wavefront6targetE1EEEvT1_
	.p2align	8
	.type	_ZN7rocprim17ROCPRIM_400000_NS6detail17trampoline_kernelINS0_14default_configENS1_25partition_config_selectorILNS1_17partition_subalgoE8EhNS0_10empty_typeEbEEZZNS1_14partition_implILS5_8ELb0ES3_jPKhPS6_PKS6_NS0_5tupleIJPhS6_EEENSE_IJSB_SB_EEENS0_18inequality_wrapperIN6hipcub16HIPCUB_304000_NS8EqualityEEEPlJS6_EEE10hipError_tPvRmT3_T4_T5_T6_T7_T9_mT8_P12ihipStream_tbDpT10_ENKUlT_T0_E_clISt17integral_constantIbLb1EES16_IbLb0EEEEDaS12_S13_EUlS12_E_NS1_11comp_targetILNS1_3genE10ELNS1_11target_archE1200ELNS1_3gpuE4ELNS1_3repE0EEENS1_30default_config_static_selectorELNS0_4arch9wavefront6targetE1EEEvT1_,@function
_ZN7rocprim17ROCPRIM_400000_NS6detail17trampoline_kernelINS0_14default_configENS1_25partition_config_selectorILNS1_17partition_subalgoE8EhNS0_10empty_typeEbEEZZNS1_14partition_implILS5_8ELb0ES3_jPKhPS6_PKS6_NS0_5tupleIJPhS6_EEENSE_IJSB_SB_EEENS0_18inequality_wrapperIN6hipcub16HIPCUB_304000_NS8EqualityEEEPlJS6_EEE10hipError_tPvRmT3_T4_T5_T6_T7_T9_mT8_P12ihipStream_tbDpT10_ENKUlT_T0_E_clISt17integral_constantIbLb1EES16_IbLb0EEEEDaS12_S13_EUlS12_E_NS1_11comp_targetILNS1_3genE10ELNS1_11target_archE1200ELNS1_3gpuE4ELNS1_3repE0EEENS1_30default_config_static_selectorELNS0_4arch9wavefront6targetE1EEEvT1_: ; @_ZN7rocprim17ROCPRIM_400000_NS6detail17trampoline_kernelINS0_14default_configENS1_25partition_config_selectorILNS1_17partition_subalgoE8EhNS0_10empty_typeEbEEZZNS1_14partition_implILS5_8ELb0ES3_jPKhPS6_PKS6_NS0_5tupleIJPhS6_EEENSE_IJSB_SB_EEENS0_18inequality_wrapperIN6hipcub16HIPCUB_304000_NS8EqualityEEEPlJS6_EEE10hipError_tPvRmT3_T4_T5_T6_T7_T9_mT8_P12ihipStream_tbDpT10_ENKUlT_T0_E_clISt17integral_constantIbLb1EES16_IbLb0EEEEDaS12_S13_EUlS12_E_NS1_11comp_targetILNS1_3genE10ELNS1_11target_archE1200ELNS1_3gpuE4ELNS1_3repE0EEENS1_30default_config_static_selectorELNS0_4arch9wavefront6targetE1EEEvT1_
; %bb.0:
	.section	.rodata,"a",@progbits
	.p2align	6, 0x0
	.amdhsa_kernel _ZN7rocprim17ROCPRIM_400000_NS6detail17trampoline_kernelINS0_14default_configENS1_25partition_config_selectorILNS1_17partition_subalgoE8EhNS0_10empty_typeEbEEZZNS1_14partition_implILS5_8ELb0ES3_jPKhPS6_PKS6_NS0_5tupleIJPhS6_EEENSE_IJSB_SB_EEENS0_18inequality_wrapperIN6hipcub16HIPCUB_304000_NS8EqualityEEEPlJS6_EEE10hipError_tPvRmT3_T4_T5_T6_T7_T9_mT8_P12ihipStream_tbDpT10_ENKUlT_T0_E_clISt17integral_constantIbLb1EES16_IbLb0EEEEDaS12_S13_EUlS12_E_NS1_11comp_targetILNS1_3genE10ELNS1_11target_archE1200ELNS1_3gpuE4ELNS1_3repE0EEENS1_30default_config_static_selectorELNS0_4arch9wavefront6targetE1EEEvT1_
		.amdhsa_group_segment_fixed_size 0
		.amdhsa_private_segment_fixed_size 0
		.amdhsa_kernarg_size 112
		.amdhsa_user_sgpr_count 2
		.amdhsa_user_sgpr_dispatch_ptr 0
		.amdhsa_user_sgpr_queue_ptr 0
		.amdhsa_user_sgpr_kernarg_segment_ptr 1
		.amdhsa_user_sgpr_dispatch_id 0
		.amdhsa_user_sgpr_kernarg_preload_length 0
		.amdhsa_user_sgpr_kernarg_preload_offset 0
		.amdhsa_user_sgpr_private_segment_size 0
		.amdhsa_uses_dynamic_stack 0
		.amdhsa_enable_private_segment 0
		.amdhsa_system_sgpr_workgroup_id_x 1
		.amdhsa_system_sgpr_workgroup_id_y 0
		.amdhsa_system_sgpr_workgroup_id_z 0
		.amdhsa_system_sgpr_workgroup_info 0
		.amdhsa_system_vgpr_workitem_id 0
		.amdhsa_next_free_vgpr 1
		.amdhsa_next_free_sgpr 0
		.amdhsa_accum_offset 4
		.amdhsa_reserve_vcc 0
		.amdhsa_float_round_mode_32 0
		.amdhsa_float_round_mode_16_64 0
		.amdhsa_float_denorm_mode_32 3
		.amdhsa_float_denorm_mode_16_64 3
		.amdhsa_dx10_clamp 1
		.amdhsa_ieee_mode 1
		.amdhsa_fp16_overflow 0
		.amdhsa_tg_split 0
		.amdhsa_exception_fp_ieee_invalid_op 0
		.amdhsa_exception_fp_denorm_src 0
		.amdhsa_exception_fp_ieee_div_zero 0
		.amdhsa_exception_fp_ieee_overflow 0
		.amdhsa_exception_fp_ieee_underflow 0
		.amdhsa_exception_fp_ieee_inexact 0
		.amdhsa_exception_int_div_zero 0
	.end_amdhsa_kernel
	.section	.text._ZN7rocprim17ROCPRIM_400000_NS6detail17trampoline_kernelINS0_14default_configENS1_25partition_config_selectorILNS1_17partition_subalgoE8EhNS0_10empty_typeEbEEZZNS1_14partition_implILS5_8ELb0ES3_jPKhPS6_PKS6_NS0_5tupleIJPhS6_EEENSE_IJSB_SB_EEENS0_18inequality_wrapperIN6hipcub16HIPCUB_304000_NS8EqualityEEEPlJS6_EEE10hipError_tPvRmT3_T4_T5_T6_T7_T9_mT8_P12ihipStream_tbDpT10_ENKUlT_T0_E_clISt17integral_constantIbLb1EES16_IbLb0EEEEDaS12_S13_EUlS12_E_NS1_11comp_targetILNS1_3genE10ELNS1_11target_archE1200ELNS1_3gpuE4ELNS1_3repE0EEENS1_30default_config_static_selectorELNS0_4arch9wavefront6targetE1EEEvT1_,"axG",@progbits,_ZN7rocprim17ROCPRIM_400000_NS6detail17trampoline_kernelINS0_14default_configENS1_25partition_config_selectorILNS1_17partition_subalgoE8EhNS0_10empty_typeEbEEZZNS1_14partition_implILS5_8ELb0ES3_jPKhPS6_PKS6_NS0_5tupleIJPhS6_EEENSE_IJSB_SB_EEENS0_18inequality_wrapperIN6hipcub16HIPCUB_304000_NS8EqualityEEEPlJS6_EEE10hipError_tPvRmT3_T4_T5_T6_T7_T9_mT8_P12ihipStream_tbDpT10_ENKUlT_T0_E_clISt17integral_constantIbLb1EES16_IbLb0EEEEDaS12_S13_EUlS12_E_NS1_11comp_targetILNS1_3genE10ELNS1_11target_archE1200ELNS1_3gpuE4ELNS1_3repE0EEENS1_30default_config_static_selectorELNS0_4arch9wavefront6targetE1EEEvT1_,comdat
.Lfunc_end155:
	.size	_ZN7rocprim17ROCPRIM_400000_NS6detail17trampoline_kernelINS0_14default_configENS1_25partition_config_selectorILNS1_17partition_subalgoE8EhNS0_10empty_typeEbEEZZNS1_14partition_implILS5_8ELb0ES3_jPKhPS6_PKS6_NS0_5tupleIJPhS6_EEENSE_IJSB_SB_EEENS0_18inequality_wrapperIN6hipcub16HIPCUB_304000_NS8EqualityEEEPlJS6_EEE10hipError_tPvRmT3_T4_T5_T6_T7_T9_mT8_P12ihipStream_tbDpT10_ENKUlT_T0_E_clISt17integral_constantIbLb1EES16_IbLb0EEEEDaS12_S13_EUlS12_E_NS1_11comp_targetILNS1_3genE10ELNS1_11target_archE1200ELNS1_3gpuE4ELNS1_3repE0EEENS1_30default_config_static_selectorELNS0_4arch9wavefront6targetE1EEEvT1_, .Lfunc_end155-_ZN7rocprim17ROCPRIM_400000_NS6detail17trampoline_kernelINS0_14default_configENS1_25partition_config_selectorILNS1_17partition_subalgoE8EhNS0_10empty_typeEbEEZZNS1_14partition_implILS5_8ELb0ES3_jPKhPS6_PKS6_NS0_5tupleIJPhS6_EEENSE_IJSB_SB_EEENS0_18inequality_wrapperIN6hipcub16HIPCUB_304000_NS8EqualityEEEPlJS6_EEE10hipError_tPvRmT3_T4_T5_T6_T7_T9_mT8_P12ihipStream_tbDpT10_ENKUlT_T0_E_clISt17integral_constantIbLb1EES16_IbLb0EEEEDaS12_S13_EUlS12_E_NS1_11comp_targetILNS1_3genE10ELNS1_11target_archE1200ELNS1_3gpuE4ELNS1_3repE0EEENS1_30default_config_static_selectorELNS0_4arch9wavefront6targetE1EEEvT1_
                                        ; -- End function
	.section	.AMDGPU.csdata,"",@progbits
; Kernel info:
; codeLenInByte = 0
; NumSgprs: 6
; NumVgprs: 0
; NumAgprs: 0
; TotalNumVgprs: 0
; ScratchSize: 0
; MemoryBound: 0
; FloatMode: 240
; IeeeMode: 1
; LDSByteSize: 0 bytes/workgroup (compile time only)
; SGPRBlocks: 0
; VGPRBlocks: 0
; NumSGPRsForWavesPerEU: 6
; NumVGPRsForWavesPerEU: 1
; AccumOffset: 4
; Occupancy: 8
; WaveLimiterHint : 0
; COMPUTE_PGM_RSRC2:SCRATCH_EN: 0
; COMPUTE_PGM_RSRC2:USER_SGPR: 2
; COMPUTE_PGM_RSRC2:TRAP_HANDLER: 0
; COMPUTE_PGM_RSRC2:TGID_X_EN: 1
; COMPUTE_PGM_RSRC2:TGID_Y_EN: 0
; COMPUTE_PGM_RSRC2:TGID_Z_EN: 0
; COMPUTE_PGM_RSRC2:TIDIG_COMP_CNT: 0
; COMPUTE_PGM_RSRC3_GFX90A:ACCUM_OFFSET: 0
; COMPUTE_PGM_RSRC3_GFX90A:TG_SPLIT: 0
	.section	.text._ZN7rocprim17ROCPRIM_400000_NS6detail17trampoline_kernelINS0_14default_configENS1_25partition_config_selectorILNS1_17partition_subalgoE8EhNS0_10empty_typeEbEEZZNS1_14partition_implILS5_8ELb0ES3_jPKhPS6_PKS6_NS0_5tupleIJPhS6_EEENSE_IJSB_SB_EEENS0_18inequality_wrapperIN6hipcub16HIPCUB_304000_NS8EqualityEEEPlJS6_EEE10hipError_tPvRmT3_T4_T5_T6_T7_T9_mT8_P12ihipStream_tbDpT10_ENKUlT_T0_E_clISt17integral_constantIbLb1EES16_IbLb0EEEEDaS12_S13_EUlS12_E_NS1_11comp_targetILNS1_3genE9ELNS1_11target_archE1100ELNS1_3gpuE3ELNS1_3repE0EEENS1_30default_config_static_selectorELNS0_4arch9wavefront6targetE1EEEvT1_,"axG",@progbits,_ZN7rocprim17ROCPRIM_400000_NS6detail17trampoline_kernelINS0_14default_configENS1_25partition_config_selectorILNS1_17partition_subalgoE8EhNS0_10empty_typeEbEEZZNS1_14partition_implILS5_8ELb0ES3_jPKhPS6_PKS6_NS0_5tupleIJPhS6_EEENSE_IJSB_SB_EEENS0_18inequality_wrapperIN6hipcub16HIPCUB_304000_NS8EqualityEEEPlJS6_EEE10hipError_tPvRmT3_T4_T5_T6_T7_T9_mT8_P12ihipStream_tbDpT10_ENKUlT_T0_E_clISt17integral_constantIbLb1EES16_IbLb0EEEEDaS12_S13_EUlS12_E_NS1_11comp_targetILNS1_3genE9ELNS1_11target_archE1100ELNS1_3gpuE3ELNS1_3repE0EEENS1_30default_config_static_selectorELNS0_4arch9wavefront6targetE1EEEvT1_,comdat
	.protected	_ZN7rocprim17ROCPRIM_400000_NS6detail17trampoline_kernelINS0_14default_configENS1_25partition_config_selectorILNS1_17partition_subalgoE8EhNS0_10empty_typeEbEEZZNS1_14partition_implILS5_8ELb0ES3_jPKhPS6_PKS6_NS0_5tupleIJPhS6_EEENSE_IJSB_SB_EEENS0_18inequality_wrapperIN6hipcub16HIPCUB_304000_NS8EqualityEEEPlJS6_EEE10hipError_tPvRmT3_T4_T5_T6_T7_T9_mT8_P12ihipStream_tbDpT10_ENKUlT_T0_E_clISt17integral_constantIbLb1EES16_IbLb0EEEEDaS12_S13_EUlS12_E_NS1_11comp_targetILNS1_3genE9ELNS1_11target_archE1100ELNS1_3gpuE3ELNS1_3repE0EEENS1_30default_config_static_selectorELNS0_4arch9wavefront6targetE1EEEvT1_ ; -- Begin function _ZN7rocprim17ROCPRIM_400000_NS6detail17trampoline_kernelINS0_14default_configENS1_25partition_config_selectorILNS1_17partition_subalgoE8EhNS0_10empty_typeEbEEZZNS1_14partition_implILS5_8ELb0ES3_jPKhPS6_PKS6_NS0_5tupleIJPhS6_EEENSE_IJSB_SB_EEENS0_18inequality_wrapperIN6hipcub16HIPCUB_304000_NS8EqualityEEEPlJS6_EEE10hipError_tPvRmT3_T4_T5_T6_T7_T9_mT8_P12ihipStream_tbDpT10_ENKUlT_T0_E_clISt17integral_constantIbLb1EES16_IbLb0EEEEDaS12_S13_EUlS12_E_NS1_11comp_targetILNS1_3genE9ELNS1_11target_archE1100ELNS1_3gpuE3ELNS1_3repE0EEENS1_30default_config_static_selectorELNS0_4arch9wavefront6targetE1EEEvT1_
	.globl	_ZN7rocprim17ROCPRIM_400000_NS6detail17trampoline_kernelINS0_14default_configENS1_25partition_config_selectorILNS1_17partition_subalgoE8EhNS0_10empty_typeEbEEZZNS1_14partition_implILS5_8ELb0ES3_jPKhPS6_PKS6_NS0_5tupleIJPhS6_EEENSE_IJSB_SB_EEENS0_18inequality_wrapperIN6hipcub16HIPCUB_304000_NS8EqualityEEEPlJS6_EEE10hipError_tPvRmT3_T4_T5_T6_T7_T9_mT8_P12ihipStream_tbDpT10_ENKUlT_T0_E_clISt17integral_constantIbLb1EES16_IbLb0EEEEDaS12_S13_EUlS12_E_NS1_11comp_targetILNS1_3genE9ELNS1_11target_archE1100ELNS1_3gpuE3ELNS1_3repE0EEENS1_30default_config_static_selectorELNS0_4arch9wavefront6targetE1EEEvT1_
	.p2align	8
	.type	_ZN7rocprim17ROCPRIM_400000_NS6detail17trampoline_kernelINS0_14default_configENS1_25partition_config_selectorILNS1_17partition_subalgoE8EhNS0_10empty_typeEbEEZZNS1_14partition_implILS5_8ELb0ES3_jPKhPS6_PKS6_NS0_5tupleIJPhS6_EEENSE_IJSB_SB_EEENS0_18inequality_wrapperIN6hipcub16HIPCUB_304000_NS8EqualityEEEPlJS6_EEE10hipError_tPvRmT3_T4_T5_T6_T7_T9_mT8_P12ihipStream_tbDpT10_ENKUlT_T0_E_clISt17integral_constantIbLb1EES16_IbLb0EEEEDaS12_S13_EUlS12_E_NS1_11comp_targetILNS1_3genE9ELNS1_11target_archE1100ELNS1_3gpuE3ELNS1_3repE0EEENS1_30default_config_static_selectorELNS0_4arch9wavefront6targetE1EEEvT1_,@function
_ZN7rocprim17ROCPRIM_400000_NS6detail17trampoline_kernelINS0_14default_configENS1_25partition_config_selectorILNS1_17partition_subalgoE8EhNS0_10empty_typeEbEEZZNS1_14partition_implILS5_8ELb0ES3_jPKhPS6_PKS6_NS0_5tupleIJPhS6_EEENSE_IJSB_SB_EEENS0_18inequality_wrapperIN6hipcub16HIPCUB_304000_NS8EqualityEEEPlJS6_EEE10hipError_tPvRmT3_T4_T5_T6_T7_T9_mT8_P12ihipStream_tbDpT10_ENKUlT_T0_E_clISt17integral_constantIbLb1EES16_IbLb0EEEEDaS12_S13_EUlS12_E_NS1_11comp_targetILNS1_3genE9ELNS1_11target_archE1100ELNS1_3gpuE3ELNS1_3repE0EEENS1_30default_config_static_selectorELNS0_4arch9wavefront6targetE1EEEvT1_: ; @_ZN7rocprim17ROCPRIM_400000_NS6detail17trampoline_kernelINS0_14default_configENS1_25partition_config_selectorILNS1_17partition_subalgoE8EhNS0_10empty_typeEbEEZZNS1_14partition_implILS5_8ELb0ES3_jPKhPS6_PKS6_NS0_5tupleIJPhS6_EEENSE_IJSB_SB_EEENS0_18inequality_wrapperIN6hipcub16HIPCUB_304000_NS8EqualityEEEPlJS6_EEE10hipError_tPvRmT3_T4_T5_T6_T7_T9_mT8_P12ihipStream_tbDpT10_ENKUlT_T0_E_clISt17integral_constantIbLb1EES16_IbLb0EEEEDaS12_S13_EUlS12_E_NS1_11comp_targetILNS1_3genE9ELNS1_11target_archE1100ELNS1_3gpuE3ELNS1_3repE0EEENS1_30default_config_static_selectorELNS0_4arch9wavefront6targetE1EEEvT1_
; %bb.0:
	.section	.rodata,"a",@progbits
	.p2align	6, 0x0
	.amdhsa_kernel _ZN7rocprim17ROCPRIM_400000_NS6detail17trampoline_kernelINS0_14default_configENS1_25partition_config_selectorILNS1_17partition_subalgoE8EhNS0_10empty_typeEbEEZZNS1_14partition_implILS5_8ELb0ES3_jPKhPS6_PKS6_NS0_5tupleIJPhS6_EEENSE_IJSB_SB_EEENS0_18inequality_wrapperIN6hipcub16HIPCUB_304000_NS8EqualityEEEPlJS6_EEE10hipError_tPvRmT3_T4_T5_T6_T7_T9_mT8_P12ihipStream_tbDpT10_ENKUlT_T0_E_clISt17integral_constantIbLb1EES16_IbLb0EEEEDaS12_S13_EUlS12_E_NS1_11comp_targetILNS1_3genE9ELNS1_11target_archE1100ELNS1_3gpuE3ELNS1_3repE0EEENS1_30default_config_static_selectorELNS0_4arch9wavefront6targetE1EEEvT1_
		.amdhsa_group_segment_fixed_size 0
		.amdhsa_private_segment_fixed_size 0
		.amdhsa_kernarg_size 112
		.amdhsa_user_sgpr_count 2
		.amdhsa_user_sgpr_dispatch_ptr 0
		.amdhsa_user_sgpr_queue_ptr 0
		.amdhsa_user_sgpr_kernarg_segment_ptr 1
		.amdhsa_user_sgpr_dispatch_id 0
		.amdhsa_user_sgpr_kernarg_preload_length 0
		.amdhsa_user_sgpr_kernarg_preload_offset 0
		.amdhsa_user_sgpr_private_segment_size 0
		.amdhsa_uses_dynamic_stack 0
		.amdhsa_enable_private_segment 0
		.amdhsa_system_sgpr_workgroup_id_x 1
		.amdhsa_system_sgpr_workgroup_id_y 0
		.amdhsa_system_sgpr_workgroup_id_z 0
		.amdhsa_system_sgpr_workgroup_info 0
		.amdhsa_system_vgpr_workitem_id 0
		.amdhsa_next_free_vgpr 1
		.amdhsa_next_free_sgpr 0
		.amdhsa_accum_offset 4
		.amdhsa_reserve_vcc 0
		.amdhsa_float_round_mode_32 0
		.amdhsa_float_round_mode_16_64 0
		.amdhsa_float_denorm_mode_32 3
		.amdhsa_float_denorm_mode_16_64 3
		.amdhsa_dx10_clamp 1
		.amdhsa_ieee_mode 1
		.amdhsa_fp16_overflow 0
		.amdhsa_tg_split 0
		.amdhsa_exception_fp_ieee_invalid_op 0
		.amdhsa_exception_fp_denorm_src 0
		.amdhsa_exception_fp_ieee_div_zero 0
		.amdhsa_exception_fp_ieee_overflow 0
		.amdhsa_exception_fp_ieee_underflow 0
		.amdhsa_exception_fp_ieee_inexact 0
		.amdhsa_exception_int_div_zero 0
	.end_amdhsa_kernel
	.section	.text._ZN7rocprim17ROCPRIM_400000_NS6detail17trampoline_kernelINS0_14default_configENS1_25partition_config_selectorILNS1_17partition_subalgoE8EhNS0_10empty_typeEbEEZZNS1_14partition_implILS5_8ELb0ES3_jPKhPS6_PKS6_NS0_5tupleIJPhS6_EEENSE_IJSB_SB_EEENS0_18inequality_wrapperIN6hipcub16HIPCUB_304000_NS8EqualityEEEPlJS6_EEE10hipError_tPvRmT3_T4_T5_T6_T7_T9_mT8_P12ihipStream_tbDpT10_ENKUlT_T0_E_clISt17integral_constantIbLb1EES16_IbLb0EEEEDaS12_S13_EUlS12_E_NS1_11comp_targetILNS1_3genE9ELNS1_11target_archE1100ELNS1_3gpuE3ELNS1_3repE0EEENS1_30default_config_static_selectorELNS0_4arch9wavefront6targetE1EEEvT1_,"axG",@progbits,_ZN7rocprim17ROCPRIM_400000_NS6detail17trampoline_kernelINS0_14default_configENS1_25partition_config_selectorILNS1_17partition_subalgoE8EhNS0_10empty_typeEbEEZZNS1_14partition_implILS5_8ELb0ES3_jPKhPS6_PKS6_NS0_5tupleIJPhS6_EEENSE_IJSB_SB_EEENS0_18inequality_wrapperIN6hipcub16HIPCUB_304000_NS8EqualityEEEPlJS6_EEE10hipError_tPvRmT3_T4_T5_T6_T7_T9_mT8_P12ihipStream_tbDpT10_ENKUlT_T0_E_clISt17integral_constantIbLb1EES16_IbLb0EEEEDaS12_S13_EUlS12_E_NS1_11comp_targetILNS1_3genE9ELNS1_11target_archE1100ELNS1_3gpuE3ELNS1_3repE0EEENS1_30default_config_static_selectorELNS0_4arch9wavefront6targetE1EEEvT1_,comdat
.Lfunc_end156:
	.size	_ZN7rocprim17ROCPRIM_400000_NS6detail17trampoline_kernelINS0_14default_configENS1_25partition_config_selectorILNS1_17partition_subalgoE8EhNS0_10empty_typeEbEEZZNS1_14partition_implILS5_8ELb0ES3_jPKhPS6_PKS6_NS0_5tupleIJPhS6_EEENSE_IJSB_SB_EEENS0_18inequality_wrapperIN6hipcub16HIPCUB_304000_NS8EqualityEEEPlJS6_EEE10hipError_tPvRmT3_T4_T5_T6_T7_T9_mT8_P12ihipStream_tbDpT10_ENKUlT_T0_E_clISt17integral_constantIbLb1EES16_IbLb0EEEEDaS12_S13_EUlS12_E_NS1_11comp_targetILNS1_3genE9ELNS1_11target_archE1100ELNS1_3gpuE3ELNS1_3repE0EEENS1_30default_config_static_selectorELNS0_4arch9wavefront6targetE1EEEvT1_, .Lfunc_end156-_ZN7rocprim17ROCPRIM_400000_NS6detail17trampoline_kernelINS0_14default_configENS1_25partition_config_selectorILNS1_17partition_subalgoE8EhNS0_10empty_typeEbEEZZNS1_14partition_implILS5_8ELb0ES3_jPKhPS6_PKS6_NS0_5tupleIJPhS6_EEENSE_IJSB_SB_EEENS0_18inequality_wrapperIN6hipcub16HIPCUB_304000_NS8EqualityEEEPlJS6_EEE10hipError_tPvRmT3_T4_T5_T6_T7_T9_mT8_P12ihipStream_tbDpT10_ENKUlT_T0_E_clISt17integral_constantIbLb1EES16_IbLb0EEEEDaS12_S13_EUlS12_E_NS1_11comp_targetILNS1_3genE9ELNS1_11target_archE1100ELNS1_3gpuE3ELNS1_3repE0EEENS1_30default_config_static_selectorELNS0_4arch9wavefront6targetE1EEEvT1_
                                        ; -- End function
	.section	.AMDGPU.csdata,"",@progbits
; Kernel info:
; codeLenInByte = 0
; NumSgprs: 6
; NumVgprs: 0
; NumAgprs: 0
; TotalNumVgprs: 0
; ScratchSize: 0
; MemoryBound: 0
; FloatMode: 240
; IeeeMode: 1
; LDSByteSize: 0 bytes/workgroup (compile time only)
; SGPRBlocks: 0
; VGPRBlocks: 0
; NumSGPRsForWavesPerEU: 6
; NumVGPRsForWavesPerEU: 1
; AccumOffset: 4
; Occupancy: 8
; WaveLimiterHint : 0
; COMPUTE_PGM_RSRC2:SCRATCH_EN: 0
; COMPUTE_PGM_RSRC2:USER_SGPR: 2
; COMPUTE_PGM_RSRC2:TRAP_HANDLER: 0
; COMPUTE_PGM_RSRC2:TGID_X_EN: 1
; COMPUTE_PGM_RSRC2:TGID_Y_EN: 0
; COMPUTE_PGM_RSRC2:TGID_Z_EN: 0
; COMPUTE_PGM_RSRC2:TIDIG_COMP_CNT: 0
; COMPUTE_PGM_RSRC3_GFX90A:ACCUM_OFFSET: 0
; COMPUTE_PGM_RSRC3_GFX90A:TG_SPLIT: 0
	.section	.text._ZN7rocprim17ROCPRIM_400000_NS6detail17trampoline_kernelINS0_14default_configENS1_25partition_config_selectorILNS1_17partition_subalgoE8EhNS0_10empty_typeEbEEZZNS1_14partition_implILS5_8ELb0ES3_jPKhPS6_PKS6_NS0_5tupleIJPhS6_EEENSE_IJSB_SB_EEENS0_18inequality_wrapperIN6hipcub16HIPCUB_304000_NS8EqualityEEEPlJS6_EEE10hipError_tPvRmT3_T4_T5_T6_T7_T9_mT8_P12ihipStream_tbDpT10_ENKUlT_T0_E_clISt17integral_constantIbLb1EES16_IbLb0EEEEDaS12_S13_EUlS12_E_NS1_11comp_targetILNS1_3genE8ELNS1_11target_archE1030ELNS1_3gpuE2ELNS1_3repE0EEENS1_30default_config_static_selectorELNS0_4arch9wavefront6targetE1EEEvT1_,"axG",@progbits,_ZN7rocprim17ROCPRIM_400000_NS6detail17trampoline_kernelINS0_14default_configENS1_25partition_config_selectorILNS1_17partition_subalgoE8EhNS0_10empty_typeEbEEZZNS1_14partition_implILS5_8ELb0ES3_jPKhPS6_PKS6_NS0_5tupleIJPhS6_EEENSE_IJSB_SB_EEENS0_18inequality_wrapperIN6hipcub16HIPCUB_304000_NS8EqualityEEEPlJS6_EEE10hipError_tPvRmT3_T4_T5_T6_T7_T9_mT8_P12ihipStream_tbDpT10_ENKUlT_T0_E_clISt17integral_constantIbLb1EES16_IbLb0EEEEDaS12_S13_EUlS12_E_NS1_11comp_targetILNS1_3genE8ELNS1_11target_archE1030ELNS1_3gpuE2ELNS1_3repE0EEENS1_30default_config_static_selectorELNS0_4arch9wavefront6targetE1EEEvT1_,comdat
	.protected	_ZN7rocprim17ROCPRIM_400000_NS6detail17trampoline_kernelINS0_14default_configENS1_25partition_config_selectorILNS1_17partition_subalgoE8EhNS0_10empty_typeEbEEZZNS1_14partition_implILS5_8ELb0ES3_jPKhPS6_PKS6_NS0_5tupleIJPhS6_EEENSE_IJSB_SB_EEENS0_18inequality_wrapperIN6hipcub16HIPCUB_304000_NS8EqualityEEEPlJS6_EEE10hipError_tPvRmT3_T4_T5_T6_T7_T9_mT8_P12ihipStream_tbDpT10_ENKUlT_T0_E_clISt17integral_constantIbLb1EES16_IbLb0EEEEDaS12_S13_EUlS12_E_NS1_11comp_targetILNS1_3genE8ELNS1_11target_archE1030ELNS1_3gpuE2ELNS1_3repE0EEENS1_30default_config_static_selectorELNS0_4arch9wavefront6targetE1EEEvT1_ ; -- Begin function _ZN7rocprim17ROCPRIM_400000_NS6detail17trampoline_kernelINS0_14default_configENS1_25partition_config_selectorILNS1_17partition_subalgoE8EhNS0_10empty_typeEbEEZZNS1_14partition_implILS5_8ELb0ES3_jPKhPS6_PKS6_NS0_5tupleIJPhS6_EEENSE_IJSB_SB_EEENS0_18inequality_wrapperIN6hipcub16HIPCUB_304000_NS8EqualityEEEPlJS6_EEE10hipError_tPvRmT3_T4_T5_T6_T7_T9_mT8_P12ihipStream_tbDpT10_ENKUlT_T0_E_clISt17integral_constantIbLb1EES16_IbLb0EEEEDaS12_S13_EUlS12_E_NS1_11comp_targetILNS1_3genE8ELNS1_11target_archE1030ELNS1_3gpuE2ELNS1_3repE0EEENS1_30default_config_static_selectorELNS0_4arch9wavefront6targetE1EEEvT1_
	.globl	_ZN7rocprim17ROCPRIM_400000_NS6detail17trampoline_kernelINS0_14default_configENS1_25partition_config_selectorILNS1_17partition_subalgoE8EhNS0_10empty_typeEbEEZZNS1_14partition_implILS5_8ELb0ES3_jPKhPS6_PKS6_NS0_5tupleIJPhS6_EEENSE_IJSB_SB_EEENS0_18inequality_wrapperIN6hipcub16HIPCUB_304000_NS8EqualityEEEPlJS6_EEE10hipError_tPvRmT3_T4_T5_T6_T7_T9_mT8_P12ihipStream_tbDpT10_ENKUlT_T0_E_clISt17integral_constantIbLb1EES16_IbLb0EEEEDaS12_S13_EUlS12_E_NS1_11comp_targetILNS1_3genE8ELNS1_11target_archE1030ELNS1_3gpuE2ELNS1_3repE0EEENS1_30default_config_static_selectorELNS0_4arch9wavefront6targetE1EEEvT1_
	.p2align	8
	.type	_ZN7rocprim17ROCPRIM_400000_NS6detail17trampoline_kernelINS0_14default_configENS1_25partition_config_selectorILNS1_17partition_subalgoE8EhNS0_10empty_typeEbEEZZNS1_14partition_implILS5_8ELb0ES3_jPKhPS6_PKS6_NS0_5tupleIJPhS6_EEENSE_IJSB_SB_EEENS0_18inequality_wrapperIN6hipcub16HIPCUB_304000_NS8EqualityEEEPlJS6_EEE10hipError_tPvRmT3_T4_T5_T6_T7_T9_mT8_P12ihipStream_tbDpT10_ENKUlT_T0_E_clISt17integral_constantIbLb1EES16_IbLb0EEEEDaS12_S13_EUlS12_E_NS1_11comp_targetILNS1_3genE8ELNS1_11target_archE1030ELNS1_3gpuE2ELNS1_3repE0EEENS1_30default_config_static_selectorELNS0_4arch9wavefront6targetE1EEEvT1_,@function
_ZN7rocprim17ROCPRIM_400000_NS6detail17trampoline_kernelINS0_14default_configENS1_25partition_config_selectorILNS1_17partition_subalgoE8EhNS0_10empty_typeEbEEZZNS1_14partition_implILS5_8ELb0ES3_jPKhPS6_PKS6_NS0_5tupleIJPhS6_EEENSE_IJSB_SB_EEENS0_18inequality_wrapperIN6hipcub16HIPCUB_304000_NS8EqualityEEEPlJS6_EEE10hipError_tPvRmT3_T4_T5_T6_T7_T9_mT8_P12ihipStream_tbDpT10_ENKUlT_T0_E_clISt17integral_constantIbLb1EES16_IbLb0EEEEDaS12_S13_EUlS12_E_NS1_11comp_targetILNS1_3genE8ELNS1_11target_archE1030ELNS1_3gpuE2ELNS1_3repE0EEENS1_30default_config_static_selectorELNS0_4arch9wavefront6targetE1EEEvT1_: ; @_ZN7rocprim17ROCPRIM_400000_NS6detail17trampoline_kernelINS0_14default_configENS1_25partition_config_selectorILNS1_17partition_subalgoE8EhNS0_10empty_typeEbEEZZNS1_14partition_implILS5_8ELb0ES3_jPKhPS6_PKS6_NS0_5tupleIJPhS6_EEENSE_IJSB_SB_EEENS0_18inequality_wrapperIN6hipcub16HIPCUB_304000_NS8EqualityEEEPlJS6_EEE10hipError_tPvRmT3_T4_T5_T6_T7_T9_mT8_P12ihipStream_tbDpT10_ENKUlT_T0_E_clISt17integral_constantIbLb1EES16_IbLb0EEEEDaS12_S13_EUlS12_E_NS1_11comp_targetILNS1_3genE8ELNS1_11target_archE1030ELNS1_3gpuE2ELNS1_3repE0EEENS1_30default_config_static_selectorELNS0_4arch9wavefront6targetE1EEEvT1_
; %bb.0:
	.section	.rodata,"a",@progbits
	.p2align	6, 0x0
	.amdhsa_kernel _ZN7rocprim17ROCPRIM_400000_NS6detail17trampoline_kernelINS0_14default_configENS1_25partition_config_selectorILNS1_17partition_subalgoE8EhNS0_10empty_typeEbEEZZNS1_14partition_implILS5_8ELb0ES3_jPKhPS6_PKS6_NS0_5tupleIJPhS6_EEENSE_IJSB_SB_EEENS0_18inequality_wrapperIN6hipcub16HIPCUB_304000_NS8EqualityEEEPlJS6_EEE10hipError_tPvRmT3_T4_T5_T6_T7_T9_mT8_P12ihipStream_tbDpT10_ENKUlT_T0_E_clISt17integral_constantIbLb1EES16_IbLb0EEEEDaS12_S13_EUlS12_E_NS1_11comp_targetILNS1_3genE8ELNS1_11target_archE1030ELNS1_3gpuE2ELNS1_3repE0EEENS1_30default_config_static_selectorELNS0_4arch9wavefront6targetE1EEEvT1_
		.amdhsa_group_segment_fixed_size 0
		.amdhsa_private_segment_fixed_size 0
		.amdhsa_kernarg_size 112
		.amdhsa_user_sgpr_count 2
		.amdhsa_user_sgpr_dispatch_ptr 0
		.amdhsa_user_sgpr_queue_ptr 0
		.amdhsa_user_sgpr_kernarg_segment_ptr 1
		.amdhsa_user_sgpr_dispatch_id 0
		.amdhsa_user_sgpr_kernarg_preload_length 0
		.amdhsa_user_sgpr_kernarg_preload_offset 0
		.amdhsa_user_sgpr_private_segment_size 0
		.amdhsa_uses_dynamic_stack 0
		.amdhsa_enable_private_segment 0
		.amdhsa_system_sgpr_workgroup_id_x 1
		.amdhsa_system_sgpr_workgroup_id_y 0
		.amdhsa_system_sgpr_workgroup_id_z 0
		.amdhsa_system_sgpr_workgroup_info 0
		.amdhsa_system_vgpr_workitem_id 0
		.amdhsa_next_free_vgpr 1
		.amdhsa_next_free_sgpr 0
		.amdhsa_accum_offset 4
		.amdhsa_reserve_vcc 0
		.amdhsa_float_round_mode_32 0
		.amdhsa_float_round_mode_16_64 0
		.amdhsa_float_denorm_mode_32 3
		.amdhsa_float_denorm_mode_16_64 3
		.amdhsa_dx10_clamp 1
		.amdhsa_ieee_mode 1
		.amdhsa_fp16_overflow 0
		.amdhsa_tg_split 0
		.amdhsa_exception_fp_ieee_invalid_op 0
		.amdhsa_exception_fp_denorm_src 0
		.amdhsa_exception_fp_ieee_div_zero 0
		.amdhsa_exception_fp_ieee_overflow 0
		.amdhsa_exception_fp_ieee_underflow 0
		.amdhsa_exception_fp_ieee_inexact 0
		.amdhsa_exception_int_div_zero 0
	.end_amdhsa_kernel
	.section	.text._ZN7rocprim17ROCPRIM_400000_NS6detail17trampoline_kernelINS0_14default_configENS1_25partition_config_selectorILNS1_17partition_subalgoE8EhNS0_10empty_typeEbEEZZNS1_14partition_implILS5_8ELb0ES3_jPKhPS6_PKS6_NS0_5tupleIJPhS6_EEENSE_IJSB_SB_EEENS0_18inequality_wrapperIN6hipcub16HIPCUB_304000_NS8EqualityEEEPlJS6_EEE10hipError_tPvRmT3_T4_T5_T6_T7_T9_mT8_P12ihipStream_tbDpT10_ENKUlT_T0_E_clISt17integral_constantIbLb1EES16_IbLb0EEEEDaS12_S13_EUlS12_E_NS1_11comp_targetILNS1_3genE8ELNS1_11target_archE1030ELNS1_3gpuE2ELNS1_3repE0EEENS1_30default_config_static_selectorELNS0_4arch9wavefront6targetE1EEEvT1_,"axG",@progbits,_ZN7rocprim17ROCPRIM_400000_NS6detail17trampoline_kernelINS0_14default_configENS1_25partition_config_selectorILNS1_17partition_subalgoE8EhNS0_10empty_typeEbEEZZNS1_14partition_implILS5_8ELb0ES3_jPKhPS6_PKS6_NS0_5tupleIJPhS6_EEENSE_IJSB_SB_EEENS0_18inequality_wrapperIN6hipcub16HIPCUB_304000_NS8EqualityEEEPlJS6_EEE10hipError_tPvRmT3_T4_T5_T6_T7_T9_mT8_P12ihipStream_tbDpT10_ENKUlT_T0_E_clISt17integral_constantIbLb1EES16_IbLb0EEEEDaS12_S13_EUlS12_E_NS1_11comp_targetILNS1_3genE8ELNS1_11target_archE1030ELNS1_3gpuE2ELNS1_3repE0EEENS1_30default_config_static_selectorELNS0_4arch9wavefront6targetE1EEEvT1_,comdat
.Lfunc_end157:
	.size	_ZN7rocprim17ROCPRIM_400000_NS6detail17trampoline_kernelINS0_14default_configENS1_25partition_config_selectorILNS1_17partition_subalgoE8EhNS0_10empty_typeEbEEZZNS1_14partition_implILS5_8ELb0ES3_jPKhPS6_PKS6_NS0_5tupleIJPhS6_EEENSE_IJSB_SB_EEENS0_18inequality_wrapperIN6hipcub16HIPCUB_304000_NS8EqualityEEEPlJS6_EEE10hipError_tPvRmT3_T4_T5_T6_T7_T9_mT8_P12ihipStream_tbDpT10_ENKUlT_T0_E_clISt17integral_constantIbLb1EES16_IbLb0EEEEDaS12_S13_EUlS12_E_NS1_11comp_targetILNS1_3genE8ELNS1_11target_archE1030ELNS1_3gpuE2ELNS1_3repE0EEENS1_30default_config_static_selectorELNS0_4arch9wavefront6targetE1EEEvT1_, .Lfunc_end157-_ZN7rocprim17ROCPRIM_400000_NS6detail17trampoline_kernelINS0_14default_configENS1_25partition_config_selectorILNS1_17partition_subalgoE8EhNS0_10empty_typeEbEEZZNS1_14partition_implILS5_8ELb0ES3_jPKhPS6_PKS6_NS0_5tupleIJPhS6_EEENSE_IJSB_SB_EEENS0_18inequality_wrapperIN6hipcub16HIPCUB_304000_NS8EqualityEEEPlJS6_EEE10hipError_tPvRmT3_T4_T5_T6_T7_T9_mT8_P12ihipStream_tbDpT10_ENKUlT_T0_E_clISt17integral_constantIbLb1EES16_IbLb0EEEEDaS12_S13_EUlS12_E_NS1_11comp_targetILNS1_3genE8ELNS1_11target_archE1030ELNS1_3gpuE2ELNS1_3repE0EEENS1_30default_config_static_selectorELNS0_4arch9wavefront6targetE1EEEvT1_
                                        ; -- End function
	.section	.AMDGPU.csdata,"",@progbits
; Kernel info:
; codeLenInByte = 0
; NumSgprs: 6
; NumVgprs: 0
; NumAgprs: 0
; TotalNumVgprs: 0
; ScratchSize: 0
; MemoryBound: 0
; FloatMode: 240
; IeeeMode: 1
; LDSByteSize: 0 bytes/workgroup (compile time only)
; SGPRBlocks: 0
; VGPRBlocks: 0
; NumSGPRsForWavesPerEU: 6
; NumVGPRsForWavesPerEU: 1
; AccumOffset: 4
; Occupancy: 8
; WaveLimiterHint : 0
; COMPUTE_PGM_RSRC2:SCRATCH_EN: 0
; COMPUTE_PGM_RSRC2:USER_SGPR: 2
; COMPUTE_PGM_RSRC2:TRAP_HANDLER: 0
; COMPUTE_PGM_RSRC2:TGID_X_EN: 1
; COMPUTE_PGM_RSRC2:TGID_Y_EN: 0
; COMPUTE_PGM_RSRC2:TGID_Z_EN: 0
; COMPUTE_PGM_RSRC2:TIDIG_COMP_CNT: 0
; COMPUTE_PGM_RSRC3_GFX90A:ACCUM_OFFSET: 0
; COMPUTE_PGM_RSRC3_GFX90A:TG_SPLIT: 0
	.section	.text._ZN7rocprim17ROCPRIM_400000_NS6detail17trampoline_kernelINS0_14default_configENS1_25partition_config_selectorILNS1_17partition_subalgoE8EhNS0_10empty_typeEbEEZZNS1_14partition_implILS5_8ELb0ES3_jPKhPS6_PKS6_NS0_5tupleIJPhS6_EEENSE_IJSB_SB_EEENS0_18inequality_wrapperIN6hipcub16HIPCUB_304000_NS8EqualityEEEPlJS6_EEE10hipError_tPvRmT3_T4_T5_T6_T7_T9_mT8_P12ihipStream_tbDpT10_ENKUlT_T0_E_clISt17integral_constantIbLb0EES16_IbLb1EEEEDaS12_S13_EUlS12_E_NS1_11comp_targetILNS1_3genE0ELNS1_11target_archE4294967295ELNS1_3gpuE0ELNS1_3repE0EEENS1_30default_config_static_selectorELNS0_4arch9wavefront6targetE1EEEvT1_,"axG",@progbits,_ZN7rocprim17ROCPRIM_400000_NS6detail17trampoline_kernelINS0_14default_configENS1_25partition_config_selectorILNS1_17partition_subalgoE8EhNS0_10empty_typeEbEEZZNS1_14partition_implILS5_8ELb0ES3_jPKhPS6_PKS6_NS0_5tupleIJPhS6_EEENSE_IJSB_SB_EEENS0_18inequality_wrapperIN6hipcub16HIPCUB_304000_NS8EqualityEEEPlJS6_EEE10hipError_tPvRmT3_T4_T5_T6_T7_T9_mT8_P12ihipStream_tbDpT10_ENKUlT_T0_E_clISt17integral_constantIbLb0EES16_IbLb1EEEEDaS12_S13_EUlS12_E_NS1_11comp_targetILNS1_3genE0ELNS1_11target_archE4294967295ELNS1_3gpuE0ELNS1_3repE0EEENS1_30default_config_static_selectorELNS0_4arch9wavefront6targetE1EEEvT1_,comdat
	.protected	_ZN7rocprim17ROCPRIM_400000_NS6detail17trampoline_kernelINS0_14default_configENS1_25partition_config_selectorILNS1_17partition_subalgoE8EhNS0_10empty_typeEbEEZZNS1_14partition_implILS5_8ELb0ES3_jPKhPS6_PKS6_NS0_5tupleIJPhS6_EEENSE_IJSB_SB_EEENS0_18inequality_wrapperIN6hipcub16HIPCUB_304000_NS8EqualityEEEPlJS6_EEE10hipError_tPvRmT3_T4_T5_T6_T7_T9_mT8_P12ihipStream_tbDpT10_ENKUlT_T0_E_clISt17integral_constantIbLb0EES16_IbLb1EEEEDaS12_S13_EUlS12_E_NS1_11comp_targetILNS1_3genE0ELNS1_11target_archE4294967295ELNS1_3gpuE0ELNS1_3repE0EEENS1_30default_config_static_selectorELNS0_4arch9wavefront6targetE1EEEvT1_ ; -- Begin function _ZN7rocprim17ROCPRIM_400000_NS6detail17trampoline_kernelINS0_14default_configENS1_25partition_config_selectorILNS1_17partition_subalgoE8EhNS0_10empty_typeEbEEZZNS1_14partition_implILS5_8ELb0ES3_jPKhPS6_PKS6_NS0_5tupleIJPhS6_EEENSE_IJSB_SB_EEENS0_18inequality_wrapperIN6hipcub16HIPCUB_304000_NS8EqualityEEEPlJS6_EEE10hipError_tPvRmT3_T4_T5_T6_T7_T9_mT8_P12ihipStream_tbDpT10_ENKUlT_T0_E_clISt17integral_constantIbLb0EES16_IbLb1EEEEDaS12_S13_EUlS12_E_NS1_11comp_targetILNS1_3genE0ELNS1_11target_archE4294967295ELNS1_3gpuE0ELNS1_3repE0EEENS1_30default_config_static_selectorELNS0_4arch9wavefront6targetE1EEEvT1_
	.globl	_ZN7rocprim17ROCPRIM_400000_NS6detail17trampoline_kernelINS0_14default_configENS1_25partition_config_selectorILNS1_17partition_subalgoE8EhNS0_10empty_typeEbEEZZNS1_14partition_implILS5_8ELb0ES3_jPKhPS6_PKS6_NS0_5tupleIJPhS6_EEENSE_IJSB_SB_EEENS0_18inequality_wrapperIN6hipcub16HIPCUB_304000_NS8EqualityEEEPlJS6_EEE10hipError_tPvRmT3_T4_T5_T6_T7_T9_mT8_P12ihipStream_tbDpT10_ENKUlT_T0_E_clISt17integral_constantIbLb0EES16_IbLb1EEEEDaS12_S13_EUlS12_E_NS1_11comp_targetILNS1_3genE0ELNS1_11target_archE4294967295ELNS1_3gpuE0ELNS1_3repE0EEENS1_30default_config_static_selectorELNS0_4arch9wavefront6targetE1EEEvT1_
	.p2align	8
	.type	_ZN7rocprim17ROCPRIM_400000_NS6detail17trampoline_kernelINS0_14default_configENS1_25partition_config_selectorILNS1_17partition_subalgoE8EhNS0_10empty_typeEbEEZZNS1_14partition_implILS5_8ELb0ES3_jPKhPS6_PKS6_NS0_5tupleIJPhS6_EEENSE_IJSB_SB_EEENS0_18inequality_wrapperIN6hipcub16HIPCUB_304000_NS8EqualityEEEPlJS6_EEE10hipError_tPvRmT3_T4_T5_T6_T7_T9_mT8_P12ihipStream_tbDpT10_ENKUlT_T0_E_clISt17integral_constantIbLb0EES16_IbLb1EEEEDaS12_S13_EUlS12_E_NS1_11comp_targetILNS1_3genE0ELNS1_11target_archE4294967295ELNS1_3gpuE0ELNS1_3repE0EEENS1_30default_config_static_selectorELNS0_4arch9wavefront6targetE1EEEvT1_,@function
_ZN7rocprim17ROCPRIM_400000_NS6detail17trampoline_kernelINS0_14default_configENS1_25partition_config_selectorILNS1_17partition_subalgoE8EhNS0_10empty_typeEbEEZZNS1_14partition_implILS5_8ELb0ES3_jPKhPS6_PKS6_NS0_5tupleIJPhS6_EEENSE_IJSB_SB_EEENS0_18inequality_wrapperIN6hipcub16HIPCUB_304000_NS8EqualityEEEPlJS6_EEE10hipError_tPvRmT3_T4_T5_T6_T7_T9_mT8_P12ihipStream_tbDpT10_ENKUlT_T0_E_clISt17integral_constantIbLb0EES16_IbLb1EEEEDaS12_S13_EUlS12_E_NS1_11comp_targetILNS1_3genE0ELNS1_11target_archE4294967295ELNS1_3gpuE0ELNS1_3repE0EEENS1_30default_config_static_selectorELNS0_4arch9wavefront6targetE1EEEvT1_: ; @_ZN7rocprim17ROCPRIM_400000_NS6detail17trampoline_kernelINS0_14default_configENS1_25partition_config_selectorILNS1_17partition_subalgoE8EhNS0_10empty_typeEbEEZZNS1_14partition_implILS5_8ELb0ES3_jPKhPS6_PKS6_NS0_5tupleIJPhS6_EEENSE_IJSB_SB_EEENS0_18inequality_wrapperIN6hipcub16HIPCUB_304000_NS8EqualityEEEPlJS6_EEE10hipError_tPvRmT3_T4_T5_T6_T7_T9_mT8_P12ihipStream_tbDpT10_ENKUlT_T0_E_clISt17integral_constantIbLb0EES16_IbLb1EEEEDaS12_S13_EUlS12_E_NS1_11comp_targetILNS1_3genE0ELNS1_11target_archE4294967295ELNS1_3gpuE0ELNS1_3repE0EEENS1_30default_config_static_selectorELNS0_4arch9wavefront6targetE1EEEvT1_
; %bb.0:
	.section	.rodata,"a",@progbits
	.p2align	6, 0x0
	.amdhsa_kernel _ZN7rocprim17ROCPRIM_400000_NS6detail17trampoline_kernelINS0_14default_configENS1_25partition_config_selectorILNS1_17partition_subalgoE8EhNS0_10empty_typeEbEEZZNS1_14partition_implILS5_8ELb0ES3_jPKhPS6_PKS6_NS0_5tupleIJPhS6_EEENSE_IJSB_SB_EEENS0_18inequality_wrapperIN6hipcub16HIPCUB_304000_NS8EqualityEEEPlJS6_EEE10hipError_tPvRmT3_T4_T5_T6_T7_T9_mT8_P12ihipStream_tbDpT10_ENKUlT_T0_E_clISt17integral_constantIbLb0EES16_IbLb1EEEEDaS12_S13_EUlS12_E_NS1_11comp_targetILNS1_3genE0ELNS1_11target_archE4294967295ELNS1_3gpuE0ELNS1_3repE0EEENS1_30default_config_static_selectorELNS0_4arch9wavefront6targetE1EEEvT1_
		.amdhsa_group_segment_fixed_size 0
		.amdhsa_private_segment_fixed_size 0
		.amdhsa_kernarg_size 128
		.amdhsa_user_sgpr_count 2
		.amdhsa_user_sgpr_dispatch_ptr 0
		.amdhsa_user_sgpr_queue_ptr 0
		.amdhsa_user_sgpr_kernarg_segment_ptr 1
		.amdhsa_user_sgpr_dispatch_id 0
		.amdhsa_user_sgpr_kernarg_preload_length 0
		.amdhsa_user_sgpr_kernarg_preload_offset 0
		.amdhsa_user_sgpr_private_segment_size 0
		.amdhsa_uses_dynamic_stack 0
		.amdhsa_enable_private_segment 0
		.amdhsa_system_sgpr_workgroup_id_x 1
		.amdhsa_system_sgpr_workgroup_id_y 0
		.amdhsa_system_sgpr_workgroup_id_z 0
		.amdhsa_system_sgpr_workgroup_info 0
		.amdhsa_system_vgpr_workitem_id 0
		.amdhsa_next_free_vgpr 1
		.amdhsa_next_free_sgpr 0
		.amdhsa_accum_offset 4
		.amdhsa_reserve_vcc 0
		.amdhsa_float_round_mode_32 0
		.amdhsa_float_round_mode_16_64 0
		.amdhsa_float_denorm_mode_32 3
		.amdhsa_float_denorm_mode_16_64 3
		.amdhsa_dx10_clamp 1
		.amdhsa_ieee_mode 1
		.amdhsa_fp16_overflow 0
		.amdhsa_tg_split 0
		.amdhsa_exception_fp_ieee_invalid_op 0
		.amdhsa_exception_fp_denorm_src 0
		.amdhsa_exception_fp_ieee_div_zero 0
		.amdhsa_exception_fp_ieee_overflow 0
		.amdhsa_exception_fp_ieee_underflow 0
		.amdhsa_exception_fp_ieee_inexact 0
		.amdhsa_exception_int_div_zero 0
	.end_amdhsa_kernel
	.section	.text._ZN7rocprim17ROCPRIM_400000_NS6detail17trampoline_kernelINS0_14default_configENS1_25partition_config_selectorILNS1_17partition_subalgoE8EhNS0_10empty_typeEbEEZZNS1_14partition_implILS5_8ELb0ES3_jPKhPS6_PKS6_NS0_5tupleIJPhS6_EEENSE_IJSB_SB_EEENS0_18inequality_wrapperIN6hipcub16HIPCUB_304000_NS8EqualityEEEPlJS6_EEE10hipError_tPvRmT3_T4_T5_T6_T7_T9_mT8_P12ihipStream_tbDpT10_ENKUlT_T0_E_clISt17integral_constantIbLb0EES16_IbLb1EEEEDaS12_S13_EUlS12_E_NS1_11comp_targetILNS1_3genE0ELNS1_11target_archE4294967295ELNS1_3gpuE0ELNS1_3repE0EEENS1_30default_config_static_selectorELNS0_4arch9wavefront6targetE1EEEvT1_,"axG",@progbits,_ZN7rocprim17ROCPRIM_400000_NS6detail17trampoline_kernelINS0_14default_configENS1_25partition_config_selectorILNS1_17partition_subalgoE8EhNS0_10empty_typeEbEEZZNS1_14partition_implILS5_8ELb0ES3_jPKhPS6_PKS6_NS0_5tupleIJPhS6_EEENSE_IJSB_SB_EEENS0_18inequality_wrapperIN6hipcub16HIPCUB_304000_NS8EqualityEEEPlJS6_EEE10hipError_tPvRmT3_T4_T5_T6_T7_T9_mT8_P12ihipStream_tbDpT10_ENKUlT_T0_E_clISt17integral_constantIbLb0EES16_IbLb1EEEEDaS12_S13_EUlS12_E_NS1_11comp_targetILNS1_3genE0ELNS1_11target_archE4294967295ELNS1_3gpuE0ELNS1_3repE0EEENS1_30default_config_static_selectorELNS0_4arch9wavefront6targetE1EEEvT1_,comdat
.Lfunc_end158:
	.size	_ZN7rocprim17ROCPRIM_400000_NS6detail17trampoline_kernelINS0_14default_configENS1_25partition_config_selectorILNS1_17partition_subalgoE8EhNS0_10empty_typeEbEEZZNS1_14partition_implILS5_8ELb0ES3_jPKhPS6_PKS6_NS0_5tupleIJPhS6_EEENSE_IJSB_SB_EEENS0_18inequality_wrapperIN6hipcub16HIPCUB_304000_NS8EqualityEEEPlJS6_EEE10hipError_tPvRmT3_T4_T5_T6_T7_T9_mT8_P12ihipStream_tbDpT10_ENKUlT_T0_E_clISt17integral_constantIbLb0EES16_IbLb1EEEEDaS12_S13_EUlS12_E_NS1_11comp_targetILNS1_3genE0ELNS1_11target_archE4294967295ELNS1_3gpuE0ELNS1_3repE0EEENS1_30default_config_static_selectorELNS0_4arch9wavefront6targetE1EEEvT1_, .Lfunc_end158-_ZN7rocprim17ROCPRIM_400000_NS6detail17trampoline_kernelINS0_14default_configENS1_25partition_config_selectorILNS1_17partition_subalgoE8EhNS0_10empty_typeEbEEZZNS1_14partition_implILS5_8ELb0ES3_jPKhPS6_PKS6_NS0_5tupleIJPhS6_EEENSE_IJSB_SB_EEENS0_18inequality_wrapperIN6hipcub16HIPCUB_304000_NS8EqualityEEEPlJS6_EEE10hipError_tPvRmT3_T4_T5_T6_T7_T9_mT8_P12ihipStream_tbDpT10_ENKUlT_T0_E_clISt17integral_constantIbLb0EES16_IbLb1EEEEDaS12_S13_EUlS12_E_NS1_11comp_targetILNS1_3genE0ELNS1_11target_archE4294967295ELNS1_3gpuE0ELNS1_3repE0EEENS1_30default_config_static_selectorELNS0_4arch9wavefront6targetE1EEEvT1_
                                        ; -- End function
	.section	.AMDGPU.csdata,"",@progbits
; Kernel info:
; codeLenInByte = 0
; NumSgprs: 6
; NumVgprs: 0
; NumAgprs: 0
; TotalNumVgprs: 0
; ScratchSize: 0
; MemoryBound: 0
; FloatMode: 240
; IeeeMode: 1
; LDSByteSize: 0 bytes/workgroup (compile time only)
; SGPRBlocks: 0
; VGPRBlocks: 0
; NumSGPRsForWavesPerEU: 6
; NumVGPRsForWavesPerEU: 1
; AccumOffset: 4
; Occupancy: 8
; WaveLimiterHint : 0
; COMPUTE_PGM_RSRC2:SCRATCH_EN: 0
; COMPUTE_PGM_RSRC2:USER_SGPR: 2
; COMPUTE_PGM_RSRC2:TRAP_HANDLER: 0
; COMPUTE_PGM_RSRC2:TGID_X_EN: 1
; COMPUTE_PGM_RSRC2:TGID_Y_EN: 0
; COMPUTE_PGM_RSRC2:TGID_Z_EN: 0
; COMPUTE_PGM_RSRC2:TIDIG_COMP_CNT: 0
; COMPUTE_PGM_RSRC3_GFX90A:ACCUM_OFFSET: 0
; COMPUTE_PGM_RSRC3_GFX90A:TG_SPLIT: 0
	.section	.text._ZN7rocprim17ROCPRIM_400000_NS6detail17trampoline_kernelINS0_14default_configENS1_25partition_config_selectorILNS1_17partition_subalgoE8EhNS0_10empty_typeEbEEZZNS1_14partition_implILS5_8ELb0ES3_jPKhPS6_PKS6_NS0_5tupleIJPhS6_EEENSE_IJSB_SB_EEENS0_18inequality_wrapperIN6hipcub16HIPCUB_304000_NS8EqualityEEEPlJS6_EEE10hipError_tPvRmT3_T4_T5_T6_T7_T9_mT8_P12ihipStream_tbDpT10_ENKUlT_T0_E_clISt17integral_constantIbLb0EES16_IbLb1EEEEDaS12_S13_EUlS12_E_NS1_11comp_targetILNS1_3genE5ELNS1_11target_archE942ELNS1_3gpuE9ELNS1_3repE0EEENS1_30default_config_static_selectorELNS0_4arch9wavefront6targetE1EEEvT1_,"axG",@progbits,_ZN7rocprim17ROCPRIM_400000_NS6detail17trampoline_kernelINS0_14default_configENS1_25partition_config_selectorILNS1_17partition_subalgoE8EhNS0_10empty_typeEbEEZZNS1_14partition_implILS5_8ELb0ES3_jPKhPS6_PKS6_NS0_5tupleIJPhS6_EEENSE_IJSB_SB_EEENS0_18inequality_wrapperIN6hipcub16HIPCUB_304000_NS8EqualityEEEPlJS6_EEE10hipError_tPvRmT3_T4_T5_T6_T7_T9_mT8_P12ihipStream_tbDpT10_ENKUlT_T0_E_clISt17integral_constantIbLb0EES16_IbLb1EEEEDaS12_S13_EUlS12_E_NS1_11comp_targetILNS1_3genE5ELNS1_11target_archE942ELNS1_3gpuE9ELNS1_3repE0EEENS1_30default_config_static_selectorELNS0_4arch9wavefront6targetE1EEEvT1_,comdat
	.protected	_ZN7rocprim17ROCPRIM_400000_NS6detail17trampoline_kernelINS0_14default_configENS1_25partition_config_selectorILNS1_17partition_subalgoE8EhNS0_10empty_typeEbEEZZNS1_14partition_implILS5_8ELb0ES3_jPKhPS6_PKS6_NS0_5tupleIJPhS6_EEENSE_IJSB_SB_EEENS0_18inequality_wrapperIN6hipcub16HIPCUB_304000_NS8EqualityEEEPlJS6_EEE10hipError_tPvRmT3_T4_T5_T6_T7_T9_mT8_P12ihipStream_tbDpT10_ENKUlT_T0_E_clISt17integral_constantIbLb0EES16_IbLb1EEEEDaS12_S13_EUlS12_E_NS1_11comp_targetILNS1_3genE5ELNS1_11target_archE942ELNS1_3gpuE9ELNS1_3repE0EEENS1_30default_config_static_selectorELNS0_4arch9wavefront6targetE1EEEvT1_ ; -- Begin function _ZN7rocprim17ROCPRIM_400000_NS6detail17trampoline_kernelINS0_14default_configENS1_25partition_config_selectorILNS1_17partition_subalgoE8EhNS0_10empty_typeEbEEZZNS1_14partition_implILS5_8ELb0ES3_jPKhPS6_PKS6_NS0_5tupleIJPhS6_EEENSE_IJSB_SB_EEENS0_18inequality_wrapperIN6hipcub16HIPCUB_304000_NS8EqualityEEEPlJS6_EEE10hipError_tPvRmT3_T4_T5_T6_T7_T9_mT8_P12ihipStream_tbDpT10_ENKUlT_T0_E_clISt17integral_constantIbLb0EES16_IbLb1EEEEDaS12_S13_EUlS12_E_NS1_11comp_targetILNS1_3genE5ELNS1_11target_archE942ELNS1_3gpuE9ELNS1_3repE0EEENS1_30default_config_static_selectorELNS0_4arch9wavefront6targetE1EEEvT1_
	.globl	_ZN7rocprim17ROCPRIM_400000_NS6detail17trampoline_kernelINS0_14default_configENS1_25partition_config_selectorILNS1_17partition_subalgoE8EhNS0_10empty_typeEbEEZZNS1_14partition_implILS5_8ELb0ES3_jPKhPS6_PKS6_NS0_5tupleIJPhS6_EEENSE_IJSB_SB_EEENS0_18inequality_wrapperIN6hipcub16HIPCUB_304000_NS8EqualityEEEPlJS6_EEE10hipError_tPvRmT3_T4_T5_T6_T7_T9_mT8_P12ihipStream_tbDpT10_ENKUlT_T0_E_clISt17integral_constantIbLb0EES16_IbLb1EEEEDaS12_S13_EUlS12_E_NS1_11comp_targetILNS1_3genE5ELNS1_11target_archE942ELNS1_3gpuE9ELNS1_3repE0EEENS1_30default_config_static_selectorELNS0_4arch9wavefront6targetE1EEEvT1_
	.p2align	8
	.type	_ZN7rocprim17ROCPRIM_400000_NS6detail17trampoline_kernelINS0_14default_configENS1_25partition_config_selectorILNS1_17partition_subalgoE8EhNS0_10empty_typeEbEEZZNS1_14partition_implILS5_8ELb0ES3_jPKhPS6_PKS6_NS0_5tupleIJPhS6_EEENSE_IJSB_SB_EEENS0_18inequality_wrapperIN6hipcub16HIPCUB_304000_NS8EqualityEEEPlJS6_EEE10hipError_tPvRmT3_T4_T5_T6_T7_T9_mT8_P12ihipStream_tbDpT10_ENKUlT_T0_E_clISt17integral_constantIbLb0EES16_IbLb1EEEEDaS12_S13_EUlS12_E_NS1_11comp_targetILNS1_3genE5ELNS1_11target_archE942ELNS1_3gpuE9ELNS1_3repE0EEENS1_30default_config_static_selectorELNS0_4arch9wavefront6targetE1EEEvT1_,@function
_ZN7rocprim17ROCPRIM_400000_NS6detail17trampoline_kernelINS0_14default_configENS1_25partition_config_selectorILNS1_17partition_subalgoE8EhNS0_10empty_typeEbEEZZNS1_14partition_implILS5_8ELb0ES3_jPKhPS6_PKS6_NS0_5tupleIJPhS6_EEENSE_IJSB_SB_EEENS0_18inequality_wrapperIN6hipcub16HIPCUB_304000_NS8EqualityEEEPlJS6_EEE10hipError_tPvRmT3_T4_T5_T6_T7_T9_mT8_P12ihipStream_tbDpT10_ENKUlT_T0_E_clISt17integral_constantIbLb0EES16_IbLb1EEEEDaS12_S13_EUlS12_E_NS1_11comp_targetILNS1_3genE5ELNS1_11target_archE942ELNS1_3gpuE9ELNS1_3repE0EEENS1_30default_config_static_selectorELNS0_4arch9wavefront6targetE1EEEvT1_: ; @_ZN7rocprim17ROCPRIM_400000_NS6detail17trampoline_kernelINS0_14default_configENS1_25partition_config_selectorILNS1_17partition_subalgoE8EhNS0_10empty_typeEbEEZZNS1_14partition_implILS5_8ELb0ES3_jPKhPS6_PKS6_NS0_5tupleIJPhS6_EEENSE_IJSB_SB_EEENS0_18inequality_wrapperIN6hipcub16HIPCUB_304000_NS8EqualityEEEPlJS6_EEE10hipError_tPvRmT3_T4_T5_T6_T7_T9_mT8_P12ihipStream_tbDpT10_ENKUlT_T0_E_clISt17integral_constantIbLb0EES16_IbLb1EEEEDaS12_S13_EUlS12_E_NS1_11comp_targetILNS1_3genE5ELNS1_11target_archE942ELNS1_3gpuE9ELNS1_3repE0EEENS1_30default_config_static_selectorELNS0_4arch9wavefront6targetE1EEEvT1_
; %bb.0:
	s_load_dwordx2 s[26:27], s[0:1], 0x28
	s_load_dwordx4 s[20:23], s[0:1], 0x40
	s_load_dwordx2 s[8:9], s[0:1], 0x50
	s_load_dwordx2 s[30:31], s[0:1], 0x60
	v_cmp_ne_u32_e64 s[2:3], 0, v0
	v_cmp_eq_u32_e64 s[18:19], 0, v0
	s_and_saveexec_b64 s[4:5], s[18:19]
	s_cbranch_execz .LBB159_4
; %bb.1:
	s_mov_b64 s[10:11], exec
	v_mbcnt_lo_u32_b32 v1, s10, 0
	v_mbcnt_hi_u32_b32 v1, s11, v1
	v_cmp_eq_u32_e32 vcc, 0, v1
                                        ; implicit-def: $vgpr2
	s_and_saveexec_b64 s[6:7], vcc
	s_cbranch_execz .LBB159_3
; %bb.2:
	s_load_dwordx2 s[12:13], s[0:1], 0x70
	s_bcnt1_i32_b64 s10, s[10:11]
	v_mov_b32_e32 v2, 0
	v_mov_b32_e32 v3, s10
	s_waitcnt lgkmcnt(0)
	global_atomic_add v2, v2, v3, s[12:13] sc0
.LBB159_3:
	s_or_b64 exec, exec, s[6:7]
	s_waitcnt vmcnt(0)
	v_readfirstlane_b32 s6, v2
	v_mov_b32_e32 v2, 0
	s_nop 0
	v_add_u32_e32 v1, s6, v1
	ds_write_b32 v2, v1
.LBB159_4:
	s_or_b64 exec, exec, s[4:5]
	v_mov_b32_e32 v3, 0
	s_load_dwordx4 s[4:7], s[0:1], 0x8
	s_load_dword s12, s[0:1], 0x68
	s_waitcnt lgkmcnt(0)
	s_barrier
	ds_read_b32 v1, v3
	s_waitcnt lgkmcnt(0)
	s_barrier
	global_load_dwordx2 v[6:7], v3, s[22:23]
	s_add_u32 s0, s4, s6
	s_addc_u32 s1, s5, s7
	s_add_i32 s5, s12, -1
	s_lshl_b32 s4, s5, 14
	v_mov_b32_e32 v9, s9
	s_lshl_b32 s9, s12, 14
	s_add_i32 s4, s6, s4
	s_add_u32 s12, s6, s9
	s_addc_u32 s13, s7, 0
	v_readfirstlane_b32 s33, v1
	v_mov_b32_e32 v8, s8
	s_cmp_eq_u32 s33, s5
	v_lshlrev_b32_e32 v2, 14, v1
	v_cmp_ge_u64_e32 vcc, s[12:13], v[8:9]
	s_cselect_b64 s[24:25], -1, 0
	v_lshl_add_u64 v[10:11], s[0:1], 0, v[2:3]
	s_and_b64 s[0:1], vcc, s[24:25]
	s_xor_b64 s[28:29], s[0:1], -1
	s_mov_b64 s[10:11], -1
	v_lshrrev_b32_e32 v4, 5, v0
	s_and_b64 vcc, exec, s[28:29]
	s_waitcnt vmcnt(0)
	v_readfirstlane_b32 s22, v6
	v_readfirstlane_b32 s23, v7
	s_cbranch_vccz .LBB159_6
; %bb.5:
	v_readfirstlane_b32 s10, v10
	v_readfirstlane_b32 s11, v11
	s_nop 4
	global_load_ubyte v5, v0, s[10:11]
	global_load_ubyte v12, v0, s[10:11] offset:512
	global_load_ubyte v13, v0, s[10:11] offset:1024
	;; [unrolled: 1-line block ×6, first 2 shown]
	v_mov_b32_e32 v1, v3
	v_lshl_add_u64 v[2:3], v[10:11], 0, v[0:1]
	global_load_ubyte v1, v0, s[10:11] offset:3584
	v_add_co_u32_e32 v6, vcc, 0x1000, v2
	v_and_b32_e32 v8, 12, v4
	s_nop 0
	v_addc_co_u32_e32 v7, vcc, 0, v3, vcc
	global_load_ubyte v18, v[6:7], off
	global_load_ubyte v19, v[6:7], off offset:512
	global_load_ubyte v22, v[6:7], off offset:1024
	;; [unrolled: 1-line block ×3, first 2 shown]
	v_or_b32_e32 v9, 0x200, v0
	v_or_b32_e32 v20, 0x400, v0
	;; [unrolled: 1-line block ×4, first 2 shown]
	v_add_u32_e32 v26, v8, v0
	v_lshrrev_b32_e32 v8, 5, v9
	v_lshrrev_b32_e32 v9, 5, v20
	;; [unrolled: 1-line block ×4, first 2 shown]
	global_load_ubyte v23, v[6:7], off offset:2048
	global_load_ubyte v29, v[6:7], off offset:2560
	;; [unrolled: 1-line block ×3, first 2 shown]
	v_and_b32_e32 v28, 28, v8
	global_load_ubyte v6, v[6:7], off offset:3584
	v_and_b32_e32 v9, 44, v9
	v_add_co_u32_e32 v8, vcc, 0x2000, v2
	v_and_b32_e32 v20, 60, v20
	v_add_u32_e32 v31, v9, v0
	v_addc_co_u32_e32 v9, vcc, 0, v3, vcc
	v_add_u32_e32 v7, v20, v0
	global_load_ubyte v20, v[8:9], off
	global_load_ubyte v32, v[8:9], off offset:512
	global_load_ubyte v33, v[8:9], off offset:1024
	;; [unrolled: 1-line block ×7, first 2 shown]
	v_or_b32_e32 v25, 0xc00, v0
	v_or_b32_e32 v24, 0xa00, v0
	v_lshrrev_b32_e32 v25, 5, v25
	v_add_co_u32_e32 v2, vcc, 0x3000, v2
	v_lshrrev_b32_e32 v24, 5, v24
	v_and_b32_e32 v25, 0x6c, v25
	v_addc_co_u32_e32 v3, vcc, 0, v3, vcc
	v_and_b32_e32 v21, 0x4c, v21
	v_and_b32_e32 v24, 0x5c, v24
	global_load_ubyte v8, v[2:3], off
	global_load_ubyte v9, v[2:3], off offset:512
	global_load_ubyte v39, v[2:3], off offset:1024
	;; [unrolled: 1-line block ×7, first 2 shown]
	v_add_u32_e32 v2, v25, v0
	v_add_u32_e32 v28, v28, v0
	;; [unrolled: 1-line block ×4, first 2 shown]
	s_mov_b64 s[10:11], 0
	s_waitcnt vmcnt(31)
	ds_write_b8 v26, v5
	s_waitcnt vmcnt(30)
	ds_write_b8 v28, v12 offset:512
	s_waitcnt vmcnt(29)
	ds_write_b8 v31, v13 offset:1024
	s_waitcnt vmcnt(28)
	ds_write_b8 v7, v14 offset:1536
	s_waitcnt vmcnt(27)
	ds_write_b8 v21, v15 offset:2048
	s_waitcnt vmcnt(26)
	ds_write_b8 v24, v16 offset:2560
	s_waitcnt vmcnt(25)
	ds_write_b8 v2, v17 offset:3072
	v_or_b32_e32 v2, 0xe00, v0
	v_lshrrev_b32_e32 v2, 5, v2
	v_and_b32_e32 v2, 0x7c, v2
	v_add_u32_e32 v2, v2, v0
	s_waitcnt vmcnt(24)
	ds_write_b8 v2, v1 offset:3584
	v_or_b32_e32 v1, 0x1000, v0
	v_lshrrev_b32_e32 v1, 5, v1
	v_and_b32_e32 v1, 0x8c, v1
	v_add_u32_e32 v1, v1, v0
	s_waitcnt vmcnt(23)
	ds_write_b8 v1, v18 offset:4096
	;; [unrolled: 6-line block ×25, first 2 shown]
	s_waitcnt lgkmcnt(0)
	s_barrier
.LBB159_6:
	s_andn2_b64 vcc, exec, s[10:11]
	s_sub_i32 s56, s8, s4
	s_cbranch_vccnz .LBB159_72
; %bb.7:
	v_cmp_gt_u32_e32 vcc, s56, v0
                                        ; implicit-def: $vgpr1
	s_and_saveexec_b64 s[4:5], vcc
	s_cbranch_execz .LBB159_9
; %bb.8:
	v_readfirstlane_b32 s8, v10
	v_readfirstlane_b32 s9, v11
	s_nop 4
	global_load_ubyte v1, v0, s[8:9]
.LBB159_9:
	s_or_b64 exec, exec, s[4:5]
	v_or_b32_e32 v2, 0x200, v0
	v_cmp_gt_u32_e32 vcc, s56, v2
                                        ; implicit-def: $vgpr3
	s_and_saveexec_b64 s[4:5], vcc
	s_cbranch_execz .LBB159_11
; %bb.10:
	v_readfirstlane_b32 s8, v10
	v_readfirstlane_b32 s9, v11
	s_nop 4
	global_load_ubyte v3, v0, s[8:9] offset:512
.LBB159_11:
	s_or_b64 exec, exec, s[4:5]
	v_or_b32_e32 v5, 0x400, v0
	v_cmp_gt_u32_e32 vcc, s56, v5
                                        ; implicit-def: $vgpr6
	s_and_saveexec_b64 s[4:5], vcc
	s_cbranch_execz .LBB159_13
; %bb.12:
	v_readfirstlane_b32 s8, v10
	v_readfirstlane_b32 s9, v11
	s_nop 4
	global_load_ubyte v6, v0, s[8:9] offset:1024
.LBB159_13:
	s_or_b64 exec, exec, s[4:5]
	v_or_b32_e32 v7, 0x600, v0
	v_cmp_gt_u32_e32 vcc, s56, v7
                                        ; implicit-def: $vgpr8
	s_and_saveexec_b64 s[4:5], vcc
	s_cbranch_execz .LBB159_15
; %bb.14:
	v_readfirstlane_b32 s8, v10
	v_readfirstlane_b32 s9, v11
	s_nop 4
	global_load_ubyte v8, v0, s[8:9] offset:1536
.LBB159_15:
	s_or_b64 exec, exec, s[4:5]
	v_or_b32_e32 v9, 0x800, v0
	v_cmp_gt_u32_e32 vcc, s56, v9
                                        ; implicit-def: $vgpr12
	s_and_saveexec_b64 s[4:5], vcc
	s_cbranch_execz .LBB159_17
; %bb.16:
	v_readfirstlane_b32 s8, v10
	v_readfirstlane_b32 s9, v11
	s_nop 4
	global_load_ubyte v12, v0, s[8:9] offset:2048
.LBB159_17:
	s_or_b64 exec, exec, s[4:5]
	v_or_b32_e32 v13, 0xa00, v0
	v_cmp_gt_u32_e32 vcc, s56, v13
                                        ; implicit-def: $vgpr14
	s_and_saveexec_b64 s[4:5], vcc
	s_cbranch_execz .LBB159_19
; %bb.18:
	v_readfirstlane_b32 s8, v10
	v_readfirstlane_b32 s9, v11
	s_nop 4
	global_load_ubyte v14, v0, s[8:9] offset:2560
.LBB159_19:
	s_or_b64 exec, exec, s[4:5]
	v_or_b32_e32 v15, 0xc00, v0
	v_cmp_gt_u32_e32 vcc, s56, v15
                                        ; implicit-def: $vgpr16
	s_and_saveexec_b64 s[4:5], vcc
	s_cbranch_execz .LBB159_21
; %bb.20:
	v_readfirstlane_b32 s8, v10
	v_readfirstlane_b32 s9, v11
	s_nop 4
	global_load_ubyte v16, v0, s[8:9] offset:3072
.LBB159_21:
	s_or_b64 exec, exec, s[4:5]
	v_or_b32_e32 v17, 0xe00, v0
	v_cmp_gt_u32_e32 vcc, s56, v17
                                        ; implicit-def: $vgpr18
	s_and_saveexec_b64 s[4:5], vcc
	s_cbranch_execz .LBB159_23
; %bb.22:
	v_readfirstlane_b32 s8, v10
	v_readfirstlane_b32 s9, v11
	s_nop 4
	global_load_ubyte v18, v0, s[8:9] offset:3584
.LBB159_23:
	s_or_b64 exec, exec, s[4:5]
	v_or_b32_e32 v19, 0x1000, v0
	v_cmp_gt_u32_e32 vcc, s56, v19
                                        ; implicit-def: $vgpr20
	s_and_saveexec_b64 s[4:5], vcc
	s_cbranch_execz .LBB159_25
; %bb.24:
	v_readfirstlane_b32 s8, v10
	v_readfirstlane_b32 s9, v11
	s_nop 4
	global_load_ubyte v20, v19, s[8:9]
.LBB159_25:
	s_or_b64 exec, exec, s[4:5]
	v_or_b32_e32 v21, 0x1200, v0
	v_cmp_gt_u32_e32 vcc, s56, v21
                                        ; implicit-def: $vgpr22
	s_and_saveexec_b64 s[4:5], vcc
	s_cbranch_execz .LBB159_27
; %bb.26:
	v_readfirstlane_b32 s8, v10
	v_readfirstlane_b32 s9, v11
	s_nop 4
	global_load_ubyte v22, v21, s[8:9]
.LBB159_27:
	s_or_b64 exec, exec, s[4:5]
	v_or_b32_e32 v23, 0x1400, v0
	v_cmp_gt_u32_e32 vcc, s56, v23
                                        ; implicit-def: $vgpr24
	s_and_saveexec_b64 s[4:5], vcc
	s_cbranch_execz .LBB159_29
; %bb.28:
	v_readfirstlane_b32 s8, v10
	v_readfirstlane_b32 s9, v11
	s_nop 4
	global_load_ubyte v24, v23, s[8:9]
.LBB159_29:
	s_or_b64 exec, exec, s[4:5]
	v_or_b32_e32 v25, 0x1600, v0
	v_cmp_gt_u32_e32 vcc, s56, v25
                                        ; implicit-def: $vgpr26
	s_and_saveexec_b64 s[4:5], vcc
	s_cbranch_execz .LBB159_31
; %bb.30:
	v_readfirstlane_b32 s8, v10
	v_readfirstlane_b32 s9, v11
	s_nop 4
	global_load_ubyte v26, v25, s[8:9]
.LBB159_31:
	s_or_b64 exec, exec, s[4:5]
	v_or_b32_e32 v27, 0x1800, v0
	v_cmp_gt_u32_e32 vcc, s56, v27
                                        ; implicit-def: $vgpr28
	s_and_saveexec_b64 s[4:5], vcc
	s_cbranch_execz .LBB159_33
; %bb.32:
	v_readfirstlane_b32 s8, v10
	v_readfirstlane_b32 s9, v11
	s_nop 4
	global_load_ubyte v28, v27, s[8:9]
.LBB159_33:
	s_or_b64 exec, exec, s[4:5]
	v_or_b32_e32 v29, 0x1a00, v0
	v_cmp_gt_u32_e32 vcc, s56, v29
                                        ; implicit-def: $vgpr30
	s_and_saveexec_b64 s[4:5], vcc
	s_cbranch_execz .LBB159_35
; %bb.34:
	v_readfirstlane_b32 s8, v10
	v_readfirstlane_b32 s9, v11
	s_nop 4
	global_load_ubyte v30, v29, s[8:9]
.LBB159_35:
	s_or_b64 exec, exec, s[4:5]
	v_or_b32_e32 v31, 0x1c00, v0
	v_cmp_gt_u32_e32 vcc, s56, v31
                                        ; implicit-def: $vgpr32
	s_and_saveexec_b64 s[4:5], vcc
	s_cbranch_execz .LBB159_37
; %bb.36:
	v_readfirstlane_b32 s8, v10
	v_readfirstlane_b32 s9, v11
	s_nop 4
	global_load_ubyte v32, v31, s[8:9]
.LBB159_37:
	s_or_b64 exec, exec, s[4:5]
	v_or_b32_e32 v33, 0x1e00, v0
	v_cmp_gt_u32_e32 vcc, s56, v33
                                        ; implicit-def: $vgpr34
	s_and_saveexec_b64 s[4:5], vcc
	s_cbranch_execz .LBB159_39
; %bb.38:
	v_readfirstlane_b32 s8, v10
	v_readfirstlane_b32 s9, v11
	s_nop 4
	global_load_ubyte v34, v33, s[8:9]
.LBB159_39:
	s_or_b64 exec, exec, s[4:5]
	v_or_b32_e32 v35, 0x2000, v0
	v_cmp_gt_u32_e32 vcc, s56, v35
                                        ; implicit-def: $vgpr36
	s_and_saveexec_b64 s[4:5], vcc
	s_cbranch_execz .LBB159_41
; %bb.40:
	v_readfirstlane_b32 s8, v10
	v_readfirstlane_b32 s9, v11
	s_nop 4
	global_load_ubyte v36, v35, s[8:9]
.LBB159_41:
	s_or_b64 exec, exec, s[4:5]
	v_or_b32_e32 v37, 0x2200, v0
	v_cmp_gt_u32_e32 vcc, s56, v37
                                        ; implicit-def: $vgpr38
	s_and_saveexec_b64 s[4:5], vcc
	s_cbranch_execz .LBB159_43
; %bb.42:
	v_readfirstlane_b32 s8, v10
	v_readfirstlane_b32 s9, v11
	s_nop 4
	global_load_ubyte v38, v37, s[8:9]
.LBB159_43:
	s_or_b64 exec, exec, s[4:5]
	v_or_b32_e32 v39, 0x2400, v0
	v_cmp_gt_u32_e32 vcc, s56, v39
                                        ; implicit-def: $vgpr40
	s_and_saveexec_b64 s[4:5], vcc
	s_cbranch_execz .LBB159_45
; %bb.44:
	v_readfirstlane_b32 s8, v10
	v_readfirstlane_b32 s9, v11
	s_nop 4
	global_load_ubyte v40, v39, s[8:9]
.LBB159_45:
	s_or_b64 exec, exec, s[4:5]
	v_or_b32_e32 v41, 0x2600, v0
	v_cmp_gt_u32_e32 vcc, s56, v41
                                        ; implicit-def: $vgpr42
	s_and_saveexec_b64 s[4:5], vcc
	s_cbranch_execz .LBB159_47
; %bb.46:
	v_readfirstlane_b32 s8, v10
	v_readfirstlane_b32 s9, v11
	s_nop 4
	global_load_ubyte v42, v41, s[8:9]
.LBB159_47:
	s_or_b64 exec, exec, s[4:5]
	v_or_b32_e32 v43, 0x2800, v0
	v_cmp_gt_u32_e32 vcc, s56, v43
                                        ; implicit-def: $vgpr44
	s_and_saveexec_b64 s[4:5], vcc
	s_cbranch_execz .LBB159_49
; %bb.48:
	v_readfirstlane_b32 s8, v10
	v_readfirstlane_b32 s9, v11
	s_nop 4
	global_load_ubyte v44, v43, s[8:9]
.LBB159_49:
	s_or_b64 exec, exec, s[4:5]
	v_or_b32_e32 v45, 0x2a00, v0
	v_cmp_gt_u32_e32 vcc, s56, v45
                                        ; implicit-def: $vgpr46
	s_and_saveexec_b64 s[4:5], vcc
	s_cbranch_execz .LBB159_51
; %bb.50:
	v_readfirstlane_b32 s8, v10
	v_readfirstlane_b32 s9, v11
	s_nop 4
	global_load_ubyte v46, v45, s[8:9]
.LBB159_51:
	s_or_b64 exec, exec, s[4:5]
	v_or_b32_e32 v47, 0x2c00, v0
	v_cmp_gt_u32_e32 vcc, s56, v47
                                        ; implicit-def: $vgpr48
	s_and_saveexec_b64 s[4:5], vcc
	s_cbranch_execz .LBB159_53
; %bb.52:
	v_readfirstlane_b32 s8, v10
	v_readfirstlane_b32 s9, v11
	s_nop 4
	global_load_ubyte v48, v47, s[8:9]
.LBB159_53:
	s_or_b64 exec, exec, s[4:5]
	v_or_b32_e32 v49, 0x2e00, v0
	v_cmp_gt_u32_e32 vcc, s56, v49
                                        ; implicit-def: $vgpr50
	s_and_saveexec_b64 s[4:5], vcc
	s_cbranch_execz .LBB159_55
; %bb.54:
	v_readfirstlane_b32 s8, v10
	v_readfirstlane_b32 s9, v11
	s_nop 4
	global_load_ubyte v50, v49, s[8:9]
.LBB159_55:
	s_or_b64 exec, exec, s[4:5]
	v_or_b32_e32 v51, 0x3000, v0
	v_cmp_gt_u32_e32 vcc, s56, v51
                                        ; implicit-def: $vgpr52
	s_and_saveexec_b64 s[4:5], vcc
	s_cbranch_execz .LBB159_57
; %bb.56:
	v_readfirstlane_b32 s8, v10
	v_readfirstlane_b32 s9, v11
	s_nop 4
	global_load_ubyte v52, v51, s[8:9]
.LBB159_57:
	s_or_b64 exec, exec, s[4:5]
	v_or_b32_e32 v53, 0x3200, v0
	v_cmp_gt_u32_e32 vcc, s56, v53
                                        ; implicit-def: $vgpr54
	s_and_saveexec_b64 s[4:5], vcc
	s_cbranch_execz .LBB159_59
; %bb.58:
	v_readfirstlane_b32 s8, v10
	v_readfirstlane_b32 s9, v11
	s_nop 4
	global_load_ubyte v54, v53, s[8:9]
.LBB159_59:
	s_or_b64 exec, exec, s[4:5]
	v_or_b32_e32 v55, 0x3400, v0
	v_cmp_gt_u32_e32 vcc, s56, v55
                                        ; implicit-def: $vgpr56
	s_and_saveexec_b64 s[4:5], vcc
	s_cbranch_execz .LBB159_61
; %bb.60:
	v_readfirstlane_b32 s8, v10
	v_readfirstlane_b32 s9, v11
	s_nop 4
	global_load_ubyte v56, v55, s[8:9]
.LBB159_61:
	s_or_b64 exec, exec, s[4:5]
	v_or_b32_e32 v57, 0x3600, v0
	v_cmp_gt_u32_e32 vcc, s56, v57
                                        ; implicit-def: $vgpr58
	s_and_saveexec_b64 s[4:5], vcc
	s_cbranch_execz .LBB159_63
; %bb.62:
	v_readfirstlane_b32 s8, v10
	v_readfirstlane_b32 s9, v11
	s_nop 4
	global_load_ubyte v58, v57, s[8:9]
.LBB159_63:
	s_or_b64 exec, exec, s[4:5]
	v_or_b32_e32 v59, 0x3800, v0
	v_cmp_gt_u32_e32 vcc, s56, v59
                                        ; implicit-def: $vgpr60
	s_and_saveexec_b64 s[4:5], vcc
	s_cbranch_execz .LBB159_65
; %bb.64:
	v_readfirstlane_b32 s8, v10
	v_readfirstlane_b32 s9, v11
	s_nop 4
	global_load_ubyte v60, v59, s[8:9]
.LBB159_65:
	s_or_b64 exec, exec, s[4:5]
	v_or_b32_e32 v61, 0x3a00, v0
	v_cmp_gt_u32_e32 vcc, s56, v61
                                        ; implicit-def: $vgpr62
	s_and_saveexec_b64 s[4:5], vcc
	s_cbranch_execz .LBB159_67
; %bb.66:
	v_readfirstlane_b32 s8, v10
	v_readfirstlane_b32 s9, v11
	s_nop 4
	global_load_ubyte v62, v61, s[8:9]
.LBB159_67:
	s_or_b64 exec, exec, s[4:5]
	v_or_b32_e32 v63, 0x3c00, v0
	v_cmp_gt_u32_e32 vcc, s56, v63
                                        ; implicit-def: $vgpr64
	s_and_saveexec_b64 s[4:5], vcc
	s_cbranch_execz .LBB159_69
; %bb.68:
	v_readfirstlane_b32 s8, v10
	v_readfirstlane_b32 s9, v11
	s_nop 4
	global_load_ubyte v64, v63, s[8:9]
.LBB159_69:
	s_or_b64 exec, exec, s[4:5]
	v_or_b32_e32 v65, 0x3e00, v0
	v_cmp_gt_u32_e32 vcc, s56, v65
                                        ; implicit-def: $vgpr66
	s_and_saveexec_b64 s[4:5], vcc
	s_cbranch_execz .LBB159_71
; %bb.70:
	v_readfirstlane_b32 s8, v10
	v_readfirstlane_b32 s9, v11
	s_nop 4
	global_load_ubyte v66, v65, s[8:9]
.LBB159_71:
	s_or_b64 exec, exec, s[4:5]
	v_and_b32_e32 v4, 12, v4
	v_add_u32_e32 v4, v4, v0
	s_waitcnt vmcnt(0)
	ds_write_b8 v4, v1
	v_lshrrev_b32_e32 v1, 5, v2
	v_and_b32_e32 v1, 28, v1
	v_add_u32_e32 v1, v1, v0
	ds_write_b8 v1, v3 offset:512
	v_lshrrev_b32_e32 v1, 5, v5
	v_and_b32_e32 v1, 60, v1
	v_add_u32_e32 v1, v1, v0
	ds_write_b8 v1, v6 offset:1024
	;; [unrolled: 4-line block ×31, first 2 shown]
	s_waitcnt lgkmcnt(0)
	s_barrier
.LBB159_72:
	v_lshlrev_b32_e32 v12, 5, v0
	v_and_b32_e32 v1, 0x1fc, v0
	v_add_u32_e32 v1, v1, v12
	ds_read2_b32 v[2:3], v1 offset0:6 offset1:7
	ds_read2_b32 v[8:9], v1 offset1:1
	ds_read2_b32 v[6:7], v1 offset0:2 offset1:3
	ds_read2_b32 v[4:5], v1 offset0:4 offset1:5
	s_cmp_lg_u32 s33, 0
	s_cselect_b64 s[16:17], -1, 0
	s_cmp_lg_u64 s[6:7], 0
	s_cselect_b64 s[6:7], -1, 0
	s_or_b64 s[6:7], s[6:7], s[16:17]
	s_waitcnt lgkmcnt(3)
	v_lshrrev_b32_e32 v24, 8, v2
	v_lshrrev_b32_e32 v23, 16, v2
	v_lshrrev_b32_e32 v22, 24, v2
	v_lshrrev_b32_e32 v21, 8, v3
	v_lshrrev_b32_e32 v20, 16, v3
	v_lshrrev_b32_e32 v1, 24, v3
	s_waitcnt lgkmcnt(2)
	v_lshrrev_b32_e32 v49, 8, v8
	v_lshrrev_b32_e32 v47, 16, v8
	v_lshrrev_b32_e32 v46, 24, v8
	v_lshrrev_b32_e32 v44, 8, v9
	v_lshrrev_b32_e32 v42, 16, v9
	v_lshrrev_b32_e32 v41, 24, v9
	;; [unrolled: 7-line block ×4, first 2 shown]
	s_mov_b64 s[4:5], 0
	s_and_b64 vcc, exec, s[6:7]
	s_barrier
	s_cbranch_vccz .LBB159_77
; %bb.73:
	global_load_ubyte v10, v[10:11], off offset:-1
	s_and_b64 vcc, exec, s[28:29]
	ds_write_b8 v0, v1
	s_cbranch_vccz .LBB159_79
; %bb.74:
	s_waitcnt vmcnt(0)
	v_mov_b32_e32 v11, v10
	s_waitcnt lgkmcnt(0)
	s_barrier
	s_and_saveexec_b64 s[4:5], s[2:3]
	s_cbranch_execz .LBB159_76
; %bb.75:
	v_add_u32_e32 v11, -1, v0
	ds_read_u8 v11, v11
.LBB159_76:
	s_or_b64 exec, exec, s[4:5]
	v_cmp_ne_u16_sdwa s[4:5], v20, v1 src0_sel:BYTE_0 src1_sel:DWORD
	s_waitcnt lgkmcnt(0)
	v_cmp_ne_u16_sdwa s[6:7], v11, v8 src0_sel:BYTE_0 src1_sel:BYTE_0
	v_cndmask_b32_e64 v33, 0, 1, s[4:5]
	v_cmp_ne_u16_sdwa s[4:5], v21, v20 src0_sel:BYTE_0 src1_sel:BYTE_0
	s_nop 1
	v_cndmask_b32_e64 v35, 0, 1, s[4:5]
	v_cmp_ne_u16_sdwa s[4:5], v3, v21 src0_sel:BYTE_0 src1_sel:BYTE_0
	s_nop 1
	v_cndmask_b32_e64 v38, 0, 1, s[4:5]
	v_cmp_ne_u16_sdwa s[4:5], v22, v3 src0_sel:DWORD src1_sel:BYTE_0
	s_nop 1
	v_cndmask_b32_e64 v40, 0, 1, s[4:5]
	v_cmp_ne_u16_sdwa s[4:5], v23, v22 src0_sel:BYTE_0 src1_sel:DWORD
	s_nop 1
	v_cndmask_b32_e64 v43, 0, 1, s[4:5]
	v_cmp_ne_u16_sdwa s[4:5], v24, v23 src0_sel:BYTE_0 src1_sel:BYTE_0
	s_nop 1
	v_cndmask_b32_e64 v45, 0, 1, s[4:5]
	v_cmp_ne_u16_sdwa s[4:5], v2, v24 src0_sel:BYTE_0 src1_sel:BYTE_0
	s_nop 1
	v_cndmask_b32_e64 v48, 0, 1, s[4:5]
	v_cmp_ne_u16_sdwa s[4:5], v25, v2 src0_sel:DWORD src1_sel:BYTE_0
	s_nop 1
	v_cndmask_b32_e64 v50, 0, 1, s[4:5]
	v_cmp_ne_u16_sdwa s[4:5], v26, v25 src0_sel:BYTE_0 src1_sel:DWORD
	s_nop 1
	;; [unrolled: 12-line block ×7, first 2 shown]
	v_cndmask_b32_e64 v71, 0, 1, s[4:5]
	v_cmp_ne_u16_sdwa s[4:5], v49, v47 src0_sel:BYTE_0 src1_sel:BYTE_0
	s_nop 1
	v_cndmask_b32_e64 v72, 0, 1, s[4:5]
	v_cmp_ne_u16_sdwa s[4:5], v8, v49 src0_sel:BYTE_0 src1_sel:BYTE_0
	s_nop 1
	v_cndmask_b32_e64 v73, 0, 1, s[4:5]
	s_branch .LBB159_83
.LBB159_77:
                                        ; implicit-def: $sgpr6_sgpr7
                                        ; implicit-def: $vgpr73
                                        ; implicit-def: $vgpr72
                                        ; implicit-def: $vgpr71
                                        ; implicit-def: $vgpr70
                                        ; implicit-def: $vgpr69
                                        ; implicit-def: $vgpr68
                                        ; implicit-def: $vgpr67
                                        ; implicit-def: $vgpr66
                                        ; implicit-def: $vgpr65
                                        ; implicit-def: $vgpr64
                                        ; implicit-def: $vgpr63
                                        ; implicit-def: $vgpr62
                                        ; implicit-def: $vgpr61
                                        ; implicit-def: $vgpr60
                                        ; implicit-def: $vgpr59
                                        ; implicit-def: $vgpr58
                                        ; implicit-def: $vgpr57
                                        ; implicit-def: $vgpr56
                                        ; implicit-def: $vgpr55
                                        ; implicit-def: $vgpr54
                                        ; implicit-def: $vgpr53
                                        ; implicit-def: $vgpr52
                                        ; implicit-def: $vgpr51
                                        ; implicit-def: $vgpr50
                                        ; implicit-def: $vgpr48
                                        ; implicit-def: $vgpr45
                                        ; implicit-def: $vgpr43
                                        ; implicit-def: $vgpr40
                                        ; implicit-def: $vgpr38
                                        ; implicit-def: $vgpr35
                                        ; implicit-def: $vgpr33
	s_branch .LBB159_84
.LBB159_78:
                                        ; implicit-def: $sgpr10
	v_mov_b32_e32 v74, s10
	s_and_saveexec_b64 s[2:3], s[4:5]
	s_cbranch_execnz .LBB159_92
	s_branch .LBB159_93
.LBB159_79:
                                        ; implicit-def: $sgpr6_sgpr7
                                        ; implicit-def: $vgpr73
                                        ; implicit-def: $vgpr72
                                        ; implicit-def: $vgpr71
                                        ; implicit-def: $vgpr70
                                        ; implicit-def: $vgpr69
                                        ; implicit-def: $vgpr68
                                        ; implicit-def: $vgpr67
                                        ; implicit-def: $vgpr66
                                        ; implicit-def: $vgpr65
                                        ; implicit-def: $vgpr64
                                        ; implicit-def: $vgpr63
                                        ; implicit-def: $vgpr62
                                        ; implicit-def: $vgpr61
                                        ; implicit-def: $vgpr60
                                        ; implicit-def: $vgpr59
                                        ; implicit-def: $vgpr58
                                        ; implicit-def: $vgpr57
                                        ; implicit-def: $vgpr56
                                        ; implicit-def: $vgpr55
                                        ; implicit-def: $vgpr54
                                        ; implicit-def: $vgpr53
                                        ; implicit-def: $vgpr52
                                        ; implicit-def: $vgpr51
                                        ; implicit-def: $vgpr50
                                        ; implicit-def: $vgpr48
                                        ; implicit-def: $vgpr45
                                        ; implicit-def: $vgpr43
                                        ; implicit-def: $vgpr40
                                        ; implicit-def: $vgpr38
                                        ; implicit-def: $vgpr35
                                        ; implicit-def: $vgpr33
	s_cbranch_execz .LBB159_83
; %bb.80:
	s_waitcnt lgkmcnt(0)
	s_barrier
	s_and_saveexec_b64 s[4:5], s[2:3]
	s_cbranch_execz .LBB159_82
; %bb.81:
	s_waitcnt vmcnt(0)
	v_add_u32_e32 v10, -1, v0
	ds_read_u8 v10, v10
.LBB159_82:
	s_or_b64 exec, exec, s[4:5]
	v_or_b32_e32 v11, 31, v12
	v_cmp_gt_u32_e32 vcc, s56, v11
	v_cmp_ne_u16_sdwa s[4:5], v20, v1 src0_sel:BYTE_0 src1_sel:BYTE_0
	s_and_b64 s[4:5], vcc, s[4:5]
	v_or_b32_e32 v11, 30, v12
	v_cndmask_b32_e64 v33, 0, 1, s[4:5]
	v_cmp_gt_u32_e32 vcc, s56, v11
	v_cmp_ne_u16_sdwa s[4:5], v21, v20 src0_sel:BYTE_0 src1_sel:BYTE_0
	s_and_b64 s[4:5], vcc, s[4:5]
	v_or_b32_e32 v11, 29, v12
	v_cndmask_b32_e64 v35, 0, 1, s[4:5]
	;; [unrolled: 5-line block ×30, first 2 shown]
	v_cmp_gt_u32_e32 vcc, s56, v11
	v_cmp_ne_u16_sdwa s[4:5], v8, v49 src0_sel:BYTE_0 src1_sel:BYTE_0
	s_and_b64 s[4:5], vcc, s[4:5]
	v_cmp_gt_u32_e32 vcc, s56, v12
	v_cndmask_b32_e64 v73, 0, 1, s[4:5]
	s_waitcnt vmcnt(0) lgkmcnt(0)
	v_cmp_ne_u16_sdwa s[4:5], v10, v8 src0_sel:BYTE_0 src1_sel:BYTE_0
	s_and_b64 s[6:7], vcc, s[4:5]
.LBB159_83:
	s_mov_b64 s[4:5], -1
	s_cbranch_execnz .LBB159_78
.LBB159_84:
	s_and_b64 vcc, exec, s[28:29]
	v_cmp_ne_u16_sdwa s[52:53], v21, v20 src0_sel:BYTE_0 src1_sel:BYTE_0
	v_cmp_ne_u16_sdwa s[54:55], v3, v21 src0_sel:BYTE_0 src1_sel:BYTE_0
	;; [unrolled: 1-line block ×16, first 2 shown]
	ds_write_b8 v0, v1
	s_cbranch_vccz .LBB159_88
; %bb.85:
	v_cndmask_b32_e64 v35, 0, 1, s[52:53]
	v_cmp_ne_u16_sdwa s[52:53], v22, v3 src0_sel:DWORD src1_sel:BYTE_0
	v_cndmask_b32_e64 v45, 0, 1, s[48:49]
	v_cmp_ne_u16_sdwa s[48:49], v25, v2 src0_sel:DWORD src1_sel:BYTE_0
	v_cndmask_b32_e64 v52, 0, 1, s[44:45]
	v_cmp_ne_u16_sdwa s[44:45], v28, v5 src0_sel:DWORD src1_sel:BYTE_0
	v_cndmask_b32_e64 v56, 0, 1, s[40:41]
	v_cmp_ne_u16_sdwa s[40:41], v31, v4 src0_sel:DWORD src1_sel:BYTE_0
	v_cndmask_b32_e64 v60, 0, 1, s[36:37]
	v_cmp_ne_u16_sdwa s[36:37], v36, v7 src0_sel:DWORD src1_sel:BYTE_0
	v_cndmask_b32_e64 v64, 0, 1, s[14:15]
	v_cmp_ne_u16_sdwa s[14:15], v41, v6 src0_sel:DWORD src1_sel:BYTE_0
	v_cndmask_b32_e64 v68, 0, 1, s[10:11]
	v_cmp_ne_u16_sdwa s[10:11], v46, v9 src0_sel:DWORD src1_sel:BYTE_0
	v_cmp_ne_u16_sdwa s[58:59], v20, v1 src0_sel:BYTE_0 src1_sel:DWORD
	v_cndmask_b32_e64 v40, 0, 1, s[52:53]
	v_cmp_ne_u16_sdwa s[52:53], v23, v22 src0_sel:BYTE_0 src1_sel:DWORD
	v_cndmask_b32_e64 v50, 0, 1, s[48:49]
	;; [unrolled: 2-line block ×8, first 2 shown]
	v_cndmask_b32_e64 v38, 0, 1, s[54:55]
	v_cndmask_b32_e64 v43, 0, 1, s[52:53]
	;; [unrolled: 1-line block ×16, first 2 shown]
	s_waitcnt lgkmcnt(0)
	s_barrier
	s_waitcnt lgkmcnt(0)
                                        ; implicit-def: $sgpr6_sgpr7
	s_and_saveexec_b64 s[8:9], s[2:3]
	s_xor_b64 s[8:9], exec, s[8:9]
	s_cbranch_execz .LBB159_87
; %bb.86:
	s_waitcnt vmcnt(0)
	v_add_u32_e32 v10, -1, v0
	ds_read_u8 v10, v10
	s_or_b64 s[4:5], s[4:5], exec
	s_waitcnt lgkmcnt(0)
	v_cmp_ne_u16_sdwa s[6:7], v10, v8 src0_sel:DWORD src1_sel:BYTE_0
	s_and_b64 s[6:7], s[6:7], exec
.LBB159_87:
	s_or_b64 exec, exec, s[8:9]
	s_mov_b32 s10, 1
	s_branch .LBB159_91
.LBB159_88:
                                        ; implicit-def: $sgpr6_sgpr7
                                        ; implicit-def: $vgpr73
                                        ; implicit-def: $vgpr72
                                        ; implicit-def: $vgpr71
                                        ; implicit-def: $vgpr70
                                        ; implicit-def: $vgpr69
                                        ; implicit-def: $vgpr68
                                        ; implicit-def: $vgpr67
                                        ; implicit-def: $vgpr66
                                        ; implicit-def: $vgpr65
                                        ; implicit-def: $vgpr64
                                        ; implicit-def: $vgpr63
                                        ; implicit-def: $vgpr62
                                        ; implicit-def: $vgpr61
                                        ; implicit-def: $vgpr60
                                        ; implicit-def: $vgpr59
                                        ; implicit-def: $vgpr58
                                        ; implicit-def: $vgpr57
                                        ; implicit-def: $vgpr56
                                        ; implicit-def: $vgpr55
                                        ; implicit-def: $vgpr54
                                        ; implicit-def: $vgpr53
                                        ; implicit-def: $vgpr52
                                        ; implicit-def: $vgpr51
                                        ; implicit-def: $vgpr50
                                        ; implicit-def: $vgpr48
                                        ; implicit-def: $vgpr45
                                        ; implicit-def: $vgpr43
                                        ; implicit-def: $vgpr40
                                        ; implicit-def: $vgpr38
                                        ; implicit-def: $vgpr35
                                        ; implicit-def: $vgpr33
                                        ; implicit-def: $sgpr10
	s_cbranch_execz .LBB159_91
; %bb.89:
	s_waitcnt vmcnt(0)
	v_or_b32_e32 v10, 31, v12
	v_cmp_gt_u32_e32 vcc, s56, v10
	v_cmp_ne_u16_sdwa s[6:7], v20, v1 src0_sel:BYTE_0 src1_sel:BYTE_0
	s_and_b64 s[6:7], vcc, s[6:7]
	v_or_b32_e32 v10, 30, v12
	v_cndmask_b32_e64 v33, 0, 1, s[6:7]
	v_cmp_gt_u32_e32 vcc, s56, v10
	v_cmp_ne_u16_sdwa s[6:7], v21, v20 src0_sel:BYTE_0 src1_sel:BYTE_0
	s_and_b64 s[6:7], vcc, s[6:7]
	v_or_b32_e32 v10, 29, v12
	v_cndmask_b32_e64 v35, 0, 1, s[6:7]
	;; [unrolled: 5-line block ×30, first 2 shown]
	v_cmp_gt_u32_e32 vcc, s56, v10
	v_cmp_ne_u16_sdwa s[6:7], v8, v49 src0_sel:BYTE_0 src1_sel:BYTE_0
	s_and_b64 s[6:7], vcc, s[6:7]
	s_mov_b32 s10, 1
	v_cndmask_b32_e64 v73, 0, 1, s[6:7]
	s_waitcnt lgkmcnt(0)
	s_barrier
	s_waitcnt lgkmcnt(0)
                                        ; implicit-def: $sgpr6_sgpr7
	s_and_saveexec_b64 s[8:9], s[2:3]
	s_cbranch_execz .LBB159_311
; %bb.90:
	v_add_u32_e32 v10, -1, v0
	ds_read_u8 v10, v10
	v_cmp_gt_u32_e32 vcc, s56, v12
	s_or_b64 s[4:5], s[4:5], exec
	s_waitcnt lgkmcnt(0)
	v_and_b32_e32 v10, 0xff, v10
	v_cmp_ne_u16_sdwa s[2:3], v10, v8 src0_sel:DWORD src1_sel:BYTE_0
	s_and_b64 s[2:3], vcc, s[2:3]
	s_and_b64 s[6:7], s[2:3], exec
	s_or_b64 exec, exec, s[8:9]
.LBB159_91:
	v_mov_b32_e32 v74, s10
	s_and_saveexec_b64 s[2:3], s[4:5]
.LBB159_92:
	v_cndmask_b32_e64 v74, 0, 1, s[6:7]
.LBB159_93:
	s_or_b64 exec, exec, s[2:3]
	s_andn2_b64 vcc, exec, s[0:1]
	s_cbranch_vccnz .LBB159_95
; %bb.94:
	v_cmp_gt_u32_e32 vcc, s56, v12
	s_waitcnt vmcnt(0)
	v_or_b32_e32 v10, 1, v12
	v_cndmask_b32_e32 v74, 0, v74, vcc
	v_cmp_gt_u32_e32 vcc, s56, v10
	v_or_b32_e32 v10, 2, v12
	s_nop 0
	v_cndmask_b32_e32 v73, 0, v73, vcc
	v_cmp_gt_u32_e32 vcc, s56, v10
	v_or_b32_e32 v10, 3, v12
	s_nop 0
	;; [unrolled: 4-line block ×30, first 2 shown]
	v_cndmask_b32_e32 v35, 0, v35, vcc
	v_cmp_gt_u32_e32 vcc, s56, v10
	s_nop 1
	v_cndmask_b32_e32 v33, 0, v33, vcc
.LBB159_95:
	v_and_b32_e32 v115, 0xff, v40
	v_and_b32_e32 v116, 0xff, v38
	s_waitcnt vmcnt(0)
	v_add_u32_sdwa v10, v35, v33 dst_sel:DWORD dst_unused:UNUSED_PAD src0_sel:BYTE_0 src1_sel:BYTE_0
	v_and_b32_e32 v113, 0xff, v45
	v_and_b32_e32 v114, 0xff, v43
	v_add3_u32 v10, v10, v116, v115
	v_and_b32_e32 v111, 0xff, v50
	v_and_b32_e32 v112, 0xff, v48
	v_add3_u32 v10, v10, v114, v113
	;; [unrolled: 3-line block ×14, first 2 shown]
	v_add3_u32 v89, v10, v76, v75
	v_mbcnt_lo_u32_b32 v10, -1, 0
	v_mbcnt_hi_u32_b32 v87, -1, v10
	v_and_b32_e32 v10, 15, v87
	v_cmp_eq_u32_e64 s[14:15], 0, v10
	v_cmp_lt_u32_e64 s[12:13], 1, v10
	v_cmp_lt_u32_e64 s[10:11], 3, v10
	v_cmp_lt_u32_e64 s[8:9], 7, v10
	v_and_b32_e32 v10, 16, v87
	v_cmp_eq_u32_e64 s[6:7], 0, v10
	v_or_b32_e32 v10, 63, v0
	v_cmp_lt_u32_e64 s[2:3], 31, v87
	v_lshrrev_b32_e32 v88, 6, v0
	v_cmp_eq_u32_e64 s[4:5], v10, v0
	s_and_b64 vcc, exec, s[16:17]
	s_waitcnt lgkmcnt(0)
	s_barrier
	s_cbranch_vccz .LBB159_122
; %bb.96:
	v_mov_b32_dpp v10, v89 row_shr:1 row_mask:0xf bank_mask:0xf
	v_cndmask_b32_e64 v10, v10, 0, s[14:15]
	v_add_u32_e32 v10, v10, v89
	s_nop 1
	v_mov_b32_dpp v11, v10 row_shr:2 row_mask:0xf bank_mask:0xf
	v_cndmask_b32_e64 v11, 0, v11, s[12:13]
	v_add_u32_e32 v10, v10, v11
	s_nop 1
	;; [unrolled: 4-line block ×4, first 2 shown]
	v_mov_b32_dpp v11, v10 row_bcast:15 row_mask:0xf bank_mask:0xf
	v_cndmask_b32_e64 v11, v11, 0, s[6:7]
	v_add_u32_e32 v10, v10, v11
	s_nop 1
	v_mov_b32_dpp v11, v10 row_bcast:31 row_mask:0xf bank_mask:0xf
	v_cndmask_b32_e64 v11, 0, v11, s[2:3]
	v_add_u32_e32 v10, v10, v11
	s_and_saveexec_b64 s[0:1], s[4:5]
	s_cbranch_execz .LBB159_98
; %bb.97:
	v_lshlrev_b32_e32 v11, 2, v88
	ds_write_b32 v11, v10
.LBB159_98:
	s_or_b64 exec, exec, s[0:1]
	v_cmp_gt_u32_e32 vcc, 8, v0
	s_waitcnt lgkmcnt(0)
	s_barrier
	s_and_saveexec_b64 s[0:1], vcc
	s_cbranch_execz .LBB159_100
; %bb.99:
	v_lshlrev_b32_e32 v11, 2, v0
	ds_read_b32 v12, v11
	v_and_b32_e32 v13, 7, v87
	v_cmp_ne_u32_e32 vcc, 0, v13
	s_waitcnt lgkmcnt(0)
	v_mov_b32_dpp v14, v12 row_shr:1 row_mask:0xf bank_mask:0xf
	v_cndmask_b32_e32 v14, 0, v14, vcc
	v_add_u32_e32 v12, v14, v12
	v_cmp_lt_u32_e32 vcc, 1, v13
	s_nop 0
	v_mov_b32_dpp v14, v12 row_shr:2 row_mask:0xf bank_mask:0xf
	v_cndmask_b32_e32 v14, 0, v14, vcc
	v_add_u32_e32 v12, v12, v14
	v_cmp_lt_u32_e32 vcc, 3, v13
	s_nop 0
	v_mov_b32_dpp v14, v12 row_shr:4 row_mask:0xf bank_mask:0xf
	v_cndmask_b32_e32 v13, 0, v14, vcc
	v_add_u32_e32 v12, v12, v13
	ds_write_b32 v11, v12
.LBB159_100:
	s_or_b64 exec, exec, s[0:1]
	v_cmp_gt_u32_e32 vcc, 64, v0
	v_cmp_lt_u32_e64 s[0:1], 63, v0
	s_waitcnt lgkmcnt(0)
	s_barrier
	s_waitcnt lgkmcnt(0)
                                        ; implicit-def: $vgpr90
	s_and_saveexec_b64 s[16:17], s[0:1]
	s_cbranch_execz .LBB159_102
; %bb.101:
	v_lshl_add_u32 v11, v88, 2, -4
	ds_read_b32 v90, v11
	s_waitcnt lgkmcnt(0)
	v_add_u32_e32 v10, v90, v10
.LBB159_102:
	s_or_b64 exec, exec, s[16:17]
	v_add_u32_e32 v11, -1, v87
	v_and_b32_e32 v12, 64, v87
	v_cmp_lt_i32_e64 s[0:1], v11, v12
	v_cmp_eq_u32_e64 s[16:17], 0, v87
	s_nop 0
	v_cndmask_b32_e64 v11, v11, v87, s[0:1]
	v_lshlrev_b32_e32 v11, 2, v11
	ds_bpermute_b32 v91, v11, v10
	s_and_saveexec_b64 s[0:1], vcc
	s_cbranch_execz .LBB159_121
; %bb.103:
	v_mov_b32_e32 v17, 0
	ds_read_b32 v10, v17 offset:28
	s_and_saveexec_b64 s[34:35], s[16:17]
	s_cbranch_execz .LBB159_105
; %bb.104:
	s_add_i32 s36, s33, 64
	s_mov_b32 s37, 0
	s_lshl_b64 s[36:37], s[36:37], 3
	s_add_u32 s36, s30, s36
	v_mov_b32_e32 v11, 1
	s_addc_u32 s37, s31, s37
	s_waitcnt lgkmcnt(0)
	global_store_dwordx2 v17, v[10:11], s[36:37] sc1
.LBB159_105:
	s_or_b64 exec, exec, s[34:35]
	v_xad_u32 v12, v87, -1, s33
	v_add_u32_e32 v16, 64, v12
	v_lshl_add_u64 v[18:19], v[16:17], 3, s[30:31]
	global_load_dwordx2 v[14:15], v[18:19], off sc1
	s_waitcnt vmcnt(0)
	v_cmp_eq_u16_sdwa s[36:37], v15, v17 src0_sel:BYTE_0 src1_sel:DWORD
	s_and_saveexec_b64 s[34:35], s[36:37]
	s_cbranch_execz .LBB159_109
; %bb.106:
	s_mov_b64 s[36:37], 0
	v_mov_b32_e32 v11, 0
.LBB159_107:                            ; =>This Inner Loop Header: Depth=1
	global_load_dwordx2 v[14:15], v[18:19], off sc1
	s_waitcnt vmcnt(0)
	v_cmp_ne_u16_sdwa s[38:39], v15, v11 src0_sel:BYTE_0 src1_sel:DWORD
	s_or_b64 s[36:37], s[38:39], s[36:37]
	s_andn2_b64 exec, exec, s[36:37]
	s_cbranch_execnz .LBB159_107
; %bb.108:
	s_or_b64 exec, exec, s[36:37]
.LBB159_109:
	s_or_b64 exec, exec, s[34:35]
	v_and_b32_e32 v93, 63, v87
	v_mov_b32_e32 v92, 2
	v_cmp_ne_u32_e32 vcc, 63, v93
	v_cmp_eq_u16_sdwa s[34:35], v15, v92 src0_sel:BYTE_0 src1_sel:DWORD
	v_lshlrev_b64 v[16:17], v87, -1
	v_addc_co_u32_e32 v18, vcc, 0, v87, vcc
	v_and_b32_e32 v11, s35, v17
	v_lshlrev_b32_e32 v94, 2, v18
	v_or_b32_e32 v11, 0x80000000, v11
	ds_bpermute_b32 v18, v94, v14
	v_and_b32_e32 v13, s34, v16
	v_ffbl_b32_e32 v11, v11
	v_add_u32_e32 v11, 32, v11
	v_ffbl_b32_e32 v13, v13
	v_min_u32_e32 v11, v13, v11
	v_cmp_lt_u32_e32 vcc, v93, v11
	v_add_u32_e32 v96, 2, v93
	v_add_u32_e32 v98, 4, v93
	s_waitcnt lgkmcnt(0)
	v_cndmask_b32_e32 v13, 0, v18, vcc
	v_cmp_gt_u32_e32 vcc, 62, v93
	v_add_u32_e32 v13, v13, v14
	v_add_u32_e32 v118, 8, v93
	v_cndmask_b32_e64 v14, 0, 1, vcc
	v_lshlrev_b32_e32 v14, 1, v14
	v_add_lshl_u32 v95, v14, v87, 2
	ds_bpermute_b32 v14, v95, v13
	v_cmp_le_u32_e32 vcc, v96, v11
	v_add_u32_e32 v120, 16, v93
	v_add_u32_e32 v122, 32, v93
	s_waitcnt lgkmcnt(0)
	v_cndmask_b32_e32 v14, 0, v14, vcc
	v_cmp_gt_u32_e32 vcc, 60, v93
	v_add_u32_e32 v13, v13, v14
	s_nop 0
	v_cndmask_b32_e64 v14, 0, 1, vcc
	v_lshlrev_b32_e32 v14, 2, v14
	v_add_lshl_u32 v97, v14, v87, 2
	ds_bpermute_b32 v14, v97, v13
	v_cmp_le_u32_e32 vcc, v98, v11
	s_waitcnt lgkmcnt(0)
	s_nop 0
	v_cndmask_b32_e32 v14, 0, v14, vcc
	v_cmp_gt_u32_e32 vcc, 56, v93
	v_add_u32_e32 v13, v13, v14
	s_nop 0
	v_cndmask_b32_e64 v14, 0, 1, vcc
	v_lshlrev_b32_e32 v14, 3, v14
	v_add_lshl_u32 v117, v14, v87, 2
	ds_bpermute_b32 v14, v117, v13
	v_cmp_le_u32_e32 vcc, v118, v11
	s_waitcnt lgkmcnt(0)
	s_nop 0
	;; [unrolled: 11-line block ×4, first 2 shown]
	v_cndmask_b32_e32 v11, 0, v14, vcc
	v_add_u32_e32 v14, v13, v11
	v_mov_b32_e32 v13, 0
	s_branch .LBB159_111
.LBB159_110:                            ;   in Loop: Header=BB159_111 Depth=1
	s_or_b64 exec, exec, s[34:35]
	v_cmp_eq_u16_sdwa s[34:35], v15, v92 src0_sel:BYTE_0 src1_sel:DWORD
	ds_bpermute_b32 v123, v94, v14
	v_subrev_u32_e32 v12, 64, v12
	v_and_b32_e32 v18, s35, v17
	v_or_b32_e32 v18, 0x80000000, v18
	v_and_b32_e32 v19, s34, v16
	v_ffbl_b32_e32 v18, v18
	v_add_u32_e32 v18, 32, v18
	v_ffbl_b32_e32 v19, v19
	v_min_u32_e32 v18, v19, v18
	v_cmp_lt_u32_e32 vcc, v93, v18
	s_waitcnt lgkmcnt(0)
	s_nop 0
	v_cndmask_b32_e32 v19, 0, v123, vcc
	v_add_u32_e32 v14, v19, v14
	ds_bpermute_b32 v19, v95, v14
	v_cmp_le_u32_e32 vcc, v96, v18
	s_waitcnt lgkmcnt(0)
	s_nop 0
	v_cndmask_b32_e32 v19, 0, v19, vcc
	v_add_u32_e32 v14, v14, v19
	ds_bpermute_b32 v19, v97, v14
	v_cmp_le_u32_e32 vcc, v98, v18
	;; [unrolled: 6-line block ×5, first 2 shown]
	s_waitcnt lgkmcnt(0)
	s_nop 0
	v_cndmask_b32_e32 v18, 0, v19, vcc
	v_add3_u32 v14, v18, v11, v14
.LBB159_111:                            ; =>This Loop Header: Depth=1
                                        ;     Child Loop BB159_114 Depth 2
	v_cmp_ne_u16_sdwa s[34:35], v15, v92 src0_sel:BYTE_0 src1_sel:DWORD
	s_nop 1
	v_cndmask_b32_e64 v11, 0, 1, s[34:35]
	;;#ASMSTART
	;;#ASMEND
	s_nop 0
	v_cmp_ne_u32_e32 vcc, 0, v11
	s_cmp_lg_u64 vcc, exec
	v_mov_b32_e32 v11, v14
	s_cbranch_scc1 .LBB159_116
; %bb.112:                              ;   in Loop: Header=BB159_111 Depth=1
	v_lshl_add_u64 v[18:19], v[12:13], 3, s[30:31]
	global_load_dwordx2 v[14:15], v[18:19], off sc1
	s_waitcnt vmcnt(0)
	v_cmp_eq_u16_sdwa s[36:37], v15, v13 src0_sel:BYTE_0 src1_sel:DWORD
	s_and_saveexec_b64 s[34:35], s[36:37]
	s_cbranch_execz .LBB159_110
; %bb.113:                              ;   in Loop: Header=BB159_111 Depth=1
	s_mov_b64 s[36:37], 0
.LBB159_114:                            ;   Parent Loop BB159_111 Depth=1
                                        ; =>  This Inner Loop Header: Depth=2
	global_load_dwordx2 v[14:15], v[18:19], off sc1
	s_waitcnt vmcnt(0)
	v_cmp_ne_u16_sdwa s[38:39], v15, v13 src0_sel:BYTE_0 src1_sel:DWORD
	s_or_b64 s[36:37], s[38:39], s[36:37]
	s_andn2_b64 exec, exec, s[36:37]
	s_cbranch_execnz .LBB159_114
; %bb.115:                              ;   in Loop: Header=BB159_111 Depth=1
	s_or_b64 exec, exec, s[36:37]
	s_branch .LBB159_110
.LBB159_116:                            ;   in Loop: Header=BB159_111 Depth=1
                                        ; implicit-def: $vgpr14
                                        ; implicit-def: $vgpr15
	s_cbranch_execz .LBB159_111
; %bb.117:
	s_and_saveexec_b64 s[34:35], s[16:17]
	s_cbranch_execz .LBB159_119
; %bb.118:
	s_add_i32 s36, s33, 64
	s_mov_b32 s37, 0
	s_lshl_b64 s[36:37], s[36:37], 3
	s_add_u32 s36, s30, s36
	v_add_u32_e32 v12, v11, v10
	v_mov_b32_e32 v13, 2
	s_addc_u32 s37, s31, s37
	v_mov_b32_e32 v14, 0
	global_store_dwordx2 v14, v[12:13], s[36:37] sc1
	ds_write_b64 v14, v[10:11] offset:16896
.LBB159_119:
	s_or_b64 exec, exec, s[34:35]
	s_and_b64 exec, exec, s[18:19]
	s_cbranch_execz .LBB159_121
; %bb.120:
	v_mov_b32_e32 v10, 0
	ds_write_b32 v10, v11 offset:28
.LBB159_121:
	s_or_b64 exec, exec, s[0:1]
	v_mov_b32_e32 v10, 0
	s_waitcnt lgkmcnt(0)
	s_barrier
	ds_read_b32 v11, v10 offset:28
	s_waitcnt lgkmcnt(0)
	s_barrier
	ds_read_b64 v[16:17], v10 offset:16896
	v_cndmask_b32_e64 v10, v91, v90, s[16:17]
	v_cndmask_b32_e64 v10, v10, 0, s[18:19]
	v_add_u32_e32 v95, v11, v10
	s_waitcnt lgkmcnt(0)
	v_mov_b32_e32 v18, v17
	s_branch .LBB159_132
.LBB159_122:
                                        ; implicit-def: $vgpr18
                                        ; implicit-def: $vgpr16
                                        ; implicit-def: $vgpr95
	s_cbranch_execz .LBB159_132
; %bb.123:
	v_mov_b32_dpp v10, v89 row_shr:1 row_mask:0xf bank_mask:0xf
	v_cndmask_b32_e64 v10, v10, 0, s[14:15]
	v_add_u32_e32 v10, v10, v89
	s_nop 1
	v_mov_b32_dpp v11, v10 row_shr:2 row_mask:0xf bank_mask:0xf
	v_cndmask_b32_e64 v11, 0, v11, s[12:13]
	v_add_u32_e32 v10, v10, v11
	s_nop 1
	;; [unrolled: 4-line block ×4, first 2 shown]
	v_mov_b32_dpp v11, v10 row_bcast:15 row_mask:0xf bank_mask:0xf
	v_cndmask_b32_e64 v11, v11, 0, s[6:7]
	v_add_u32_e32 v10, v10, v11
	s_nop 1
	v_mov_b32_dpp v11, v10 row_bcast:31 row_mask:0xf bank_mask:0xf
	v_cndmask_b32_e64 v11, 0, v11, s[2:3]
	v_add_u32_e32 v10, v10, v11
	s_and_saveexec_b64 s[0:1], s[4:5]
	s_cbranch_execz .LBB159_125
; %bb.124:
	v_lshlrev_b32_e32 v11, 2, v88
	ds_write_b32 v11, v10
.LBB159_125:
	s_or_b64 exec, exec, s[0:1]
	v_cmp_gt_u32_e32 vcc, 8, v0
	s_waitcnt lgkmcnt(0)
	s_barrier
	s_and_saveexec_b64 s[0:1], vcc
	s_cbranch_execz .LBB159_127
; %bb.126:
	v_lshlrev_b32_e32 v11, 2, v0
	ds_read_b32 v12, v11
	v_and_b32_e32 v13, 7, v87
	v_cmp_ne_u32_e32 vcc, 0, v13
	s_waitcnt lgkmcnt(0)
	v_mov_b32_dpp v14, v12 row_shr:1 row_mask:0xf bank_mask:0xf
	v_cndmask_b32_e32 v14, 0, v14, vcc
	v_add_u32_e32 v12, v14, v12
	v_cmp_lt_u32_e32 vcc, 1, v13
	s_nop 0
	v_mov_b32_dpp v14, v12 row_shr:2 row_mask:0xf bank_mask:0xf
	v_cndmask_b32_e32 v14, 0, v14, vcc
	v_add_u32_e32 v12, v12, v14
	v_cmp_lt_u32_e32 vcc, 3, v13
	s_nop 0
	v_mov_b32_dpp v14, v12 row_shr:4 row_mask:0xf bank_mask:0xf
	v_cndmask_b32_e32 v13, 0, v14, vcc
	v_add_u32_e32 v12, v12, v13
	ds_write_b32 v11, v12
.LBB159_127:
	s_or_b64 exec, exec, s[0:1]
	v_cmp_lt_u32_e32 vcc, 63, v0
	v_mov_b32_e32 v12, 0
	v_mov_b32_e32 v11, 0
	s_waitcnt lgkmcnt(0)
	s_barrier
	s_and_saveexec_b64 s[0:1], vcc
	s_cbranch_execz .LBB159_129
; %bb.128:
	v_lshl_add_u32 v11, v88, 2, -4
	ds_read_b32 v11, v11
.LBB159_129:
	s_or_b64 exec, exec, s[0:1]
	v_add_u32_e32 v13, -1, v87
	v_and_b32_e32 v14, 64, v87
	v_cmp_lt_i32_e32 vcc, v13, v14
	s_waitcnt lgkmcnt(0)
	v_add_u32_e32 v10, v11, v10
	ds_read_b32 v16, v12 offset:28
	v_cndmask_b32_e32 v13, v13, v87, vcc
	v_lshlrev_b32_e32 v13, 2, v13
	ds_bpermute_b32 v10, v13, v10
	s_and_saveexec_b64 s[0:1], s[18:19]
	s_cbranch_execz .LBB159_131
; %bb.130:
	v_mov_b32_e32 v12, 0
	v_mov_b32_e32 v17, 2
	s_waitcnt lgkmcnt(1)
	global_store_dwordx2 v12, v[16:17], s[30:31] offset:512 sc1
.LBB159_131:
	s_or_b64 exec, exec, s[0:1]
	v_cmp_eq_u32_e32 vcc, 0, v87
	v_mov_b32_e32 v18, 0
	s_waitcnt lgkmcnt(0)
	v_cndmask_b32_e32 v10, v10, v11, vcc
	v_cndmask_b32_e64 v95, v10, 0, s[18:19]
	s_barrier
.LBB159_132:
	v_add_u32_e32 v98, v95, v75
	v_add_u32_e32 v97, v98, v76
	;; [unrolled: 1-line block ×29, first 2 shown]
	s_movk_i32 s0, 0x201
	v_add_u32_e32 v11, v12, v116
	v_cmp_gt_u32_e32 vcc, s0, v16
	v_add_u32_sdwa v10, v11, v35 dst_sel:DWORD dst_unused:UNUSED_PAD src0_sel:DWORD src1_sel:BYTE_0
	s_mov_b64 s[0:1], -1
	s_cbranch_vccnz .LBB159_136
; %bb.133:
	s_and_b64 vcc, exec, s[0:1]
	s_cbranch_vccnz .LBB159_233
.LBB159_134:
	s_and_b64 s[0:1], s[18:19], s[24:25]
	s_and_saveexec_b64 s[2:3], s[0:1]
	s_cbranch_execnz .LBB159_310
.LBB159_135:
	s_endpgm
.LBB159_136:
	v_add_u32_e32 v99, v18, v16
	v_cmp_lt_u32_e32 vcc, v95, v99
	s_or_b64 s[2:3], s[28:29], vcc
	s_and_saveexec_b64 s[0:1], s[2:3]
	s_cbranch_execz .LBB159_139
; %bb.137:
	v_and_b32_e32 v100, 1, v74
	v_cmp_eq_u32_e32 vcc, 1, v100
	s_and_b64 exec, exec, vcc
	s_cbranch_execz .LBB159_139
; %bb.138:
	s_add_u32 s2, s26, s22
	s_addc_u32 s3, s27, s23
	global_store_byte v95, v8, s[2:3]
.LBB159_139:
	s_or_b64 exec, exec, s[0:1]
	v_cmp_lt_u32_e32 vcc, v98, v99
	s_or_b64 s[2:3], s[28:29], vcc
	s_and_saveexec_b64 s[0:1], s[2:3]
	s_cbranch_execz .LBB159_142
; %bb.140:
	v_and_b32_e32 v100, 1, v73
	v_cmp_eq_u32_e32 vcc, 1, v100
	s_and_b64 exec, exec, vcc
	s_cbranch_execz .LBB159_142
; %bb.141:
	s_add_u32 s2, s26, s22
	s_addc_u32 s3, s27, s23
	global_store_byte v98, v49, s[2:3]
.LBB159_142:
	s_or_b64 exec, exec, s[0:1]
	;; [unrolled: 15-line block ×32, first 2 shown]
	s_branch .LBB159_134
.LBB159_233:
	v_and_b32_e32 v74, 1, v74
	v_cmp_eq_u32_e32 vcc, 1, v74
	s_and_saveexec_b64 s[0:1], vcc
	s_cbranch_execz .LBB159_235
; %bb.234:
	v_sub_u32_e32 v74, v95, v18
	ds_write_b8 v74, v8
.LBB159_235:
	s_or_b64 exec, exec, s[0:1]
	v_and_b32_e32 v8, 1, v73
	v_cmp_eq_u32_e32 vcc, 1, v8
	s_and_saveexec_b64 s[0:1], vcc
	s_cbranch_execz .LBB159_237
; %bb.236:
	v_sub_u32_e32 v8, v98, v18
	ds_write_b8 v8, v49
.LBB159_237:
	s_or_b64 exec, exec, s[0:1]
	;; [unrolled: 9-line block ×32, first 2 shown]
	v_cmp_lt_u32_e32 vcc, v0, v16
	s_waitcnt lgkmcnt(0)
	s_barrier
	s_and_saveexec_b64 s[0:1], vcc
	s_cbranch_execz .LBB159_309
; %bb.298:
	v_mov_b32_e32 v19, 0
	v_lshl_add_u64 v[2:3], s[26:27], 0, v[18:19]
	v_xad_u32 v1, v0, -1, v16
	s_movk_i32 s2, 0xdff
	v_lshl_add_u64 v[20:21], v[2:3], 0, s[22:23]
	v_cmp_lt_u32_e32 vcc, s2, v1
	s_mov_b64 s[4:5], -1
	s_and_saveexec_b64 s[2:3], vcc
	s_cbranch_execz .LBB159_306
; %bb.299:
	v_lshrrev_b32_e32 v17, 9, v1
	v_or_b32_e32 v7, 0xe00, v0
	v_or_b32_e32 v6, 0xc00, v0
	;; [unrolled: 1-line block ×7, first 2 shown]
	v_add_u32_e32 v24, -7, v17
	v_mov_b64_e32 v[14:15], v[6:7]
	v_cmp_lt_u32_e32 vcc, 7, v24
	v_mov_b64_e32 v[12:13], v[4:5]
	v_mov_b64_e32 v[10:11], v[2:3]
	;; [unrolled: 1-line block ×3, first 2 shown]
	s_and_saveexec_b64 s[4:5], vcc
	s_cbranch_execz .LBB159_303
; %bb.300:
	v_lshrrev_b32_e32 v8, 3, v24
	v_add_u32_e32 v8, 1, v8
	v_and_b32_e32 v19, 0x3ffffffe, v8
	v_mov_b64_e32 v[14:15], v[6:7]
	s_mov_b32 s8, 0
	s_mov_b64 s[6:7], 0
	v_mov_b32_e32 v23, 0
	v_mov_b32_e32 v25, v0
	v_mov_b64_e32 v[12:13], v[4:5]
	v_mov_b64_e32 v[10:11], v[2:3]
	;; [unrolled: 1-line block ×3, first 2 shown]
.LBB159_301:                            ; =>This Inner Loop Header: Depth=1
	v_mov_b32_e32 v22, v8
	v_lshl_add_u64 v[34:35], v[20:21], 0, v[22:23]
	v_mov_b32_e32 v22, v9
	v_lshl_add_u64 v[36:37], v[20:21], 0, v[22:23]
	;; [unrolled: 2-line block ×3, first 2 shown]
	v_mov_b32_e32 v22, v11
	ds_read_u8 v44, v25
	ds_read_u8 v45, v25 offset:512
	ds_read_u8 v46, v25 offset:1024
	;; [unrolled: 1-line block ×7, first 2 shown]
	v_lshl_add_u64 v[40:41], v[20:21], 0, v[22:23]
	v_mov_b32_e32 v22, v12
	ds_read_u8 v52, v25 offset:4096
	ds_read_u8 v53, v25 offset:4608
	;; [unrolled: 1-line block ×8, first 2 shown]
	v_lshl_add_u64 v[42:43], v[20:21], 0, v[22:23]
	v_mov_b32_e32 v22, v13
	s_waitcnt lgkmcnt(14)
	global_store_byte v[34:35], v44, off
	global_store_byte v[36:37], v45, off
	s_waitcnt lgkmcnt(13)
	global_store_byte v[38:39], v46, off
	s_waitcnt lgkmcnt(12)
	global_store_byte v[40:41], v47, off
	v_lshl_add_u64 v[34:35], v[20:21], 0, v[22:23]
	v_mov_b32_e32 v22, v14
	v_add_u32_e32 v19, -2, v19
	v_lshl_add_u64 v[36:37], v[20:21], 0, v[22:23]
	v_mov_b32_e32 v22, v15
	s_add_i32 s8, s8, 16
	v_cmp_eq_u32_e32 vcc, 0, v19
	s_waitcnt lgkmcnt(11)
	global_store_byte v[42:43], v48, off
	s_waitcnt lgkmcnt(10)
	global_store_byte v[34:35], v49, off
	v_lshl_add_u64 v[34:35], v[20:21], 0, v[22:23]
	v_add_u32_e32 v22, 0x1000, v8
	v_add_u32_e32 v2, 0x1000, v15
	;; [unrolled: 1-line block ×8, first 2 shown]
	v_mov_b32_e32 v33, v23
	v_mov_b32_e32 v31, v23
	v_mov_b32_e32 v29, v23
	v_mov_b32_e32 v27, v23
	v_mov_b32_e32 v7, v23
	v_mov_b32_e32 v5, v23
	v_mov_b32_e32 v3, v23
	v_add_u32_e32 v25, 0x2000, v25
	v_add_u32_e32 v9, 0x2000, v9
	v_mov_b32_e32 v1, s8
	v_add_u32_e32 v10, 0x2000, v10
	s_or_b64 s[6:7], vcc, s[6:7]
	v_add_u32_e32 v11, 0x2000, v11
	v_add_u32_e32 v12, 0x2000, v12
	v_add_u32_e32 v13, 0x2000, v13
	v_add_u32_e32 v14, 0x2000, v14
	v_add_u32_e32 v15, 0x2000, v15
	s_waitcnt lgkmcnt(9)
	global_store_byte v[36:37], v50, off
	v_add_u32_e32 v8, 0x2000, v8
	s_waitcnt lgkmcnt(8)
	global_store_byte v[34:35], v51, off
	v_lshl_add_u64 v[34:35], v[20:21], 0, v[22:23]
	v_lshl_add_u64 v[32:33], v[20:21], 0, v[32:33]
	;; [unrolled: 1-line block ×8, first 2 shown]
	s_waitcnt lgkmcnt(7)
	global_store_byte v[34:35], v52, off
	s_waitcnt lgkmcnt(6)
	global_store_byte v[32:33], v53, off
	;; [unrolled: 2-line block ×8, first 2 shown]
	s_andn2_b64 exec, exec, s[6:7]
	s_cbranch_execnz .LBB159_301
; %bb.302:
	s_or_b64 exec, exec, s[6:7]
	v_lshlrev_b32_e32 v19, 9, v1
.LBB159_303:
	s_or_b64 exec, exec, s[4:5]
	v_and_b32_e32 v1, 8, v24
	v_cmp_eq_u32_e32 vcc, 0, v1
	s_and_saveexec_b64 s[4:5], vcc
	s_cbranch_execz .LBB159_305
; %bb.304:
	v_mov_b32_e32 v3, 0
	v_mov_b32_e32 v2, v8
	v_lshl_add_u64 v[4:5], v[20:21], 0, v[2:3]
	v_mov_b32_e32 v2, v9
	v_or_b32_e32 v1, v0, v19
	v_lshl_add_u64 v[6:7], v[20:21], 0, v[2:3]
	v_mov_b32_e32 v2, v10
	ds_read_u8 v19, v1
	ds_read_u8 v26, v1 offset:512
	ds_read_u8 v27, v1 offset:1024
	;; [unrolled: 1-line block ×7, first 2 shown]
	v_lshl_add_u64 v[8:9], v[20:21], 0, v[2:3]
	v_mov_b32_e32 v2, v11
	v_lshl_add_u64 v[10:11], v[20:21], 0, v[2:3]
	v_mov_b32_e32 v2, v12
	;; [unrolled: 2-line block ×5, first 2 shown]
	v_lshl_add_u64 v[2:3], v[20:21], 0, v[2:3]
	s_waitcnt lgkmcnt(7)
	global_store_byte v[4:5], v19, off
	s_waitcnt lgkmcnt(6)
	global_store_byte v[6:7], v26, off
	s_waitcnt lgkmcnt(5)
	global_store_byte v[8:9], v27, off
	s_waitcnt lgkmcnt(4)
	global_store_byte v[10:11], v28, off
	s_waitcnt lgkmcnt(3)
	global_store_byte v[22:23], v29, off
	s_waitcnt lgkmcnt(2)
	global_store_byte v[12:13], v30, off
	s_waitcnt lgkmcnt(1)
	global_store_byte v[24:25], v31, off
	s_waitcnt lgkmcnt(0)
	global_store_byte v[2:3], v1, off
.LBB159_305:
	s_or_b64 exec, exec, s[4:5]
	v_add_u32_e32 v1, 1, v17
	v_and_b32_e32 v2, 0xfffff8, v1
	v_cmp_ne_u32_e32 vcc, v1, v2
	v_lshl_or_b32 v0, v2, 9, v0
	s_orn2_b64 s[4:5], vcc, exec
.LBB159_306:
	s_or_b64 exec, exec, s[2:3]
	s_and_b64 exec, exec, s[4:5]
	s_cbranch_execz .LBB159_309
; %bb.307:
	s_mov_b64 s[2:3], 0
.LBB159_308:                            ; =>This Inner Loop Header: Depth=1
	ds_read_u8 v1, v0
	v_readfirstlane_b32 s4, v20
	v_readfirstlane_b32 s5, v21
	s_waitcnt lgkmcnt(0)
	s_nop 3
	global_store_byte v0, v1, s[4:5]
	v_add_u32_e32 v0, 0x200, v0
	v_cmp_ge_u32_e32 vcc, v0, v16
	s_or_b64 s[2:3], vcc, s[2:3]
	s_andn2_b64 exec, exec, s[2:3]
	s_cbranch_execnz .LBB159_308
.LBB159_309:
	s_or_b64 exec, exec, s[0:1]
	s_and_b64 s[0:1], s[18:19], s[24:25]
	s_and_saveexec_b64 s[2:3], s[0:1]
	s_cbranch_execz .LBB159_135
.LBB159_310:
	v_mov_b32_e32 v17, 0
	v_lshl_add_u64 v[0:1], s[22:23], 0, v[16:17]
	v_mov_b32_e32 v19, v17
	v_lshl_add_u64 v[0:1], v[0:1], 0, v[18:19]
	global_store_dwordx2 v17, v[0:1], s[20:21]
	s_endpgm
.LBB159_311:
	s_or_b64 exec, exec, s[8:9]
	v_mov_b32_e32 v74, s10
	s_and_saveexec_b64 s[2:3], s[4:5]
	s_cbranch_execnz .LBB159_92
	s_branch .LBB159_93
	.section	.rodata,"a",@progbits
	.p2align	6, 0x0
	.amdhsa_kernel _ZN7rocprim17ROCPRIM_400000_NS6detail17trampoline_kernelINS0_14default_configENS1_25partition_config_selectorILNS1_17partition_subalgoE8EhNS0_10empty_typeEbEEZZNS1_14partition_implILS5_8ELb0ES3_jPKhPS6_PKS6_NS0_5tupleIJPhS6_EEENSE_IJSB_SB_EEENS0_18inequality_wrapperIN6hipcub16HIPCUB_304000_NS8EqualityEEEPlJS6_EEE10hipError_tPvRmT3_T4_T5_T6_T7_T9_mT8_P12ihipStream_tbDpT10_ENKUlT_T0_E_clISt17integral_constantIbLb0EES16_IbLb1EEEEDaS12_S13_EUlS12_E_NS1_11comp_targetILNS1_3genE5ELNS1_11target_archE942ELNS1_3gpuE9ELNS1_3repE0EEENS1_30default_config_static_selectorELNS0_4arch9wavefront6targetE1EEEvT1_
		.amdhsa_group_segment_fixed_size 16904
		.amdhsa_private_segment_fixed_size 0
		.amdhsa_kernarg_size 128
		.amdhsa_user_sgpr_count 2
		.amdhsa_user_sgpr_dispatch_ptr 0
		.amdhsa_user_sgpr_queue_ptr 0
		.amdhsa_user_sgpr_kernarg_segment_ptr 1
		.amdhsa_user_sgpr_dispatch_id 0
		.amdhsa_user_sgpr_kernarg_preload_length 0
		.amdhsa_user_sgpr_kernarg_preload_offset 0
		.amdhsa_user_sgpr_private_segment_size 0
		.amdhsa_uses_dynamic_stack 0
		.amdhsa_enable_private_segment 0
		.amdhsa_system_sgpr_workgroup_id_x 1
		.amdhsa_system_sgpr_workgroup_id_y 0
		.amdhsa_system_sgpr_workgroup_id_z 0
		.amdhsa_system_sgpr_workgroup_info 0
		.amdhsa_system_vgpr_workitem_id 0
		.amdhsa_next_free_vgpr 124
		.amdhsa_next_free_sgpr 60
		.amdhsa_accum_offset 124
		.amdhsa_reserve_vcc 1
		.amdhsa_float_round_mode_32 0
		.amdhsa_float_round_mode_16_64 0
		.amdhsa_float_denorm_mode_32 3
		.amdhsa_float_denorm_mode_16_64 3
		.amdhsa_dx10_clamp 1
		.amdhsa_ieee_mode 1
		.amdhsa_fp16_overflow 0
		.amdhsa_tg_split 0
		.amdhsa_exception_fp_ieee_invalid_op 0
		.amdhsa_exception_fp_denorm_src 0
		.amdhsa_exception_fp_ieee_div_zero 0
		.amdhsa_exception_fp_ieee_overflow 0
		.amdhsa_exception_fp_ieee_underflow 0
		.amdhsa_exception_fp_ieee_inexact 0
		.amdhsa_exception_int_div_zero 0
	.end_amdhsa_kernel
	.section	.text._ZN7rocprim17ROCPRIM_400000_NS6detail17trampoline_kernelINS0_14default_configENS1_25partition_config_selectorILNS1_17partition_subalgoE8EhNS0_10empty_typeEbEEZZNS1_14partition_implILS5_8ELb0ES3_jPKhPS6_PKS6_NS0_5tupleIJPhS6_EEENSE_IJSB_SB_EEENS0_18inequality_wrapperIN6hipcub16HIPCUB_304000_NS8EqualityEEEPlJS6_EEE10hipError_tPvRmT3_T4_T5_T6_T7_T9_mT8_P12ihipStream_tbDpT10_ENKUlT_T0_E_clISt17integral_constantIbLb0EES16_IbLb1EEEEDaS12_S13_EUlS12_E_NS1_11comp_targetILNS1_3genE5ELNS1_11target_archE942ELNS1_3gpuE9ELNS1_3repE0EEENS1_30default_config_static_selectorELNS0_4arch9wavefront6targetE1EEEvT1_,"axG",@progbits,_ZN7rocprim17ROCPRIM_400000_NS6detail17trampoline_kernelINS0_14default_configENS1_25partition_config_selectorILNS1_17partition_subalgoE8EhNS0_10empty_typeEbEEZZNS1_14partition_implILS5_8ELb0ES3_jPKhPS6_PKS6_NS0_5tupleIJPhS6_EEENSE_IJSB_SB_EEENS0_18inequality_wrapperIN6hipcub16HIPCUB_304000_NS8EqualityEEEPlJS6_EEE10hipError_tPvRmT3_T4_T5_T6_T7_T9_mT8_P12ihipStream_tbDpT10_ENKUlT_T0_E_clISt17integral_constantIbLb0EES16_IbLb1EEEEDaS12_S13_EUlS12_E_NS1_11comp_targetILNS1_3genE5ELNS1_11target_archE942ELNS1_3gpuE9ELNS1_3repE0EEENS1_30default_config_static_selectorELNS0_4arch9wavefront6targetE1EEEvT1_,comdat
.Lfunc_end159:
	.size	_ZN7rocprim17ROCPRIM_400000_NS6detail17trampoline_kernelINS0_14default_configENS1_25partition_config_selectorILNS1_17partition_subalgoE8EhNS0_10empty_typeEbEEZZNS1_14partition_implILS5_8ELb0ES3_jPKhPS6_PKS6_NS0_5tupleIJPhS6_EEENSE_IJSB_SB_EEENS0_18inequality_wrapperIN6hipcub16HIPCUB_304000_NS8EqualityEEEPlJS6_EEE10hipError_tPvRmT3_T4_T5_T6_T7_T9_mT8_P12ihipStream_tbDpT10_ENKUlT_T0_E_clISt17integral_constantIbLb0EES16_IbLb1EEEEDaS12_S13_EUlS12_E_NS1_11comp_targetILNS1_3genE5ELNS1_11target_archE942ELNS1_3gpuE9ELNS1_3repE0EEENS1_30default_config_static_selectorELNS0_4arch9wavefront6targetE1EEEvT1_, .Lfunc_end159-_ZN7rocprim17ROCPRIM_400000_NS6detail17trampoline_kernelINS0_14default_configENS1_25partition_config_selectorILNS1_17partition_subalgoE8EhNS0_10empty_typeEbEEZZNS1_14partition_implILS5_8ELb0ES3_jPKhPS6_PKS6_NS0_5tupleIJPhS6_EEENSE_IJSB_SB_EEENS0_18inequality_wrapperIN6hipcub16HIPCUB_304000_NS8EqualityEEEPlJS6_EEE10hipError_tPvRmT3_T4_T5_T6_T7_T9_mT8_P12ihipStream_tbDpT10_ENKUlT_T0_E_clISt17integral_constantIbLb0EES16_IbLb1EEEEDaS12_S13_EUlS12_E_NS1_11comp_targetILNS1_3genE5ELNS1_11target_archE942ELNS1_3gpuE9ELNS1_3repE0EEENS1_30default_config_static_selectorELNS0_4arch9wavefront6targetE1EEEvT1_
                                        ; -- End function
	.section	.AMDGPU.csdata,"",@progbits
; Kernel info:
; codeLenInByte = 14428
; NumSgprs: 66
; NumVgprs: 124
; NumAgprs: 0
; TotalNumVgprs: 124
; ScratchSize: 0
; MemoryBound: 0
; FloatMode: 240
; IeeeMode: 1
; LDSByteSize: 16904 bytes/workgroup (compile time only)
; SGPRBlocks: 8
; VGPRBlocks: 15
; NumSGPRsForWavesPerEU: 66
; NumVGPRsForWavesPerEU: 124
; AccumOffset: 124
; Occupancy: 4
; WaveLimiterHint : 1
; COMPUTE_PGM_RSRC2:SCRATCH_EN: 0
; COMPUTE_PGM_RSRC2:USER_SGPR: 2
; COMPUTE_PGM_RSRC2:TRAP_HANDLER: 0
; COMPUTE_PGM_RSRC2:TGID_X_EN: 1
; COMPUTE_PGM_RSRC2:TGID_Y_EN: 0
; COMPUTE_PGM_RSRC2:TGID_Z_EN: 0
; COMPUTE_PGM_RSRC2:TIDIG_COMP_CNT: 0
; COMPUTE_PGM_RSRC3_GFX90A:ACCUM_OFFSET: 30
; COMPUTE_PGM_RSRC3_GFX90A:TG_SPLIT: 0
	.section	.text._ZN7rocprim17ROCPRIM_400000_NS6detail17trampoline_kernelINS0_14default_configENS1_25partition_config_selectorILNS1_17partition_subalgoE8EhNS0_10empty_typeEbEEZZNS1_14partition_implILS5_8ELb0ES3_jPKhPS6_PKS6_NS0_5tupleIJPhS6_EEENSE_IJSB_SB_EEENS0_18inequality_wrapperIN6hipcub16HIPCUB_304000_NS8EqualityEEEPlJS6_EEE10hipError_tPvRmT3_T4_T5_T6_T7_T9_mT8_P12ihipStream_tbDpT10_ENKUlT_T0_E_clISt17integral_constantIbLb0EES16_IbLb1EEEEDaS12_S13_EUlS12_E_NS1_11comp_targetILNS1_3genE4ELNS1_11target_archE910ELNS1_3gpuE8ELNS1_3repE0EEENS1_30default_config_static_selectorELNS0_4arch9wavefront6targetE1EEEvT1_,"axG",@progbits,_ZN7rocprim17ROCPRIM_400000_NS6detail17trampoline_kernelINS0_14default_configENS1_25partition_config_selectorILNS1_17partition_subalgoE8EhNS0_10empty_typeEbEEZZNS1_14partition_implILS5_8ELb0ES3_jPKhPS6_PKS6_NS0_5tupleIJPhS6_EEENSE_IJSB_SB_EEENS0_18inequality_wrapperIN6hipcub16HIPCUB_304000_NS8EqualityEEEPlJS6_EEE10hipError_tPvRmT3_T4_T5_T6_T7_T9_mT8_P12ihipStream_tbDpT10_ENKUlT_T0_E_clISt17integral_constantIbLb0EES16_IbLb1EEEEDaS12_S13_EUlS12_E_NS1_11comp_targetILNS1_3genE4ELNS1_11target_archE910ELNS1_3gpuE8ELNS1_3repE0EEENS1_30default_config_static_selectorELNS0_4arch9wavefront6targetE1EEEvT1_,comdat
	.protected	_ZN7rocprim17ROCPRIM_400000_NS6detail17trampoline_kernelINS0_14default_configENS1_25partition_config_selectorILNS1_17partition_subalgoE8EhNS0_10empty_typeEbEEZZNS1_14partition_implILS5_8ELb0ES3_jPKhPS6_PKS6_NS0_5tupleIJPhS6_EEENSE_IJSB_SB_EEENS0_18inequality_wrapperIN6hipcub16HIPCUB_304000_NS8EqualityEEEPlJS6_EEE10hipError_tPvRmT3_T4_T5_T6_T7_T9_mT8_P12ihipStream_tbDpT10_ENKUlT_T0_E_clISt17integral_constantIbLb0EES16_IbLb1EEEEDaS12_S13_EUlS12_E_NS1_11comp_targetILNS1_3genE4ELNS1_11target_archE910ELNS1_3gpuE8ELNS1_3repE0EEENS1_30default_config_static_selectorELNS0_4arch9wavefront6targetE1EEEvT1_ ; -- Begin function _ZN7rocprim17ROCPRIM_400000_NS6detail17trampoline_kernelINS0_14default_configENS1_25partition_config_selectorILNS1_17partition_subalgoE8EhNS0_10empty_typeEbEEZZNS1_14partition_implILS5_8ELb0ES3_jPKhPS6_PKS6_NS0_5tupleIJPhS6_EEENSE_IJSB_SB_EEENS0_18inequality_wrapperIN6hipcub16HIPCUB_304000_NS8EqualityEEEPlJS6_EEE10hipError_tPvRmT3_T4_T5_T6_T7_T9_mT8_P12ihipStream_tbDpT10_ENKUlT_T0_E_clISt17integral_constantIbLb0EES16_IbLb1EEEEDaS12_S13_EUlS12_E_NS1_11comp_targetILNS1_3genE4ELNS1_11target_archE910ELNS1_3gpuE8ELNS1_3repE0EEENS1_30default_config_static_selectorELNS0_4arch9wavefront6targetE1EEEvT1_
	.globl	_ZN7rocprim17ROCPRIM_400000_NS6detail17trampoline_kernelINS0_14default_configENS1_25partition_config_selectorILNS1_17partition_subalgoE8EhNS0_10empty_typeEbEEZZNS1_14partition_implILS5_8ELb0ES3_jPKhPS6_PKS6_NS0_5tupleIJPhS6_EEENSE_IJSB_SB_EEENS0_18inequality_wrapperIN6hipcub16HIPCUB_304000_NS8EqualityEEEPlJS6_EEE10hipError_tPvRmT3_T4_T5_T6_T7_T9_mT8_P12ihipStream_tbDpT10_ENKUlT_T0_E_clISt17integral_constantIbLb0EES16_IbLb1EEEEDaS12_S13_EUlS12_E_NS1_11comp_targetILNS1_3genE4ELNS1_11target_archE910ELNS1_3gpuE8ELNS1_3repE0EEENS1_30default_config_static_selectorELNS0_4arch9wavefront6targetE1EEEvT1_
	.p2align	8
	.type	_ZN7rocprim17ROCPRIM_400000_NS6detail17trampoline_kernelINS0_14default_configENS1_25partition_config_selectorILNS1_17partition_subalgoE8EhNS0_10empty_typeEbEEZZNS1_14partition_implILS5_8ELb0ES3_jPKhPS6_PKS6_NS0_5tupleIJPhS6_EEENSE_IJSB_SB_EEENS0_18inequality_wrapperIN6hipcub16HIPCUB_304000_NS8EqualityEEEPlJS6_EEE10hipError_tPvRmT3_T4_T5_T6_T7_T9_mT8_P12ihipStream_tbDpT10_ENKUlT_T0_E_clISt17integral_constantIbLb0EES16_IbLb1EEEEDaS12_S13_EUlS12_E_NS1_11comp_targetILNS1_3genE4ELNS1_11target_archE910ELNS1_3gpuE8ELNS1_3repE0EEENS1_30default_config_static_selectorELNS0_4arch9wavefront6targetE1EEEvT1_,@function
_ZN7rocprim17ROCPRIM_400000_NS6detail17trampoline_kernelINS0_14default_configENS1_25partition_config_selectorILNS1_17partition_subalgoE8EhNS0_10empty_typeEbEEZZNS1_14partition_implILS5_8ELb0ES3_jPKhPS6_PKS6_NS0_5tupleIJPhS6_EEENSE_IJSB_SB_EEENS0_18inequality_wrapperIN6hipcub16HIPCUB_304000_NS8EqualityEEEPlJS6_EEE10hipError_tPvRmT3_T4_T5_T6_T7_T9_mT8_P12ihipStream_tbDpT10_ENKUlT_T0_E_clISt17integral_constantIbLb0EES16_IbLb1EEEEDaS12_S13_EUlS12_E_NS1_11comp_targetILNS1_3genE4ELNS1_11target_archE910ELNS1_3gpuE8ELNS1_3repE0EEENS1_30default_config_static_selectorELNS0_4arch9wavefront6targetE1EEEvT1_: ; @_ZN7rocprim17ROCPRIM_400000_NS6detail17trampoline_kernelINS0_14default_configENS1_25partition_config_selectorILNS1_17partition_subalgoE8EhNS0_10empty_typeEbEEZZNS1_14partition_implILS5_8ELb0ES3_jPKhPS6_PKS6_NS0_5tupleIJPhS6_EEENSE_IJSB_SB_EEENS0_18inequality_wrapperIN6hipcub16HIPCUB_304000_NS8EqualityEEEPlJS6_EEE10hipError_tPvRmT3_T4_T5_T6_T7_T9_mT8_P12ihipStream_tbDpT10_ENKUlT_T0_E_clISt17integral_constantIbLb0EES16_IbLb1EEEEDaS12_S13_EUlS12_E_NS1_11comp_targetILNS1_3genE4ELNS1_11target_archE910ELNS1_3gpuE8ELNS1_3repE0EEENS1_30default_config_static_selectorELNS0_4arch9wavefront6targetE1EEEvT1_
; %bb.0:
	.section	.rodata,"a",@progbits
	.p2align	6, 0x0
	.amdhsa_kernel _ZN7rocprim17ROCPRIM_400000_NS6detail17trampoline_kernelINS0_14default_configENS1_25partition_config_selectorILNS1_17partition_subalgoE8EhNS0_10empty_typeEbEEZZNS1_14partition_implILS5_8ELb0ES3_jPKhPS6_PKS6_NS0_5tupleIJPhS6_EEENSE_IJSB_SB_EEENS0_18inequality_wrapperIN6hipcub16HIPCUB_304000_NS8EqualityEEEPlJS6_EEE10hipError_tPvRmT3_T4_T5_T6_T7_T9_mT8_P12ihipStream_tbDpT10_ENKUlT_T0_E_clISt17integral_constantIbLb0EES16_IbLb1EEEEDaS12_S13_EUlS12_E_NS1_11comp_targetILNS1_3genE4ELNS1_11target_archE910ELNS1_3gpuE8ELNS1_3repE0EEENS1_30default_config_static_selectorELNS0_4arch9wavefront6targetE1EEEvT1_
		.amdhsa_group_segment_fixed_size 0
		.amdhsa_private_segment_fixed_size 0
		.amdhsa_kernarg_size 128
		.amdhsa_user_sgpr_count 2
		.amdhsa_user_sgpr_dispatch_ptr 0
		.amdhsa_user_sgpr_queue_ptr 0
		.amdhsa_user_sgpr_kernarg_segment_ptr 1
		.amdhsa_user_sgpr_dispatch_id 0
		.amdhsa_user_sgpr_kernarg_preload_length 0
		.amdhsa_user_sgpr_kernarg_preload_offset 0
		.amdhsa_user_sgpr_private_segment_size 0
		.amdhsa_uses_dynamic_stack 0
		.amdhsa_enable_private_segment 0
		.amdhsa_system_sgpr_workgroup_id_x 1
		.amdhsa_system_sgpr_workgroup_id_y 0
		.amdhsa_system_sgpr_workgroup_id_z 0
		.amdhsa_system_sgpr_workgroup_info 0
		.amdhsa_system_vgpr_workitem_id 0
		.amdhsa_next_free_vgpr 1
		.amdhsa_next_free_sgpr 0
		.amdhsa_accum_offset 4
		.amdhsa_reserve_vcc 0
		.amdhsa_float_round_mode_32 0
		.amdhsa_float_round_mode_16_64 0
		.amdhsa_float_denorm_mode_32 3
		.amdhsa_float_denorm_mode_16_64 3
		.amdhsa_dx10_clamp 1
		.amdhsa_ieee_mode 1
		.amdhsa_fp16_overflow 0
		.amdhsa_tg_split 0
		.amdhsa_exception_fp_ieee_invalid_op 0
		.amdhsa_exception_fp_denorm_src 0
		.amdhsa_exception_fp_ieee_div_zero 0
		.amdhsa_exception_fp_ieee_overflow 0
		.amdhsa_exception_fp_ieee_underflow 0
		.amdhsa_exception_fp_ieee_inexact 0
		.amdhsa_exception_int_div_zero 0
	.end_amdhsa_kernel
	.section	.text._ZN7rocprim17ROCPRIM_400000_NS6detail17trampoline_kernelINS0_14default_configENS1_25partition_config_selectorILNS1_17partition_subalgoE8EhNS0_10empty_typeEbEEZZNS1_14partition_implILS5_8ELb0ES3_jPKhPS6_PKS6_NS0_5tupleIJPhS6_EEENSE_IJSB_SB_EEENS0_18inequality_wrapperIN6hipcub16HIPCUB_304000_NS8EqualityEEEPlJS6_EEE10hipError_tPvRmT3_T4_T5_T6_T7_T9_mT8_P12ihipStream_tbDpT10_ENKUlT_T0_E_clISt17integral_constantIbLb0EES16_IbLb1EEEEDaS12_S13_EUlS12_E_NS1_11comp_targetILNS1_3genE4ELNS1_11target_archE910ELNS1_3gpuE8ELNS1_3repE0EEENS1_30default_config_static_selectorELNS0_4arch9wavefront6targetE1EEEvT1_,"axG",@progbits,_ZN7rocprim17ROCPRIM_400000_NS6detail17trampoline_kernelINS0_14default_configENS1_25partition_config_selectorILNS1_17partition_subalgoE8EhNS0_10empty_typeEbEEZZNS1_14partition_implILS5_8ELb0ES3_jPKhPS6_PKS6_NS0_5tupleIJPhS6_EEENSE_IJSB_SB_EEENS0_18inequality_wrapperIN6hipcub16HIPCUB_304000_NS8EqualityEEEPlJS6_EEE10hipError_tPvRmT3_T4_T5_T6_T7_T9_mT8_P12ihipStream_tbDpT10_ENKUlT_T0_E_clISt17integral_constantIbLb0EES16_IbLb1EEEEDaS12_S13_EUlS12_E_NS1_11comp_targetILNS1_3genE4ELNS1_11target_archE910ELNS1_3gpuE8ELNS1_3repE0EEENS1_30default_config_static_selectorELNS0_4arch9wavefront6targetE1EEEvT1_,comdat
.Lfunc_end160:
	.size	_ZN7rocprim17ROCPRIM_400000_NS6detail17trampoline_kernelINS0_14default_configENS1_25partition_config_selectorILNS1_17partition_subalgoE8EhNS0_10empty_typeEbEEZZNS1_14partition_implILS5_8ELb0ES3_jPKhPS6_PKS6_NS0_5tupleIJPhS6_EEENSE_IJSB_SB_EEENS0_18inequality_wrapperIN6hipcub16HIPCUB_304000_NS8EqualityEEEPlJS6_EEE10hipError_tPvRmT3_T4_T5_T6_T7_T9_mT8_P12ihipStream_tbDpT10_ENKUlT_T0_E_clISt17integral_constantIbLb0EES16_IbLb1EEEEDaS12_S13_EUlS12_E_NS1_11comp_targetILNS1_3genE4ELNS1_11target_archE910ELNS1_3gpuE8ELNS1_3repE0EEENS1_30default_config_static_selectorELNS0_4arch9wavefront6targetE1EEEvT1_, .Lfunc_end160-_ZN7rocprim17ROCPRIM_400000_NS6detail17trampoline_kernelINS0_14default_configENS1_25partition_config_selectorILNS1_17partition_subalgoE8EhNS0_10empty_typeEbEEZZNS1_14partition_implILS5_8ELb0ES3_jPKhPS6_PKS6_NS0_5tupleIJPhS6_EEENSE_IJSB_SB_EEENS0_18inequality_wrapperIN6hipcub16HIPCUB_304000_NS8EqualityEEEPlJS6_EEE10hipError_tPvRmT3_T4_T5_T6_T7_T9_mT8_P12ihipStream_tbDpT10_ENKUlT_T0_E_clISt17integral_constantIbLb0EES16_IbLb1EEEEDaS12_S13_EUlS12_E_NS1_11comp_targetILNS1_3genE4ELNS1_11target_archE910ELNS1_3gpuE8ELNS1_3repE0EEENS1_30default_config_static_selectorELNS0_4arch9wavefront6targetE1EEEvT1_
                                        ; -- End function
	.section	.AMDGPU.csdata,"",@progbits
; Kernel info:
; codeLenInByte = 0
; NumSgprs: 6
; NumVgprs: 0
; NumAgprs: 0
; TotalNumVgprs: 0
; ScratchSize: 0
; MemoryBound: 0
; FloatMode: 240
; IeeeMode: 1
; LDSByteSize: 0 bytes/workgroup (compile time only)
; SGPRBlocks: 0
; VGPRBlocks: 0
; NumSGPRsForWavesPerEU: 6
; NumVGPRsForWavesPerEU: 1
; AccumOffset: 4
; Occupancy: 8
; WaveLimiterHint : 0
; COMPUTE_PGM_RSRC2:SCRATCH_EN: 0
; COMPUTE_PGM_RSRC2:USER_SGPR: 2
; COMPUTE_PGM_RSRC2:TRAP_HANDLER: 0
; COMPUTE_PGM_RSRC2:TGID_X_EN: 1
; COMPUTE_PGM_RSRC2:TGID_Y_EN: 0
; COMPUTE_PGM_RSRC2:TGID_Z_EN: 0
; COMPUTE_PGM_RSRC2:TIDIG_COMP_CNT: 0
; COMPUTE_PGM_RSRC3_GFX90A:ACCUM_OFFSET: 0
; COMPUTE_PGM_RSRC3_GFX90A:TG_SPLIT: 0
	.section	.text._ZN7rocprim17ROCPRIM_400000_NS6detail17trampoline_kernelINS0_14default_configENS1_25partition_config_selectorILNS1_17partition_subalgoE8EhNS0_10empty_typeEbEEZZNS1_14partition_implILS5_8ELb0ES3_jPKhPS6_PKS6_NS0_5tupleIJPhS6_EEENSE_IJSB_SB_EEENS0_18inequality_wrapperIN6hipcub16HIPCUB_304000_NS8EqualityEEEPlJS6_EEE10hipError_tPvRmT3_T4_T5_T6_T7_T9_mT8_P12ihipStream_tbDpT10_ENKUlT_T0_E_clISt17integral_constantIbLb0EES16_IbLb1EEEEDaS12_S13_EUlS12_E_NS1_11comp_targetILNS1_3genE3ELNS1_11target_archE908ELNS1_3gpuE7ELNS1_3repE0EEENS1_30default_config_static_selectorELNS0_4arch9wavefront6targetE1EEEvT1_,"axG",@progbits,_ZN7rocprim17ROCPRIM_400000_NS6detail17trampoline_kernelINS0_14default_configENS1_25partition_config_selectorILNS1_17partition_subalgoE8EhNS0_10empty_typeEbEEZZNS1_14partition_implILS5_8ELb0ES3_jPKhPS6_PKS6_NS0_5tupleIJPhS6_EEENSE_IJSB_SB_EEENS0_18inequality_wrapperIN6hipcub16HIPCUB_304000_NS8EqualityEEEPlJS6_EEE10hipError_tPvRmT3_T4_T5_T6_T7_T9_mT8_P12ihipStream_tbDpT10_ENKUlT_T0_E_clISt17integral_constantIbLb0EES16_IbLb1EEEEDaS12_S13_EUlS12_E_NS1_11comp_targetILNS1_3genE3ELNS1_11target_archE908ELNS1_3gpuE7ELNS1_3repE0EEENS1_30default_config_static_selectorELNS0_4arch9wavefront6targetE1EEEvT1_,comdat
	.protected	_ZN7rocprim17ROCPRIM_400000_NS6detail17trampoline_kernelINS0_14default_configENS1_25partition_config_selectorILNS1_17partition_subalgoE8EhNS0_10empty_typeEbEEZZNS1_14partition_implILS5_8ELb0ES3_jPKhPS6_PKS6_NS0_5tupleIJPhS6_EEENSE_IJSB_SB_EEENS0_18inequality_wrapperIN6hipcub16HIPCUB_304000_NS8EqualityEEEPlJS6_EEE10hipError_tPvRmT3_T4_T5_T6_T7_T9_mT8_P12ihipStream_tbDpT10_ENKUlT_T0_E_clISt17integral_constantIbLb0EES16_IbLb1EEEEDaS12_S13_EUlS12_E_NS1_11comp_targetILNS1_3genE3ELNS1_11target_archE908ELNS1_3gpuE7ELNS1_3repE0EEENS1_30default_config_static_selectorELNS0_4arch9wavefront6targetE1EEEvT1_ ; -- Begin function _ZN7rocprim17ROCPRIM_400000_NS6detail17trampoline_kernelINS0_14default_configENS1_25partition_config_selectorILNS1_17partition_subalgoE8EhNS0_10empty_typeEbEEZZNS1_14partition_implILS5_8ELb0ES3_jPKhPS6_PKS6_NS0_5tupleIJPhS6_EEENSE_IJSB_SB_EEENS0_18inequality_wrapperIN6hipcub16HIPCUB_304000_NS8EqualityEEEPlJS6_EEE10hipError_tPvRmT3_T4_T5_T6_T7_T9_mT8_P12ihipStream_tbDpT10_ENKUlT_T0_E_clISt17integral_constantIbLb0EES16_IbLb1EEEEDaS12_S13_EUlS12_E_NS1_11comp_targetILNS1_3genE3ELNS1_11target_archE908ELNS1_3gpuE7ELNS1_3repE0EEENS1_30default_config_static_selectorELNS0_4arch9wavefront6targetE1EEEvT1_
	.globl	_ZN7rocprim17ROCPRIM_400000_NS6detail17trampoline_kernelINS0_14default_configENS1_25partition_config_selectorILNS1_17partition_subalgoE8EhNS0_10empty_typeEbEEZZNS1_14partition_implILS5_8ELb0ES3_jPKhPS6_PKS6_NS0_5tupleIJPhS6_EEENSE_IJSB_SB_EEENS0_18inequality_wrapperIN6hipcub16HIPCUB_304000_NS8EqualityEEEPlJS6_EEE10hipError_tPvRmT3_T4_T5_T6_T7_T9_mT8_P12ihipStream_tbDpT10_ENKUlT_T0_E_clISt17integral_constantIbLb0EES16_IbLb1EEEEDaS12_S13_EUlS12_E_NS1_11comp_targetILNS1_3genE3ELNS1_11target_archE908ELNS1_3gpuE7ELNS1_3repE0EEENS1_30default_config_static_selectorELNS0_4arch9wavefront6targetE1EEEvT1_
	.p2align	8
	.type	_ZN7rocprim17ROCPRIM_400000_NS6detail17trampoline_kernelINS0_14default_configENS1_25partition_config_selectorILNS1_17partition_subalgoE8EhNS0_10empty_typeEbEEZZNS1_14partition_implILS5_8ELb0ES3_jPKhPS6_PKS6_NS0_5tupleIJPhS6_EEENSE_IJSB_SB_EEENS0_18inequality_wrapperIN6hipcub16HIPCUB_304000_NS8EqualityEEEPlJS6_EEE10hipError_tPvRmT3_T4_T5_T6_T7_T9_mT8_P12ihipStream_tbDpT10_ENKUlT_T0_E_clISt17integral_constantIbLb0EES16_IbLb1EEEEDaS12_S13_EUlS12_E_NS1_11comp_targetILNS1_3genE3ELNS1_11target_archE908ELNS1_3gpuE7ELNS1_3repE0EEENS1_30default_config_static_selectorELNS0_4arch9wavefront6targetE1EEEvT1_,@function
_ZN7rocprim17ROCPRIM_400000_NS6detail17trampoline_kernelINS0_14default_configENS1_25partition_config_selectorILNS1_17partition_subalgoE8EhNS0_10empty_typeEbEEZZNS1_14partition_implILS5_8ELb0ES3_jPKhPS6_PKS6_NS0_5tupleIJPhS6_EEENSE_IJSB_SB_EEENS0_18inequality_wrapperIN6hipcub16HIPCUB_304000_NS8EqualityEEEPlJS6_EEE10hipError_tPvRmT3_T4_T5_T6_T7_T9_mT8_P12ihipStream_tbDpT10_ENKUlT_T0_E_clISt17integral_constantIbLb0EES16_IbLb1EEEEDaS12_S13_EUlS12_E_NS1_11comp_targetILNS1_3genE3ELNS1_11target_archE908ELNS1_3gpuE7ELNS1_3repE0EEENS1_30default_config_static_selectorELNS0_4arch9wavefront6targetE1EEEvT1_: ; @_ZN7rocprim17ROCPRIM_400000_NS6detail17trampoline_kernelINS0_14default_configENS1_25partition_config_selectorILNS1_17partition_subalgoE8EhNS0_10empty_typeEbEEZZNS1_14partition_implILS5_8ELb0ES3_jPKhPS6_PKS6_NS0_5tupleIJPhS6_EEENSE_IJSB_SB_EEENS0_18inequality_wrapperIN6hipcub16HIPCUB_304000_NS8EqualityEEEPlJS6_EEE10hipError_tPvRmT3_T4_T5_T6_T7_T9_mT8_P12ihipStream_tbDpT10_ENKUlT_T0_E_clISt17integral_constantIbLb0EES16_IbLb1EEEEDaS12_S13_EUlS12_E_NS1_11comp_targetILNS1_3genE3ELNS1_11target_archE908ELNS1_3gpuE7ELNS1_3repE0EEENS1_30default_config_static_selectorELNS0_4arch9wavefront6targetE1EEEvT1_
; %bb.0:
	.section	.rodata,"a",@progbits
	.p2align	6, 0x0
	.amdhsa_kernel _ZN7rocprim17ROCPRIM_400000_NS6detail17trampoline_kernelINS0_14default_configENS1_25partition_config_selectorILNS1_17partition_subalgoE8EhNS0_10empty_typeEbEEZZNS1_14partition_implILS5_8ELb0ES3_jPKhPS6_PKS6_NS0_5tupleIJPhS6_EEENSE_IJSB_SB_EEENS0_18inequality_wrapperIN6hipcub16HIPCUB_304000_NS8EqualityEEEPlJS6_EEE10hipError_tPvRmT3_T4_T5_T6_T7_T9_mT8_P12ihipStream_tbDpT10_ENKUlT_T0_E_clISt17integral_constantIbLb0EES16_IbLb1EEEEDaS12_S13_EUlS12_E_NS1_11comp_targetILNS1_3genE3ELNS1_11target_archE908ELNS1_3gpuE7ELNS1_3repE0EEENS1_30default_config_static_selectorELNS0_4arch9wavefront6targetE1EEEvT1_
		.amdhsa_group_segment_fixed_size 0
		.amdhsa_private_segment_fixed_size 0
		.amdhsa_kernarg_size 128
		.amdhsa_user_sgpr_count 2
		.amdhsa_user_sgpr_dispatch_ptr 0
		.amdhsa_user_sgpr_queue_ptr 0
		.amdhsa_user_sgpr_kernarg_segment_ptr 1
		.amdhsa_user_sgpr_dispatch_id 0
		.amdhsa_user_sgpr_kernarg_preload_length 0
		.amdhsa_user_sgpr_kernarg_preload_offset 0
		.amdhsa_user_sgpr_private_segment_size 0
		.amdhsa_uses_dynamic_stack 0
		.amdhsa_enable_private_segment 0
		.amdhsa_system_sgpr_workgroup_id_x 1
		.amdhsa_system_sgpr_workgroup_id_y 0
		.amdhsa_system_sgpr_workgroup_id_z 0
		.amdhsa_system_sgpr_workgroup_info 0
		.amdhsa_system_vgpr_workitem_id 0
		.amdhsa_next_free_vgpr 1
		.amdhsa_next_free_sgpr 0
		.amdhsa_accum_offset 4
		.amdhsa_reserve_vcc 0
		.amdhsa_float_round_mode_32 0
		.amdhsa_float_round_mode_16_64 0
		.amdhsa_float_denorm_mode_32 3
		.amdhsa_float_denorm_mode_16_64 3
		.amdhsa_dx10_clamp 1
		.amdhsa_ieee_mode 1
		.amdhsa_fp16_overflow 0
		.amdhsa_tg_split 0
		.amdhsa_exception_fp_ieee_invalid_op 0
		.amdhsa_exception_fp_denorm_src 0
		.amdhsa_exception_fp_ieee_div_zero 0
		.amdhsa_exception_fp_ieee_overflow 0
		.amdhsa_exception_fp_ieee_underflow 0
		.amdhsa_exception_fp_ieee_inexact 0
		.amdhsa_exception_int_div_zero 0
	.end_amdhsa_kernel
	.section	.text._ZN7rocprim17ROCPRIM_400000_NS6detail17trampoline_kernelINS0_14default_configENS1_25partition_config_selectorILNS1_17partition_subalgoE8EhNS0_10empty_typeEbEEZZNS1_14partition_implILS5_8ELb0ES3_jPKhPS6_PKS6_NS0_5tupleIJPhS6_EEENSE_IJSB_SB_EEENS0_18inequality_wrapperIN6hipcub16HIPCUB_304000_NS8EqualityEEEPlJS6_EEE10hipError_tPvRmT3_T4_T5_T6_T7_T9_mT8_P12ihipStream_tbDpT10_ENKUlT_T0_E_clISt17integral_constantIbLb0EES16_IbLb1EEEEDaS12_S13_EUlS12_E_NS1_11comp_targetILNS1_3genE3ELNS1_11target_archE908ELNS1_3gpuE7ELNS1_3repE0EEENS1_30default_config_static_selectorELNS0_4arch9wavefront6targetE1EEEvT1_,"axG",@progbits,_ZN7rocprim17ROCPRIM_400000_NS6detail17trampoline_kernelINS0_14default_configENS1_25partition_config_selectorILNS1_17partition_subalgoE8EhNS0_10empty_typeEbEEZZNS1_14partition_implILS5_8ELb0ES3_jPKhPS6_PKS6_NS0_5tupleIJPhS6_EEENSE_IJSB_SB_EEENS0_18inequality_wrapperIN6hipcub16HIPCUB_304000_NS8EqualityEEEPlJS6_EEE10hipError_tPvRmT3_T4_T5_T6_T7_T9_mT8_P12ihipStream_tbDpT10_ENKUlT_T0_E_clISt17integral_constantIbLb0EES16_IbLb1EEEEDaS12_S13_EUlS12_E_NS1_11comp_targetILNS1_3genE3ELNS1_11target_archE908ELNS1_3gpuE7ELNS1_3repE0EEENS1_30default_config_static_selectorELNS0_4arch9wavefront6targetE1EEEvT1_,comdat
.Lfunc_end161:
	.size	_ZN7rocprim17ROCPRIM_400000_NS6detail17trampoline_kernelINS0_14default_configENS1_25partition_config_selectorILNS1_17partition_subalgoE8EhNS0_10empty_typeEbEEZZNS1_14partition_implILS5_8ELb0ES3_jPKhPS6_PKS6_NS0_5tupleIJPhS6_EEENSE_IJSB_SB_EEENS0_18inequality_wrapperIN6hipcub16HIPCUB_304000_NS8EqualityEEEPlJS6_EEE10hipError_tPvRmT3_T4_T5_T6_T7_T9_mT8_P12ihipStream_tbDpT10_ENKUlT_T0_E_clISt17integral_constantIbLb0EES16_IbLb1EEEEDaS12_S13_EUlS12_E_NS1_11comp_targetILNS1_3genE3ELNS1_11target_archE908ELNS1_3gpuE7ELNS1_3repE0EEENS1_30default_config_static_selectorELNS0_4arch9wavefront6targetE1EEEvT1_, .Lfunc_end161-_ZN7rocprim17ROCPRIM_400000_NS6detail17trampoline_kernelINS0_14default_configENS1_25partition_config_selectorILNS1_17partition_subalgoE8EhNS0_10empty_typeEbEEZZNS1_14partition_implILS5_8ELb0ES3_jPKhPS6_PKS6_NS0_5tupleIJPhS6_EEENSE_IJSB_SB_EEENS0_18inequality_wrapperIN6hipcub16HIPCUB_304000_NS8EqualityEEEPlJS6_EEE10hipError_tPvRmT3_T4_T5_T6_T7_T9_mT8_P12ihipStream_tbDpT10_ENKUlT_T0_E_clISt17integral_constantIbLb0EES16_IbLb1EEEEDaS12_S13_EUlS12_E_NS1_11comp_targetILNS1_3genE3ELNS1_11target_archE908ELNS1_3gpuE7ELNS1_3repE0EEENS1_30default_config_static_selectorELNS0_4arch9wavefront6targetE1EEEvT1_
                                        ; -- End function
	.section	.AMDGPU.csdata,"",@progbits
; Kernel info:
; codeLenInByte = 0
; NumSgprs: 6
; NumVgprs: 0
; NumAgprs: 0
; TotalNumVgprs: 0
; ScratchSize: 0
; MemoryBound: 0
; FloatMode: 240
; IeeeMode: 1
; LDSByteSize: 0 bytes/workgroup (compile time only)
; SGPRBlocks: 0
; VGPRBlocks: 0
; NumSGPRsForWavesPerEU: 6
; NumVGPRsForWavesPerEU: 1
; AccumOffset: 4
; Occupancy: 8
; WaveLimiterHint : 0
; COMPUTE_PGM_RSRC2:SCRATCH_EN: 0
; COMPUTE_PGM_RSRC2:USER_SGPR: 2
; COMPUTE_PGM_RSRC2:TRAP_HANDLER: 0
; COMPUTE_PGM_RSRC2:TGID_X_EN: 1
; COMPUTE_PGM_RSRC2:TGID_Y_EN: 0
; COMPUTE_PGM_RSRC2:TGID_Z_EN: 0
; COMPUTE_PGM_RSRC2:TIDIG_COMP_CNT: 0
; COMPUTE_PGM_RSRC3_GFX90A:ACCUM_OFFSET: 0
; COMPUTE_PGM_RSRC3_GFX90A:TG_SPLIT: 0
	.section	.text._ZN7rocprim17ROCPRIM_400000_NS6detail17trampoline_kernelINS0_14default_configENS1_25partition_config_selectorILNS1_17partition_subalgoE8EhNS0_10empty_typeEbEEZZNS1_14partition_implILS5_8ELb0ES3_jPKhPS6_PKS6_NS0_5tupleIJPhS6_EEENSE_IJSB_SB_EEENS0_18inequality_wrapperIN6hipcub16HIPCUB_304000_NS8EqualityEEEPlJS6_EEE10hipError_tPvRmT3_T4_T5_T6_T7_T9_mT8_P12ihipStream_tbDpT10_ENKUlT_T0_E_clISt17integral_constantIbLb0EES16_IbLb1EEEEDaS12_S13_EUlS12_E_NS1_11comp_targetILNS1_3genE2ELNS1_11target_archE906ELNS1_3gpuE6ELNS1_3repE0EEENS1_30default_config_static_selectorELNS0_4arch9wavefront6targetE1EEEvT1_,"axG",@progbits,_ZN7rocprim17ROCPRIM_400000_NS6detail17trampoline_kernelINS0_14default_configENS1_25partition_config_selectorILNS1_17partition_subalgoE8EhNS0_10empty_typeEbEEZZNS1_14partition_implILS5_8ELb0ES3_jPKhPS6_PKS6_NS0_5tupleIJPhS6_EEENSE_IJSB_SB_EEENS0_18inequality_wrapperIN6hipcub16HIPCUB_304000_NS8EqualityEEEPlJS6_EEE10hipError_tPvRmT3_T4_T5_T6_T7_T9_mT8_P12ihipStream_tbDpT10_ENKUlT_T0_E_clISt17integral_constantIbLb0EES16_IbLb1EEEEDaS12_S13_EUlS12_E_NS1_11comp_targetILNS1_3genE2ELNS1_11target_archE906ELNS1_3gpuE6ELNS1_3repE0EEENS1_30default_config_static_selectorELNS0_4arch9wavefront6targetE1EEEvT1_,comdat
	.protected	_ZN7rocprim17ROCPRIM_400000_NS6detail17trampoline_kernelINS0_14default_configENS1_25partition_config_selectorILNS1_17partition_subalgoE8EhNS0_10empty_typeEbEEZZNS1_14partition_implILS5_8ELb0ES3_jPKhPS6_PKS6_NS0_5tupleIJPhS6_EEENSE_IJSB_SB_EEENS0_18inequality_wrapperIN6hipcub16HIPCUB_304000_NS8EqualityEEEPlJS6_EEE10hipError_tPvRmT3_T4_T5_T6_T7_T9_mT8_P12ihipStream_tbDpT10_ENKUlT_T0_E_clISt17integral_constantIbLb0EES16_IbLb1EEEEDaS12_S13_EUlS12_E_NS1_11comp_targetILNS1_3genE2ELNS1_11target_archE906ELNS1_3gpuE6ELNS1_3repE0EEENS1_30default_config_static_selectorELNS0_4arch9wavefront6targetE1EEEvT1_ ; -- Begin function _ZN7rocprim17ROCPRIM_400000_NS6detail17trampoline_kernelINS0_14default_configENS1_25partition_config_selectorILNS1_17partition_subalgoE8EhNS0_10empty_typeEbEEZZNS1_14partition_implILS5_8ELb0ES3_jPKhPS6_PKS6_NS0_5tupleIJPhS6_EEENSE_IJSB_SB_EEENS0_18inequality_wrapperIN6hipcub16HIPCUB_304000_NS8EqualityEEEPlJS6_EEE10hipError_tPvRmT3_T4_T5_T6_T7_T9_mT8_P12ihipStream_tbDpT10_ENKUlT_T0_E_clISt17integral_constantIbLb0EES16_IbLb1EEEEDaS12_S13_EUlS12_E_NS1_11comp_targetILNS1_3genE2ELNS1_11target_archE906ELNS1_3gpuE6ELNS1_3repE0EEENS1_30default_config_static_selectorELNS0_4arch9wavefront6targetE1EEEvT1_
	.globl	_ZN7rocprim17ROCPRIM_400000_NS6detail17trampoline_kernelINS0_14default_configENS1_25partition_config_selectorILNS1_17partition_subalgoE8EhNS0_10empty_typeEbEEZZNS1_14partition_implILS5_8ELb0ES3_jPKhPS6_PKS6_NS0_5tupleIJPhS6_EEENSE_IJSB_SB_EEENS0_18inequality_wrapperIN6hipcub16HIPCUB_304000_NS8EqualityEEEPlJS6_EEE10hipError_tPvRmT3_T4_T5_T6_T7_T9_mT8_P12ihipStream_tbDpT10_ENKUlT_T0_E_clISt17integral_constantIbLb0EES16_IbLb1EEEEDaS12_S13_EUlS12_E_NS1_11comp_targetILNS1_3genE2ELNS1_11target_archE906ELNS1_3gpuE6ELNS1_3repE0EEENS1_30default_config_static_selectorELNS0_4arch9wavefront6targetE1EEEvT1_
	.p2align	8
	.type	_ZN7rocprim17ROCPRIM_400000_NS6detail17trampoline_kernelINS0_14default_configENS1_25partition_config_selectorILNS1_17partition_subalgoE8EhNS0_10empty_typeEbEEZZNS1_14partition_implILS5_8ELb0ES3_jPKhPS6_PKS6_NS0_5tupleIJPhS6_EEENSE_IJSB_SB_EEENS0_18inequality_wrapperIN6hipcub16HIPCUB_304000_NS8EqualityEEEPlJS6_EEE10hipError_tPvRmT3_T4_T5_T6_T7_T9_mT8_P12ihipStream_tbDpT10_ENKUlT_T0_E_clISt17integral_constantIbLb0EES16_IbLb1EEEEDaS12_S13_EUlS12_E_NS1_11comp_targetILNS1_3genE2ELNS1_11target_archE906ELNS1_3gpuE6ELNS1_3repE0EEENS1_30default_config_static_selectorELNS0_4arch9wavefront6targetE1EEEvT1_,@function
_ZN7rocprim17ROCPRIM_400000_NS6detail17trampoline_kernelINS0_14default_configENS1_25partition_config_selectorILNS1_17partition_subalgoE8EhNS0_10empty_typeEbEEZZNS1_14partition_implILS5_8ELb0ES3_jPKhPS6_PKS6_NS0_5tupleIJPhS6_EEENSE_IJSB_SB_EEENS0_18inequality_wrapperIN6hipcub16HIPCUB_304000_NS8EqualityEEEPlJS6_EEE10hipError_tPvRmT3_T4_T5_T6_T7_T9_mT8_P12ihipStream_tbDpT10_ENKUlT_T0_E_clISt17integral_constantIbLb0EES16_IbLb1EEEEDaS12_S13_EUlS12_E_NS1_11comp_targetILNS1_3genE2ELNS1_11target_archE906ELNS1_3gpuE6ELNS1_3repE0EEENS1_30default_config_static_selectorELNS0_4arch9wavefront6targetE1EEEvT1_: ; @_ZN7rocprim17ROCPRIM_400000_NS6detail17trampoline_kernelINS0_14default_configENS1_25partition_config_selectorILNS1_17partition_subalgoE8EhNS0_10empty_typeEbEEZZNS1_14partition_implILS5_8ELb0ES3_jPKhPS6_PKS6_NS0_5tupleIJPhS6_EEENSE_IJSB_SB_EEENS0_18inequality_wrapperIN6hipcub16HIPCUB_304000_NS8EqualityEEEPlJS6_EEE10hipError_tPvRmT3_T4_T5_T6_T7_T9_mT8_P12ihipStream_tbDpT10_ENKUlT_T0_E_clISt17integral_constantIbLb0EES16_IbLb1EEEEDaS12_S13_EUlS12_E_NS1_11comp_targetILNS1_3genE2ELNS1_11target_archE906ELNS1_3gpuE6ELNS1_3repE0EEENS1_30default_config_static_selectorELNS0_4arch9wavefront6targetE1EEEvT1_
; %bb.0:
	.section	.rodata,"a",@progbits
	.p2align	6, 0x0
	.amdhsa_kernel _ZN7rocprim17ROCPRIM_400000_NS6detail17trampoline_kernelINS0_14default_configENS1_25partition_config_selectorILNS1_17partition_subalgoE8EhNS0_10empty_typeEbEEZZNS1_14partition_implILS5_8ELb0ES3_jPKhPS6_PKS6_NS0_5tupleIJPhS6_EEENSE_IJSB_SB_EEENS0_18inequality_wrapperIN6hipcub16HIPCUB_304000_NS8EqualityEEEPlJS6_EEE10hipError_tPvRmT3_T4_T5_T6_T7_T9_mT8_P12ihipStream_tbDpT10_ENKUlT_T0_E_clISt17integral_constantIbLb0EES16_IbLb1EEEEDaS12_S13_EUlS12_E_NS1_11comp_targetILNS1_3genE2ELNS1_11target_archE906ELNS1_3gpuE6ELNS1_3repE0EEENS1_30default_config_static_selectorELNS0_4arch9wavefront6targetE1EEEvT1_
		.amdhsa_group_segment_fixed_size 0
		.amdhsa_private_segment_fixed_size 0
		.amdhsa_kernarg_size 128
		.amdhsa_user_sgpr_count 2
		.amdhsa_user_sgpr_dispatch_ptr 0
		.amdhsa_user_sgpr_queue_ptr 0
		.amdhsa_user_sgpr_kernarg_segment_ptr 1
		.amdhsa_user_sgpr_dispatch_id 0
		.amdhsa_user_sgpr_kernarg_preload_length 0
		.amdhsa_user_sgpr_kernarg_preload_offset 0
		.amdhsa_user_sgpr_private_segment_size 0
		.amdhsa_uses_dynamic_stack 0
		.amdhsa_enable_private_segment 0
		.amdhsa_system_sgpr_workgroup_id_x 1
		.amdhsa_system_sgpr_workgroup_id_y 0
		.amdhsa_system_sgpr_workgroup_id_z 0
		.amdhsa_system_sgpr_workgroup_info 0
		.amdhsa_system_vgpr_workitem_id 0
		.amdhsa_next_free_vgpr 1
		.amdhsa_next_free_sgpr 0
		.amdhsa_accum_offset 4
		.amdhsa_reserve_vcc 0
		.amdhsa_float_round_mode_32 0
		.amdhsa_float_round_mode_16_64 0
		.amdhsa_float_denorm_mode_32 3
		.amdhsa_float_denorm_mode_16_64 3
		.amdhsa_dx10_clamp 1
		.amdhsa_ieee_mode 1
		.amdhsa_fp16_overflow 0
		.amdhsa_tg_split 0
		.amdhsa_exception_fp_ieee_invalid_op 0
		.amdhsa_exception_fp_denorm_src 0
		.amdhsa_exception_fp_ieee_div_zero 0
		.amdhsa_exception_fp_ieee_overflow 0
		.amdhsa_exception_fp_ieee_underflow 0
		.amdhsa_exception_fp_ieee_inexact 0
		.amdhsa_exception_int_div_zero 0
	.end_amdhsa_kernel
	.section	.text._ZN7rocprim17ROCPRIM_400000_NS6detail17trampoline_kernelINS0_14default_configENS1_25partition_config_selectorILNS1_17partition_subalgoE8EhNS0_10empty_typeEbEEZZNS1_14partition_implILS5_8ELb0ES3_jPKhPS6_PKS6_NS0_5tupleIJPhS6_EEENSE_IJSB_SB_EEENS0_18inequality_wrapperIN6hipcub16HIPCUB_304000_NS8EqualityEEEPlJS6_EEE10hipError_tPvRmT3_T4_T5_T6_T7_T9_mT8_P12ihipStream_tbDpT10_ENKUlT_T0_E_clISt17integral_constantIbLb0EES16_IbLb1EEEEDaS12_S13_EUlS12_E_NS1_11comp_targetILNS1_3genE2ELNS1_11target_archE906ELNS1_3gpuE6ELNS1_3repE0EEENS1_30default_config_static_selectorELNS0_4arch9wavefront6targetE1EEEvT1_,"axG",@progbits,_ZN7rocprim17ROCPRIM_400000_NS6detail17trampoline_kernelINS0_14default_configENS1_25partition_config_selectorILNS1_17partition_subalgoE8EhNS0_10empty_typeEbEEZZNS1_14partition_implILS5_8ELb0ES3_jPKhPS6_PKS6_NS0_5tupleIJPhS6_EEENSE_IJSB_SB_EEENS0_18inequality_wrapperIN6hipcub16HIPCUB_304000_NS8EqualityEEEPlJS6_EEE10hipError_tPvRmT3_T4_T5_T6_T7_T9_mT8_P12ihipStream_tbDpT10_ENKUlT_T0_E_clISt17integral_constantIbLb0EES16_IbLb1EEEEDaS12_S13_EUlS12_E_NS1_11comp_targetILNS1_3genE2ELNS1_11target_archE906ELNS1_3gpuE6ELNS1_3repE0EEENS1_30default_config_static_selectorELNS0_4arch9wavefront6targetE1EEEvT1_,comdat
.Lfunc_end162:
	.size	_ZN7rocprim17ROCPRIM_400000_NS6detail17trampoline_kernelINS0_14default_configENS1_25partition_config_selectorILNS1_17partition_subalgoE8EhNS0_10empty_typeEbEEZZNS1_14partition_implILS5_8ELb0ES3_jPKhPS6_PKS6_NS0_5tupleIJPhS6_EEENSE_IJSB_SB_EEENS0_18inequality_wrapperIN6hipcub16HIPCUB_304000_NS8EqualityEEEPlJS6_EEE10hipError_tPvRmT3_T4_T5_T6_T7_T9_mT8_P12ihipStream_tbDpT10_ENKUlT_T0_E_clISt17integral_constantIbLb0EES16_IbLb1EEEEDaS12_S13_EUlS12_E_NS1_11comp_targetILNS1_3genE2ELNS1_11target_archE906ELNS1_3gpuE6ELNS1_3repE0EEENS1_30default_config_static_selectorELNS0_4arch9wavefront6targetE1EEEvT1_, .Lfunc_end162-_ZN7rocprim17ROCPRIM_400000_NS6detail17trampoline_kernelINS0_14default_configENS1_25partition_config_selectorILNS1_17partition_subalgoE8EhNS0_10empty_typeEbEEZZNS1_14partition_implILS5_8ELb0ES3_jPKhPS6_PKS6_NS0_5tupleIJPhS6_EEENSE_IJSB_SB_EEENS0_18inequality_wrapperIN6hipcub16HIPCUB_304000_NS8EqualityEEEPlJS6_EEE10hipError_tPvRmT3_T4_T5_T6_T7_T9_mT8_P12ihipStream_tbDpT10_ENKUlT_T0_E_clISt17integral_constantIbLb0EES16_IbLb1EEEEDaS12_S13_EUlS12_E_NS1_11comp_targetILNS1_3genE2ELNS1_11target_archE906ELNS1_3gpuE6ELNS1_3repE0EEENS1_30default_config_static_selectorELNS0_4arch9wavefront6targetE1EEEvT1_
                                        ; -- End function
	.section	.AMDGPU.csdata,"",@progbits
; Kernel info:
; codeLenInByte = 0
; NumSgprs: 6
; NumVgprs: 0
; NumAgprs: 0
; TotalNumVgprs: 0
; ScratchSize: 0
; MemoryBound: 0
; FloatMode: 240
; IeeeMode: 1
; LDSByteSize: 0 bytes/workgroup (compile time only)
; SGPRBlocks: 0
; VGPRBlocks: 0
; NumSGPRsForWavesPerEU: 6
; NumVGPRsForWavesPerEU: 1
; AccumOffset: 4
; Occupancy: 8
; WaveLimiterHint : 0
; COMPUTE_PGM_RSRC2:SCRATCH_EN: 0
; COMPUTE_PGM_RSRC2:USER_SGPR: 2
; COMPUTE_PGM_RSRC2:TRAP_HANDLER: 0
; COMPUTE_PGM_RSRC2:TGID_X_EN: 1
; COMPUTE_PGM_RSRC2:TGID_Y_EN: 0
; COMPUTE_PGM_RSRC2:TGID_Z_EN: 0
; COMPUTE_PGM_RSRC2:TIDIG_COMP_CNT: 0
; COMPUTE_PGM_RSRC3_GFX90A:ACCUM_OFFSET: 0
; COMPUTE_PGM_RSRC3_GFX90A:TG_SPLIT: 0
	.section	.text._ZN7rocprim17ROCPRIM_400000_NS6detail17trampoline_kernelINS0_14default_configENS1_25partition_config_selectorILNS1_17partition_subalgoE8EhNS0_10empty_typeEbEEZZNS1_14partition_implILS5_8ELb0ES3_jPKhPS6_PKS6_NS0_5tupleIJPhS6_EEENSE_IJSB_SB_EEENS0_18inequality_wrapperIN6hipcub16HIPCUB_304000_NS8EqualityEEEPlJS6_EEE10hipError_tPvRmT3_T4_T5_T6_T7_T9_mT8_P12ihipStream_tbDpT10_ENKUlT_T0_E_clISt17integral_constantIbLb0EES16_IbLb1EEEEDaS12_S13_EUlS12_E_NS1_11comp_targetILNS1_3genE10ELNS1_11target_archE1200ELNS1_3gpuE4ELNS1_3repE0EEENS1_30default_config_static_selectorELNS0_4arch9wavefront6targetE1EEEvT1_,"axG",@progbits,_ZN7rocprim17ROCPRIM_400000_NS6detail17trampoline_kernelINS0_14default_configENS1_25partition_config_selectorILNS1_17partition_subalgoE8EhNS0_10empty_typeEbEEZZNS1_14partition_implILS5_8ELb0ES3_jPKhPS6_PKS6_NS0_5tupleIJPhS6_EEENSE_IJSB_SB_EEENS0_18inequality_wrapperIN6hipcub16HIPCUB_304000_NS8EqualityEEEPlJS6_EEE10hipError_tPvRmT3_T4_T5_T6_T7_T9_mT8_P12ihipStream_tbDpT10_ENKUlT_T0_E_clISt17integral_constantIbLb0EES16_IbLb1EEEEDaS12_S13_EUlS12_E_NS1_11comp_targetILNS1_3genE10ELNS1_11target_archE1200ELNS1_3gpuE4ELNS1_3repE0EEENS1_30default_config_static_selectorELNS0_4arch9wavefront6targetE1EEEvT1_,comdat
	.protected	_ZN7rocprim17ROCPRIM_400000_NS6detail17trampoline_kernelINS0_14default_configENS1_25partition_config_selectorILNS1_17partition_subalgoE8EhNS0_10empty_typeEbEEZZNS1_14partition_implILS5_8ELb0ES3_jPKhPS6_PKS6_NS0_5tupleIJPhS6_EEENSE_IJSB_SB_EEENS0_18inequality_wrapperIN6hipcub16HIPCUB_304000_NS8EqualityEEEPlJS6_EEE10hipError_tPvRmT3_T4_T5_T6_T7_T9_mT8_P12ihipStream_tbDpT10_ENKUlT_T0_E_clISt17integral_constantIbLb0EES16_IbLb1EEEEDaS12_S13_EUlS12_E_NS1_11comp_targetILNS1_3genE10ELNS1_11target_archE1200ELNS1_3gpuE4ELNS1_3repE0EEENS1_30default_config_static_selectorELNS0_4arch9wavefront6targetE1EEEvT1_ ; -- Begin function _ZN7rocprim17ROCPRIM_400000_NS6detail17trampoline_kernelINS0_14default_configENS1_25partition_config_selectorILNS1_17partition_subalgoE8EhNS0_10empty_typeEbEEZZNS1_14partition_implILS5_8ELb0ES3_jPKhPS6_PKS6_NS0_5tupleIJPhS6_EEENSE_IJSB_SB_EEENS0_18inequality_wrapperIN6hipcub16HIPCUB_304000_NS8EqualityEEEPlJS6_EEE10hipError_tPvRmT3_T4_T5_T6_T7_T9_mT8_P12ihipStream_tbDpT10_ENKUlT_T0_E_clISt17integral_constantIbLb0EES16_IbLb1EEEEDaS12_S13_EUlS12_E_NS1_11comp_targetILNS1_3genE10ELNS1_11target_archE1200ELNS1_3gpuE4ELNS1_3repE0EEENS1_30default_config_static_selectorELNS0_4arch9wavefront6targetE1EEEvT1_
	.globl	_ZN7rocprim17ROCPRIM_400000_NS6detail17trampoline_kernelINS0_14default_configENS1_25partition_config_selectorILNS1_17partition_subalgoE8EhNS0_10empty_typeEbEEZZNS1_14partition_implILS5_8ELb0ES3_jPKhPS6_PKS6_NS0_5tupleIJPhS6_EEENSE_IJSB_SB_EEENS0_18inequality_wrapperIN6hipcub16HIPCUB_304000_NS8EqualityEEEPlJS6_EEE10hipError_tPvRmT3_T4_T5_T6_T7_T9_mT8_P12ihipStream_tbDpT10_ENKUlT_T0_E_clISt17integral_constantIbLb0EES16_IbLb1EEEEDaS12_S13_EUlS12_E_NS1_11comp_targetILNS1_3genE10ELNS1_11target_archE1200ELNS1_3gpuE4ELNS1_3repE0EEENS1_30default_config_static_selectorELNS0_4arch9wavefront6targetE1EEEvT1_
	.p2align	8
	.type	_ZN7rocprim17ROCPRIM_400000_NS6detail17trampoline_kernelINS0_14default_configENS1_25partition_config_selectorILNS1_17partition_subalgoE8EhNS0_10empty_typeEbEEZZNS1_14partition_implILS5_8ELb0ES3_jPKhPS6_PKS6_NS0_5tupleIJPhS6_EEENSE_IJSB_SB_EEENS0_18inequality_wrapperIN6hipcub16HIPCUB_304000_NS8EqualityEEEPlJS6_EEE10hipError_tPvRmT3_T4_T5_T6_T7_T9_mT8_P12ihipStream_tbDpT10_ENKUlT_T0_E_clISt17integral_constantIbLb0EES16_IbLb1EEEEDaS12_S13_EUlS12_E_NS1_11comp_targetILNS1_3genE10ELNS1_11target_archE1200ELNS1_3gpuE4ELNS1_3repE0EEENS1_30default_config_static_selectorELNS0_4arch9wavefront6targetE1EEEvT1_,@function
_ZN7rocprim17ROCPRIM_400000_NS6detail17trampoline_kernelINS0_14default_configENS1_25partition_config_selectorILNS1_17partition_subalgoE8EhNS0_10empty_typeEbEEZZNS1_14partition_implILS5_8ELb0ES3_jPKhPS6_PKS6_NS0_5tupleIJPhS6_EEENSE_IJSB_SB_EEENS0_18inequality_wrapperIN6hipcub16HIPCUB_304000_NS8EqualityEEEPlJS6_EEE10hipError_tPvRmT3_T4_T5_T6_T7_T9_mT8_P12ihipStream_tbDpT10_ENKUlT_T0_E_clISt17integral_constantIbLb0EES16_IbLb1EEEEDaS12_S13_EUlS12_E_NS1_11comp_targetILNS1_3genE10ELNS1_11target_archE1200ELNS1_3gpuE4ELNS1_3repE0EEENS1_30default_config_static_selectorELNS0_4arch9wavefront6targetE1EEEvT1_: ; @_ZN7rocprim17ROCPRIM_400000_NS6detail17trampoline_kernelINS0_14default_configENS1_25partition_config_selectorILNS1_17partition_subalgoE8EhNS0_10empty_typeEbEEZZNS1_14partition_implILS5_8ELb0ES3_jPKhPS6_PKS6_NS0_5tupleIJPhS6_EEENSE_IJSB_SB_EEENS0_18inequality_wrapperIN6hipcub16HIPCUB_304000_NS8EqualityEEEPlJS6_EEE10hipError_tPvRmT3_T4_T5_T6_T7_T9_mT8_P12ihipStream_tbDpT10_ENKUlT_T0_E_clISt17integral_constantIbLb0EES16_IbLb1EEEEDaS12_S13_EUlS12_E_NS1_11comp_targetILNS1_3genE10ELNS1_11target_archE1200ELNS1_3gpuE4ELNS1_3repE0EEENS1_30default_config_static_selectorELNS0_4arch9wavefront6targetE1EEEvT1_
; %bb.0:
	.section	.rodata,"a",@progbits
	.p2align	6, 0x0
	.amdhsa_kernel _ZN7rocprim17ROCPRIM_400000_NS6detail17trampoline_kernelINS0_14default_configENS1_25partition_config_selectorILNS1_17partition_subalgoE8EhNS0_10empty_typeEbEEZZNS1_14partition_implILS5_8ELb0ES3_jPKhPS6_PKS6_NS0_5tupleIJPhS6_EEENSE_IJSB_SB_EEENS0_18inequality_wrapperIN6hipcub16HIPCUB_304000_NS8EqualityEEEPlJS6_EEE10hipError_tPvRmT3_T4_T5_T6_T7_T9_mT8_P12ihipStream_tbDpT10_ENKUlT_T0_E_clISt17integral_constantIbLb0EES16_IbLb1EEEEDaS12_S13_EUlS12_E_NS1_11comp_targetILNS1_3genE10ELNS1_11target_archE1200ELNS1_3gpuE4ELNS1_3repE0EEENS1_30default_config_static_selectorELNS0_4arch9wavefront6targetE1EEEvT1_
		.amdhsa_group_segment_fixed_size 0
		.amdhsa_private_segment_fixed_size 0
		.amdhsa_kernarg_size 128
		.amdhsa_user_sgpr_count 2
		.amdhsa_user_sgpr_dispatch_ptr 0
		.amdhsa_user_sgpr_queue_ptr 0
		.amdhsa_user_sgpr_kernarg_segment_ptr 1
		.amdhsa_user_sgpr_dispatch_id 0
		.amdhsa_user_sgpr_kernarg_preload_length 0
		.amdhsa_user_sgpr_kernarg_preload_offset 0
		.amdhsa_user_sgpr_private_segment_size 0
		.amdhsa_uses_dynamic_stack 0
		.amdhsa_enable_private_segment 0
		.amdhsa_system_sgpr_workgroup_id_x 1
		.amdhsa_system_sgpr_workgroup_id_y 0
		.amdhsa_system_sgpr_workgroup_id_z 0
		.amdhsa_system_sgpr_workgroup_info 0
		.amdhsa_system_vgpr_workitem_id 0
		.amdhsa_next_free_vgpr 1
		.amdhsa_next_free_sgpr 0
		.amdhsa_accum_offset 4
		.amdhsa_reserve_vcc 0
		.amdhsa_float_round_mode_32 0
		.amdhsa_float_round_mode_16_64 0
		.amdhsa_float_denorm_mode_32 3
		.amdhsa_float_denorm_mode_16_64 3
		.amdhsa_dx10_clamp 1
		.amdhsa_ieee_mode 1
		.amdhsa_fp16_overflow 0
		.amdhsa_tg_split 0
		.amdhsa_exception_fp_ieee_invalid_op 0
		.amdhsa_exception_fp_denorm_src 0
		.amdhsa_exception_fp_ieee_div_zero 0
		.amdhsa_exception_fp_ieee_overflow 0
		.amdhsa_exception_fp_ieee_underflow 0
		.amdhsa_exception_fp_ieee_inexact 0
		.amdhsa_exception_int_div_zero 0
	.end_amdhsa_kernel
	.section	.text._ZN7rocprim17ROCPRIM_400000_NS6detail17trampoline_kernelINS0_14default_configENS1_25partition_config_selectorILNS1_17partition_subalgoE8EhNS0_10empty_typeEbEEZZNS1_14partition_implILS5_8ELb0ES3_jPKhPS6_PKS6_NS0_5tupleIJPhS6_EEENSE_IJSB_SB_EEENS0_18inequality_wrapperIN6hipcub16HIPCUB_304000_NS8EqualityEEEPlJS6_EEE10hipError_tPvRmT3_T4_T5_T6_T7_T9_mT8_P12ihipStream_tbDpT10_ENKUlT_T0_E_clISt17integral_constantIbLb0EES16_IbLb1EEEEDaS12_S13_EUlS12_E_NS1_11comp_targetILNS1_3genE10ELNS1_11target_archE1200ELNS1_3gpuE4ELNS1_3repE0EEENS1_30default_config_static_selectorELNS0_4arch9wavefront6targetE1EEEvT1_,"axG",@progbits,_ZN7rocprim17ROCPRIM_400000_NS6detail17trampoline_kernelINS0_14default_configENS1_25partition_config_selectorILNS1_17partition_subalgoE8EhNS0_10empty_typeEbEEZZNS1_14partition_implILS5_8ELb0ES3_jPKhPS6_PKS6_NS0_5tupleIJPhS6_EEENSE_IJSB_SB_EEENS0_18inequality_wrapperIN6hipcub16HIPCUB_304000_NS8EqualityEEEPlJS6_EEE10hipError_tPvRmT3_T4_T5_T6_T7_T9_mT8_P12ihipStream_tbDpT10_ENKUlT_T0_E_clISt17integral_constantIbLb0EES16_IbLb1EEEEDaS12_S13_EUlS12_E_NS1_11comp_targetILNS1_3genE10ELNS1_11target_archE1200ELNS1_3gpuE4ELNS1_3repE0EEENS1_30default_config_static_selectorELNS0_4arch9wavefront6targetE1EEEvT1_,comdat
.Lfunc_end163:
	.size	_ZN7rocprim17ROCPRIM_400000_NS6detail17trampoline_kernelINS0_14default_configENS1_25partition_config_selectorILNS1_17partition_subalgoE8EhNS0_10empty_typeEbEEZZNS1_14partition_implILS5_8ELb0ES3_jPKhPS6_PKS6_NS0_5tupleIJPhS6_EEENSE_IJSB_SB_EEENS0_18inequality_wrapperIN6hipcub16HIPCUB_304000_NS8EqualityEEEPlJS6_EEE10hipError_tPvRmT3_T4_T5_T6_T7_T9_mT8_P12ihipStream_tbDpT10_ENKUlT_T0_E_clISt17integral_constantIbLb0EES16_IbLb1EEEEDaS12_S13_EUlS12_E_NS1_11comp_targetILNS1_3genE10ELNS1_11target_archE1200ELNS1_3gpuE4ELNS1_3repE0EEENS1_30default_config_static_selectorELNS0_4arch9wavefront6targetE1EEEvT1_, .Lfunc_end163-_ZN7rocprim17ROCPRIM_400000_NS6detail17trampoline_kernelINS0_14default_configENS1_25partition_config_selectorILNS1_17partition_subalgoE8EhNS0_10empty_typeEbEEZZNS1_14partition_implILS5_8ELb0ES3_jPKhPS6_PKS6_NS0_5tupleIJPhS6_EEENSE_IJSB_SB_EEENS0_18inequality_wrapperIN6hipcub16HIPCUB_304000_NS8EqualityEEEPlJS6_EEE10hipError_tPvRmT3_T4_T5_T6_T7_T9_mT8_P12ihipStream_tbDpT10_ENKUlT_T0_E_clISt17integral_constantIbLb0EES16_IbLb1EEEEDaS12_S13_EUlS12_E_NS1_11comp_targetILNS1_3genE10ELNS1_11target_archE1200ELNS1_3gpuE4ELNS1_3repE0EEENS1_30default_config_static_selectorELNS0_4arch9wavefront6targetE1EEEvT1_
                                        ; -- End function
	.section	.AMDGPU.csdata,"",@progbits
; Kernel info:
; codeLenInByte = 0
; NumSgprs: 6
; NumVgprs: 0
; NumAgprs: 0
; TotalNumVgprs: 0
; ScratchSize: 0
; MemoryBound: 0
; FloatMode: 240
; IeeeMode: 1
; LDSByteSize: 0 bytes/workgroup (compile time only)
; SGPRBlocks: 0
; VGPRBlocks: 0
; NumSGPRsForWavesPerEU: 6
; NumVGPRsForWavesPerEU: 1
; AccumOffset: 4
; Occupancy: 8
; WaveLimiterHint : 0
; COMPUTE_PGM_RSRC2:SCRATCH_EN: 0
; COMPUTE_PGM_RSRC2:USER_SGPR: 2
; COMPUTE_PGM_RSRC2:TRAP_HANDLER: 0
; COMPUTE_PGM_RSRC2:TGID_X_EN: 1
; COMPUTE_PGM_RSRC2:TGID_Y_EN: 0
; COMPUTE_PGM_RSRC2:TGID_Z_EN: 0
; COMPUTE_PGM_RSRC2:TIDIG_COMP_CNT: 0
; COMPUTE_PGM_RSRC3_GFX90A:ACCUM_OFFSET: 0
; COMPUTE_PGM_RSRC3_GFX90A:TG_SPLIT: 0
	.section	.text._ZN7rocprim17ROCPRIM_400000_NS6detail17trampoline_kernelINS0_14default_configENS1_25partition_config_selectorILNS1_17partition_subalgoE8EhNS0_10empty_typeEbEEZZNS1_14partition_implILS5_8ELb0ES3_jPKhPS6_PKS6_NS0_5tupleIJPhS6_EEENSE_IJSB_SB_EEENS0_18inequality_wrapperIN6hipcub16HIPCUB_304000_NS8EqualityEEEPlJS6_EEE10hipError_tPvRmT3_T4_T5_T6_T7_T9_mT8_P12ihipStream_tbDpT10_ENKUlT_T0_E_clISt17integral_constantIbLb0EES16_IbLb1EEEEDaS12_S13_EUlS12_E_NS1_11comp_targetILNS1_3genE9ELNS1_11target_archE1100ELNS1_3gpuE3ELNS1_3repE0EEENS1_30default_config_static_selectorELNS0_4arch9wavefront6targetE1EEEvT1_,"axG",@progbits,_ZN7rocprim17ROCPRIM_400000_NS6detail17trampoline_kernelINS0_14default_configENS1_25partition_config_selectorILNS1_17partition_subalgoE8EhNS0_10empty_typeEbEEZZNS1_14partition_implILS5_8ELb0ES3_jPKhPS6_PKS6_NS0_5tupleIJPhS6_EEENSE_IJSB_SB_EEENS0_18inequality_wrapperIN6hipcub16HIPCUB_304000_NS8EqualityEEEPlJS6_EEE10hipError_tPvRmT3_T4_T5_T6_T7_T9_mT8_P12ihipStream_tbDpT10_ENKUlT_T0_E_clISt17integral_constantIbLb0EES16_IbLb1EEEEDaS12_S13_EUlS12_E_NS1_11comp_targetILNS1_3genE9ELNS1_11target_archE1100ELNS1_3gpuE3ELNS1_3repE0EEENS1_30default_config_static_selectorELNS0_4arch9wavefront6targetE1EEEvT1_,comdat
	.protected	_ZN7rocprim17ROCPRIM_400000_NS6detail17trampoline_kernelINS0_14default_configENS1_25partition_config_selectorILNS1_17partition_subalgoE8EhNS0_10empty_typeEbEEZZNS1_14partition_implILS5_8ELb0ES3_jPKhPS6_PKS6_NS0_5tupleIJPhS6_EEENSE_IJSB_SB_EEENS0_18inequality_wrapperIN6hipcub16HIPCUB_304000_NS8EqualityEEEPlJS6_EEE10hipError_tPvRmT3_T4_T5_T6_T7_T9_mT8_P12ihipStream_tbDpT10_ENKUlT_T0_E_clISt17integral_constantIbLb0EES16_IbLb1EEEEDaS12_S13_EUlS12_E_NS1_11comp_targetILNS1_3genE9ELNS1_11target_archE1100ELNS1_3gpuE3ELNS1_3repE0EEENS1_30default_config_static_selectorELNS0_4arch9wavefront6targetE1EEEvT1_ ; -- Begin function _ZN7rocprim17ROCPRIM_400000_NS6detail17trampoline_kernelINS0_14default_configENS1_25partition_config_selectorILNS1_17partition_subalgoE8EhNS0_10empty_typeEbEEZZNS1_14partition_implILS5_8ELb0ES3_jPKhPS6_PKS6_NS0_5tupleIJPhS6_EEENSE_IJSB_SB_EEENS0_18inequality_wrapperIN6hipcub16HIPCUB_304000_NS8EqualityEEEPlJS6_EEE10hipError_tPvRmT3_T4_T5_T6_T7_T9_mT8_P12ihipStream_tbDpT10_ENKUlT_T0_E_clISt17integral_constantIbLb0EES16_IbLb1EEEEDaS12_S13_EUlS12_E_NS1_11comp_targetILNS1_3genE9ELNS1_11target_archE1100ELNS1_3gpuE3ELNS1_3repE0EEENS1_30default_config_static_selectorELNS0_4arch9wavefront6targetE1EEEvT1_
	.globl	_ZN7rocprim17ROCPRIM_400000_NS6detail17trampoline_kernelINS0_14default_configENS1_25partition_config_selectorILNS1_17partition_subalgoE8EhNS0_10empty_typeEbEEZZNS1_14partition_implILS5_8ELb0ES3_jPKhPS6_PKS6_NS0_5tupleIJPhS6_EEENSE_IJSB_SB_EEENS0_18inequality_wrapperIN6hipcub16HIPCUB_304000_NS8EqualityEEEPlJS6_EEE10hipError_tPvRmT3_T4_T5_T6_T7_T9_mT8_P12ihipStream_tbDpT10_ENKUlT_T0_E_clISt17integral_constantIbLb0EES16_IbLb1EEEEDaS12_S13_EUlS12_E_NS1_11comp_targetILNS1_3genE9ELNS1_11target_archE1100ELNS1_3gpuE3ELNS1_3repE0EEENS1_30default_config_static_selectorELNS0_4arch9wavefront6targetE1EEEvT1_
	.p2align	8
	.type	_ZN7rocprim17ROCPRIM_400000_NS6detail17trampoline_kernelINS0_14default_configENS1_25partition_config_selectorILNS1_17partition_subalgoE8EhNS0_10empty_typeEbEEZZNS1_14partition_implILS5_8ELb0ES3_jPKhPS6_PKS6_NS0_5tupleIJPhS6_EEENSE_IJSB_SB_EEENS0_18inequality_wrapperIN6hipcub16HIPCUB_304000_NS8EqualityEEEPlJS6_EEE10hipError_tPvRmT3_T4_T5_T6_T7_T9_mT8_P12ihipStream_tbDpT10_ENKUlT_T0_E_clISt17integral_constantIbLb0EES16_IbLb1EEEEDaS12_S13_EUlS12_E_NS1_11comp_targetILNS1_3genE9ELNS1_11target_archE1100ELNS1_3gpuE3ELNS1_3repE0EEENS1_30default_config_static_selectorELNS0_4arch9wavefront6targetE1EEEvT1_,@function
_ZN7rocprim17ROCPRIM_400000_NS6detail17trampoline_kernelINS0_14default_configENS1_25partition_config_selectorILNS1_17partition_subalgoE8EhNS0_10empty_typeEbEEZZNS1_14partition_implILS5_8ELb0ES3_jPKhPS6_PKS6_NS0_5tupleIJPhS6_EEENSE_IJSB_SB_EEENS0_18inequality_wrapperIN6hipcub16HIPCUB_304000_NS8EqualityEEEPlJS6_EEE10hipError_tPvRmT3_T4_T5_T6_T7_T9_mT8_P12ihipStream_tbDpT10_ENKUlT_T0_E_clISt17integral_constantIbLb0EES16_IbLb1EEEEDaS12_S13_EUlS12_E_NS1_11comp_targetILNS1_3genE9ELNS1_11target_archE1100ELNS1_3gpuE3ELNS1_3repE0EEENS1_30default_config_static_selectorELNS0_4arch9wavefront6targetE1EEEvT1_: ; @_ZN7rocprim17ROCPRIM_400000_NS6detail17trampoline_kernelINS0_14default_configENS1_25partition_config_selectorILNS1_17partition_subalgoE8EhNS0_10empty_typeEbEEZZNS1_14partition_implILS5_8ELb0ES3_jPKhPS6_PKS6_NS0_5tupleIJPhS6_EEENSE_IJSB_SB_EEENS0_18inequality_wrapperIN6hipcub16HIPCUB_304000_NS8EqualityEEEPlJS6_EEE10hipError_tPvRmT3_T4_T5_T6_T7_T9_mT8_P12ihipStream_tbDpT10_ENKUlT_T0_E_clISt17integral_constantIbLb0EES16_IbLb1EEEEDaS12_S13_EUlS12_E_NS1_11comp_targetILNS1_3genE9ELNS1_11target_archE1100ELNS1_3gpuE3ELNS1_3repE0EEENS1_30default_config_static_selectorELNS0_4arch9wavefront6targetE1EEEvT1_
; %bb.0:
	.section	.rodata,"a",@progbits
	.p2align	6, 0x0
	.amdhsa_kernel _ZN7rocprim17ROCPRIM_400000_NS6detail17trampoline_kernelINS0_14default_configENS1_25partition_config_selectorILNS1_17partition_subalgoE8EhNS0_10empty_typeEbEEZZNS1_14partition_implILS5_8ELb0ES3_jPKhPS6_PKS6_NS0_5tupleIJPhS6_EEENSE_IJSB_SB_EEENS0_18inequality_wrapperIN6hipcub16HIPCUB_304000_NS8EqualityEEEPlJS6_EEE10hipError_tPvRmT3_T4_T5_T6_T7_T9_mT8_P12ihipStream_tbDpT10_ENKUlT_T0_E_clISt17integral_constantIbLb0EES16_IbLb1EEEEDaS12_S13_EUlS12_E_NS1_11comp_targetILNS1_3genE9ELNS1_11target_archE1100ELNS1_3gpuE3ELNS1_3repE0EEENS1_30default_config_static_selectorELNS0_4arch9wavefront6targetE1EEEvT1_
		.amdhsa_group_segment_fixed_size 0
		.amdhsa_private_segment_fixed_size 0
		.amdhsa_kernarg_size 128
		.amdhsa_user_sgpr_count 2
		.amdhsa_user_sgpr_dispatch_ptr 0
		.amdhsa_user_sgpr_queue_ptr 0
		.amdhsa_user_sgpr_kernarg_segment_ptr 1
		.amdhsa_user_sgpr_dispatch_id 0
		.amdhsa_user_sgpr_kernarg_preload_length 0
		.amdhsa_user_sgpr_kernarg_preload_offset 0
		.amdhsa_user_sgpr_private_segment_size 0
		.amdhsa_uses_dynamic_stack 0
		.amdhsa_enable_private_segment 0
		.amdhsa_system_sgpr_workgroup_id_x 1
		.amdhsa_system_sgpr_workgroup_id_y 0
		.amdhsa_system_sgpr_workgroup_id_z 0
		.amdhsa_system_sgpr_workgroup_info 0
		.amdhsa_system_vgpr_workitem_id 0
		.amdhsa_next_free_vgpr 1
		.amdhsa_next_free_sgpr 0
		.amdhsa_accum_offset 4
		.amdhsa_reserve_vcc 0
		.amdhsa_float_round_mode_32 0
		.amdhsa_float_round_mode_16_64 0
		.amdhsa_float_denorm_mode_32 3
		.amdhsa_float_denorm_mode_16_64 3
		.amdhsa_dx10_clamp 1
		.amdhsa_ieee_mode 1
		.amdhsa_fp16_overflow 0
		.amdhsa_tg_split 0
		.amdhsa_exception_fp_ieee_invalid_op 0
		.amdhsa_exception_fp_denorm_src 0
		.amdhsa_exception_fp_ieee_div_zero 0
		.amdhsa_exception_fp_ieee_overflow 0
		.amdhsa_exception_fp_ieee_underflow 0
		.amdhsa_exception_fp_ieee_inexact 0
		.amdhsa_exception_int_div_zero 0
	.end_amdhsa_kernel
	.section	.text._ZN7rocprim17ROCPRIM_400000_NS6detail17trampoline_kernelINS0_14default_configENS1_25partition_config_selectorILNS1_17partition_subalgoE8EhNS0_10empty_typeEbEEZZNS1_14partition_implILS5_8ELb0ES3_jPKhPS6_PKS6_NS0_5tupleIJPhS6_EEENSE_IJSB_SB_EEENS0_18inequality_wrapperIN6hipcub16HIPCUB_304000_NS8EqualityEEEPlJS6_EEE10hipError_tPvRmT3_T4_T5_T6_T7_T9_mT8_P12ihipStream_tbDpT10_ENKUlT_T0_E_clISt17integral_constantIbLb0EES16_IbLb1EEEEDaS12_S13_EUlS12_E_NS1_11comp_targetILNS1_3genE9ELNS1_11target_archE1100ELNS1_3gpuE3ELNS1_3repE0EEENS1_30default_config_static_selectorELNS0_4arch9wavefront6targetE1EEEvT1_,"axG",@progbits,_ZN7rocprim17ROCPRIM_400000_NS6detail17trampoline_kernelINS0_14default_configENS1_25partition_config_selectorILNS1_17partition_subalgoE8EhNS0_10empty_typeEbEEZZNS1_14partition_implILS5_8ELb0ES3_jPKhPS6_PKS6_NS0_5tupleIJPhS6_EEENSE_IJSB_SB_EEENS0_18inequality_wrapperIN6hipcub16HIPCUB_304000_NS8EqualityEEEPlJS6_EEE10hipError_tPvRmT3_T4_T5_T6_T7_T9_mT8_P12ihipStream_tbDpT10_ENKUlT_T0_E_clISt17integral_constantIbLb0EES16_IbLb1EEEEDaS12_S13_EUlS12_E_NS1_11comp_targetILNS1_3genE9ELNS1_11target_archE1100ELNS1_3gpuE3ELNS1_3repE0EEENS1_30default_config_static_selectorELNS0_4arch9wavefront6targetE1EEEvT1_,comdat
.Lfunc_end164:
	.size	_ZN7rocprim17ROCPRIM_400000_NS6detail17trampoline_kernelINS0_14default_configENS1_25partition_config_selectorILNS1_17partition_subalgoE8EhNS0_10empty_typeEbEEZZNS1_14partition_implILS5_8ELb0ES3_jPKhPS6_PKS6_NS0_5tupleIJPhS6_EEENSE_IJSB_SB_EEENS0_18inequality_wrapperIN6hipcub16HIPCUB_304000_NS8EqualityEEEPlJS6_EEE10hipError_tPvRmT3_T4_T5_T6_T7_T9_mT8_P12ihipStream_tbDpT10_ENKUlT_T0_E_clISt17integral_constantIbLb0EES16_IbLb1EEEEDaS12_S13_EUlS12_E_NS1_11comp_targetILNS1_3genE9ELNS1_11target_archE1100ELNS1_3gpuE3ELNS1_3repE0EEENS1_30default_config_static_selectorELNS0_4arch9wavefront6targetE1EEEvT1_, .Lfunc_end164-_ZN7rocprim17ROCPRIM_400000_NS6detail17trampoline_kernelINS0_14default_configENS1_25partition_config_selectorILNS1_17partition_subalgoE8EhNS0_10empty_typeEbEEZZNS1_14partition_implILS5_8ELb0ES3_jPKhPS6_PKS6_NS0_5tupleIJPhS6_EEENSE_IJSB_SB_EEENS0_18inequality_wrapperIN6hipcub16HIPCUB_304000_NS8EqualityEEEPlJS6_EEE10hipError_tPvRmT3_T4_T5_T6_T7_T9_mT8_P12ihipStream_tbDpT10_ENKUlT_T0_E_clISt17integral_constantIbLb0EES16_IbLb1EEEEDaS12_S13_EUlS12_E_NS1_11comp_targetILNS1_3genE9ELNS1_11target_archE1100ELNS1_3gpuE3ELNS1_3repE0EEENS1_30default_config_static_selectorELNS0_4arch9wavefront6targetE1EEEvT1_
                                        ; -- End function
	.section	.AMDGPU.csdata,"",@progbits
; Kernel info:
; codeLenInByte = 0
; NumSgprs: 6
; NumVgprs: 0
; NumAgprs: 0
; TotalNumVgprs: 0
; ScratchSize: 0
; MemoryBound: 0
; FloatMode: 240
; IeeeMode: 1
; LDSByteSize: 0 bytes/workgroup (compile time only)
; SGPRBlocks: 0
; VGPRBlocks: 0
; NumSGPRsForWavesPerEU: 6
; NumVGPRsForWavesPerEU: 1
; AccumOffset: 4
; Occupancy: 8
; WaveLimiterHint : 0
; COMPUTE_PGM_RSRC2:SCRATCH_EN: 0
; COMPUTE_PGM_RSRC2:USER_SGPR: 2
; COMPUTE_PGM_RSRC2:TRAP_HANDLER: 0
; COMPUTE_PGM_RSRC2:TGID_X_EN: 1
; COMPUTE_PGM_RSRC2:TGID_Y_EN: 0
; COMPUTE_PGM_RSRC2:TGID_Z_EN: 0
; COMPUTE_PGM_RSRC2:TIDIG_COMP_CNT: 0
; COMPUTE_PGM_RSRC3_GFX90A:ACCUM_OFFSET: 0
; COMPUTE_PGM_RSRC3_GFX90A:TG_SPLIT: 0
	.section	.text._ZN7rocprim17ROCPRIM_400000_NS6detail17trampoline_kernelINS0_14default_configENS1_25partition_config_selectorILNS1_17partition_subalgoE8EhNS0_10empty_typeEbEEZZNS1_14partition_implILS5_8ELb0ES3_jPKhPS6_PKS6_NS0_5tupleIJPhS6_EEENSE_IJSB_SB_EEENS0_18inequality_wrapperIN6hipcub16HIPCUB_304000_NS8EqualityEEEPlJS6_EEE10hipError_tPvRmT3_T4_T5_T6_T7_T9_mT8_P12ihipStream_tbDpT10_ENKUlT_T0_E_clISt17integral_constantIbLb0EES16_IbLb1EEEEDaS12_S13_EUlS12_E_NS1_11comp_targetILNS1_3genE8ELNS1_11target_archE1030ELNS1_3gpuE2ELNS1_3repE0EEENS1_30default_config_static_selectorELNS0_4arch9wavefront6targetE1EEEvT1_,"axG",@progbits,_ZN7rocprim17ROCPRIM_400000_NS6detail17trampoline_kernelINS0_14default_configENS1_25partition_config_selectorILNS1_17partition_subalgoE8EhNS0_10empty_typeEbEEZZNS1_14partition_implILS5_8ELb0ES3_jPKhPS6_PKS6_NS0_5tupleIJPhS6_EEENSE_IJSB_SB_EEENS0_18inequality_wrapperIN6hipcub16HIPCUB_304000_NS8EqualityEEEPlJS6_EEE10hipError_tPvRmT3_T4_T5_T6_T7_T9_mT8_P12ihipStream_tbDpT10_ENKUlT_T0_E_clISt17integral_constantIbLb0EES16_IbLb1EEEEDaS12_S13_EUlS12_E_NS1_11comp_targetILNS1_3genE8ELNS1_11target_archE1030ELNS1_3gpuE2ELNS1_3repE0EEENS1_30default_config_static_selectorELNS0_4arch9wavefront6targetE1EEEvT1_,comdat
	.protected	_ZN7rocprim17ROCPRIM_400000_NS6detail17trampoline_kernelINS0_14default_configENS1_25partition_config_selectorILNS1_17partition_subalgoE8EhNS0_10empty_typeEbEEZZNS1_14partition_implILS5_8ELb0ES3_jPKhPS6_PKS6_NS0_5tupleIJPhS6_EEENSE_IJSB_SB_EEENS0_18inequality_wrapperIN6hipcub16HIPCUB_304000_NS8EqualityEEEPlJS6_EEE10hipError_tPvRmT3_T4_T5_T6_T7_T9_mT8_P12ihipStream_tbDpT10_ENKUlT_T0_E_clISt17integral_constantIbLb0EES16_IbLb1EEEEDaS12_S13_EUlS12_E_NS1_11comp_targetILNS1_3genE8ELNS1_11target_archE1030ELNS1_3gpuE2ELNS1_3repE0EEENS1_30default_config_static_selectorELNS0_4arch9wavefront6targetE1EEEvT1_ ; -- Begin function _ZN7rocprim17ROCPRIM_400000_NS6detail17trampoline_kernelINS0_14default_configENS1_25partition_config_selectorILNS1_17partition_subalgoE8EhNS0_10empty_typeEbEEZZNS1_14partition_implILS5_8ELb0ES3_jPKhPS6_PKS6_NS0_5tupleIJPhS6_EEENSE_IJSB_SB_EEENS0_18inequality_wrapperIN6hipcub16HIPCUB_304000_NS8EqualityEEEPlJS6_EEE10hipError_tPvRmT3_T4_T5_T6_T7_T9_mT8_P12ihipStream_tbDpT10_ENKUlT_T0_E_clISt17integral_constantIbLb0EES16_IbLb1EEEEDaS12_S13_EUlS12_E_NS1_11comp_targetILNS1_3genE8ELNS1_11target_archE1030ELNS1_3gpuE2ELNS1_3repE0EEENS1_30default_config_static_selectorELNS0_4arch9wavefront6targetE1EEEvT1_
	.globl	_ZN7rocprim17ROCPRIM_400000_NS6detail17trampoline_kernelINS0_14default_configENS1_25partition_config_selectorILNS1_17partition_subalgoE8EhNS0_10empty_typeEbEEZZNS1_14partition_implILS5_8ELb0ES3_jPKhPS6_PKS6_NS0_5tupleIJPhS6_EEENSE_IJSB_SB_EEENS0_18inequality_wrapperIN6hipcub16HIPCUB_304000_NS8EqualityEEEPlJS6_EEE10hipError_tPvRmT3_T4_T5_T6_T7_T9_mT8_P12ihipStream_tbDpT10_ENKUlT_T0_E_clISt17integral_constantIbLb0EES16_IbLb1EEEEDaS12_S13_EUlS12_E_NS1_11comp_targetILNS1_3genE8ELNS1_11target_archE1030ELNS1_3gpuE2ELNS1_3repE0EEENS1_30default_config_static_selectorELNS0_4arch9wavefront6targetE1EEEvT1_
	.p2align	8
	.type	_ZN7rocprim17ROCPRIM_400000_NS6detail17trampoline_kernelINS0_14default_configENS1_25partition_config_selectorILNS1_17partition_subalgoE8EhNS0_10empty_typeEbEEZZNS1_14partition_implILS5_8ELb0ES3_jPKhPS6_PKS6_NS0_5tupleIJPhS6_EEENSE_IJSB_SB_EEENS0_18inequality_wrapperIN6hipcub16HIPCUB_304000_NS8EqualityEEEPlJS6_EEE10hipError_tPvRmT3_T4_T5_T6_T7_T9_mT8_P12ihipStream_tbDpT10_ENKUlT_T0_E_clISt17integral_constantIbLb0EES16_IbLb1EEEEDaS12_S13_EUlS12_E_NS1_11comp_targetILNS1_3genE8ELNS1_11target_archE1030ELNS1_3gpuE2ELNS1_3repE0EEENS1_30default_config_static_selectorELNS0_4arch9wavefront6targetE1EEEvT1_,@function
_ZN7rocprim17ROCPRIM_400000_NS6detail17trampoline_kernelINS0_14default_configENS1_25partition_config_selectorILNS1_17partition_subalgoE8EhNS0_10empty_typeEbEEZZNS1_14partition_implILS5_8ELb0ES3_jPKhPS6_PKS6_NS0_5tupleIJPhS6_EEENSE_IJSB_SB_EEENS0_18inequality_wrapperIN6hipcub16HIPCUB_304000_NS8EqualityEEEPlJS6_EEE10hipError_tPvRmT3_T4_T5_T6_T7_T9_mT8_P12ihipStream_tbDpT10_ENKUlT_T0_E_clISt17integral_constantIbLb0EES16_IbLb1EEEEDaS12_S13_EUlS12_E_NS1_11comp_targetILNS1_3genE8ELNS1_11target_archE1030ELNS1_3gpuE2ELNS1_3repE0EEENS1_30default_config_static_selectorELNS0_4arch9wavefront6targetE1EEEvT1_: ; @_ZN7rocprim17ROCPRIM_400000_NS6detail17trampoline_kernelINS0_14default_configENS1_25partition_config_selectorILNS1_17partition_subalgoE8EhNS0_10empty_typeEbEEZZNS1_14partition_implILS5_8ELb0ES3_jPKhPS6_PKS6_NS0_5tupleIJPhS6_EEENSE_IJSB_SB_EEENS0_18inequality_wrapperIN6hipcub16HIPCUB_304000_NS8EqualityEEEPlJS6_EEE10hipError_tPvRmT3_T4_T5_T6_T7_T9_mT8_P12ihipStream_tbDpT10_ENKUlT_T0_E_clISt17integral_constantIbLb0EES16_IbLb1EEEEDaS12_S13_EUlS12_E_NS1_11comp_targetILNS1_3genE8ELNS1_11target_archE1030ELNS1_3gpuE2ELNS1_3repE0EEENS1_30default_config_static_selectorELNS0_4arch9wavefront6targetE1EEEvT1_
; %bb.0:
	.section	.rodata,"a",@progbits
	.p2align	6, 0x0
	.amdhsa_kernel _ZN7rocprim17ROCPRIM_400000_NS6detail17trampoline_kernelINS0_14default_configENS1_25partition_config_selectorILNS1_17partition_subalgoE8EhNS0_10empty_typeEbEEZZNS1_14partition_implILS5_8ELb0ES3_jPKhPS6_PKS6_NS0_5tupleIJPhS6_EEENSE_IJSB_SB_EEENS0_18inequality_wrapperIN6hipcub16HIPCUB_304000_NS8EqualityEEEPlJS6_EEE10hipError_tPvRmT3_T4_T5_T6_T7_T9_mT8_P12ihipStream_tbDpT10_ENKUlT_T0_E_clISt17integral_constantIbLb0EES16_IbLb1EEEEDaS12_S13_EUlS12_E_NS1_11comp_targetILNS1_3genE8ELNS1_11target_archE1030ELNS1_3gpuE2ELNS1_3repE0EEENS1_30default_config_static_selectorELNS0_4arch9wavefront6targetE1EEEvT1_
		.amdhsa_group_segment_fixed_size 0
		.amdhsa_private_segment_fixed_size 0
		.amdhsa_kernarg_size 128
		.amdhsa_user_sgpr_count 2
		.amdhsa_user_sgpr_dispatch_ptr 0
		.amdhsa_user_sgpr_queue_ptr 0
		.amdhsa_user_sgpr_kernarg_segment_ptr 1
		.amdhsa_user_sgpr_dispatch_id 0
		.amdhsa_user_sgpr_kernarg_preload_length 0
		.amdhsa_user_sgpr_kernarg_preload_offset 0
		.amdhsa_user_sgpr_private_segment_size 0
		.amdhsa_uses_dynamic_stack 0
		.amdhsa_enable_private_segment 0
		.amdhsa_system_sgpr_workgroup_id_x 1
		.amdhsa_system_sgpr_workgroup_id_y 0
		.amdhsa_system_sgpr_workgroup_id_z 0
		.amdhsa_system_sgpr_workgroup_info 0
		.amdhsa_system_vgpr_workitem_id 0
		.amdhsa_next_free_vgpr 1
		.amdhsa_next_free_sgpr 0
		.amdhsa_accum_offset 4
		.amdhsa_reserve_vcc 0
		.amdhsa_float_round_mode_32 0
		.amdhsa_float_round_mode_16_64 0
		.amdhsa_float_denorm_mode_32 3
		.amdhsa_float_denorm_mode_16_64 3
		.amdhsa_dx10_clamp 1
		.amdhsa_ieee_mode 1
		.amdhsa_fp16_overflow 0
		.amdhsa_tg_split 0
		.amdhsa_exception_fp_ieee_invalid_op 0
		.amdhsa_exception_fp_denorm_src 0
		.amdhsa_exception_fp_ieee_div_zero 0
		.amdhsa_exception_fp_ieee_overflow 0
		.amdhsa_exception_fp_ieee_underflow 0
		.amdhsa_exception_fp_ieee_inexact 0
		.amdhsa_exception_int_div_zero 0
	.end_amdhsa_kernel
	.section	.text._ZN7rocprim17ROCPRIM_400000_NS6detail17trampoline_kernelINS0_14default_configENS1_25partition_config_selectorILNS1_17partition_subalgoE8EhNS0_10empty_typeEbEEZZNS1_14partition_implILS5_8ELb0ES3_jPKhPS6_PKS6_NS0_5tupleIJPhS6_EEENSE_IJSB_SB_EEENS0_18inequality_wrapperIN6hipcub16HIPCUB_304000_NS8EqualityEEEPlJS6_EEE10hipError_tPvRmT3_T4_T5_T6_T7_T9_mT8_P12ihipStream_tbDpT10_ENKUlT_T0_E_clISt17integral_constantIbLb0EES16_IbLb1EEEEDaS12_S13_EUlS12_E_NS1_11comp_targetILNS1_3genE8ELNS1_11target_archE1030ELNS1_3gpuE2ELNS1_3repE0EEENS1_30default_config_static_selectorELNS0_4arch9wavefront6targetE1EEEvT1_,"axG",@progbits,_ZN7rocprim17ROCPRIM_400000_NS6detail17trampoline_kernelINS0_14default_configENS1_25partition_config_selectorILNS1_17partition_subalgoE8EhNS0_10empty_typeEbEEZZNS1_14partition_implILS5_8ELb0ES3_jPKhPS6_PKS6_NS0_5tupleIJPhS6_EEENSE_IJSB_SB_EEENS0_18inequality_wrapperIN6hipcub16HIPCUB_304000_NS8EqualityEEEPlJS6_EEE10hipError_tPvRmT3_T4_T5_T6_T7_T9_mT8_P12ihipStream_tbDpT10_ENKUlT_T0_E_clISt17integral_constantIbLb0EES16_IbLb1EEEEDaS12_S13_EUlS12_E_NS1_11comp_targetILNS1_3genE8ELNS1_11target_archE1030ELNS1_3gpuE2ELNS1_3repE0EEENS1_30default_config_static_selectorELNS0_4arch9wavefront6targetE1EEEvT1_,comdat
.Lfunc_end165:
	.size	_ZN7rocprim17ROCPRIM_400000_NS6detail17trampoline_kernelINS0_14default_configENS1_25partition_config_selectorILNS1_17partition_subalgoE8EhNS0_10empty_typeEbEEZZNS1_14partition_implILS5_8ELb0ES3_jPKhPS6_PKS6_NS0_5tupleIJPhS6_EEENSE_IJSB_SB_EEENS0_18inequality_wrapperIN6hipcub16HIPCUB_304000_NS8EqualityEEEPlJS6_EEE10hipError_tPvRmT3_T4_T5_T6_T7_T9_mT8_P12ihipStream_tbDpT10_ENKUlT_T0_E_clISt17integral_constantIbLb0EES16_IbLb1EEEEDaS12_S13_EUlS12_E_NS1_11comp_targetILNS1_3genE8ELNS1_11target_archE1030ELNS1_3gpuE2ELNS1_3repE0EEENS1_30default_config_static_selectorELNS0_4arch9wavefront6targetE1EEEvT1_, .Lfunc_end165-_ZN7rocprim17ROCPRIM_400000_NS6detail17trampoline_kernelINS0_14default_configENS1_25partition_config_selectorILNS1_17partition_subalgoE8EhNS0_10empty_typeEbEEZZNS1_14partition_implILS5_8ELb0ES3_jPKhPS6_PKS6_NS0_5tupleIJPhS6_EEENSE_IJSB_SB_EEENS0_18inequality_wrapperIN6hipcub16HIPCUB_304000_NS8EqualityEEEPlJS6_EEE10hipError_tPvRmT3_T4_T5_T6_T7_T9_mT8_P12ihipStream_tbDpT10_ENKUlT_T0_E_clISt17integral_constantIbLb0EES16_IbLb1EEEEDaS12_S13_EUlS12_E_NS1_11comp_targetILNS1_3genE8ELNS1_11target_archE1030ELNS1_3gpuE2ELNS1_3repE0EEENS1_30default_config_static_selectorELNS0_4arch9wavefront6targetE1EEEvT1_
                                        ; -- End function
	.section	.AMDGPU.csdata,"",@progbits
; Kernel info:
; codeLenInByte = 0
; NumSgprs: 6
; NumVgprs: 0
; NumAgprs: 0
; TotalNumVgprs: 0
; ScratchSize: 0
; MemoryBound: 0
; FloatMode: 240
; IeeeMode: 1
; LDSByteSize: 0 bytes/workgroup (compile time only)
; SGPRBlocks: 0
; VGPRBlocks: 0
; NumSGPRsForWavesPerEU: 6
; NumVGPRsForWavesPerEU: 1
; AccumOffset: 4
; Occupancy: 8
; WaveLimiterHint : 0
; COMPUTE_PGM_RSRC2:SCRATCH_EN: 0
; COMPUTE_PGM_RSRC2:USER_SGPR: 2
; COMPUTE_PGM_RSRC2:TRAP_HANDLER: 0
; COMPUTE_PGM_RSRC2:TGID_X_EN: 1
; COMPUTE_PGM_RSRC2:TGID_Y_EN: 0
; COMPUTE_PGM_RSRC2:TGID_Z_EN: 0
; COMPUTE_PGM_RSRC2:TIDIG_COMP_CNT: 0
; COMPUTE_PGM_RSRC3_GFX90A:ACCUM_OFFSET: 0
; COMPUTE_PGM_RSRC3_GFX90A:TG_SPLIT: 0
	.section	.text._ZN7rocprim17ROCPRIM_400000_NS6detail17trampoline_kernelINS0_14default_configENS1_33run_length_encode_config_selectorIhjNS0_4plusIjEEEEZZNS1_33reduce_by_key_impl_wrapped_configILNS1_25lookback_scan_determinismE0ES3_S7_PKhNS0_17constant_iteratorIjlEEPhPlSF_S6_NS0_8equal_toIhEEEE10hipError_tPvRmT2_T3_mT4_T5_T6_T7_T8_P12ihipStream_tbENKUlT_T0_E_clISt17integral_constantIbLb0EESZ_EEDaSU_SV_EUlSU_E_NS1_11comp_targetILNS1_3genE0ELNS1_11target_archE4294967295ELNS1_3gpuE0ELNS1_3repE0EEENS1_30default_config_static_selectorELNS0_4arch9wavefront6targetE1EEEvT1_,"axG",@progbits,_ZN7rocprim17ROCPRIM_400000_NS6detail17trampoline_kernelINS0_14default_configENS1_33run_length_encode_config_selectorIhjNS0_4plusIjEEEEZZNS1_33reduce_by_key_impl_wrapped_configILNS1_25lookback_scan_determinismE0ES3_S7_PKhNS0_17constant_iteratorIjlEEPhPlSF_S6_NS0_8equal_toIhEEEE10hipError_tPvRmT2_T3_mT4_T5_T6_T7_T8_P12ihipStream_tbENKUlT_T0_E_clISt17integral_constantIbLb0EESZ_EEDaSU_SV_EUlSU_E_NS1_11comp_targetILNS1_3genE0ELNS1_11target_archE4294967295ELNS1_3gpuE0ELNS1_3repE0EEENS1_30default_config_static_selectorELNS0_4arch9wavefront6targetE1EEEvT1_,comdat
	.protected	_ZN7rocprim17ROCPRIM_400000_NS6detail17trampoline_kernelINS0_14default_configENS1_33run_length_encode_config_selectorIhjNS0_4plusIjEEEEZZNS1_33reduce_by_key_impl_wrapped_configILNS1_25lookback_scan_determinismE0ES3_S7_PKhNS0_17constant_iteratorIjlEEPhPlSF_S6_NS0_8equal_toIhEEEE10hipError_tPvRmT2_T3_mT4_T5_T6_T7_T8_P12ihipStream_tbENKUlT_T0_E_clISt17integral_constantIbLb0EESZ_EEDaSU_SV_EUlSU_E_NS1_11comp_targetILNS1_3genE0ELNS1_11target_archE4294967295ELNS1_3gpuE0ELNS1_3repE0EEENS1_30default_config_static_selectorELNS0_4arch9wavefront6targetE1EEEvT1_ ; -- Begin function _ZN7rocprim17ROCPRIM_400000_NS6detail17trampoline_kernelINS0_14default_configENS1_33run_length_encode_config_selectorIhjNS0_4plusIjEEEEZZNS1_33reduce_by_key_impl_wrapped_configILNS1_25lookback_scan_determinismE0ES3_S7_PKhNS0_17constant_iteratorIjlEEPhPlSF_S6_NS0_8equal_toIhEEEE10hipError_tPvRmT2_T3_mT4_T5_T6_T7_T8_P12ihipStream_tbENKUlT_T0_E_clISt17integral_constantIbLb0EESZ_EEDaSU_SV_EUlSU_E_NS1_11comp_targetILNS1_3genE0ELNS1_11target_archE4294967295ELNS1_3gpuE0ELNS1_3repE0EEENS1_30default_config_static_selectorELNS0_4arch9wavefront6targetE1EEEvT1_
	.globl	_ZN7rocprim17ROCPRIM_400000_NS6detail17trampoline_kernelINS0_14default_configENS1_33run_length_encode_config_selectorIhjNS0_4plusIjEEEEZZNS1_33reduce_by_key_impl_wrapped_configILNS1_25lookback_scan_determinismE0ES3_S7_PKhNS0_17constant_iteratorIjlEEPhPlSF_S6_NS0_8equal_toIhEEEE10hipError_tPvRmT2_T3_mT4_T5_T6_T7_T8_P12ihipStream_tbENKUlT_T0_E_clISt17integral_constantIbLb0EESZ_EEDaSU_SV_EUlSU_E_NS1_11comp_targetILNS1_3genE0ELNS1_11target_archE4294967295ELNS1_3gpuE0ELNS1_3repE0EEENS1_30default_config_static_selectorELNS0_4arch9wavefront6targetE1EEEvT1_
	.p2align	8
	.type	_ZN7rocprim17ROCPRIM_400000_NS6detail17trampoline_kernelINS0_14default_configENS1_33run_length_encode_config_selectorIhjNS0_4plusIjEEEEZZNS1_33reduce_by_key_impl_wrapped_configILNS1_25lookback_scan_determinismE0ES3_S7_PKhNS0_17constant_iteratorIjlEEPhPlSF_S6_NS0_8equal_toIhEEEE10hipError_tPvRmT2_T3_mT4_T5_T6_T7_T8_P12ihipStream_tbENKUlT_T0_E_clISt17integral_constantIbLb0EESZ_EEDaSU_SV_EUlSU_E_NS1_11comp_targetILNS1_3genE0ELNS1_11target_archE4294967295ELNS1_3gpuE0ELNS1_3repE0EEENS1_30default_config_static_selectorELNS0_4arch9wavefront6targetE1EEEvT1_,@function
_ZN7rocprim17ROCPRIM_400000_NS6detail17trampoline_kernelINS0_14default_configENS1_33run_length_encode_config_selectorIhjNS0_4plusIjEEEEZZNS1_33reduce_by_key_impl_wrapped_configILNS1_25lookback_scan_determinismE0ES3_S7_PKhNS0_17constant_iteratorIjlEEPhPlSF_S6_NS0_8equal_toIhEEEE10hipError_tPvRmT2_T3_mT4_T5_T6_T7_T8_P12ihipStream_tbENKUlT_T0_E_clISt17integral_constantIbLb0EESZ_EEDaSU_SV_EUlSU_E_NS1_11comp_targetILNS1_3genE0ELNS1_11target_archE4294967295ELNS1_3gpuE0ELNS1_3repE0EEENS1_30default_config_static_selectorELNS0_4arch9wavefront6targetE1EEEvT1_: ; @_ZN7rocprim17ROCPRIM_400000_NS6detail17trampoline_kernelINS0_14default_configENS1_33run_length_encode_config_selectorIhjNS0_4plusIjEEEEZZNS1_33reduce_by_key_impl_wrapped_configILNS1_25lookback_scan_determinismE0ES3_S7_PKhNS0_17constant_iteratorIjlEEPhPlSF_S6_NS0_8equal_toIhEEEE10hipError_tPvRmT2_T3_mT4_T5_T6_T7_T8_P12ihipStream_tbENKUlT_T0_E_clISt17integral_constantIbLb0EESZ_EEDaSU_SV_EUlSU_E_NS1_11comp_targetILNS1_3genE0ELNS1_11target_archE4294967295ELNS1_3gpuE0ELNS1_3repE0EEENS1_30default_config_static_selectorELNS0_4arch9wavefront6targetE1EEEvT1_
; %bb.0:
	.section	.rodata,"a",@progbits
	.p2align	6, 0x0
	.amdhsa_kernel _ZN7rocprim17ROCPRIM_400000_NS6detail17trampoline_kernelINS0_14default_configENS1_33run_length_encode_config_selectorIhjNS0_4plusIjEEEEZZNS1_33reduce_by_key_impl_wrapped_configILNS1_25lookback_scan_determinismE0ES3_S7_PKhNS0_17constant_iteratorIjlEEPhPlSF_S6_NS0_8equal_toIhEEEE10hipError_tPvRmT2_T3_mT4_T5_T6_T7_T8_P12ihipStream_tbENKUlT_T0_E_clISt17integral_constantIbLb0EESZ_EEDaSU_SV_EUlSU_E_NS1_11comp_targetILNS1_3genE0ELNS1_11target_archE4294967295ELNS1_3gpuE0ELNS1_3repE0EEENS1_30default_config_static_selectorELNS0_4arch9wavefront6targetE1EEEvT1_
		.amdhsa_group_segment_fixed_size 0
		.amdhsa_private_segment_fixed_size 0
		.amdhsa_kernarg_size 128
		.amdhsa_user_sgpr_count 2
		.amdhsa_user_sgpr_dispatch_ptr 0
		.amdhsa_user_sgpr_queue_ptr 0
		.amdhsa_user_sgpr_kernarg_segment_ptr 1
		.amdhsa_user_sgpr_dispatch_id 0
		.amdhsa_user_sgpr_kernarg_preload_length 0
		.amdhsa_user_sgpr_kernarg_preload_offset 0
		.amdhsa_user_sgpr_private_segment_size 0
		.amdhsa_uses_dynamic_stack 0
		.amdhsa_enable_private_segment 0
		.amdhsa_system_sgpr_workgroup_id_x 1
		.amdhsa_system_sgpr_workgroup_id_y 0
		.amdhsa_system_sgpr_workgroup_id_z 0
		.amdhsa_system_sgpr_workgroup_info 0
		.amdhsa_system_vgpr_workitem_id 0
		.amdhsa_next_free_vgpr 1
		.amdhsa_next_free_sgpr 0
		.amdhsa_accum_offset 4
		.amdhsa_reserve_vcc 0
		.amdhsa_float_round_mode_32 0
		.amdhsa_float_round_mode_16_64 0
		.amdhsa_float_denorm_mode_32 3
		.amdhsa_float_denorm_mode_16_64 3
		.amdhsa_dx10_clamp 1
		.amdhsa_ieee_mode 1
		.amdhsa_fp16_overflow 0
		.amdhsa_tg_split 0
		.amdhsa_exception_fp_ieee_invalid_op 0
		.amdhsa_exception_fp_denorm_src 0
		.amdhsa_exception_fp_ieee_div_zero 0
		.amdhsa_exception_fp_ieee_overflow 0
		.amdhsa_exception_fp_ieee_underflow 0
		.amdhsa_exception_fp_ieee_inexact 0
		.amdhsa_exception_int_div_zero 0
	.end_amdhsa_kernel
	.section	.text._ZN7rocprim17ROCPRIM_400000_NS6detail17trampoline_kernelINS0_14default_configENS1_33run_length_encode_config_selectorIhjNS0_4plusIjEEEEZZNS1_33reduce_by_key_impl_wrapped_configILNS1_25lookback_scan_determinismE0ES3_S7_PKhNS0_17constant_iteratorIjlEEPhPlSF_S6_NS0_8equal_toIhEEEE10hipError_tPvRmT2_T3_mT4_T5_T6_T7_T8_P12ihipStream_tbENKUlT_T0_E_clISt17integral_constantIbLb0EESZ_EEDaSU_SV_EUlSU_E_NS1_11comp_targetILNS1_3genE0ELNS1_11target_archE4294967295ELNS1_3gpuE0ELNS1_3repE0EEENS1_30default_config_static_selectorELNS0_4arch9wavefront6targetE1EEEvT1_,"axG",@progbits,_ZN7rocprim17ROCPRIM_400000_NS6detail17trampoline_kernelINS0_14default_configENS1_33run_length_encode_config_selectorIhjNS0_4plusIjEEEEZZNS1_33reduce_by_key_impl_wrapped_configILNS1_25lookback_scan_determinismE0ES3_S7_PKhNS0_17constant_iteratorIjlEEPhPlSF_S6_NS0_8equal_toIhEEEE10hipError_tPvRmT2_T3_mT4_T5_T6_T7_T8_P12ihipStream_tbENKUlT_T0_E_clISt17integral_constantIbLb0EESZ_EEDaSU_SV_EUlSU_E_NS1_11comp_targetILNS1_3genE0ELNS1_11target_archE4294967295ELNS1_3gpuE0ELNS1_3repE0EEENS1_30default_config_static_selectorELNS0_4arch9wavefront6targetE1EEEvT1_,comdat
.Lfunc_end166:
	.size	_ZN7rocprim17ROCPRIM_400000_NS6detail17trampoline_kernelINS0_14default_configENS1_33run_length_encode_config_selectorIhjNS0_4plusIjEEEEZZNS1_33reduce_by_key_impl_wrapped_configILNS1_25lookback_scan_determinismE0ES3_S7_PKhNS0_17constant_iteratorIjlEEPhPlSF_S6_NS0_8equal_toIhEEEE10hipError_tPvRmT2_T3_mT4_T5_T6_T7_T8_P12ihipStream_tbENKUlT_T0_E_clISt17integral_constantIbLb0EESZ_EEDaSU_SV_EUlSU_E_NS1_11comp_targetILNS1_3genE0ELNS1_11target_archE4294967295ELNS1_3gpuE0ELNS1_3repE0EEENS1_30default_config_static_selectorELNS0_4arch9wavefront6targetE1EEEvT1_, .Lfunc_end166-_ZN7rocprim17ROCPRIM_400000_NS6detail17trampoline_kernelINS0_14default_configENS1_33run_length_encode_config_selectorIhjNS0_4plusIjEEEEZZNS1_33reduce_by_key_impl_wrapped_configILNS1_25lookback_scan_determinismE0ES3_S7_PKhNS0_17constant_iteratorIjlEEPhPlSF_S6_NS0_8equal_toIhEEEE10hipError_tPvRmT2_T3_mT4_T5_T6_T7_T8_P12ihipStream_tbENKUlT_T0_E_clISt17integral_constantIbLb0EESZ_EEDaSU_SV_EUlSU_E_NS1_11comp_targetILNS1_3genE0ELNS1_11target_archE4294967295ELNS1_3gpuE0ELNS1_3repE0EEENS1_30default_config_static_selectorELNS0_4arch9wavefront6targetE1EEEvT1_
                                        ; -- End function
	.section	.AMDGPU.csdata,"",@progbits
; Kernel info:
; codeLenInByte = 0
; NumSgprs: 6
; NumVgprs: 0
; NumAgprs: 0
; TotalNumVgprs: 0
; ScratchSize: 0
; MemoryBound: 0
; FloatMode: 240
; IeeeMode: 1
; LDSByteSize: 0 bytes/workgroup (compile time only)
; SGPRBlocks: 0
; VGPRBlocks: 0
; NumSGPRsForWavesPerEU: 6
; NumVGPRsForWavesPerEU: 1
; AccumOffset: 4
; Occupancy: 8
; WaveLimiterHint : 0
; COMPUTE_PGM_RSRC2:SCRATCH_EN: 0
; COMPUTE_PGM_RSRC2:USER_SGPR: 2
; COMPUTE_PGM_RSRC2:TRAP_HANDLER: 0
; COMPUTE_PGM_RSRC2:TGID_X_EN: 1
; COMPUTE_PGM_RSRC2:TGID_Y_EN: 0
; COMPUTE_PGM_RSRC2:TGID_Z_EN: 0
; COMPUTE_PGM_RSRC2:TIDIG_COMP_CNT: 0
; COMPUTE_PGM_RSRC3_GFX90A:ACCUM_OFFSET: 0
; COMPUTE_PGM_RSRC3_GFX90A:TG_SPLIT: 0
	.section	.text._ZN7rocprim17ROCPRIM_400000_NS6detail17trampoline_kernelINS0_14default_configENS1_33run_length_encode_config_selectorIhjNS0_4plusIjEEEEZZNS1_33reduce_by_key_impl_wrapped_configILNS1_25lookback_scan_determinismE0ES3_S7_PKhNS0_17constant_iteratorIjlEEPhPlSF_S6_NS0_8equal_toIhEEEE10hipError_tPvRmT2_T3_mT4_T5_T6_T7_T8_P12ihipStream_tbENKUlT_T0_E_clISt17integral_constantIbLb0EESZ_EEDaSU_SV_EUlSU_E_NS1_11comp_targetILNS1_3genE5ELNS1_11target_archE942ELNS1_3gpuE9ELNS1_3repE0EEENS1_30default_config_static_selectorELNS0_4arch9wavefront6targetE1EEEvT1_,"axG",@progbits,_ZN7rocprim17ROCPRIM_400000_NS6detail17trampoline_kernelINS0_14default_configENS1_33run_length_encode_config_selectorIhjNS0_4plusIjEEEEZZNS1_33reduce_by_key_impl_wrapped_configILNS1_25lookback_scan_determinismE0ES3_S7_PKhNS0_17constant_iteratorIjlEEPhPlSF_S6_NS0_8equal_toIhEEEE10hipError_tPvRmT2_T3_mT4_T5_T6_T7_T8_P12ihipStream_tbENKUlT_T0_E_clISt17integral_constantIbLb0EESZ_EEDaSU_SV_EUlSU_E_NS1_11comp_targetILNS1_3genE5ELNS1_11target_archE942ELNS1_3gpuE9ELNS1_3repE0EEENS1_30default_config_static_selectorELNS0_4arch9wavefront6targetE1EEEvT1_,comdat
	.protected	_ZN7rocprim17ROCPRIM_400000_NS6detail17trampoline_kernelINS0_14default_configENS1_33run_length_encode_config_selectorIhjNS0_4plusIjEEEEZZNS1_33reduce_by_key_impl_wrapped_configILNS1_25lookback_scan_determinismE0ES3_S7_PKhNS0_17constant_iteratorIjlEEPhPlSF_S6_NS0_8equal_toIhEEEE10hipError_tPvRmT2_T3_mT4_T5_T6_T7_T8_P12ihipStream_tbENKUlT_T0_E_clISt17integral_constantIbLb0EESZ_EEDaSU_SV_EUlSU_E_NS1_11comp_targetILNS1_3genE5ELNS1_11target_archE942ELNS1_3gpuE9ELNS1_3repE0EEENS1_30default_config_static_selectorELNS0_4arch9wavefront6targetE1EEEvT1_ ; -- Begin function _ZN7rocprim17ROCPRIM_400000_NS6detail17trampoline_kernelINS0_14default_configENS1_33run_length_encode_config_selectorIhjNS0_4plusIjEEEEZZNS1_33reduce_by_key_impl_wrapped_configILNS1_25lookback_scan_determinismE0ES3_S7_PKhNS0_17constant_iteratorIjlEEPhPlSF_S6_NS0_8equal_toIhEEEE10hipError_tPvRmT2_T3_mT4_T5_T6_T7_T8_P12ihipStream_tbENKUlT_T0_E_clISt17integral_constantIbLb0EESZ_EEDaSU_SV_EUlSU_E_NS1_11comp_targetILNS1_3genE5ELNS1_11target_archE942ELNS1_3gpuE9ELNS1_3repE0EEENS1_30default_config_static_selectorELNS0_4arch9wavefront6targetE1EEEvT1_
	.globl	_ZN7rocprim17ROCPRIM_400000_NS6detail17trampoline_kernelINS0_14default_configENS1_33run_length_encode_config_selectorIhjNS0_4plusIjEEEEZZNS1_33reduce_by_key_impl_wrapped_configILNS1_25lookback_scan_determinismE0ES3_S7_PKhNS0_17constant_iteratorIjlEEPhPlSF_S6_NS0_8equal_toIhEEEE10hipError_tPvRmT2_T3_mT4_T5_T6_T7_T8_P12ihipStream_tbENKUlT_T0_E_clISt17integral_constantIbLb0EESZ_EEDaSU_SV_EUlSU_E_NS1_11comp_targetILNS1_3genE5ELNS1_11target_archE942ELNS1_3gpuE9ELNS1_3repE0EEENS1_30default_config_static_selectorELNS0_4arch9wavefront6targetE1EEEvT1_
	.p2align	8
	.type	_ZN7rocprim17ROCPRIM_400000_NS6detail17trampoline_kernelINS0_14default_configENS1_33run_length_encode_config_selectorIhjNS0_4plusIjEEEEZZNS1_33reduce_by_key_impl_wrapped_configILNS1_25lookback_scan_determinismE0ES3_S7_PKhNS0_17constant_iteratorIjlEEPhPlSF_S6_NS0_8equal_toIhEEEE10hipError_tPvRmT2_T3_mT4_T5_T6_T7_T8_P12ihipStream_tbENKUlT_T0_E_clISt17integral_constantIbLb0EESZ_EEDaSU_SV_EUlSU_E_NS1_11comp_targetILNS1_3genE5ELNS1_11target_archE942ELNS1_3gpuE9ELNS1_3repE0EEENS1_30default_config_static_selectorELNS0_4arch9wavefront6targetE1EEEvT1_,@function
_ZN7rocprim17ROCPRIM_400000_NS6detail17trampoline_kernelINS0_14default_configENS1_33run_length_encode_config_selectorIhjNS0_4plusIjEEEEZZNS1_33reduce_by_key_impl_wrapped_configILNS1_25lookback_scan_determinismE0ES3_S7_PKhNS0_17constant_iteratorIjlEEPhPlSF_S6_NS0_8equal_toIhEEEE10hipError_tPvRmT2_T3_mT4_T5_T6_T7_T8_P12ihipStream_tbENKUlT_T0_E_clISt17integral_constantIbLb0EESZ_EEDaSU_SV_EUlSU_E_NS1_11comp_targetILNS1_3genE5ELNS1_11target_archE942ELNS1_3gpuE9ELNS1_3repE0EEENS1_30default_config_static_selectorELNS0_4arch9wavefront6targetE1EEEvT1_: ; @_ZN7rocprim17ROCPRIM_400000_NS6detail17trampoline_kernelINS0_14default_configENS1_33run_length_encode_config_selectorIhjNS0_4plusIjEEEEZZNS1_33reduce_by_key_impl_wrapped_configILNS1_25lookback_scan_determinismE0ES3_S7_PKhNS0_17constant_iteratorIjlEEPhPlSF_S6_NS0_8equal_toIhEEEE10hipError_tPvRmT2_T3_mT4_T5_T6_T7_T8_P12ihipStream_tbENKUlT_T0_E_clISt17integral_constantIbLb0EESZ_EEDaSU_SV_EUlSU_E_NS1_11comp_targetILNS1_3genE5ELNS1_11target_archE942ELNS1_3gpuE9ELNS1_3repE0EEENS1_30default_config_static_selectorELNS0_4arch9wavefront6targetE1EEEvT1_
; %bb.0:
	s_load_dwordx8 s[36:43], s[0:1], 0x40
	s_load_dwordx4 s[4:7], s[0:1], 0x0
	s_load_dword s3, s[0:1], 0x10
	s_load_dwordx4 s[44:47], s[0:1], 0x60
	s_mov_b64 s[12:13], -1
	s_waitcnt lgkmcnt(0)
	s_mul_i32 s8, s40, s39
	s_mul_hi_u32 s9, s40, s38
	s_add_i32 s8, s9, s8
	s_mul_i32 s9, s41, s38
	s_add_i32 s8, s8, s9
	s_add_u32 s4, s4, s6
	s_addc_u32 s5, s5, s7
	s_mul_i32 s6, s2, 0x1e00
	s_add_u32 s6, s4, s6
	s_mul_i32 s9, s40, s38
	s_addc_u32 s7, s5, 0
	s_add_u32 s4, s9, s2
	s_addc_u32 s5, s8, 0
	s_add_u32 s8, s42, -1
	s_addc_u32 s9, s43, -1
	s_cmp_eq_u64 s[4:5], s[8:9]
	s_cselect_b64 s[34:35], -1, 0
	s_cmp_lg_u64 s[4:5], s[8:9]
	s_cselect_b64 s[10:11], -1, 0
	s_mul_i32 s33, s8, 0xffffe200
	s_and_b64 vcc, exec, s[34:35]
	v_mad_u32_u24 v2, v0, 14, v0
	s_cbranch_vccnz .LBB167_2
; %bb.1:
	v_mov_b32_e32 v1, 0
	v_lshl_add_u64 v[4:5], s[6:7], 0, v[0:1]
	v_add_co_u32_e32 v4, vcc, 0x1000, v4
	global_load_ubyte v1, v0, s[6:7]
	global_load_ubyte v3, v0, s[6:7] offset:512
	global_load_ubyte v6, v0, s[6:7] offset:1024
	;; [unrolled: 1-line block ×7, first 2 shown]
	v_addc_co_u32_e32 v5, vcc, 0, v5, vcc
	global_load_ubyte v12, v[4:5], off
	global_load_ubyte v13, v[4:5], off offset:512
	global_load_ubyte v14, v[4:5], off offset:1024
	;; [unrolled: 1-line block ×6, first 2 shown]
	s_mov_b64 s[8:9], -1
	s_waitcnt vmcnt(14)
	ds_write_b8 v0, v1
	s_waitcnt vmcnt(13)
	ds_write_b8 v0, v3 offset:512
	s_waitcnt vmcnt(12)
	ds_write_b8 v0, v6 offset:1024
	;; [unrolled: 2-line block ×14, first 2 shown]
	s_waitcnt lgkmcnt(0)
	s_barrier
	ds_read_b96 v[8:10], v2
	ds_read_u8 v56, v2 offset:12
	ds_read_u8 v11, v2 offset:13
	ds_read_u8 v1, v2 offset:14
	s_waitcnt lgkmcnt(3)
	v_lshrrev_b32_e32 v67, 8, v8
	v_lshrrev_b32_e32 v65, 16, v8
	;; [unrolled: 1-line block ×9, first 2 shown]
	s_add_i32 s33, s33, s44
	s_cbranch_execz .LBB167_3
	s_branch .LBB167_34
.LBB167_2:
	s_mov_b64 s[8:9], 0
                                        ; implicit-def: $vgpr8
                                        ; implicit-def: $vgpr67
                                        ; implicit-def: $vgpr65
                                        ; implicit-def: $vgpr64
                                        ; implicit-def: $vgpr62
                                        ; implicit-def: $vgpr61
                                        ; implicit-def: $vgpr60
                                        ; implicit-def: $vgpr59
                                        ; implicit-def: $vgpr58
                                        ; implicit-def: $vgpr57
                                        ; implicit-def: $vgpr56
                                        ; implicit-def: $vgpr11
                                        ; implicit-def: $vgpr1
	s_add_i32 s33, s33, s44
	s_andn2_b64 vcc, exec, s[12:13]
	s_cbranch_vccnz .LBB167_34
.LBB167_3:
	v_cmp_gt_u32_e32 vcc, s33, v0
                                        ; implicit-def: $vgpr1
	s_and_saveexec_b64 s[8:9], vcc
	s_cbranch_execz .LBB167_5
; %bb.4:
	s_waitcnt lgkmcnt(0)
	global_load_ubyte v1, v0, s[6:7]
.LBB167_5:
	s_or_b64 exec, exec, s[8:9]
	v_or_b32_e32 v3, 0x200, v0
	v_cmp_gt_u32_e32 vcc, s33, v3
                                        ; implicit-def: $vgpr3
	s_and_saveexec_b64 s[8:9], vcc
	s_cbranch_execz .LBB167_7
; %bb.6:
	global_load_ubyte v3, v0, s[6:7] offset:512
.LBB167_7:
	s_or_b64 exec, exec, s[8:9]
	v_or_b32_e32 v4, 0x400, v0
	v_cmp_gt_u32_e32 vcc, s33, v4
                                        ; implicit-def: $vgpr4
	s_and_saveexec_b64 s[8:9], vcc
	s_cbranch_execz .LBB167_9
; %bb.8:
	global_load_ubyte v4, v0, s[6:7] offset:1024
.LBB167_9:
	s_or_b64 exec, exec, s[8:9]
	v_or_b32_e32 v5, 0x600, v0
	v_cmp_gt_u32_e32 vcc, s33, v5
                                        ; implicit-def: $vgpr5
	s_and_saveexec_b64 s[8:9], vcc
	s_cbranch_execz .LBB167_11
; %bb.10:
	global_load_ubyte v5, v0, s[6:7] offset:1536
.LBB167_11:
	s_or_b64 exec, exec, s[8:9]
	v_or_b32_e32 v6, 0x800, v0
	v_cmp_gt_u32_e32 vcc, s33, v6
                                        ; implicit-def: $vgpr6
	s_and_saveexec_b64 s[8:9], vcc
	s_cbranch_execz .LBB167_13
; %bb.12:
	global_load_ubyte v6, v0, s[6:7] offset:2048
.LBB167_13:
	s_or_b64 exec, exec, s[8:9]
	v_or_b32_e32 v7, 0xa00, v0
	v_cmp_gt_u32_e32 vcc, s33, v7
                                        ; implicit-def: $vgpr7
	s_and_saveexec_b64 s[8:9], vcc
	s_cbranch_execz .LBB167_15
; %bb.14:
	global_load_ubyte v7, v0, s[6:7] offset:2560
.LBB167_15:
	s_or_b64 exec, exec, s[8:9]
	v_or_b32_e32 v8, 0xc00, v0
	v_cmp_gt_u32_e32 vcc, s33, v8
                                        ; implicit-def: $vgpr8
	s_and_saveexec_b64 s[8:9], vcc
	s_cbranch_execz .LBB167_17
; %bb.16:
	global_load_ubyte v8, v0, s[6:7] offset:3072
.LBB167_17:
	s_or_b64 exec, exec, s[8:9]
	v_or_b32_e32 v9, 0xe00, v0
	v_cmp_gt_u32_e32 vcc, s33, v9
                                        ; implicit-def: $vgpr9
	s_and_saveexec_b64 s[8:9], vcc
	s_cbranch_execz .LBB167_19
; %bb.18:
	global_load_ubyte v9, v0, s[6:7] offset:3584
.LBB167_19:
	s_or_b64 exec, exec, s[8:9]
	s_waitcnt lgkmcnt(1)
	v_or_b32_e32 v11, 0x1000, v0
	v_cmp_gt_u32_e32 vcc, s33, v11
                                        ; implicit-def: $vgpr10
	s_and_saveexec_b64 s[8:9], vcc
	s_cbranch_execz .LBB167_21
; %bb.20:
	global_load_ubyte v10, v11, s[6:7]
.LBB167_21:
	s_or_b64 exec, exec, s[8:9]
	v_or_b32_e32 v12, 0x1200, v0
	v_cmp_gt_u32_e32 vcc, s33, v12
                                        ; implicit-def: $vgpr11
	s_and_saveexec_b64 s[8:9], vcc
	s_cbranch_execz .LBB167_23
; %bb.22:
	global_load_ubyte v11, v12, s[6:7]
.LBB167_23:
	s_or_b64 exec, exec, s[8:9]
	v_or_b32_e32 v13, 0x1400, v0
	v_cmp_gt_u32_e32 vcc, s33, v13
                                        ; implicit-def: $vgpr12
	s_and_saveexec_b64 s[8:9], vcc
	s_cbranch_execz .LBB167_25
; %bb.24:
	global_load_ubyte v12, v13, s[6:7]
.LBB167_25:
	s_or_b64 exec, exec, s[8:9]
	v_or_b32_e32 v14, 0x1600, v0
	v_cmp_gt_u32_e32 vcc, s33, v14
                                        ; implicit-def: $vgpr13
	s_and_saveexec_b64 s[8:9], vcc
	s_cbranch_execz .LBB167_27
; %bb.26:
	global_load_ubyte v13, v14, s[6:7]
.LBB167_27:
	s_or_b64 exec, exec, s[8:9]
	v_or_b32_e32 v15, 0x1800, v0
	v_cmp_gt_u32_e32 vcc, s33, v15
                                        ; implicit-def: $vgpr14
	s_and_saveexec_b64 s[8:9], vcc
	s_cbranch_execz .LBB167_29
; %bb.28:
	global_load_ubyte v14, v15, s[6:7]
.LBB167_29:
	s_or_b64 exec, exec, s[8:9]
	v_or_b32_e32 v16, 0x1a00, v0
	v_cmp_gt_u32_e32 vcc, s33, v16
                                        ; implicit-def: $vgpr15
	s_and_saveexec_b64 s[8:9], vcc
	s_cbranch_execz .LBB167_31
; %bb.30:
	global_load_ubyte v15, v16, s[6:7]
.LBB167_31:
	s_or_b64 exec, exec, s[8:9]
	v_or_b32_e32 v17, 0x1c00, v0
	v_cmp_gt_u32_e32 vcc, s33, v17
                                        ; implicit-def: $vgpr16
	s_and_saveexec_b64 s[8:9], vcc
	s_cbranch_execz .LBB167_33
; %bb.32:
	global_load_ubyte v16, v17, s[6:7]
.LBB167_33:
	s_or_b64 exec, exec, s[8:9]
	s_waitcnt vmcnt(0) lgkmcnt(0)
	ds_write_b8 v0, v1
	ds_write_b8 v0, v3 offset:512
	ds_write_b8 v0, v4 offset:1024
	;; [unrolled: 1-line block ×14, first 2 shown]
	s_waitcnt lgkmcnt(0)
	s_barrier
	ds_read_b96 v[8:10], v2
	ds_read_u8 v56, v2 offset:12
	ds_read_u8 v11, v2 offset:13
	ds_read_u8 v1, v2 offset:14
	v_mad_u32_u24 v2, v0, 15, 14
	s_waitcnt lgkmcnt(3)
	v_lshrrev_b32_e32 v67, 8, v8
	v_lshrrev_b32_e32 v65, 16, v8
	;; [unrolled: 1-line block ×9, first 2 shown]
	v_cmp_gt_u32_e64 s[8:9], s33, v2
.LBB167_34:
	v_mov_b32_e32 v52, s3
                                        ; implicit-def: $vgpr53
	s_and_saveexec_b64 s[12:13], s[8:9]
; %bb.35:
	v_mov_b32_e32 v53, s3
; %bb.36:
	s_or_b64 exec, exec, s[12:13]
	s_load_dwordx2 s[50:51], s[0:1], 0x70
	s_cmp_eq_u64 s[4:5], 0
	s_cselect_b64 s[48:49], -1, 0
	s_cmp_lg_u64 s[4:5], 0
	s_mov_b64 s[8:9], 0
	s_cselect_b64 s[12:13], -1, 0
	s_and_b64 vcc, exec, s[10:11]
	s_waitcnt lgkmcnt(0)
	s_barrier
	s_cbranch_vccz .LBB167_42
; %bb.37:
	s_and_b64 vcc, exec, s[12:13]
	s_cbranch_vccz .LBB167_43
; %bb.38:
	v_mov_b32_e32 v2, 0
	global_load_ubyte v2, v2, s[6:7] offset:-1
	v_cmp_ne_u16_sdwa s[8:9], v11, v1 src0_sel:BYTE_0 src1_sel:BYTE_0
	v_cmp_ne_u16_sdwa s[10:11], v56, v11 src0_sel:BYTE_0 src1_sel:BYTE_0
	;; [unrolled: 1-line block ×14, first 2 shown]
	v_cmp_ne_u32_e32 vcc, 0, v0
	ds_write_b8 v0, v1
	s_waitcnt lgkmcnt(0)
	s_barrier
	s_and_saveexec_b64 s[54:55], vcc
	s_cbranch_execz .LBB167_40
; %bb.39:
	s_waitcnt vmcnt(0)
	v_add_u32_e32 v2, -1, v0
	ds_read_u8 v2, v2
.LBB167_40:
	s_or_b64 exec, exec, s[54:55]
	s_waitcnt vmcnt(0) lgkmcnt(0)
	v_and_b32_e32 v2, 0xff, v2
	v_cndmask_b32_e64 v63, 0, 1, s[8:9]
	v_cndmask_b32_e64 v66, 0, 1, s[10:11]
	;; [unrolled: 1-line block ×14, first 2 shown]
	v_cmp_ne_u16_sdwa s[10:11], v2, v8 src0_sel:DWORD src1_sel:BYTE_0
	s_mov_b64 s[8:9], -1
.LBB167_41:
                                        ; implicit-def: $sgpr3
	s_branch .LBB167_55
.LBB167_42:
                                        ; implicit-def: $sgpr10_sgpr11
                                        ; implicit-def: $vgpr63
                                        ; implicit-def: $vgpr66
                                        ; implicit-def: $vgpr68
                                        ; implicit-def: $vgpr69
                                        ; implicit-def: $vgpr70
                                        ; implicit-def: $vgpr71
                                        ; implicit-def: $vgpr72
                                        ; implicit-def: $vgpr21
                                        ; implicit-def: $vgpr73
                                        ; implicit-def: $vgpr74
                                        ; implicit-def: $vgpr75
                                        ; implicit-def: $vgpr76
                                        ; implicit-def: $vgpr77
                                        ; implicit-def: $vgpr78
                                        ; implicit-def: $sgpr3
	s_cbranch_execnz .LBB167_47
	s_branch .LBB167_55
.LBB167_43:
                                        ; implicit-def: $sgpr10_sgpr11
                                        ; implicit-def: $vgpr63
                                        ; implicit-def: $vgpr66
                                        ; implicit-def: $vgpr68
                                        ; implicit-def: $vgpr69
                                        ; implicit-def: $vgpr70
                                        ; implicit-def: $vgpr71
                                        ; implicit-def: $vgpr72
                                        ; implicit-def: $vgpr21
                                        ; implicit-def: $vgpr73
                                        ; implicit-def: $vgpr74
                                        ; implicit-def: $vgpr75
                                        ; implicit-def: $vgpr76
                                        ; implicit-def: $vgpr77
                                        ; implicit-def: $vgpr78
	s_cbranch_execz .LBB167_41
; %bb.44:
	v_cmp_ne_u16_sdwa s[10:11], v11, v1 src0_sel:BYTE_0 src1_sel:BYTE_0
	v_cmp_ne_u32_e32 vcc, 0, v0
	ds_write_b8 v0, v1
	v_cndmask_b32_e64 v63, 0, 1, s[10:11]
	v_cmp_ne_u16_sdwa s[10:11], v56, v11 src0_sel:BYTE_0 src1_sel:BYTE_0
	s_waitcnt lgkmcnt(0)
	s_barrier
	v_cndmask_b32_e64 v66, 0, 1, s[10:11]
	v_cmp_ne_u16_sdwa s[10:11], v57, v56 src0_sel:BYTE_0 src1_sel:BYTE_0
	s_nop 1
	v_cndmask_b32_e64 v68, 0, 1, s[10:11]
	v_cmp_ne_u16_sdwa s[10:11], v58, v57 src0_sel:BYTE_0 src1_sel:BYTE_0
	s_nop 1
	v_cndmask_b32_e64 v69, 0, 1, s[10:11]
	v_cmp_ne_u16_sdwa s[10:11], v59, v58 src0_sel:BYTE_0 src1_sel:BYTE_0
	s_nop 1
	v_cndmask_b32_e64 v70, 0, 1, s[10:11]
	v_cmp_ne_u16_sdwa s[10:11], v10, v59 src0_sel:BYTE_0 src1_sel:BYTE_0
	s_nop 1
	v_cndmask_b32_e64 v71, 0, 1, s[10:11]
	v_cmp_ne_u16_sdwa s[10:11], v60, v10 src0_sel:BYTE_0 src1_sel:BYTE_0
	s_nop 1
	v_cndmask_b32_e64 v72, 0, 1, s[10:11]
	v_cmp_ne_u16_sdwa s[10:11], v61, v60 src0_sel:BYTE_0 src1_sel:BYTE_0
	s_nop 1
	v_cndmask_b32_e64 v21, 0, 1, s[10:11]
	v_cmp_ne_u16_sdwa s[10:11], v62, v61 src0_sel:BYTE_0 src1_sel:BYTE_0
	s_nop 1
	v_cndmask_b32_e64 v73, 0, 1, s[10:11]
	v_cmp_ne_u16_sdwa s[10:11], v9, v62 src0_sel:BYTE_0 src1_sel:BYTE_0
	s_nop 1
	v_cndmask_b32_e64 v74, 0, 1, s[10:11]
	v_cmp_ne_u16_sdwa s[10:11], v64, v9 src0_sel:BYTE_0 src1_sel:BYTE_0
	s_nop 1
	v_cndmask_b32_e64 v75, 0, 1, s[10:11]
	v_cmp_ne_u16_sdwa s[10:11], v65, v64 src0_sel:BYTE_0 src1_sel:BYTE_0
	s_nop 1
	v_cndmask_b32_e64 v76, 0, 1, s[10:11]
	v_cmp_ne_u16_sdwa s[10:11], v67, v65 src0_sel:BYTE_0 src1_sel:BYTE_0
	s_nop 1
	v_cndmask_b32_e64 v77, 0, 1, s[10:11]
	v_cmp_ne_u16_sdwa s[10:11], v8, v67 src0_sel:BYTE_0 src1_sel:BYTE_0
	s_nop 1
	v_cndmask_b32_e64 v78, 0, 1, s[10:11]
                                        ; implicit-def: $sgpr10_sgpr11
	s_and_saveexec_b64 s[14:15], vcc
	s_xor_b64 s[14:15], exec, s[14:15]
	s_cbranch_execz .LBB167_46
; %bb.45:
	v_add_u32_e32 v2, -1, v0
	ds_read_u8 v2, v2
	s_or_b64 s[8:9], s[8:9], exec
	s_waitcnt lgkmcnt(0)
	v_cmp_ne_u16_sdwa s[10:11], v2, v8 src0_sel:DWORD src1_sel:BYTE_0
	s_and_b64 s[10:11], s[10:11], exec
.LBB167_46:
	s_or_b64 exec, exec, s[14:15]
	s_mov_b32 s3, 1
	s_branch .LBB167_55
.LBB167_47:
	s_mul_i32 s3, s5, 0xffffe200
	s_mul_hi_u32 s5, s4, 0xffffe200
	s_sub_i32 s5, s5, s4
	s_add_i32 s5, s5, s3
	s_mul_i32 s3, s4, 0xffffe200
	s_add_u32 s14, s3, s44
	s_addc_u32 s15, s5, s45
	s_and_b64 vcc, exec, s[12:13]
	v_mad_u32_u24 v2, v0, 15, 14
	v_cmp_ne_u16_sdwa s[52:53], v11, v1 src0_sel:BYTE_0 src1_sel:BYTE_0
	v_mad_u32_u24 v32, v0, 15, 13
	v_cmp_ne_u16_sdwa s[44:45], v56, v11 src0_sel:BYTE_0 src1_sel:BYTE_0
	v_mad_u32_u24 v30, v0, 15, 12
	v_cmp_ne_u16_sdwa s[10:11], v57, v56 src0_sel:BYTE_0 src1_sel:BYTE_0
	v_mad_u32_u24 v28, v0, 15, 11
	v_cmp_ne_u16_sdwa s[18:19], v58, v57 src0_sel:BYTE_0 src1_sel:BYTE_0
	v_mad_u32_u24 v26, v0, 15, 10
	v_cmp_ne_u16_sdwa s[22:23], v59, v58 src0_sel:BYTE_0 src1_sel:BYTE_0
	v_mad_u32_u24 v24, v0, 15, 9
	v_cmp_ne_u16_sdwa s[28:29], v10, v59 src0_sel:BYTE_0 src1_sel:BYTE_0
	v_mad_u32_u24 v22, v0, 15, 8
	v_cmp_ne_u16_sdwa s[40:41], v60, v10 src0_sel:BYTE_0 src1_sel:BYTE_0
	v_mad_u32_u24 v20, v0, 15, 7
	v_cmp_ne_u16_sdwa s[42:43], v61, v60 src0_sel:BYTE_0 src1_sel:BYTE_0
	v_mad_u32_u24 v18, v0, 15, 6
	v_cmp_ne_u16_sdwa s[30:31], v62, v61 src0_sel:BYTE_0 src1_sel:BYTE_0
	v_mad_u32_u24 v16, v0, 15, 5
	v_cmp_ne_u16_sdwa s[26:27], v9, v62 src0_sel:BYTE_0 src1_sel:BYTE_0
	v_mad_u32_u24 v14, v0, 15, 4
	v_cmp_ne_u16_sdwa s[24:25], v64, v9 src0_sel:BYTE_0 src1_sel:BYTE_0
	v_mad_u32_u24 v12, v0, 15, 3
	v_cmp_ne_u16_sdwa s[20:21], v65, v64 src0_sel:BYTE_0 src1_sel:BYTE_0
	v_mad_u32_u24 v6, v0, 15, 2
	v_cmp_ne_u16_sdwa s[16:17], v67, v65 src0_sel:BYTE_0 src1_sel:BYTE_0
	v_mad_u32_u24 v4, v0, 15, 1
	v_cmp_ne_u16_sdwa s[12:13], v8, v67 src0_sel:BYTE_0 src1_sel:BYTE_0
	v_cmp_ne_u32_e64 s[4:5], 0, v0
	s_cbranch_vccz .LBB167_52
; %bb.48:
	v_mov_b32_e32 v3, 0
	global_load_ubyte v36, v3, s[6:7] offset:-1
	v_cmp_gt_u64_e32 vcc, s[14:15], v[2:3]
	v_mov_b32_e32 v33, v3
	s_and_b64 s[6:7], vcc, s[52:53]
	v_cmp_gt_u64_e32 vcc, s[14:15], v[32:33]
	v_mov_b32_e32 v31, v3
	s_and_b64 s[8:9], vcc, s[44:45]
	;; [unrolled: 3-line block ×13, first 2 shown]
	v_cmp_gt_u64_e32 vcc, s[14:15], v[4:5]
	v_mul_u32_u24_e32 v34, 15, v0
	s_and_b64 s[12:13], vcc, s[12:13]
	ds_write_b8 v0, v1
	s_waitcnt lgkmcnt(0)
	s_barrier
	s_and_saveexec_b64 s[44:45], s[4:5]
	s_cbranch_execz .LBB167_50
; %bb.49:
	v_add_u32_e32 v5, -1, v0
	s_waitcnt vmcnt(0)
	ds_read_u8 v36, v5
.LBB167_50:
	s_or_b64 exec, exec, s[44:45]
	v_mov_b32_e32 v35, v3
	s_waitcnt vmcnt(0) lgkmcnt(0)
	v_and_b32_e32 v3, 0xff, v36
	v_cmp_gt_u64_e32 vcc, s[14:15], v[34:35]
	v_cmp_ne_u16_sdwa s[4:5], v3, v8 src0_sel:DWORD src1_sel:BYTE_0
	v_cndmask_b32_e64 v63, 0, 1, s[6:7]
	v_cndmask_b32_e64 v66, 0, 1, s[8:9]
	;; [unrolled: 1-line block ×14, first 2 shown]
	s_and_b64 s[10:11], vcc, s[4:5]
	s_mov_b64 s[8:9], -1
.LBB167_51:
                                        ; implicit-def: $sgpr3
	v_mov_b32_e32 v79, s3
	s_and_saveexec_b64 s[4:5], s[8:9]
	s_cbranch_execnz .LBB167_56
	s_branch .LBB167_57
.LBB167_52:
                                        ; implicit-def: $sgpr10_sgpr11
                                        ; implicit-def: $vgpr63
                                        ; implicit-def: $vgpr66
                                        ; implicit-def: $vgpr68
                                        ; implicit-def: $vgpr69
                                        ; implicit-def: $vgpr70
                                        ; implicit-def: $vgpr71
                                        ; implicit-def: $vgpr72
                                        ; implicit-def: $vgpr21
                                        ; implicit-def: $vgpr73
                                        ; implicit-def: $vgpr74
                                        ; implicit-def: $vgpr75
                                        ; implicit-def: $vgpr76
                                        ; implicit-def: $vgpr77
                                        ; implicit-def: $vgpr78
	s_cbranch_execz .LBB167_51
; %bb.53:
	v_mov_b32_e32 v3, 0
	v_cmp_gt_u64_e32 vcc, s[14:15], v[2:3]
	v_cmp_ne_u16_sdwa s[4:5], v11, v1 src0_sel:BYTE_0 src1_sel:BYTE_0
	s_and_b64 s[4:5], vcc, s[4:5]
	v_mov_b32_e32 v33, v3
	v_cndmask_b32_e64 v63, 0, 1, s[4:5]
	v_cmp_gt_u64_e32 vcc, s[14:15], v[32:33]
	v_cmp_ne_u16_sdwa s[4:5], v56, v11 src0_sel:BYTE_0 src1_sel:BYTE_0
	s_and_b64 s[4:5], vcc, s[4:5]
	v_mov_b32_e32 v31, v3
	v_cndmask_b32_e64 v66, 0, 1, s[4:5]
	;; [unrolled: 5-line block ×13, first 2 shown]
	v_cmp_gt_u64_e32 vcc, s[14:15], v[4:5]
	v_cmp_ne_u16_sdwa s[4:5], v8, v67 src0_sel:BYTE_0 src1_sel:BYTE_0
	s_and_b64 s[4:5], vcc, s[4:5]
	s_mov_b32 s3, 1
	v_cndmask_b32_e64 v78, 0, 1, s[4:5]
	v_cmp_ne_u32_e32 vcc, 0, v0
	ds_write_b8 v0, v1
	s_waitcnt lgkmcnt(0)
	s_barrier
	s_waitcnt lgkmcnt(0)
                                        ; implicit-def: $sgpr10_sgpr11
	s_and_saveexec_b64 s[4:5], vcc
	s_cbranch_execz .LBB167_145
; %bb.54:
	v_add_u32_e32 v2, -1, v0
	ds_read_u8 v4, v2
	v_mul_u32_u24_e32 v2, 15, v0
	v_cmp_gt_u64_e32 vcc, s[14:15], v[2:3]
	s_or_b64 s[8:9], s[8:9], exec
	s_waitcnt lgkmcnt(0)
	v_and_b32_e32 v2, 0xff, v4
	v_cmp_ne_u16_sdwa s[6:7], v2, v8 src0_sel:DWORD src1_sel:BYTE_0
	s_and_b64 s[6:7], vcc, s[6:7]
	s_and_b64 s[10:11], s[6:7], exec
	s_or_b64 exec, exec, s[4:5]
.LBB167_55:
	v_mov_b32_e32 v79, s3
	s_and_saveexec_b64 s[4:5], s[8:9]
.LBB167_56:
	v_cndmask_b32_e64 v79, 0, 1, s[10:11]
.LBB167_57:
	s_or_b64 exec, exec, s[4:5]
	s_load_dwordx4 s[40:43], s[0:1], 0x20
	s_load_dwordx2 s[44:45], s[0:1], 0x30
	s_cmp_eq_u64 s[38:39], 0
	v_add3_u32 v2, v78, v79, v77
	s_cselect_b64 s[38:39], -1, 0
	s_cmp_lg_u32 s2, 0
	v_cmp_eq_u32_e64 s[24:25], 0, v78
	v_cmp_eq_u32_e64 s[22:23], 0, v77
	;; [unrolled: 1-line block ×3, first 2 shown]
	v_add3_u32 v81, v2, v76, v75
	v_cmp_eq_u32_e64 s[18:19], 0, v75
	v_cmp_eq_u32_e64 s[16:17], 0, v74
	;; [unrolled: 1-line block ×10, first 2 shown]
	v_cmp_eq_u32_e32 vcc, 0, v63
	v_mbcnt_lo_u32_b32 v80, -1, 0
	v_lshrrev_b32_e32 v54, 6, v0
	v_or_b32_e32 v55, 63, v0
	s_cbranch_scc0 .LBB167_84
; %bb.58:
	v_cndmask_b32_e64 v2, 0, v52, s[24:25]
	v_add_u32_e32 v2, v2, v52
	v_cndmask_b32_e64 v2, 0, v2, s[22:23]
	v_add_u32_e32 v2, v2, v52
	;; [unrolled: 2-line block ×11, first 2 shown]
	v_cndmask_b32_e64 v2, 0, v2, s[28:29]
	v_add3_u32 v3, v81, v74, v73
	v_add_u32_e32 v2, v2, v52
	v_add3_u32 v3, v3, v21, v72
	v_cndmask_b32_e64 v2, 0, v2, s[0:1]
	v_add3_u32 v3, v3, v71, v70
	v_add_u32_e32 v2, v2, v52
	v_add3_u32 v3, v3, v69, v68
	v_cndmask_b32_e32 v2, 0, v2, vcc
	v_add3_u32 v3, v3, v66, v63
	v_add_u32_e32 v2, v2, v53
	v_mbcnt_hi_u32_b32 v15, -1, v80
	v_and_b32_e32 v4, 15, v15
	v_mov_b32_dpp v6, v2 row_shr:1 row_mask:0xf bank_mask:0xf
	v_cmp_eq_u32_e32 vcc, 0, v3
	v_mov_b32_dpp v5, v3 row_shr:1 row_mask:0xf bank_mask:0xf
	v_cmp_lt_u32_e64 s[26:27], 1, v4
	v_cndmask_b32_e32 v6, 0, v6, vcc
	v_cmp_eq_u32_e32 vcc, 0, v4
	s_nop 1
	v_cndmask_b32_e64 v5, v5, 0, vcc
	v_add_u32_e32 v3, v5, v3
	v_cndmask_b32_e64 v5, v6, 0, vcc
	v_add_u32_e32 v2, v5, v2
	v_cmp_eq_u32_e32 vcc, 0, v3
	v_mov_b32_dpp v5, v3 row_shr:2 row_mask:0xf bank_mask:0xf
	v_mov_b32_dpp v6, v2 row_shr:2 row_mask:0xf bank_mask:0xf
	v_cndmask_b32_e64 v5, 0, v5, s[26:27]
	s_and_b64 vcc, s[26:27], vcc
	v_cndmask_b32_e32 v6, 0, v6, vcc
	v_add_u32_e32 v3, v3, v5
	v_add_u32_e32 v2, v6, v2
	v_cmp_eq_u32_e32 vcc, 0, v3
	v_mov_b32_dpp v5, v3 row_shr:4 row_mask:0xf bank_mask:0xf
	v_cmp_lt_u32_e64 s[26:27], 3, v4
	v_mov_b32_dpp v6, v2 row_shr:4 row_mask:0xf bank_mask:0xf
	s_and_b64 vcc, s[26:27], vcc
	v_cndmask_b32_e64 v5, 0, v5, s[26:27]
	v_cndmask_b32_e32 v6, 0, v6, vcc
	v_add_u32_e32 v3, v5, v3
	v_add_u32_e32 v2, v2, v6
	v_cmp_eq_u32_e32 vcc, 0, v3
	v_cmp_lt_u32_e64 s[26:27], 7, v4
	v_mov_b32_dpp v5, v3 row_shr:8 row_mask:0xf bank_mask:0xf
	v_mov_b32_dpp v6, v2 row_shr:8 row_mask:0xf bank_mask:0xf
	s_and_b64 vcc, s[26:27], vcc
	v_cndmask_b32_e64 v4, 0, v5, s[26:27]
	v_cndmask_b32_e32 v5, 0, v6, vcc
	v_add_u32_e32 v2, v5, v2
	v_add_u32_e32 v3, v4, v3
	v_bfe_i32 v6, v15, 4, 1
	v_mov_b32_dpp v5, v2 row_bcast:15 row_mask:0xf bank_mask:0xf
	v_mov_b32_dpp v4, v3 row_bcast:15 row_mask:0xf bank_mask:0xf
	v_cmp_eq_u32_e32 vcc, 0, v3
	v_and_b32_e32 v4, v6, v4
	v_add_u32_e32 v3, v4, v3
	v_cndmask_b32_e32 v5, 0, v5, vcc
	v_and_b32_e32 v4, v6, v5
	v_add_u32_e32 v4, v4, v2
	v_mov_b32_dpp v2, v3 row_bcast:31 row_mask:0xf bank_mask:0xf
	v_cmp_eq_u32_e32 vcc, 0, v3
	v_cmp_lt_u32_e64 s[26:27], 31, v15
	v_mov_b32_dpp v5, v4 row_bcast:31 row_mask:0xf bank_mask:0xf
	s_and_b64 vcc, s[26:27], vcc
	v_cndmask_b32_e64 v2, 0, v2, s[26:27]
	v_add_u32_e32 v2, v2, v3
	v_cndmask_b32_e32 v3, 0, v5, vcc
	v_add_u32_e32 v3, v3, v4
	v_cmp_eq_u32_e32 vcc, v55, v0
	v_lshlrev_b32_e32 v4, 3, v54
	s_and_saveexec_b64 s[26:27], vcc
	s_cbranch_execz .LBB167_60
; %bb.59:
	ds_write_b64 v4, v[2:3] offset:1040
.LBB167_60:
	s_or_b64 exec, exec, s[26:27]
	v_cmp_gt_u32_e32 vcc, 8, v0
	s_waitcnt lgkmcnt(0)
	s_barrier
	s_and_saveexec_b64 s[30:31], vcc
	s_cbranch_execz .LBB167_62
; %bb.61:
	v_lshlrev_b32_e32 v5, 3, v0
	ds_read_b64 v[6:7], v5 offset:1040
	v_and_b32_e32 v12, 7, v15
	v_cmp_lt_u32_e64 s[26:27], 1, v12
	s_waitcnt lgkmcnt(0)
	v_mov_b32_dpp v14, v7 row_shr:1 row_mask:0xf bank_mask:0xf
	v_cmp_eq_u32_e32 vcc, 0, v6
	v_mov_b32_dpp v13, v6 row_shr:1 row_mask:0xf bank_mask:0xf
	s_nop 0
	v_cndmask_b32_e32 v14, 0, v14, vcc
	v_cmp_eq_u32_e32 vcc, 0, v12
	s_nop 1
	v_cndmask_b32_e64 v13, v13, 0, vcc
	v_add_u32_e32 v6, v13, v6
	v_cndmask_b32_e64 v13, v14, 0, vcc
	v_add_u32_e32 v7, v13, v7
	v_cmp_eq_u32_e32 vcc, 0, v6
	v_mov_b32_dpp v13, v6 row_shr:2 row_mask:0xf bank_mask:0xf
	v_mov_b32_dpp v14, v7 row_shr:2 row_mask:0xf bank_mask:0xf
	v_cndmask_b32_e64 v13, 0, v13, s[26:27]
	s_and_b64 vcc, s[26:27], vcc
	v_cndmask_b32_e32 v14, 0, v14, vcc
	v_add_u32_e32 v6, v13, v6
	v_add_u32_e32 v7, v14, v7
	v_cmp_eq_u32_e32 vcc, 0, v6
	v_mov_b32_dpp v13, v6 row_shr:4 row_mask:0xf bank_mask:0xf
	v_cmp_lt_u32_e64 s[26:27], 3, v12
	v_mov_b32_dpp v14, v7 row_shr:4 row_mask:0xf bank_mask:0xf
	s_and_b64 vcc, s[26:27], vcc
	v_cndmask_b32_e64 v12, 0, v13, s[26:27]
	v_add_u32_e32 v6, v12, v6
	v_cndmask_b32_e32 v12, 0, v14, vcc
	v_add_u32_e32 v7, v12, v7
	ds_write_b64 v5, v[6:7] offset:1040
.LBB167_62:
	s_or_b64 exec, exec, s[30:31]
	v_cmp_gt_u32_e32 vcc, 64, v0
	v_cmp_lt_u32_e64 s[26:27], 63, v0
	v_mov_b32_e32 v12, 0
	v_mov_b32_e32 v13, 0
	s_waitcnt lgkmcnt(0)
	s_barrier
	s_and_saveexec_b64 s[30:31], s[26:27]
	s_cbranch_execz .LBB167_64
; %bb.63:
	ds_read_b64 v[12:13], v4 offset:1032
	v_cmp_eq_u32_e64 s[26:27], 0, v2
	s_waitcnt lgkmcnt(0)
	v_add_u32_e32 v4, v12, v2
	v_cndmask_b32_e64 v2, 0, v13, s[26:27]
	v_add_u32_e32 v3, v2, v3
	v_mov_b32_e32 v2, v4
.LBB167_64:
	s_or_b64 exec, exec, s[30:31]
	v_add_u32_e32 v4, -1, v15
	v_and_b32_e32 v5, 64, v15
	v_cmp_lt_i32_e64 s[26:27], v4, v5
	s_nop 1
	v_cndmask_b32_e64 v4, v4, v15, s[26:27]
	v_lshlrev_b32_e32 v4, 2, v4
	ds_bpermute_b32 v20, v4, v2
	ds_bpermute_b32 v22, v4, v3
	v_cmp_eq_u32_e64 s[26:27], 0, v15
	s_and_saveexec_b64 s[52:53], vcc
	s_cbranch_execz .LBB167_83
; %bb.65:
	v_mov_b32_e32 v7, 0
	ds_read_b64 v[2:3], v7 offset:1096
	s_waitcnt lgkmcnt(0)
	v_readfirstlane_b32 s3, v2
	v_readfirstlane_b32 s56, v3
	s_and_saveexec_b64 s[30:31], s[26:27]
	s_cbranch_execz .LBB167_67
; %bb.66:
	s_add_i32 s54, s2, 64
	s_mov_b32 s55, 0
	s_lshl_b64 s[58:59], s[54:55], 4
	s_add_u32 s58, s36, s58
	s_addc_u32 s59, s37, s59
	s_and_b32 s61, s56, 0xff000000
	s_mov_b32 s60, s55
	s_and_b32 s63, s56, 0xff0000
	s_mov_b32 s62, s55
	s_or_b64 s[60:61], s[62:63], s[60:61]
	s_and_b32 s63, s56, 0xff00
	s_or_b64 s[60:61], s[60:61], s[62:63]
	s_and_b32 s63, s56, 0xff
	s_or_b64 s[54:55], s[60:61], s[62:63]
	v_mov_b32_e32 v4, s3
	v_mov_b32_e32 v5, s55
	;; [unrolled: 1-line block ×3, first 2 shown]
	v_mov_b64_e32 v[2:3], s[58:59]
	;;#ASMSTART
	global_store_dwordx4 v[2:3], v[4:7] off sc1	
s_waitcnt vmcnt(0)
	;;#ASMEND
.LBB167_67:
	s_or_b64 exec, exec, s[30:31]
	v_xad_u32 v14, v15, -1, s2
	v_add_u32_e32 v6, 64, v14
	v_lshl_add_u64 v[16:17], v[6:7], 4, s[36:37]
	;;#ASMSTART
	global_load_dwordx4 v[2:5], v[16:17] off sc1	
s_waitcnt vmcnt(0)
	;;#ASMEND
	s_nop 0
	v_and_b32_e32 v5, 0xff, v3
	v_and_b32_e32 v6, 0xff00, v3
	v_or3_b32 v2, v2, 0, 0
	v_and_b32_e32 v18, 0xff000000, v3
	v_or3_b32 v5, 0, v5, v6
	;; [unrolled: 2-line block ×3, first 2 shown]
	v_or3_b32 v2, v2, 0, 0
	v_cmp_eq_u16_sdwa s[54:55], v4, v7 src0_sel:BYTE_0 src1_sel:DWORD
	s_and_saveexec_b64 s[30:31], s[54:55]
	s_cbranch_execz .LBB167_71
; %bb.68:
	s_mov_b64 s[54:55], 0
	v_mov_b32_e32 v6, 0
.LBB167_69:                             ; =>This Inner Loop Header: Depth=1
	;;#ASMSTART
	global_load_dwordx4 v[2:5], v[16:17] off sc1	
s_waitcnt vmcnt(0)
	;;#ASMEND
	s_nop 0
	v_cmp_ne_u16_sdwa s[58:59], v4, v6 src0_sel:BYTE_0 src1_sel:DWORD
	s_or_b64 s[54:55], s[58:59], s[54:55]
	s_andn2_b64 exec, exec, s[54:55]
	s_cbranch_execnz .LBB167_69
; %bb.70:
	s_or_b64 exec, exec, s[54:55]
.LBB167_71:
	s_or_b64 exec, exec, s[30:31]
	v_mov_b32_e32 v23, 2
	v_cmp_eq_u16_sdwa s[30:31], v4, v23 src0_sel:BYTE_0 src1_sel:DWORD
	v_lshlrev_b64 v[16:17], v15, -1
	v_and_b32_e32 v24, 63, v15
	v_and_b32_e32 v5, s31, v17
	v_or_b32_e32 v5, 0x80000000, v5
	v_cmp_ne_u32_e32 vcc, 63, v24
	v_and_b32_e32 v6, s30, v16
	v_ffbl_b32_e32 v5, v5
	v_addc_co_u32_e32 v7, vcc, 0, v15, vcc
	v_add_u32_e32 v5, 32, v5
	v_ffbl_b32_e32 v6, v6
	v_lshlrev_b32_e32 v25, 2, v7
	v_min_u32_e32 v5, v6, v5
	ds_bpermute_b32 v6, v25, v3
	v_cmp_eq_u32_e32 vcc, 0, v2
	v_cmp_lt_u32_e64 s[30:31], v24, v5
	ds_bpermute_b32 v7, v25, v2
	s_and_b64 vcc, s[30:31], vcc
	s_waitcnt lgkmcnt(1)
	v_cndmask_b32_e32 v6, 0, v6, vcc
	v_cmp_gt_u32_e32 vcc, 62, v24
	v_add_u32_e32 v3, v6, v3
	s_waitcnt lgkmcnt(0)
	v_cndmask_b32_e64 v7, 0, v7, s[30:31]
	v_cndmask_b32_e64 v6, 0, 1, vcc
	v_lshlrev_b32_e32 v6, 1, v6
	v_add_lshl_u32 v26, v6, v15, 2
	ds_bpermute_b32 v6, v26, v3
	v_add_u32_e32 v2, v7, v2
	ds_bpermute_b32 v7, v26, v2
	v_add_u32_e32 v27, 2, v24
	v_cmp_eq_u32_e32 vcc, 0, v2
	v_add_u32_e32 v29, 4, v24
	v_add_u32_e32 v31, 8, v24
	s_waitcnt lgkmcnt(1)
	v_cndmask_b32_e32 v6, 0, v6, vcc
	v_cmp_gt_u32_e32 vcc, v27, v5
	v_add_u32_e32 v33, 16, v24
	v_add_u32_e32 v35, 32, v24
	v_cndmask_b32_e64 v6, v6, 0, vcc
	v_add_u32_e32 v3, v6, v3
	s_waitcnt lgkmcnt(0)
	v_cndmask_b32_e64 v6, v7, 0, vcc
	v_cmp_gt_u32_e32 vcc, 60, v24
	v_add_u32_e32 v2, v2, v6
	s_nop 0
	v_cndmask_b32_e64 v7, 0, 1, vcc
	v_lshlrev_b32_e32 v7, 2, v7
	v_add_lshl_u32 v28, v7, v15, 2
	ds_bpermute_b32 v7, v28, v3
	ds_bpermute_b32 v6, v28, v2
	v_cmp_eq_u32_e32 vcc, 0, v2
	s_waitcnt lgkmcnt(1)
	s_nop 0
	v_cndmask_b32_e32 v7, 0, v7, vcc
	v_cmp_gt_u32_e32 vcc, v29, v5
	s_nop 1
	v_cndmask_b32_e64 v7, v7, 0, vcc
	s_waitcnt lgkmcnt(0)
	v_cndmask_b32_e64 v6, v6, 0, vcc
	v_cmp_gt_u32_e32 vcc, 56, v24
	v_add_u32_e32 v3, v3, v7
	v_add_u32_e32 v2, v2, v6
	v_cndmask_b32_e64 v7, 0, 1, vcc
	v_lshlrev_b32_e32 v7, 3, v7
	v_add_lshl_u32 v30, v7, v15, 2
	ds_bpermute_b32 v7, v30, v3
	ds_bpermute_b32 v6, v30, v2
	v_cmp_eq_u32_e32 vcc, 0, v2
	s_waitcnt lgkmcnt(1)
	s_nop 0
	v_cndmask_b32_e32 v7, 0, v7, vcc
	v_cmp_gt_u32_e32 vcc, v31, v5
	s_nop 1
	v_cndmask_b32_e64 v7, v7, 0, vcc
	s_waitcnt lgkmcnt(0)
	v_cndmask_b32_e64 v6, v6, 0, vcc
	v_cmp_gt_u32_e32 vcc, 48, v24
	v_add_u32_e32 v3, v3, v7
	v_add_u32_e32 v2, v2, v6
	;; [unrolled: 17-line block ×3, first 2 shown]
	v_cndmask_b32_e64 v7, 0, 1, vcc
	v_lshlrev_b32_e32 v7, 5, v7
	v_add_lshl_u32 v34, v7, v15, 2
	ds_bpermute_b32 v7, v34, v3
	ds_bpermute_b32 v6, v34, v2
	v_cmp_eq_u32_e32 vcc, 0, v2
	v_mov_b32_e32 v15, 0
	s_waitcnt lgkmcnt(1)
	v_cndmask_b32_e32 v7, 0, v7, vcc
	v_cmp_gt_u32_e32 vcc, v35, v5
	s_nop 1
	v_cndmask_b32_e64 v5, v7, 0, vcc
	v_add_u32_e32 v3, v5, v3
	s_waitcnt lgkmcnt(0)
	v_cndmask_b32_e64 v5, v6, 0, vcc
	v_add_u32_e32 v2, v5, v2
	s_branch .LBB167_73
.LBB167_72:                             ;   in Loop: Header=BB167_73 Depth=1
	s_or_b64 exec, exec, s[30:31]
	v_cmp_eq_u16_sdwa s[30:31], v4, v23 src0_sel:BYTE_0 src1_sel:DWORD
	v_cmp_eq_u32_e32 vcc, 0, v2
	ds_bpermute_b32 v19, v25, v2
	v_and_b32_e32 v5, s31, v17
	v_or_b32_e32 v5, 0x80000000, v5
	v_and_b32_e32 v18, s30, v16
	v_ffbl_b32_e32 v5, v5
	v_add_u32_e32 v5, 32, v5
	v_ffbl_b32_e32 v18, v18
	v_min_u32_e32 v5, v18, v5
	ds_bpermute_b32 v18, v25, v3
	v_cmp_lt_u32_e64 s[30:31], v24, v5
	s_and_b64 vcc, s[30:31], vcc
	v_subrev_u32_e32 v14, 64, v14
	s_waitcnt lgkmcnt(1)
	v_cndmask_b32_e64 v19, 0, v19, s[30:31]
	s_waitcnt lgkmcnt(0)
	v_cndmask_b32_e32 v18, 0, v18, vcc
	v_add_u32_e32 v3, v18, v3
	ds_bpermute_b32 v18, v26, v3
	v_add_u32_e32 v2, v19, v2
	v_cmp_eq_u32_e32 vcc, 0, v2
	ds_bpermute_b32 v19, v26, v2
	s_waitcnt lgkmcnt(1)
	v_cndmask_b32_e32 v18, 0, v18, vcc
	v_cmp_gt_u32_e32 vcc, v27, v5
	s_nop 1
	v_cndmask_b32_e64 v18, v18, 0, vcc
	v_add_u32_e32 v3, v18, v3
	ds_bpermute_b32 v18, v28, v3
	s_waitcnt lgkmcnt(1)
	v_cndmask_b32_e64 v19, v19, 0, vcc
	v_add_u32_e32 v2, v2, v19
	v_cmp_eq_u32_e32 vcc, 0, v2
	ds_bpermute_b32 v19, v28, v2
	s_waitcnt lgkmcnt(1)
	v_cndmask_b32_e32 v18, 0, v18, vcc
	v_cmp_gt_u32_e32 vcc, v29, v5
	s_nop 1
	v_cndmask_b32_e64 v18, v18, 0, vcc
	v_add_u32_e32 v3, v3, v18
	ds_bpermute_b32 v18, v30, v3
	s_waitcnt lgkmcnt(1)
	v_cndmask_b32_e64 v19, v19, 0, vcc
	v_add_u32_e32 v2, v2, v19
	ds_bpermute_b32 v19, v30, v2
	v_cmp_eq_u32_e32 vcc, 0, v2
	s_waitcnt lgkmcnt(1)
	s_nop 0
	v_cndmask_b32_e32 v18, 0, v18, vcc
	v_cmp_gt_u32_e32 vcc, v31, v5
	s_nop 1
	v_cndmask_b32_e64 v18, v18, 0, vcc
	v_add_u32_e32 v3, v3, v18
	ds_bpermute_b32 v18, v32, v3
	s_waitcnt lgkmcnt(1)
	v_cndmask_b32_e64 v19, v19, 0, vcc
	v_add_u32_e32 v2, v2, v19
	ds_bpermute_b32 v19, v32, v2
	v_cmp_eq_u32_e32 vcc, 0, v2
	s_waitcnt lgkmcnt(1)
	s_nop 0
	;; [unrolled: 13-line block ×3, first 2 shown]
	v_cndmask_b32_e32 v18, 0, v18, vcc
	v_cmp_gt_u32_e32 vcc, v35, v5
	s_nop 1
	v_cndmask_b32_e64 v5, v18, 0, vcc
	v_add_u32_e32 v3, v5, v3
	s_waitcnt lgkmcnt(0)
	v_cndmask_b32_e64 v5, v19, 0, vcc
	v_cmp_eq_u32_e32 vcc, 0, v6
	v_add3_u32 v2, v2, v6, v5
	s_nop 0
	v_cndmask_b32_e32 v3, 0, v3, vcc
	v_add_u32_e32 v3, v3, v7
.LBB167_73:                             ; =>This Loop Header: Depth=1
                                        ;     Child Loop BB167_76 Depth 2
	v_cmp_ne_u16_sdwa s[30:31], v4, v23 src0_sel:BYTE_0 src1_sel:DWORD
	v_mov_b32_e32 v7, v3
	v_mov_b32_e32 v6, v2
	v_cndmask_b32_e64 v3, 0, 1, s[30:31]
	;;#ASMSTART
	;;#ASMEND
	s_nop 0
	v_cmp_ne_u32_e32 vcc, 0, v3
	s_cmp_lg_u64 vcc, exec
	s_cbranch_scc1 .LBB167_78
; %bb.74:                               ;   in Loop: Header=BB167_73 Depth=1
	v_lshl_add_u64 v[18:19], v[14:15], 4, s[36:37]
	;;#ASMSTART
	global_load_dwordx4 v[2:5], v[18:19] off sc1	
s_waitcnt vmcnt(0)
	;;#ASMEND
	s_nop 0
	v_and_b32_e32 v5, 0xff, v3
	v_and_b32_e32 v36, 0xff00, v3
	v_or3_b32 v2, v2, 0, 0
	v_and_b32_e32 v37, 0xff000000, v3
	v_or3_b32 v5, 0, v5, v36
	;; [unrolled: 2-line block ×3, first 2 shown]
	v_or3_b32 v2, v2, 0, 0
	v_cmp_eq_u16_sdwa s[54:55], v4, v15 src0_sel:BYTE_0 src1_sel:DWORD
	s_and_saveexec_b64 s[30:31], s[54:55]
	s_cbranch_execz .LBB167_72
; %bb.75:                               ;   in Loop: Header=BB167_73 Depth=1
	s_mov_b64 s[54:55], 0
.LBB167_76:                             ;   Parent Loop BB167_73 Depth=1
                                        ; =>  This Inner Loop Header: Depth=2
	;;#ASMSTART
	global_load_dwordx4 v[2:5], v[18:19] off sc1	
s_waitcnt vmcnt(0)
	;;#ASMEND
	s_nop 0
	v_cmp_ne_u16_sdwa s[58:59], v4, v15 src0_sel:BYTE_0 src1_sel:DWORD
	s_or_b64 s[54:55], s[58:59], s[54:55]
	s_andn2_b64 exec, exec, s[54:55]
	s_cbranch_execnz .LBB167_76
; %bb.77:                               ;   in Loop: Header=BB167_73 Depth=1
	s_or_b64 exec, exec, s[54:55]
	s_branch .LBB167_72
.LBB167_78:                             ;   in Loop: Header=BB167_73 Depth=1
                                        ; implicit-def: $vgpr3
                                        ; implicit-def: $vgpr2
                                        ; implicit-def: $vgpr4
	s_cbranch_execz .LBB167_73
; %bb.79:
	s_and_saveexec_b64 s[30:31], s[26:27]
	s_cbranch_execz .LBB167_81
; %bb.80:
	s_cmp_eq_u32 s3, 0
	s_cselect_b64 vcc, -1, 0
	s_mov_b32 s55, 0
	v_cndmask_b32_e32 v2, 0, v7, vcc
	s_add_i32 s54, s2, 64
	v_add_u32_e32 v2, s56, v2
	s_lshl_b64 s[54:55], s[54:55], 4
	s_add_u32 s54, s36, s54
	v_and_b32_e32 v3, 0xff000000, v2
	v_and_b32_e32 v4, 0xff0000, v2
	s_addc_u32 s55, s37, s55
	v_or_b32_e32 v3, v4, v3
	v_and_b32_e32 v4, 0xff00, v2
	v_and_b32_e32 v2, 0xff, v2
	v_add_u32_e32 v14, s3, v6
	v_mov_b32_e32 v17, 0
	v_or3_b32 v15, v3, v4, v2
	v_mov_b32_e32 v16, 2
	v_mov_b64_e32 v[2:3], s[54:55]
	;;#ASMSTART
	global_store_dwordx4 v[2:3], v[14:17] off sc1	
s_waitcnt vmcnt(0)
	;;#ASMEND
	v_mov_b32_e32 v4, s3
	v_mov_b32_e32 v5, s56
	ds_write_b128 v17, v[4:7] offset:1024
.LBB167_81:
	s_or_b64 exec, exec, s[30:31]
	v_cmp_eq_u32_e32 vcc, 0, v0
	s_and_b64 exec, exec, vcc
	s_cbranch_execz .LBB167_83
; %bb.82:
	v_mov_b32_e32 v2, 0
	ds_write_b64 v2, v[6:7] offset:1096
.LBB167_83:
	s_or_b64 exec, exec, s[52:53]
	v_mov_b32_e32 v4, 0
	s_waitcnt lgkmcnt(0)
	s_barrier
	ds_read_b64 v[2:3], v4 offset:1096
	v_cndmask_b32_e64 v6, v20, v12, s[26:27]
	v_cmp_eq_u32_e32 vcc, 0, v6
	v_cndmask_b32_e64 v5, v22, v13, s[26:27]
	s_waitcnt lgkmcnt(0)
	v_cndmask_b32_e32 v7, 0, v3, vcc
	v_add_u32_e32 v5, v7, v5
	v_cmp_eq_u32_e32 vcc, 0, v0
	s_barrier
	s_nop 0
	v_cndmask_b32_e32 v51, v5, v3, vcc
	v_cndmask_b32_e64 v3, v6, 0, vcc
	v_cmp_eq_u32_e32 vcc, 0, v79
	v_add_u32_e32 v50, v2, v3
	v_add_u32_e32 v48, v50, v79
	v_cndmask_b32_e32 v2, 0, v51, vcc
	v_add_u32_e32 v49, v2, v52
	v_cndmask_b32_e64 v2, 0, v49, s[24:25]
	v_add_u32_e32 v47, v2, v52
	v_cndmask_b32_e64 v2, 0, v47, s[22:23]
	;; [unrolled: 2-line block ×7, first 2 shown]
	v_add_u32_e32 v35, v2, v52
	v_add_u32_e32 v46, v48, v78
	v_cndmask_b32_e64 v2, 0, v35, s[10:11]
	v_add_u32_e32 v44, v46, v77
	v_add_u32_e32 v33, v2, v52
	v_add_u32_e32 v42, v44, v76
	v_cndmask_b32_e64 v2, 0, v33, s[8:9]
	v_add_u32_e32 v40, v42, v75
	;; [unrolled: 4-line block ×3, first 2 shown]
	v_add_u32_e32 v29, v2, v52
	ds_read_b128 v[16:19], v4 offset:1024
	v_add_u32_e32 v34, v36, v21
	v_cndmask_b32_e64 v2, 0, v29, s[4:5]
	v_add_u32_e32 v32, v34, v72
	v_add_u32_e32 v27, v2, v52
	;; [unrolled: 1-line block ×3, first 2 shown]
	v_cndmask_b32_e64 v2, 0, v27, s[28:29]
	v_add_u32_e32 v28, v30, v70
	v_add_u32_e32 v23, v2, v52
	;; [unrolled: 1-line block ×3, first 2 shown]
	v_cndmask_b32_e64 v2, 0, v23, s[0:1]
	s_waitcnt lgkmcnt(0)
	v_cmp_eq_u32_e32 vcc, 0, v16
	v_add_u32_e32 v22, v26, v68
	v_add_u32_e32 v25, v2, v52
	v_cndmask_b32_e32 v2, 0, v19, vcc
	v_add_u32_e32 v24, v22, v66
	v_add_u32_e32 v20, v2, v17
	s_branch .LBB167_96
.LBB167_84:
                                        ; implicit-def: $vgpr16
                                        ; implicit-def: $vgpr20
                                        ; implicit-def: $vgpr24_vgpr25
                                        ; implicit-def: $vgpr22_vgpr23
                                        ; implicit-def: $vgpr26_vgpr27
                                        ; implicit-def: $vgpr28_vgpr29
                                        ; implicit-def: $vgpr50_vgpr51
                                        ; implicit-def: $vgpr48_vgpr49
                                        ; implicit-def: $vgpr46_vgpr47
                                        ; implicit-def: $vgpr44_vgpr45
                                        ; implicit-def: $vgpr42_vgpr43
                                        ; implicit-def: $vgpr40_vgpr41
                                        ; implicit-def: $vgpr38_vgpr39
                                        ; implicit-def: $vgpr36_vgpr37
                                        ; implicit-def: $vgpr34_vgpr35
                                        ; implicit-def: $vgpr32_vgpr33
                                        ; implicit-def: $vgpr30_vgpr31
	s_cbranch_execz .LBB167_96
; %bb.85:
	s_and_b64 s[0:1], s[38:39], exec
	s_cselect_b32 s1, 0, s51
	s_cselect_b32 s0, 0, s50
	s_cmp_eq_u64 s[0:1], 0
	v_mov_b32_e32 v6, v52
	s_cbranch_scc1 .LBB167_87
; %bb.86:
	v_mov_b32_e32 v2, 0
	global_load_dword v6, v2, s[0:1]
.LBB167_87:
	v_cmp_eq_u32_e64 s[0:1], 0, v78
	v_cmp_eq_u32_e64 s[2:3], 0, v77
	v_cmp_eq_u32_e64 s[4:5], 0, v76
	v_cndmask_b32_e64 v2, 0, v52, s[0:1]
	v_add_u32_e32 v2, v2, v52
	v_cndmask_b32_e64 v2, 0, v2, s[2:3]
	v_add_u32_e32 v2, v2, v52
	v_cndmask_b32_e64 v2, 0, v2, s[4:5]
	v_add_u32_e32 v2, v2, v52
	v_cmp_eq_u32_e64 s[6:7], 0, v75
	v_cmp_eq_u32_e64 s[8:9], 0, v74
	v_cmp_eq_u32_e64 s[10:11], 0, v73
	v_cndmask_b32_e64 v2, 0, v2, s[6:7]
	v_add_u32_e32 v2, v2, v52
	v_cndmask_b32_e64 v2, 0, v2, s[8:9]
	v_add_u32_e32 v2, v2, v52
	v_cndmask_b32_e64 v2, 0, v2, s[10:11]
	v_add_u32_e32 v2, v2, v52
	;; [unrolled: 9-line block ×3, first 2 shown]
	v_cmp_eq_u32_e64 s[18:19], 0, v70
	v_cmp_eq_u32_e64 s[20:21], 0, v69
	;; [unrolled: 1-line block ×3, first 2 shown]
	v_cndmask_b32_e64 v2, 0, v2, s[18:19]
	v_add_u32_e32 v2, v2, v52
	v_cndmask_b32_e64 v2, 0, v2, s[20:21]
	v_add_u32_e32 v2, v2, v52
	v_cndmask_b32_e64 v2, 0, v2, s[22:23]
	v_add3_u32 v3, v81, v74, v73
	v_add_u32_e32 v2, v2, v52
	v_cmp_eq_u32_e32 vcc, 0, v66
	v_add3_u32 v3, v3, v21, v72
	v_add3_u32 v3, v3, v71, v70
	v_cndmask_b32_e32 v2, 0, v2, vcc
	v_add_u32_e32 v2, v2, v52
	v_cmp_eq_u32_e64 s[24:25], 0, v63
	v_add3_u32 v3, v3, v69, v68
	v_add3_u32 v3, v3, v66, v63
	v_cndmask_b32_e64 v2, 0, v2, s[24:25]
	v_add_u32_e32 v2, v2, v53
	v_mbcnt_hi_u32_b32 v7, -1, v80
	v_and_b32_e32 v4, 15, v7
	v_mov_b32_dpp v12, v2 row_shr:1 row_mask:0xf bank_mask:0xf
	v_cmp_eq_u32_e64 s[24:25], 0, v3
	v_mov_b32_dpp v5, v3 row_shr:1 row_mask:0xf bank_mask:0xf
	v_cmp_lt_u32_e64 s[26:27], 1, v4
	v_cndmask_b32_e64 v12, 0, v12, s[24:25]
	v_cmp_eq_u32_e64 s[24:25], 0, v4
	s_nop 1
	v_cndmask_b32_e64 v5, v5, 0, s[24:25]
	v_add_u32_e32 v3, v5, v3
	v_cndmask_b32_e64 v5, v12, 0, s[24:25]
	v_add_u32_e32 v2, v5, v2
	v_cmp_eq_u32_e64 s[24:25], 0, v3
	v_mov_b32_dpp v5, v3 row_shr:2 row_mask:0xf bank_mask:0xf
	v_mov_b32_dpp v12, v2 row_shr:2 row_mask:0xf bank_mask:0xf
	v_cndmask_b32_e64 v5, 0, v5, s[26:27]
	s_and_b64 s[24:25], s[26:27], s[24:25]
	v_cndmask_b32_e64 v12, 0, v12, s[24:25]
	v_add_u32_e32 v3, v3, v5
	v_add_u32_e32 v2, v12, v2
	v_cmp_eq_u32_e64 s[24:25], 0, v3
	v_mov_b32_dpp v5, v3 row_shr:4 row_mask:0xf bank_mask:0xf
	v_cmp_lt_u32_e64 s[26:27], 3, v4
	v_mov_b32_dpp v12, v2 row_shr:4 row_mask:0xf bank_mask:0xf
	s_and_b64 s[24:25], s[26:27], s[24:25]
	v_cndmask_b32_e64 v5, 0, v5, s[26:27]
	v_cndmask_b32_e64 v12, 0, v12, s[24:25]
	v_add_u32_e32 v3, v5, v3
	v_add_u32_e32 v2, v2, v12
	v_cmp_eq_u32_e64 s[24:25], 0, v3
	v_cmp_lt_u32_e64 s[26:27], 7, v4
	v_mov_b32_dpp v5, v3 row_shr:8 row_mask:0xf bank_mask:0xf
	v_mov_b32_dpp v12, v2 row_shr:8 row_mask:0xf bank_mask:0xf
	s_and_b64 s[24:25], s[26:27], s[24:25]
	v_cndmask_b32_e64 v4, 0, v5, s[26:27]
	v_cndmask_b32_e64 v5, 0, v12, s[24:25]
	v_add_u32_e32 v2, v5, v2
	v_add_u32_e32 v3, v4, v3
	v_bfe_i32 v12, v7, 4, 1
	v_mov_b32_dpp v5, v2 row_bcast:15 row_mask:0xf bank_mask:0xf
	v_mov_b32_dpp v4, v3 row_bcast:15 row_mask:0xf bank_mask:0xf
	v_cmp_eq_u32_e64 s[24:25], 0, v3
	v_and_b32_e32 v4, v12, v4
	v_add_u32_e32 v3, v4, v3
	v_cndmask_b32_e64 v5, 0, v5, s[24:25]
	v_and_b32_e32 v4, v12, v5
	v_add_u32_e32 v4, v4, v2
	v_mov_b32_dpp v2, v3 row_bcast:31 row_mask:0xf bank_mask:0xf
	v_cmp_eq_u32_e64 s[24:25], 0, v3
	v_cmp_lt_u32_e64 s[26:27], 31, v7
	v_mov_b32_dpp v5, v4 row_bcast:31 row_mask:0xf bank_mask:0xf
	s_and_b64 s[24:25], s[26:27], s[24:25]
	v_cndmask_b32_e64 v2, 0, v2, s[26:27]
	v_add_u32_e32 v2, v2, v3
	v_cndmask_b32_e64 v3, 0, v5, s[24:25]
	v_add_u32_e32 v3, v3, v4
	v_cmp_eq_u32_e64 s[24:25], v55, v0
	v_lshlrev_b32_e32 v5, 3, v54
	s_and_saveexec_b64 s[26:27], s[24:25]
	s_cbranch_execz .LBB167_89
; %bb.88:
	ds_write_b64 v5, v[2:3] offset:1040
.LBB167_89:
	s_or_b64 exec, exec, s[26:27]
	v_cmp_gt_u32_e64 s[24:25], 8, v0
	s_waitcnt lgkmcnt(0)
	s_barrier
	s_and_saveexec_b64 s[28:29], s[24:25]
	s_cbranch_execz .LBB167_91
; %bb.90:
	v_lshlrev_b32_e32 v4, 3, v0
	ds_read_b64 v[12:13], v4 offset:1040
	v_and_b32_e32 v14, 7, v7
	v_cmp_lt_u32_e64 s[26:27], 1, v14
	s_waitcnt lgkmcnt(0)
	v_mov_b32_dpp v16, v13 row_shr:1 row_mask:0xf bank_mask:0xf
	v_cmp_eq_u32_e64 s[24:25], 0, v12
	v_mov_b32_dpp v15, v12 row_shr:1 row_mask:0xf bank_mask:0xf
	s_nop 0
	v_cndmask_b32_e64 v16, 0, v16, s[24:25]
	v_cmp_eq_u32_e64 s[24:25], 0, v14
	s_nop 1
	v_cndmask_b32_e64 v15, v15, 0, s[24:25]
	v_add_u32_e32 v12, v15, v12
	v_cndmask_b32_e64 v15, v16, 0, s[24:25]
	v_add_u32_e32 v13, v15, v13
	v_cmp_eq_u32_e64 s[24:25], 0, v12
	v_mov_b32_dpp v15, v12 row_shr:2 row_mask:0xf bank_mask:0xf
	v_mov_b32_dpp v16, v13 row_shr:2 row_mask:0xf bank_mask:0xf
	v_cndmask_b32_e64 v15, 0, v15, s[26:27]
	s_and_b64 s[24:25], s[26:27], s[24:25]
	v_cndmask_b32_e64 v16, 0, v16, s[24:25]
	v_add_u32_e32 v12, v15, v12
	v_add_u32_e32 v13, v16, v13
	v_cmp_eq_u32_e64 s[24:25], 0, v12
	v_mov_b32_dpp v15, v12 row_shr:4 row_mask:0xf bank_mask:0xf
	v_cmp_lt_u32_e64 s[26:27], 3, v14
	v_mov_b32_dpp v16, v13 row_shr:4 row_mask:0xf bank_mask:0xf
	s_and_b64 s[24:25], s[26:27], s[24:25]
	v_cndmask_b32_e64 v14, 0, v15, s[26:27]
	v_add_u32_e32 v12, v14, v12
	v_cndmask_b32_e64 v14, 0, v16, s[24:25]
	v_add_u32_e32 v13, v14, v13
	ds_write_b64 v4, v[12:13] offset:1040
.LBB167_91:
	s_or_b64 exec, exec, s[28:29]
	v_cmp_lt_u32_e64 s[24:25], 63, v0
	v_mov_b32_e32 v12, 0
	v_mov_b32_e32 v4, 0
	s_waitcnt vmcnt(0)
	v_mov_b32_e32 v13, v6
	s_waitcnt lgkmcnt(0)
	s_barrier
	s_and_saveexec_b64 s[26:27], s[24:25]
	s_cbranch_execz .LBB167_93
; %bb.92:
	ds_read_b64 v[4:5], v5 offset:1032
	s_waitcnt lgkmcnt(0)
	v_cmp_eq_u32_e64 s[24:25], 0, v4
	s_nop 1
	v_cndmask_b32_e64 v13, 0, v6, s[24:25]
	v_add_u32_e32 v13, v13, v5
.LBB167_93:
	s_or_b64 exec, exec, s[26:27]
	v_cmp_eq_u32_e64 s[24:25], 0, v2
	v_add_u32_e32 v5, v4, v2
	v_and_b32_e32 v14, 64, v7
	v_cndmask_b32_e64 v2, 0, v13, s[24:25]
	v_add_u32_e32 v2, v2, v3
	v_add_u32_e32 v3, -1, v7
	v_cmp_lt_i32_e64 s[24:25], v3, v14
	v_cmp_eq_u32_e64 s[26:27], 0, v79
	ds_read_b64 v[16:17], v12 offset:1096
	v_cndmask_b32_e64 v3, v3, v7, s[24:25]
	v_lshlrev_b32_e32 v3, 2, v3
	ds_bpermute_b32 v5, v3, v5
	ds_bpermute_b32 v2, v3, v2
	v_cmp_eq_u32_e64 s[24:25], 0, v7
	s_waitcnt lgkmcnt(1)
	s_nop 0
	v_cndmask_b32_e64 v3, v5, v4, s[24:25]
	s_waitcnt lgkmcnt(0)
	v_cndmask_b32_e64 v2, v2, v13, s[24:25]
	v_cmp_eq_u32_e64 s[24:25], 0, v0
	s_nop 1
	v_cndmask_b32_e64 v51, v2, v6, s[24:25]
	v_cndmask_b32_e64 v2, 0, v51, s[26:27]
	v_add_u32_e32 v49, v2, v52
	v_cndmask_b32_e64 v2, 0, v49, s[0:1]
	v_add_u32_e32 v47, v2, v52
	;; [unrolled: 2-line block ×7, first 2 shown]
	v_cndmask_b32_e64 v50, v3, 0, s[24:25]
	v_cndmask_b32_e64 v2, 0, v37, s[12:13]
	v_add_u32_e32 v48, v50, v79
	v_add_u32_e32 v35, v2, v52
	v_add_u32_e32 v46, v48, v78
	v_cndmask_b32_e64 v2, 0, v35, s[14:15]
	v_add_u32_e32 v44, v46, v77
	v_add_u32_e32 v33, v2, v52
	v_add_u32_e32 v42, v44, v76
	v_cndmask_b32_e64 v2, 0, v33, s[16:17]
	v_add_u32_e32 v40, v42, v75
	v_add_u32_e32 v31, v2, v52
	v_add_u32_e32 v38, v40, v74
	v_cndmask_b32_e64 v2, 0, v31, s[18:19]
	v_add_u32_e32 v36, v38, v73
	v_add_u32_e32 v29, v2, v52
	v_add_u32_e32 v34, v36, v21
	v_cndmask_b32_e64 v2, 0, v29, s[20:21]
	v_add_u32_e32 v32, v34, v72
	v_add_u32_e32 v27, v2, v52
	v_add_u32_e32 v30, v32, v71
	v_cndmask_b32_e64 v2, 0, v27, s[22:23]
	v_add_u32_e32 v28, v30, v70
	v_add_u32_e32 v23, v2, v52
	v_add_u32_e32 v26, v28, v69
	v_cndmask_b32_e32 v2, 0, v23, vcc
	v_cmp_eq_u32_e32 vcc, 0, v16
	v_add_u32_e32 v22, v26, v68
	v_add_u32_e32 v25, v2, v52
	v_cndmask_b32_e32 v2, 0, v6, vcc
	v_add_u32_e32 v24, v22, v66
	v_add_u32_e32 v20, v2, v17
	s_and_saveexec_b64 s[0:1], s[24:25]
	s_cbranch_execz .LBB167_95
; %bb.94:
	s_add_u32 s2, s36, 0x400
	v_and_b32_e32 v2, 0xff000000, v20
	v_and_b32_e32 v3, 0xff0000, v20
	s_addc_u32 s3, s37, 0
	v_or_b32_e32 v2, v3, v2
	v_and_b32_e32 v3, 0xff00, v20
	v_and_b32_e32 v4, 0xff, v20
	v_mov_b32_e32 v19, 0
	v_or3_b32 v17, v2, v3, v4
	v_mov_b32_e32 v18, 2
	v_mov_b64_e32 v[2:3], s[2:3]
	;;#ASMSTART
	global_store_dwordx4 v[2:3], v[16:19] off sc1	
s_waitcnt vmcnt(0)
	;;#ASMEND
.LBB167_95:
	s_or_b64 exec, exec, s[0:1]
	v_mov_b32_e32 v18, 0
.LBB167_96:
	s_and_b64 s[0:1], s[38:39], exec
	s_cselect_b32 s1, 0, s47
	s_cselect_b32 s0, 0, s46
	s_cmp_eq_u64 s[0:1], 0
	v_mov_b64_e32 v[52:53], 0
	s_waitcnt lgkmcnt(0)
	s_barrier
	s_cbranch_scc1 .LBB167_98
; %bb.97:
	v_mov_b32_e32 v2, 0
	global_load_dwordx2 v[52:53], v2, s[0:1]
.LBB167_98:
	s_waitcnt vmcnt(0)
	v_lshl_add_u64 v[2:3], s[40:41], 0, v[52:53]
	v_mov_b32_e32 v19, 0
	v_cmp_eq_u32_e32 vcc, 0, v79
	v_lshl_add_u64 v[54:55], v[2:3], 0, v[18:19]
	s_movk_i32 s30, 0x200
	v_cndmask_b32_e64 v2, 1, 2, vcc
	v_cmp_eq_u32_e32 vcc, 0, v78
	v_cmp_ne_u32_e64 s[28:29], 0, v79
	v_cmp_ne_u32_e64 s[26:27], 0, v78
	v_cndmask_b32_e64 v3, 1, 2, vcc
	v_cmp_eq_u32_e32 vcc, 0, v77
	v_and_b32_e32 v2, v3, v2
	v_cmp_ne_u32_e64 s[24:25], 0, v77
	v_cndmask_b32_e64 v3, 1, 2, vcc
	v_cmp_eq_u32_e32 vcc, 0, v76
	v_and_b32_e32 v2, v2, v3
	;; [unrolled: 4-line block ×13, first 2 shown]
	v_cmp_ne_u32_e64 s[0:1], 0, v63
	v_cndmask_b32_e64 v3, 1, 2, vcc
	v_and_b32_e32 v2, v2, v3
	v_cmp_gt_u32_e32 vcc, s30, v16
	s_mov_b64 s[36:37], -1
	v_cmp_gt_i16_e64 s[30:31], 2, v2
	s_cbranch_vccz .LBB167_105
; %bb.99:
	s_and_saveexec_b64 s[36:37], s[30:31]
	s_cbranch_execz .LBB167_104
; %bb.100:
	v_cmp_ne_u16_e32 vcc, 1, v2
	s_mov_b64 s[38:39], 0
	s_and_saveexec_b64 s[30:31], vcc
	s_xor_b64 s[30:31], exec, s[30:31]
	s_cbranch_execnz .LBB167_146
; %bb.101:
	s_andn2_saveexec_b64 s[30:31], s[30:31]
	s_cbranch_execnz .LBB167_162
.LBB167_102:
	s_or_b64 exec, exec, s[30:31]
	s_and_b64 exec, exec, s[38:39]
	s_cbranch_execz .LBB167_104
.LBB167_103:
	v_sub_u32_e32 v3, v24, v18
	v_readfirstlane_b32 s30, v54
	v_readfirstlane_b32 s31, v55
	s_nop 4
	global_store_byte v3, v1, s[30:31]
.LBB167_104:
	s_or_b64 exec, exec, s[36:37]
	s_mov_b64 s[36:37], 0
.LBB167_105:
	s_and_b64 vcc, exec, s[36:37]
	s_cbranch_vccz .LBB167_124
; %bb.106:
	v_cmp_gt_i16_e32 vcc, 2, v2
	s_and_saveexec_b64 s[30:31], vcc
	s_cbranch_execz .LBB167_111
; %bb.107:
	v_cmp_ne_u16_e32 vcc, 1, v2
	s_mov_b64 s[38:39], 0
	s_and_saveexec_b64 s[36:37], vcc
	s_xor_b64 s[36:37], exec, s[36:37]
	s_cbranch_execnz .LBB167_163
; %bb.108:
	s_andn2_saveexec_b64 s[0:1], s[36:37]
	s_cbranch_execnz .LBB167_179
.LBB167_109:
	s_or_b64 exec, exec, s[0:1]
	s_and_b64 exec, exec, s[38:39]
	s_cbranch_execz .LBB167_111
.LBB167_110:
	v_sub_u32_e32 v2, v24, v18
	ds_write_b8 v2, v1
.LBB167_111:
	s_or_b64 exec, exec, s[30:31]
	v_cmp_lt_u32_e32 vcc, v0, v16
	s_waitcnt lgkmcnt(0)
	s_barrier
	s_and_saveexec_b64 s[0:1], vcc
	s_cbranch_execz .LBB167_123
; %bb.112:
	v_xad_u32 v2, v0, -1, v16
	s_movk_i32 s2, 0xdff
	v_cmp_lt_u32_e32 vcc, s2, v2
	s_mov_b64 s[4:5], -1
	v_mov_b32_e32 v1, v0
	s_and_saveexec_b64 s[2:3], vcc
	s_cbranch_execz .LBB167_120
; %bb.113:
	v_lshrrev_b32_e32 v17, 9, v2
	v_or_b32_e32 v7, 0xe00, v0
	v_or_b32_e32 v6, 0xc00, v0
	;; [unrolled: 1-line block ×7, first 2 shown]
	v_add_u32_e32 v58, -7, v17
	v_mov_b64_e32 v[14:15], v[6:7]
	v_cmp_lt_u32_e32 vcc, 7, v58
	v_mov_b32_e32 v61, 0
	v_mov_b64_e32 v[12:13], v[4:5]
	v_mov_b64_e32 v[10:11], v[2:3]
	;; [unrolled: 1-line block ×3, first 2 shown]
	s_and_saveexec_b64 s[4:5], vcc
	s_cbranch_execz .LBB167_117
; %bb.114:
	v_lshrrev_b32_e32 v8, 3, v58
	v_add_u32_e32 v8, 1, v8
	v_and_b32_e32 v59, 0x3ffffffe, v8
	v_mov_b64_e32 v[14:15], v[6:7]
	s_mov_b32 s8, 0
	s_mov_b64 s[6:7], 0
	v_mov_b32_e32 v57, 0
	v_mov_b32_e32 v60, v0
	v_mov_b64_e32 v[12:13], v[4:5]
	v_mov_b64_e32 v[10:11], v[2:3]
	;; [unrolled: 1-line block ×3, first 2 shown]
.LBB167_115:                            ; =>This Inner Loop Header: Depth=1
	v_mov_b32_e32 v56, v8
	v_lshl_add_u64 v[86:87], v[54:55], 0, v[56:57]
	v_mov_b32_e32 v56, v9
	v_lshl_add_u64 v[88:89], v[54:55], 0, v[56:57]
	;; [unrolled: 2-line block ×3, first 2 shown]
	v_mov_b32_e32 v56, v11
	ds_read_u8 v1, v60
	ds_read_u8 v62, v60 offset:512
	ds_read_u8 v67, v60 offset:1024
	;; [unrolled: 1-line block ×7, first 2 shown]
	v_lshl_add_u64 v[92:93], v[54:55], 0, v[56:57]
	v_mov_b32_e32 v56, v12
	ds_read_u8 v101, v60 offset:4096
	ds_read_u8 v102, v60 offset:4608
	;; [unrolled: 1-line block ×8, first 2 shown]
	v_lshl_add_u64 v[94:95], v[54:55], 0, v[56:57]
	v_mov_b32_e32 v56, v13
	s_waitcnt lgkmcnt(14)
	global_store_byte v[86:87], v1, off
	global_store_byte v[88:89], v62, off
	s_waitcnt lgkmcnt(13)
	global_store_byte v[90:91], v67, off
	s_waitcnt lgkmcnt(12)
	global_store_byte v[92:93], v96, off
	v_lshl_add_u64 v[86:87], v[54:55], 0, v[56:57]
	v_mov_b32_e32 v56, v14
	v_add_u32_e32 v59, -2, v59
	v_lshl_add_u64 v[88:89], v[54:55], 0, v[56:57]
	v_mov_b32_e32 v56, v15
	s_add_i32 s8, s8, 16
	v_cmp_eq_u32_e32 vcc, 0, v59
	s_waitcnt lgkmcnt(11)
	global_store_byte v[94:95], v97, off
	s_waitcnt lgkmcnt(10)
	global_store_byte v[86:87], v98, off
	v_lshl_add_u64 v[86:87], v[54:55], 0, v[56:57]
	v_add_u32_e32 v56, 0x1000, v8
	v_add_u32_e32 v2, 0x1000, v15
	;; [unrolled: 1-line block ×8, first 2 shown]
	v_mov_b32_e32 v85, v57
	v_mov_b32_e32 v83, v57
	;; [unrolled: 1-line block ×7, first 2 shown]
	v_add_u32_e32 v60, 0x2000, v60
	v_add_u32_e32 v9, 0x2000, v9
	v_mov_b32_e32 v61, s8
	v_add_u32_e32 v10, 0x2000, v10
	s_or_b64 s[6:7], vcc, s[6:7]
	v_add_u32_e32 v11, 0x2000, v11
	v_add_u32_e32 v12, 0x2000, v12
	;; [unrolled: 1-line block ×5, first 2 shown]
	s_waitcnt lgkmcnt(9)
	global_store_byte v[88:89], v99, off
	v_add_u32_e32 v8, 0x2000, v8
	s_waitcnt lgkmcnt(8)
	global_store_byte v[86:87], v100, off
	v_lshl_add_u64 v[86:87], v[54:55], 0, v[56:57]
	v_lshl_add_u64 v[84:85], v[54:55], 0, v[84:85]
	;; [unrolled: 1-line block ×8, first 2 shown]
	s_waitcnt lgkmcnt(7)
	global_store_byte v[86:87], v101, off
	s_waitcnt lgkmcnt(6)
	global_store_byte v[84:85], v102, off
	s_waitcnt lgkmcnt(5)
	global_store_byte v[82:83], v103, off
	s_waitcnt lgkmcnt(4)
	global_store_byte v[80:81], v104, off
	s_waitcnt lgkmcnt(3)
	global_store_byte v[64:65], v105, off
	s_waitcnt lgkmcnt(2)
	global_store_byte v[6:7], v106, off
	s_waitcnt lgkmcnt(1)
	global_store_byte v[4:5], v107, off
	s_waitcnt lgkmcnt(0)
	global_store_byte v[2:3], v108, off
	s_andn2_b64 exec, exec, s[6:7]
	s_cbranch_execnz .LBB167_115
; %bb.116:
	s_or_b64 exec, exec, s[6:7]
.LBB167_117:
	s_or_b64 exec, exec, s[4:5]
	v_and_b32_e32 v1, 8, v58
	v_cmp_eq_u32_e32 vcc, 0, v1
	s_and_saveexec_b64 s[4:5], vcc
	s_cbranch_execz .LBB167_119
; %bb.118:
	v_mov_b32_e32 v3, 0
	v_mov_b32_e32 v2, v8
	v_lshl_add_u64 v[4:5], v[54:55], 0, v[2:3]
	v_mov_b32_e32 v2, v9
	v_lshl_or_b32 v1, v61, 9, v0
	v_lshl_add_u64 v[6:7], v[54:55], 0, v[2:3]
	v_mov_b32_e32 v2, v10
	ds_read_u8 v60, v1
	ds_read_u8 v61, v1 offset:512
	ds_read_u8 v62, v1 offset:1024
	;; [unrolled: 1-line block ×7, first 2 shown]
	v_lshl_add_u64 v[8:9], v[54:55], 0, v[2:3]
	v_mov_b32_e32 v2, v11
	v_lshl_add_u64 v[10:11], v[54:55], 0, v[2:3]
	v_mov_b32_e32 v2, v12
	;; [unrolled: 2-line block ×5, first 2 shown]
	v_lshl_add_u64 v[2:3], v[54:55], 0, v[2:3]
	s_waitcnt lgkmcnt(7)
	global_store_byte v[4:5], v60, off
	s_waitcnt lgkmcnt(6)
	global_store_byte v[6:7], v61, off
	;; [unrolled: 2-line block ×8, first 2 shown]
.LBB167_119:
	s_or_b64 exec, exec, s[4:5]
	v_add_u32_e32 v2, 1, v17
	v_and_b32_e32 v3, 0xfffff8, v2
	v_cmp_ne_u32_e32 vcc, v2, v3
	v_lshl_or_b32 v1, v3, 9, v0
	s_orn2_b64 s[4:5], vcc, exec
.LBB167_120:
	s_or_b64 exec, exec, s[2:3]
	s_and_b64 exec, exec, s[4:5]
	s_cbranch_execz .LBB167_123
; %bb.121:
	s_mov_b64 s[2:3], 0
.LBB167_122:                            ; =>This Inner Loop Header: Depth=1
	ds_read_u8 v2, v1
	v_readfirstlane_b32 s4, v54
	v_readfirstlane_b32 s5, v55
	s_waitcnt lgkmcnt(0)
	s_nop 3
	global_store_byte v1, v2, s[4:5]
	v_add_u32_e32 v1, 0x200, v1
	v_cmp_ge_u32_e32 vcc, v1, v16
	s_or_b64 s[2:3], vcc, s[2:3]
	s_andn2_b64 exec, exec, s[2:3]
	s_cbranch_execnz .LBB167_122
.LBB167_123:
	s_or_b64 exec, exec, s[0:1]
.LBB167_124:
	s_cmpk_lg_i32 s33, 0x1e00
	s_cselect_b64 s[0:1], -1, 0
	v_cndmask_b32_e64 v10, 0, 1, s[48:49]
	s_and_b64 s[0:1], s[34:35], s[0:1]
	v_cmp_eq_u32_e32 vcc, 0, v0
	v_sub_u32_e32 v1, v16, v10
	v_cndmask_b32_e64 v2, 0, 1, s[0:1]
	s_and_b64 s[0:1], vcc, s[48:49]
	v_add_u32_e32 v1, v1, v2
	v_cndmask_b32_e64 v2, v79, 0, s[0:1]
	s_mul_hi_u32 s0, s33, 0x88888889
	s_lshr_b32 s0, s0, 3
	v_mad_i32_i24 v3, v0, -15, s33
	v_cmp_eq_u32_e32 vcc, s0, v0
	v_cmp_ne_u32_e64 s[0:1], 0, v3
	s_and_b64 vcc, s[34:35], vcc
	s_mov_b32 s2, 0
	v_cndmask_b32_e64 v4, 1, v2, s[0:1]
	v_cmp_ne_u32_e64 s[0:1], 1, v3
	s_movk_i32 s30, 0x200
	s_mov_b64 s[36:37], -1
	v_cndmask_b32_e64 v5, 1, v78, s[0:1]
	v_cmp_ne_u32_e64 s[0:1], 2, v3
	v_cndmask_b32_e32 v62, v78, v5, vcc
	v_cmp_ne_u32_e64 s[26:27], 0, v62
	v_cndmask_b32_e64 v6, 1, v77, s[0:1]
	v_cmp_ne_u32_e64 s[0:1], 3, v3
	v_cndmask_b32_e32 v61, v77, v6, vcc
	v_cmp_ne_u32_e64 s[24:25], 0, v61
	v_cndmask_b32_e64 v7, 1, v76, s[0:1]
	v_cmp_ne_u32_e64 s[0:1], 4, v3
	v_cndmask_b32_e32 v60, v76, v7, vcc
	v_lshlrev_b64 v[6:7], 3, v[18:19]
	v_cndmask_b32_e64 v8, 1, v75, s[0:1]
	v_cmp_ne_u32_e64 s[0:1], 5, v3
	v_cndmask_b32_e32 v59, v75, v8, vcc
	v_cmp_ne_u32_e64 s[22:23], 0, v60
	v_cndmask_b32_e64 v9, 1, v74, s[0:1]
	v_cmp_ne_u32_e64 s[0:1], 6, v3
	v_cndmask_b32_e32 v58, v74, v9, vcc
	v_cmp_ne_u32_e64 s[20:21], 0, v59
	v_cndmask_b32_e64 v11, 1, v73, s[0:1]
	v_cmp_ne_u32_e64 s[0:1], 7, v3
	v_cndmask_b32_e32 v57, v73, v11, vcc
	v_mov_b32_e32 v11, s2
	v_cndmask_b32_e64 v12, 1, v21, s[0:1]
	v_cmp_ne_u32_e64 s[0:1], 8, v3
	v_cndmask_b32_e32 v21, v21, v12, vcc
	v_lshl_add_u64 v[8:9], v[10:11], 0, -1
	v_cndmask_b32_e64 v13, 1, v72, s[0:1]
	v_cmp_ne_u32_e64 s[0:1], 9, v3
	v_cndmask_b32_e32 v13, v72, v13, vcc
	v_add_u32_e32 v12, v18, v10
	v_cndmask_b32_e64 v14, 1, v71, s[0:1]
	v_cmp_ne_u32_e64 s[0:1], 10, v3
	v_cndmask_b32_e32 v14, v71, v14, vcc
	v_cmp_ne_u32_e64 s[12:13], 0, v13
	v_cndmask_b32_e64 v15, 1, v70, s[0:1]
	v_cmp_ne_u32_e64 s[0:1], 11, v3
	v_cndmask_b32_e32 v15, v70, v15, vcc
	v_cmp_ne_u32_e64 s[18:19], 0, v58
	;; [unrolled: 4-line block ×5, first 2 shown]
	v_cndmask_b32_e64 v3, 1, v63, s[0:1]
	v_cndmask_b32_e32 v56, v63, v3, vcc
	v_cndmask_b32_e32 v63, v2, v4, vcc
	v_cmp_eq_u32_e32 vcc, 0, v63
	v_lshlrev_b64 v[4:5], 3, v[52:53]
	v_lshl_add_u64 v[2:3], s[42:43], 0, v[4:5]
	v_cndmask_b32_e64 v10, 1, 2, vcc
	v_cmp_eq_u32_e32 vcc, 0, v62
	v_lshl_add_u64 v[2:3], v[2:3], 0, v[6:7]
	v_cmp_ne_u32_e64 s[28:29], 0, v63
	v_cndmask_b32_e64 v11, 1, 2, vcc
	v_cmp_eq_u32_e32 vcc, 0, v61
	v_and_b32_e32 v10, v11, v10
	v_cmp_ne_u32_e64 s[8:9], 0, v15
	v_cndmask_b32_e64 v11, 1, 2, vcc
	v_cmp_eq_u32_e32 vcc, 0, v60
	v_and_b32_e32 v10, v10, v11
	;; [unrolled: 4-line block ×6, first 2 shown]
	s_nop 0
	v_cndmask_b32_e64 v11, 1, 2, vcc
	v_cmp_eq_u32_e32 vcc, 0, v13
	v_and_b32_e32 v10, v10, v11
	s_barrier
	v_cndmask_b32_e64 v11, 1, 2, vcc
	v_cmp_eq_u32_e32 vcc, 0, v14
	v_and_b32_e32 v10, v10, v11
	s_nop 0
	v_cndmask_b32_e64 v11, 1, 2, vcc
	v_cmp_eq_u32_e32 vcc, 0, v15
	v_and_b32_e32 v10, v10, v11
	s_nop 0
	;; [unrolled: 4-line block ×6, first 2 shown]
	v_cndmask_b32_e64 v11, 1, 2, vcc
	v_and_b32_e32 v13, v10, v11
	v_cmp_gt_u32_e32 vcc, s30, v1
	v_cmp_gt_i16_e64 s[30:31], 2, v13
	s_cbranch_vccz .LBB167_131
; %bb.125:
	s_and_saveexec_b64 s[36:37], s[30:31]
	s_cbranch_execz .LBB167_130
; %bb.126:
	v_lshlrev_b64 v[10:11], 3, v[8:9]
	v_lshl_add_u64 v[10:11], v[2:3], 0, v[10:11]
	v_cmp_ne_u16_e32 vcc, 1, v13
	s_mov_b64 s[38:39], 0
	s_and_saveexec_b64 s[30:31], vcc
	s_xor_b64 s[30:31], exec, s[30:31]
	s_cbranch_execnz .LBB167_180
; %bb.127:
	s_andn2_saveexec_b64 s[30:31], s[30:31]
	s_cbranch_execnz .LBB167_196
.LBB167_128:
	s_or_b64 exec, exec, s[30:31]
	s_and_b64 exec, exec, s[38:39]
	s_cbranch_execz .LBB167_130
.LBB167_129:
	v_mov_b32_e32 v15, 0
	v_sub_u32_e32 v54, v24, v12
	v_mov_b32_e32 v55, v15
	v_mov_b32_e32 v14, v25
	v_lshl_add_u64 v[10:11], v[54:55], 3, v[10:11]
	global_store_dwordx2 v[10:11], v[14:15], off
.LBB167_130:
	s_or_b64 exec, exec, s[36:37]
	s_mov_b64 s[36:37], 0
.LBB167_131:
	s_and_b64 vcc, exec, s[36:37]
	s_cbranch_vccz .LBB167_141
; %bb.132:
	v_cmp_gt_i16_e32 vcc, 2, v13
	s_and_saveexec_b64 s[30:31], vcc
	s_cbranch_execz .LBB167_137
; %bb.133:
	v_cmp_ne_u16_e32 vcc, 1, v13
	s_mov_b64 s[38:39], 0
	s_and_saveexec_b64 s[36:37], vcc
	s_xor_b64 s[36:37], exec, s[36:37]
	s_cbranch_execnz .LBB167_197
; %bb.134:
	s_andn2_saveexec_b64 s[0:1], s[36:37]
	s_cbranch_execnz .LBB167_213
.LBB167_135:
	s_or_b64 exec, exec, s[0:1]
	s_and_b64 exec, exec, s[38:39]
	s_cbranch_execz .LBB167_137
.LBB167_136:
	v_sub_u32_e32 v10, v24, v12
	v_lshlrev_b32_e32 v10, 2, v10
	ds_write_b32 v10, v25
.LBB167_137:
	s_or_b64 exec, exec, s[30:31]
	v_cmp_lt_u32_e32 vcc, v0, v1
	s_waitcnt lgkmcnt(0)
	s_barrier
	s_and_saveexec_b64 s[0:1], vcc
	s_cbranch_execz .LBB167_140
; %bb.138:
	v_lshlrev_b64 v[8:9], 3, v[8:9]
	v_lshl_add_u64 v[4:5], v[4:5], 0, v[8:9]
	v_lshl_add_u64 v[6:7], v[4:5], 0, v[6:7]
	v_lshlrev_b32_e32 v4, 3, v0
	v_mov_b32_e32 v5, 0
	v_lshl_add_u64 v[6:7], s[42:43], 0, v[6:7]
	v_lshlrev_b32_e32 v10, 2, v0
	v_lshl_add_u64 v[6:7], v[6:7], 0, v[4:5]
	s_mov_b64 s[2:3], 0
	s_mov_b64 s[4:5], 0x1000
	v_mov_b32_e32 v8, v0
.LBB167_139:                            ; =>This Inner Loop Header: Depth=1
	ds_read_b32 v4, v10
	v_add_u32_e32 v8, 0x200, v8
	v_cmp_ge_u32_e32 vcc, v8, v1
	v_add_u32_e32 v10, 0x800, v10
	s_or_b64 s[2:3], vcc, s[2:3]
	s_waitcnt lgkmcnt(0)
	global_store_dwordx2 v[6:7], v[4:5], off
	v_lshl_add_u64 v[6:7], v[6:7], 0, s[4:5]
	s_andn2_b64 exec, exec, s[2:3]
	s_cbranch_execnz .LBB167_139
.LBB167_140:
	s_or_b64 exec, exec, s[0:1]
.LBB167_141:
	s_movk_i32 s0, 0x1ff
	v_cmp_eq_u32_e32 vcc, s0, v0
	s_and_b64 s[0:1], vcc, s[34:35]
	s_and_saveexec_b64 s[2:3], s[0:1]
	s_cbranch_execz .LBB167_144
; %bb.142:
	v_mov_b32_e32 v17, 0
	v_lshl_add_u64 v[0:1], v[16:17], 0, v[18:19]
	v_lshl_add_u64 v[0:1], v[0:1], 0, v[52:53]
	s_cmpk_lg_i32 s33, 0x1e00
	global_store_dwordx2 v17, v[0:1], s[44:45]
	s_cbranch_scc1 .LBB167_144
; %bb.143:
	v_lshlrev_b64 v[0:1], 3, v[16:17]
	v_mov_b32_e32 v21, v17
	v_lshl_add_u64 v[0:1], v[2:3], 0, v[0:1]
	global_store_dwordx2 v[0:1], v[20:21], off offset:-8
.LBB167_144:
	s_endpgm
.LBB167_145:
	s_or_b64 exec, exec, s[4:5]
	v_mov_b32_e32 v79, s3
	s_and_saveexec_b64 s[4:5], s[8:9]
	s_cbranch_execnz .LBB167_56
	s_branch .LBB167_57
.LBB167_146:
	s_and_saveexec_b64 s[38:39], s[28:29]
	s_cbranch_execnz .LBB167_214
; %bb.147:
	s_or_b64 exec, exec, s[38:39]
	s_and_saveexec_b64 s[38:39], s[26:27]
	s_cbranch_execnz .LBB167_215
.LBB167_148:
	s_or_b64 exec, exec, s[38:39]
	s_and_saveexec_b64 s[38:39], s[24:25]
	s_cbranch_execnz .LBB167_216
.LBB167_149:
	s_or_b64 exec, exec, s[38:39]
	s_and_saveexec_b64 s[38:39], s[22:23]
	s_cbranch_execnz .LBB167_217
.LBB167_150:
	s_or_b64 exec, exec, s[38:39]
	s_and_saveexec_b64 s[38:39], s[20:21]
	s_cbranch_execnz .LBB167_218
.LBB167_151:
	s_or_b64 exec, exec, s[38:39]
	s_and_saveexec_b64 s[38:39], s[18:19]
	s_cbranch_execnz .LBB167_219
.LBB167_152:
	s_or_b64 exec, exec, s[38:39]
	s_and_saveexec_b64 s[38:39], s[16:17]
	s_cbranch_execnz .LBB167_220
.LBB167_153:
	s_or_b64 exec, exec, s[38:39]
	s_and_saveexec_b64 s[38:39], s[14:15]
	s_cbranch_execnz .LBB167_221
.LBB167_154:
	s_or_b64 exec, exec, s[38:39]
	s_and_saveexec_b64 s[38:39], s[12:13]
	s_cbranch_execnz .LBB167_222
.LBB167_155:
	s_or_b64 exec, exec, s[38:39]
	s_and_saveexec_b64 s[38:39], s[10:11]
	s_cbranch_execnz .LBB167_223
.LBB167_156:
	s_or_b64 exec, exec, s[38:39]
	s_and_saveexec_b64 s[38:39], s[8:9]
	s_cbranch_execnz .LBB167_224
.LBB167_157:
	s_or_b64 exec, exec, s[38:39]
	s_and_saveexec_b64 s[38:39], s[6:7]
	s_cbranch_execnz .LBB167_225
.LBB167_158:
	s_or_b64 exec, exec, s[38:39]
	s_and_saveexec_b64 s[38:39], s[4:5]
	s_cbranch_execnz .LBB167_226
.LBB167_159:
	s_or_b64 exec, exec, s[38:39]
	s_and_saveexec_b64 s[38:39], s[2:3]
	s_cbranch_execz .LBB167_161
.LBB167_160:
	v_sub_u32_e32 v3, v22, v18
	v_readfirstlane_b32 s40, v54
	v_readfirstlane_b32 s41, v55
	s_nop 4
	global_store_byte v3, v11, s[40:41]
.LBB167_161:
	s_or_b64 exec, exec, s[38:39]
	s_and_b64 s[38:39], s[0:1], exec
	s_andn2_saveexec_b64 s[30:31], s[30:31]
	s_cbranch_execz .LBB167_102
.LBB167_162:
	v_sub_u32_e32 v3, v50, v18
	v_readfirstlane_b32 s40, v54
	v_readfirstlane_b32 s41, v55
	s_or_b64 s[38:39], s[38:39], exec
	s_nop 3
	global_store_byte v3, v8, s[40:41]
	v_sub_u32_e32 v3, v48, v18
	global_store_byte v3, v67, s[40:41]
	v_sub_u32_e32 v3, v46, v18
	;; [unrolled: 2-line block ×13, first 2 shown]
	global_store_byte v3, v11, s[40:41]
	s_or_b64 exec, exec, s[30:31]
	s_and_b64 exec, exec, s[38:39]
	s_cbranch_execnz .LBB167_103
	s_branch .LBB167_104
.LBB167_163:
	s_and_saveexec_b64 s[38:39], s[28:29]
	s_cbranch_execnz .LBB167_227
; %bb.164:
	s_or_b64 exec, exec, s[38:39]
	s_and_saveexec_b64 s[28:29], s[26:27]
	s_cbranch_execnz .LBB167_228
.LBB167_165:
	s_or_b64 exec, exec, s[28:29]
	s_and_saveexec_b64 s[26:27], s[24:25]
	s_cbranch_execnz .LBB167_229
.LBB167_166:
	s_or_b64 exec, exec, s[26:27]
	s_and_saveexec_b64 s[24:25], s[22:23]
	s_cbranch_execnz .LBB167_230
.LBB167_167:
	s_or_b64 exec, exec, s[24:25]
	s_and_saveexec_b64 s[22:23], s[20:21]
	s_cbranch_execnz .LBB167_231
.LBB167_168:
	s_or_b64 exec, exec, s[22:23]
	s_and_saveexec_b64 s[20:21], s[18:19]
	s_cbranch_execnz .LBB167_232
.LBB167_169:
	s_or_b64 exec, exec, s[20:21]
	s_and_saveexec_b64 s[18:19], s[16:17]
	s_cbranch_execnz .LBB167_233
.LBB167_170:
	s_or_b64 exec, exec, s[18:19]
	s_and_saveexec_b64 s[16:17], s[14:15]
	s_cbranch_execnz .LBB167_234
.LBB167_171:
	s_or_b64 exec, exec, s[16:17]
	s_and_saveexec_b64 s[14:15], s[12:13]
	s_cbranch_execnz .LBB167_235
.LBB167_172:
	s_or_b64 exec, exec, s[14:15]
	s_and_saveexec_b64 s[12:13], s[10:11]
	s_cbranch_execnz .LBB167_236
.LBB167_173:
	s_or_b64 exec, exec, s[12:13]
	s_and_saveexec_b64 s[10:11], s[8:9]
	s_cbranch_execnz .LBB167_237
.LBB167_174:
	s_or_b64 exec, exec, s[10:11]
	s_and_saveexec_b64 s[8:9], s[6:7]
	s_cbranch_execnz .LBB167_238
.LBB167_175:
	s_or_b64 exec, exec, s[8:9]
	s_and_saveexec_b64 s[6:7], s[4:5]
	s_cbranch_execnz .LBB167_239
.LBB167_176:
	s_or_b64 exec, exec, s[6:7]
	s_and_saveexec_b64 s[4:5], s[2:3]
	s_cbranch_execz .LBB167_178
.LBB167_177:
	v_sub_u32_e32 v2, v22, v18
	ds_write_b8 v2, v11
.LBB167_178:
	s_or_b64 exec, exec, s[4:5]
	s_and_b64 s[38:39], s[0:1], exec
                                        ; implicit-def: $vgpr11
                                        ; implicit-def: $vgpr56
                                        ; implicit-def: $vgpr57
                                        ; implicit-def: $vgpr58
                                        ; implicit-def: $vgpr59
                                        ; implicit-def: $vgpr10
                                        ; implicit-def: $vgpr60
                                        ; implicit-def: $vgpr61
                                        ; implicit-def: $vgpr62
                                        ; implicit-def: $vgpr64
                                        ; implicit-def: $vgpr65
                                        ; implicit-def: $vgpr67
	s_andn2_saveexec_b64 s[0:1], s[36:37]
	s_cbranch_execz .LBB167_109
.LBB167_179:
	v_sub_u32_e32 v2, v50, v18
	ds_write_b8 v2, v8
	v_sub_u32_e32 v2, v48, v18
	ds_write_b8 v2, v67
	;; [unrolled: 2-line block ×13, first 2 shown]
	v_sub_u32_e32 v2, v22, v18
	s_or_b64 s[38:39], s[38:39], exec
	ds_write_b8 v2, v11
	s_or_b64 exec, exec, s[0:1]
	s_and_b64 exec, exec, s[38:39]
	s_cbranch_execnz .LBB167_110
	s_branch .LBB167_111
.LBB167_180:
	s_and_saveexec_b64 s[38:39], s[28:29]
	s_cbranch_execnz .LBB167_240
; %bb.181:
	s_or_b64 exec, exec, s[38:39]
	s_and_saveexec_b64 s[38:39], s[26:27]
	s_cbranch_execnz .LBB167_241
.LBB167_182:
	s_or_b64 exec, exec, s[38:39]
	s_and_saveexec_b64 s[38:39], s[24:25]
	s_cbranch_execnz .LBB167_242
.LBB167_183:
	s_or_b64 exec, exec, s[38:39]
	s_and_saveexec_b64 s[38:39], s[22:23]
	s_cbranch_execnz .LBB167_243
.LBB167_184:
	s_or_b64 exec, exec, s[38:39]
	s_and_saveexec_b64 s[38:39], s[20:21]
	s_cbranch_execnz .LBB167_244
.LBB167_185:
	s_or_b64 exec, exec, s[38:39]
	s_and_saveexec_b64 s[38:39], s[18:19]
	s_cbranch_execnz .LBB167_245
.LBB167_186:
	s_or_b64 exec, exec, s[38:39]
	s_and_saveexec_b64 s[38:39], s[16:17]
	s_cbranch_execnz .LBB167_246
.LBB167_187:
	s_or_b64 exec, exec, s[38:39]
	s_and_saveexec_b64 s[38:39], s[14:15]
	s_cbranch_execnz .LBB167_247
.LBB167_188:
	s_or_b64 exec, exec, s[38:39]
	s_and_saveexec_b64 s[38:39], s[12:13]
	s_cbranch_execnz .LBB167_248
.LBB167_189:
	s_or_b64 exec, exec, s[38:39]
	s_and_saveexec_b64 s[38:39], s[10:11]
	s_cbranch_execnz .LBB167_249
.LBB167_190:
	s_or_b64 exec, exec, s[38:39]
	s_and_saveexec_b64 s[38:39], s[8:9]
	s_cbranch_execnz .LBB167_250
.LBB167_191:
	s_or_b64 exec, exec, s[38:39]
	s_and_saveexec_b64 s[38:39], s[6:7]
	s_cbranch_execnz .LBB167_251
.LBB167_192:
	s_or_b64 exec, exec, s[38:39]
	s_and_saveexec_b64 s[38:39], s[4:5]
	s_cbranch_execnz .LBB167_252
.LBB167_193:
	s_or_b64 exec, exec, s[38:39]
	s_and_saveexec_b64 s[38:39], s[2:3]
	s_cbranch_execz .LBB167_195
.LBB167_194:
	v_sub_u32_e32 v14, v22, v12
	v_mov_b32_e32 v15, 0
	v_lshl_add_u64 v[54:55], v[14:15], 3, v[10:11]
	v_mov_b32_e32 v14, v23
	global_store_dwordx2 v[54:55], v[14:15], off
.LBB167_195:
	s_or_b64 exec, exec, s[38:39]
	s_and_b64 s[38:39], s[0:1], exec
	s_andn2_saveexec_b64 s[30:31], s[30:31]
	s_cbranch_execz .LBB167_128
.LBB167_196:
	v_mov_b32_e32 v15, 0
	v_sub_u32_e32 v54, v50, v12
	v_mov_b32_e32 v55, v15
	v_mov_b32_e32 v14, v51
	v_lshl_add_u64 v[54:55], v[54:55], 3, v[10:11]
	global_store_dwordx2 v[54:55], v[14:15], off
	v_sub_u32_e32 v54, v48, v12
	v_mov_b32_e32 v55, v15
	v_mov_b32_e32 v14, v49
	v_lshl_add_u64 v[54:55], v[54:55], 3, v[10:11]
	global_store_dwordx2 v[54:55], v[14:15], off
	;; [unrolled: 5-line block ×13, first 2 shown]
	v_sub_u32_e32 v54, v22, v12
	v_mov_b32_e32 v55, v15
	v_mov_b32_e32 v14, v23
	v_lshl_add_u64 v[54:55], v[54:55], 3, v[10:11]
	s_or_b64 s[38:39], s[38:39], exec
	global_store_dwordx2 v[54:55], v[14:15], off
	s_or_b64 exec, exec, s[30:31]
	s_and_b64 exec, exec, s[38:39]
	s_cbranch_execnz .LBB167_129
	s_branch .LBB167_130
.LBB167_197:
	s_and_saveexec_b64 s[38:39], s[28:29]
	s_cbranch_execnz .LBB167_253
; %bb.198:
	s_or_b64 exec, exec, s[38:39]
	s_and_saveexec_b64 s[28:29], s[26:27]
	s_cbranch_execnz .LBB167_254
.LBB167_199:
	s_or_b64 exec, exec, s[28:29]
	s_and_saveexec_b64 s[26:27], s[24:25]
	s_cbranch_execnz .LBB167_255
.LBB167_200:
	s_or_b64 exec, exec, s[26:27]
	s_and_saveexec_b64 s[24:25], s[22:23]
	s_cbranch_execnz .LBB167_256
.LBB167_201:
	s_or_b64 exec, exec, s[24:25]
	s_and_saveexec_b64 s[22:23], s[20:21]
	s_cbranch_execnz .LBB167_257
.LBB167_202:
	s_or_b64 exec, exec, s[22:23]
	s_and_saveexec_b64 s[20:21], s[18:19]
	s_cbranch_execnz .LBB167_258
.LBB167_203:
	s_or_b64 exec, exec, s[20:21]
	s_and_saveexec_b64 s[18:19], s[16:17]
	s_cbranch_execnz .LBB167_259
.LBB167_204:
	s_or_b64 exec, exec, s[18:19]
	s_and_saveexec_b64 s[16:17], s[14:15]
	s_cbranch_execnz .LBB167_260
.LBB167_205:
	s_or_b64 exec, exec, s[16:17]
	s_and_saveexec_b64 s[14:15], s[12:13]
	s_cbranch_execnz .LBB167_261
.LBB167_206:
	s_or_b64 exec, exec, s[14:15]
	s_and_saveexec_b64 s[12:13], s[10:11]
	s_cbranch_execnz .LBB167_262
.LBB167_207:
	s_or_b64 exec, exec, s[12:13]
	s_and_saveexec_b64 s[10:11], s[8:9]
	s_cbranch_execnz .LBB167_263
.LBB167_208:
	s_or_b64 exec, exec, s[10:11]
	s_and_saveexec_b64 s[8:9], s[6:7]
	s_cbranch_execnz .LBB167_264
.LBB167_209:
	s_or_b64 exec, exec, s[8:9]
	s_and_saveexec_b64 s[6:7], s[4:5]
	s_cbranch_execnz .LBB167_265
.LBB167_210:
	s_or_b64 exec, exec, s[6:7]
	s_and_saveexec_b64 s[4:5], s[2:3]
	s_cbranch_execz .LBB167_212
.LBB167_211:
	v_sub_u32_e32 v10, v22, v12
	v_lshlrev_b32_e32 v10, 2, v10
	ds_write_b32 v10, v23
.LBB167_212:
	s_or_b64 exec, exec, s[4:5]
	s_and_b64 s[38:39], s[0:1], exec
                                        ; implicit-def: $vgpr22_vgpr23
                                        ; implicit-def: $vgpr26_vgpr27
                                        ; implicit-def: $vgpr28_vgpr29
                                        ; implicit-def: $vgpr50_vgpr51
                                        ; implicit-def: $vgpr48_vgpr49
                                        ; implicit-def: $vgpr46_vgpr47
                                        ; implicit-def: $vgpr44_vgpr45
                                        ; implicit-def: $vgpr42_vgpr43
                                        ; implicit-def: $vgpr40_vgpr41
                                        ; implicit-def: $vgpr38_vgpr39
                                        ; implicit-def: $vgpr36_vgpr37
                                        ; implicit-def: $vgpr34_vgpr35
                                        ; implicit-def: $vgpr32_vgpr33
                                        ; implicit-def: $vgpr30_vgpr31
	s_andn2_saveexec_b64 s[0:1], s[36:37]
	s_cbranch_execz .LBB167_135
.LBB167_213:
	v_sub_u32_e32 v10, v50, v12
	v_lshlrev_b32_e32 v10, 2, v10
	ds_write_b32 v10, v51
	v_sub_u32_e32 v10, v48, v12
	v_lshlrev_b32_e32 v10, 2, v10
	ds_write_b32 v10, v49
	;; [unrolled: 3-line block ×13, first 2 shown]
	v_sub_u32_e32 v10, v22, v12
	v_lshlrev_b32_e32 v10, 2, v10
	s_or_b64 s[38:39], s[38:39], exec
	ds_write_b32 v10, v23
	s_or_b64 exec, exec, s[0:1]
	s_and_b64 exec, exec, s[38:39]
	s_cbranch_execnz .LBB167_136
	s_branch .LBB167_137
.LBB167_214:
	v_sub_u32_e32 v3, v50, v18
	v_readfirstlane_b32 s40, v54
	v_readfirstlane_b32 s41, v55
	s_nop 4
	global_store_byte v3, v8, s[40:41]
	s_or_b64 exec, exec, s[38:39]
	s_and_saveexec_b64 s[38:39], s[26:27]
	s_cbranch_execz .LBB167_148
.LBB167_215:
	v_sub_u32_e32 v3, v48, v18
	v_readfirstlane_b32 s40, v54
	v_readfirstlane_b32 s41, v55
	s_nop 4
	global_store_byte v3, v67, s[40:41]
	s_or_b64 exec, exec, s[38:39]
	s_and_saveexec_b64 s[38:39], s[24:25]
	s_cbranch_execz .LBB167_149
.LBB167_216:
	v_sub_u32_e32 v3, v46, v18
	v_readfirstlane_b32 s40, v54
	v_readfirstlane_b32 s41, v55
	s_nop 4
	global_store_byte v3, v65, s[40:41]
	s_or_b64 exec, exec, s[38:39]
	s_and_saveexec_b64 s[38:39], s[22:23]
	s_cbranch_execz .LBB167_150
.LBB167_217:
	v_sub_u32_e32 v3, v44, v18
	v_readfirstlane_b32 s40, v54
	v_readfirstlane_b32 s41, v55
	s_nop 4
	global_store_byte v3, v64, s[40:41]
	s_or_b64 exec, exec, s[38:39]
	s_and_saveexec_b64 s[38:39], s[20:21]
	s_cbranch_execz .LBB167_151
.LBB167_218:
	v_sub_u32_e32 v3, v42, v18
	v_readfirstlane_b32 s40, v54
	v_readfirstlane_b32 s41, v55
	s_nop 4
	global_store_byte v3, v9, s[40:41]
	s_or_b64 exec, exec, s[38:39]
	s_and_saveexec_b64 s[38:39], s[18:19]
	s_cbranch_execz .LBB167_152
.LBB167_219:
	v_sub_u32_e32 v3, v40, v18
	v_readfirstlane_b32 s40, v54
	v_readfirstlane_b32 s41, v55
	s_nop 4
	global_store_byte v3, v62, s[40:41]
	s_or_b64 exec, exec, s[38:39]
	s_and_saveexec_b64 s[38:39], s[16:17]
	s_cbranch_execz .LBB167_153
.LBB167_220:
	v_sub_u32_e32 v3, v38, v18
	v_readfirstlane_b32 s40, v54
	v_readfirstlane_b32 s41, v55
	s_nop 4
	global_store_byte v3, v61, s[40:41]
	s_or_b64 exec, exec, s[38:39]
	s_and_saveexec_b64 s[38:39], s[14:15]
	s_cbranch_execz .LBB167_154
.LBB167_221:
	v_sub_u32_e32 v3, v36, v18
	v_readfirstlane_b32 s40, v54
	v_readfirstlane_b32 s41, v55
	s_nop 4
	global_store_byte v3, v60, s[40:41]
	s_or_b64 exec, exec, s[38:39]
	s_and_saveexec_b64 s[38:39], s[12:13]
	s_cbranch_execz .LBB167_155
.LBB167_222:
	v_sub_u32_e32 v3, v34, v18
	v_readfirstlane_b32 s40, v54
	v_readfirstlane_b32 s41, v55
	s_nop 4
	global_store_byte v3, v10, s[40:41]
	s_or_b64 exec, exec, s[38:39]
	s_and_saveexec_b64 s[38:39], s[10:11]
	s_cbranch_execz .LBB167_156
.LBB167_223:
	v_sub_u32_e32 v3, v32, v18
	v_readfirstlane_b32 s40, v54
	v_readfirstlane_b32 s41, v55
	s_nop 4
	global_store_byte v3, v59, s[40:41]
	s_or_b64 exec, exec, s[38:39]
	s_and_saveexec_b64 s[38:39], s[8:9]
	s_cbranch_execz .LBB167_157
.LBB167_224:
	v_sub_u32_e32 v3, v30, v18
	v_readfirstlane_b32 s40, v54
	v_readfirstlane_b32 s41, v55
	s_nop 4
	global_store_byte v3, v58, s[40:41]
	s_or_b64 exec, exec, s[38:39]
	s_and_saveexec_b64 s[38:39], s[6:7]
	s_cbranch_execz .LBB167_158
.LBB167_225:
	v_sub_u32_e32 v3, v28, v18
	v_readfirstlane_b32 s40, v54
	v_readfirstlane_b32 s41, v55
	s_nop 4
	global_store_byte v3, v57, s[40:41]
	s_or_b64 exec, exec, s[38:39]
	s_and_saveexec_b64 s[38:39], s[4:5]
	s_cbranch_execz .LBB167_159
.LBB167_226:
	v_sub_u32_e32 v3, v26, v18
	v_readfirstlane_b32 s40, v54
	v_readfirstlane_b32 s41, v55
	s_nop 4
	global_store_byte v3, v56, s[40:41]
	s_or_b64 exec, exec, s[38:39]
	s_and_saveexec_b64 s[38:39], s[2:3]
	s_cbranch_execnz .LBB167_160
	s_branch .LBB167_161
.LBB167_227:
	v_sub_u32_e32 v2, v50, v18
	ds_write_b8 v2, v8
	s_or_b64 exec, exec, s[38:39]
	s_and_saveexec_b64 s[28:29], s[26:27]
	s_cbranch_execz .LBB167_165
.LBB167_228:
	v_sub_u32_e32 v2, v48, v18
	ds_write_b8 v2, v67
	s_or_b64 exec, exec, s[28:29]
	s_and_saveexec_b64 s[26:27], s[24:25]
	s_cbranch_execz .LBB167_166
.LBB167_229:
	v_sub_u32_e32 v2, v46, v18
	ds_write_b8 v2, v65
	s_or_b64 exec, exec, s[26:27]
	s_and_saveexec_b64 s[24:25], s[22:23]
	s_cbranch_execz .LBB167_167
.LBB167_230:
	v_sub_u32_e32 v2, v44, v18
	ds_write_b8 v2, v64
	s_or_b64 exec, exec, s[24:25]
	s_and_saveexec_b64 s[22:23], s[20:21]
	s_cbranch_execz .LBB167_168
.LBB167_231:
	v_sub_u32_e32 v2, v42, v18
	ds_write_b8 v2, v9
	s_or_b64 exec, exec, s[22:23]
	s_and_saveexec_b64 s[20:21], s[18:19]
	s_cbranch_execz .LBB167_169
.LBB167_232:
	v_sub_u32_e32 v2, v40, v18
	ds_write_b8 v2, v62
	s_or_b64 exec, exec, s[20:21]
	s_and_saveexec_b64 s[18:19], s[16:17]
	s_cbranch_execz .LBB167_170
.LBB167_233:
	v_sub_u32_e32 v2, v38, v18
	ds_write_b8 v2, v61
	s_or_b64 exec, exec, s[18:19]
	s_and_saveexec_b64 s[16:17], s[14:15]
	s_cbranch_execz .LBB167_171
.LBB167_234:
	v_sub_u32_e32 v2, v36, v18
	ds_write_b8 v2, v60
	s_or_b64 exec, exec, s[16:17]
	s_and_saveexec_b64 s[14:15], s[12:13]
	s_cbranch_execz .LBB167_172
.LBB167_235:
	v_sub_u32_e32 v2, v34, v18
	ds_write_b8 v2, v10
	s_or_b64 exec, exec, s[14:15]
	s_and_saveexec_b64 s[12:13], s[10:11]
	s_cbranch_execz .LBB167_173
.LBB167_236:
	v_sub_u32_e32 v2, v32, v18
	ds_write_b8 v2, v59
	s_or_b64 exec, exec, s[12:13]
	s_and_saveexec_b64 s[10:11], s[8:9]
	s_cbranch_execz .LBB167_174
.LBB167_237:
	v_sub_u32_e32 v2, v30, v18
	ds_write_b8 v2, v58
	s_or_b64 exec, exec, s[10:11]
	s_and_saveexec_b64 s[8:9], s[6:7]
	s_cbranch_execz .LBB167_175
.LBB167_238:
	v_sub_u32_e32 v2, v28, v18
	ds_write_b8 v2, v57
	s_or_b64 exec, exec, s[8:9]
	s_and_saveexec_b64 s[6:7], s[4:5]
	s_cbranch_execz .LBB167_176
.LBB167_239:
	v_sub_u32_e32 v2, v26, v18
	ds_write_b8 v2, v56
	s_or_b64 exec, exec, s[6:7]
	s_and_saveexec_b64 s[4:5], s[2:3]
	s_cbranch_execnz .LBB167_177
	s_branch .LBB167_178
.LBB167_240:
	v_sub_u32_e32 v14, v50, v12
	v_mov_b32_e32 v15, 0
	v_lshl_add_u64 v[54:55], v[14:15], 3, v[10:11]
	v_mov_b32_e32 v14, v51
	global_store_dwordx2 v[54:55], v[14:15], off
	s_or_b64 exec, exec, s[38:39]
	s_and_saveexec_b64 s[38:39], s[26:27]
	s_cbranch_execz .LBB167_182
.LBB167_241:
	v_sub_u32_e32 v14, v48, v12
	v_mov_b32_e32 v15, 0
	v_lshl_add_u64 v[54:55], v[14:15], 3, v[10:11]
	v_mov_b32_e32 v14, v49
	global_store_dwordx2 v[54:55], v[14:15], off
	s_or_b64 exec, exec, s[38:39]
	s_and_saveexec_b64 s[38:39], s[24:25]
	s_cbranch_execz .LBB167_183
.LBB167_242:
	v_sub_u32_e32 v14, v46, v12
	v_mov_b32_e32 v15, 0
	v_lshl_add_u64 v[54:55], v[14:15], 3, v[10:11]
	v_mov_b32_e32 v14, v47
	global_store_dwordx2 v[54:55], v[14:15], off
	s_or_b64 exec, exec, s[38:39]
	s_and_saveexec_b64 s[38:39], s[22:23]
	s_cbranch_execz .LBB167_184
.LBB167_243:
	v_sub_u32_e32 v14, v44, v12
	v_mov_b32_e32 v15, 0
	v_lshl_add_u64 v[54:55], v[14:15], 3, v[10:11]
	v_mov_b32_e32 v14, v45
	global_store_dwordx2 v[54:55], v[14:15], off
	s_or_b64 exec, exec, s[38:39]
	s_and_saveexec_b64 s[38:39], s[20:21]
	s_cbranch_execz .LBB167_185
.LBB167_244:
	v_sub_u32_e32 v14, v42, v12
	v_mov_b32_e32 v15, 0
	v_lshl_add_u64 v[54:55], v[14:15], 3, v[10:11]
	v_mov_b32_e32 v14, v43
	global_store_dwordx2 v[54:55], v[14:15], off
	s_or_b64 exec, exec, s[38:39]
	s_and_saveexec_b64 s[38:39], s[18:19]
	s_cbranch_execz .LBB167_186
.LBB167_245:
	v_sub_u32_e32 v14, v40, v12
	v_mov_b32_e32 v15, 0
	v_lshl_add_u64 v[54:55], v[14:15], 3, v[10:11]
	v_mov_b32_e32 v14, v41
	global_store_dwordx2 v[54:55], v[14:15], off
	s_or_b64 exec, exec, s[38:39]
	s_and_saveexec_b64 s[38:39], s[16:17]
	s_cbranch_execz .LBB167_187
.LBB167_246:
	v_sub_u32_e32 v14, v38, v12
	v_mov_b32_e32 v15, 0
	v_lshl_add_u64 v[54:55], v[14:15], 3, v[10:11]
	v_mov_b32_e32 v14, v39
	global_store_dwordx2 v[54:55], v[14:15], off
	s_or_b64 exec, exec, s[38:39]
	s_and_saveexec_b64 s[38:39], s[14:15]
	s_cbranch_execz .LBB167_188
.LBB167_247:
	v_sub_u32_e32 v14, v36, v12
	v_mov_b32_e32 v15, 0
	v_lshl_add_u64 v[54:55], v[14:15], 3, v[10:11]
	v_mov_b32_e32 v14, v37
	global_store_dwordx2 v[54:55], v[14:15], off
	s_or_b64 exec, exec, s[38:39]
	s_and_saveexec_b64 s[38:39], s[12:13]
	s_cbranch_execz .LBB167_189
.LBB167_248:
	v_sub_u32_e32 v14, v34, v12
	v_mov_b32_e32 v15, 0
	v_lshl_add_u64 v[54:55], v[14:15], 3, v[10:11]
	v_mov_b32_e32 v14, v35
	global_store_dwordx2 v[54:55], v[14:15], off
	s_or_b64 exec, exec, s[38:39]
	s_and_saveexec_b64 s[38:39], s[10:11]
	s_cbranch_execz .LBB167_190
.LBB167_249:
	v_sub_u32_e32 v14, v32, v12
	v_mov_b32_e32 v15, 0
	v_lshl_add_u64 v[54:55], v[14:15], 3, v[10:11]
	v_mov_b32_e32 v14, v33
	global_store_dwordx2 v[54:55], v[14:15], off
	s_or_b64 exec, exec, s[38:39]
	s_and_saveexec_b64 s[38:39], s[8:9]
	s_cbranch_execz .LBB167_191
.LBB167_250:
	v_sub_u32_e32 v14, v30, v12
	v_mov_b32_e32 v15, 0
	v_lshl_add_u64 v[54:55], v[14:15], 3, v[10:11]
	v_mov_b32_e32 v14, v31
	global_store_dwordx2 v[54:55], v[14:15], off
	s_or_b64 exec, exec, s[38:39]
	s_and_saveexec_b64 s[38:39], s[6:7]
	s_cbranch_execz .LBB167_192
.LBB167_251:
	v_sub_u32_e32 v14, v28, v12
	v_mov_b32_e32 v15, 0
	v_lshl_add_u64 v[54:55], v[14:15], 3, v[10:11]
	v_mov_b32_e32 v14, v29
	global_store_dwordx2 v[54:55], v[14:15], off
	s_or_b64 exec, exec, s[38:39]
	s_and_saveexec_b64 s[38:39], s[4:5]
	s_cbranch_execz .LBB167_193
.LBB167_252:
	v_sub_u32_e32 v14, v26, v12
	v_mov_b32_e32 v15, 0
	v_lshl_add_u64 v[54:55], v[14:15], 3, v[10:11]
	v_mov_b32_e32 v14, v27
	global_store_dwordx2 v[54:55], v[14:15], off
	s_or_b64 exec, exec, s[38:39]
	s_and_saveexec_b64 s[38:39], s[2:3]
	s_cbranch_execnz .LBB167_194
	s_branch .LBB167_195
.LBB167_253:
	v_sub_u32_e32 v10, v50, v12
	v_lshlrev_b32_e32 v10, 2, v10
	ds_write_b32 v10, v51
	s_or_b64 exec, exec, s[38:39]
	s_and_saveexec_b64 s[28:29], s[26:27]
	s_cbranch_execz .LBB167_199
.LBB167_254:
	v_sub_u32_e32 v10, v48, v12
	v_lshlrev_b32_e32 v10, 2, v10
	ds_write_b32 v10, v49
	s_or_b64 exec, exec, s[28:29]
	s_and_saveexec_b64 s[26:27], s[24:25]
	s_cbranch_execz .LBB167_200
.LBB167_255:
	v_sub_u32_e32 v10, v46, v12
	v_lshlrev_b32_e32 v10, 2, v10
	ds_write_b32 v10, v47
	s_or_b64 exec, exec, s[26:27]
	s_and_saveexec_b64 s[24:25], s[22:23]
	s_cbranch_execz .LBB167_201
.LBB167_256:
	v_sub_u32_e32 v10, v44, v12
	v_lshlrev_b32_e32 v10, 2, v10
	ds_write_b32 v10, v45
	s_or_b64 exec, exec, s[24:25]
	s_and_saveexec_b64 s[22:23], s[20:21]
	s_cbranch_execz .LBB167_202
.LBB167_257:
	v_sub_u32_e32 v10, v42, v12
	v_lshlrev_b32_e32 v10, 2, v10
	ds_write_b32 v10, v43
	s_or_b64 exec, exec, s[22:23]
	s_and_saveexec_b64 s[20:21], s[18:19]
	s_cbranch_execz .LBB167_203
.LBB167_258:
	v_sub_u32_e32 v10, v40, v12
	v_lshlrev_b32_e32 v10, 2, v10
	ds_write_b32 v10, v41
	s_or_b64 exec, exec, s[20:21]
	s_and_saveexec_b64 s[18:19], s[16:17]
	s_cbranch_execz .LBB167_204
.LBB167_259:
	v_sub_u32_e32 v10, v38, v12
	v_lshlrev_b32_e32 v10, 2, v10
	ds_write_b32 v10, v39
	s_or_b64 exec, exec, s[18:19]
	s_and_saveexec_b64 s[16:17], s[14:15]
	s_cbranch_execz .LBB167_205
.LBB167_260:
	v_sub_u32_e32 v10, v36, v12
	v_lshlrev_b32_e32 v10, 2, v10
	ds_write_b32 v10, v37
	s_or_b64 exec, exec, s[16:17]
	s_and_saveexec_b64 s[14:15], s[12:13]
	s_cbranch_execz .LBB167_206
.LBB167_261:
	v_sub_u32_e32 v10, v34, v12
	v_lshlrev_b32_e32 v10, 2, v10
	ds_write_b32 v10, v35
	s_or_b64 exec, exec, s[14:15]
	s_and_saveexec_b64 s[12:13], s[10:11]
	s_cbranch_execz .LBB167_207
.LBB167_262:
	v_sub_u32_e32 v10, v32, v12
	v_lshlrev_b32_e32 v10, 2, v10
	ds_write_b32 v10, v33
	s_or_b64 exec, exec, s[12:13]
	s_and_saveexec_b64 s[10:11], s[8:9]
	s_cbranch_execz .LBB167_208
.LBB167_263:
	v_sub_u32_e32 v10, v30, v12
	v_lshlrev_b32_e32 v10, 2, v10
	ds_write_b32 v10, v31
	s_or_b64 exec, exec, s[10:11]
	s_and_saveexec_b64 s[8:9], s[6:7]
	s_cbranch_execz .LBB167_209
.LBB167_264:
	v_sub_u32_e32 v10, v28, v12
	v_lshlrev_b32_e32 v10, 2, v10
	ds_write_b32 v10, v29
	s_or_b64 exec, exec, s[8:9]
	s_and_saveexec_b64 s[6:7], s[4:5]
	s_cbranch_execz .LBB167_210
.LBB167_265:
	v_sub_u32_e32 v10, v26, v12
	v_lshlrev_b32_e32 v10, 2, v10
	ds_write_b32 v10, v27
	s_or_b64 exec, exec, s[6:7]
	s_and_saveexec_b64 s[4:5], s[2:3]
	s_cbranch_execnz .LBB167_211
	s_branch .LBB167_212
	.section	.rodata,"a",@progbits
	.p2align	6, 0x0
	.amdhsa_kernel _ZN7rocprim17ROCPRIM_400000_NS6detail17trampoline_kernelINS0_14default_configENS1_33run_length_encode_config_selectorIhjNS0_4plusIjEEEEZZNS1_33reduce_by_key_impl_wrapped_configILNS1_25lookback_scan_determinismE0ES3_S7_PKhNS0_17constant_iteratorIjlEEPhPlSF_S6_NS0_8equal_toIhEEEE10hipError_tPvRmT2_T3_mT4_T5_T6_T7_T8_P12ihipStream_tbENKUlT_T0_E_clISt17integral_constantIbLb0EESZ_EEDaSU_SV_EUlSU_E_NS1_11comp_targetILNS1_3genE5ELNS1_11target_archE942ELNS1_3gpuE9ELNS1_3repE0EEENS1_30default_config_static_selectorELNS0_4arch9wavefront6targetE1EEEvT1_
		.amdhsa_group_segment_fixed_size 30720
		.amdhsa_private_segment_fixed_size 0
		.amdhsa_kernarg_size 128
		.amdhsa_user_sgpr_count 2
		.amdhsa_user_sgpr_dispatch_ptr 0
		.amdhsa_user_sgpr_queue_ptr 0
		.amdhsa_user_sgpr_kernarg_segment_ptr 1
		.amdhsa_user_sgpr_dispatch_id 0
		.amdhsa_user_sgpr_kernarg_preload_length 0
		.amdhsa_user_sgpr_kernarg_preload_offset 0
		.amdhsa_user_sgpr_private_segment_size 0
		.amdhsa_uses_dynamic_stack 0
		.amdhsa_enable_private_segment 0
		.amdhsa_system_sgpr_workgroup_id_x 1
		.amdhsa_system_sgpr_workgroup_id_y 0
		.amdhsa_system_sgpr_workgroup_id_z 0
		.amdhsa_system_sgpr_workgroup_info 0
		.amdhsa_system_vgpr_workitem_id 0
		.amdhsa_next_free_vgpr 109
		.amdhsa_next_free_sgpr 64
		.amdhsa_accum_offset 112
		.amdhsa_reserve_vcc 1
		.amdhsa_float_round_mode_32 0
		.amdhsa_float_round_mode_16_64 0
		.amdhsa_float_denorm_mode_32 3
		.amdhsa_float_denorm_mode_16_64 3
		.amdhsa_dx10_clamp 1
		.amdhsa_ieee_mode 1
		.amdhsa_fp16_overflow 0
		.amdhsa_tg_split 0
		.amdhsa_exception_fp_ieee_invalid_op 0
		.amdhsa_exception_fp_denorm_src 0
		.amdhsa_exception_fp_ieee_div_zero 0
		.amdhsa_exception_fp_ieee_overflow 0
		.amdhsa_exception_fp_ieee_underflow 0
		.amdhsa_exception_fp_ieee_inexact 0
		.amdhsa_exception_int_div_zero 0
	.end_amdhsa_kernel
	.section	.text._ZN7rocprim17ROCPRIM_400000_NS6detail17trampoline_kernelINS0_14default_configENS1_33run_length_encode_config_selectorIhjNS0_4plusIjEEEEZZNS1_33reduce_by_key_impl_wrapped_configILNS1_25lookback_scan_determinismE0ES3_S7_PKhNS0_17constant_iteratorIjlEEPhPlSF_S6_NS0_8equal_toIhEEEE10hipError_tPvRmT2_T3_mT4_T5_T6_T7_T8_P12ihipStream_tbENKUlT_T0_E_clISt17integral_constantIbLb0EESZ_EEDaSU_SV_EUlSU_E_NS1_11comp_targetILNS1_3genE5ELNS1_11target_archE942ELNS1_3gpuE9ELNS1_3repE0EEENS1_30default_config_static_selectorELNS0_4arch9wavefront6targetE1EEEvT1_,"axG",@progbits,_ZN7rocprim17ROCPRIM_400000_NS6detail17trampoline_kernelINS0_14default_configENS1_33run_length_encode_config_selectorIhjNS0_4plusIjEEEEZZNS1_33reduce_by_key_impl_wrapped_configILNS1_25lookback_scan_determinismE0ES3_S7_PKhNS0_17constant_iteratorIjlEEPhPlSF_S6_NS0_8equal_toIhEEEE10hipError_tPvRmT2_T3_mT4_T5_T6_T7_T8_P12ihipStream_tbENKUlT_T0_E_clISt17integral_constantIbLb0EESZ_EEDaSU_SV_EUlSU_E_NS1_11comp_targetILNS1_3genE5ELNS1_11target_archE942ELNS1_3gpuE9ELNS1_3repE0EEENS1_30default_config_static_selectorELNS0_4arch9wavefront6targetE1EEEvT1_,comdat
.Lfunc_end167:
	.size	_ZN7rocprim17ROCPRIM_400000_NS6detail17trampoline_kernelINS0_14default_configENS1_33run_length_encode_config_selectorIhjNS0_4plusIjEEEEZZNS1_33reduce_by_key_impl_wrapped_configILNS1_25lookback_scan_determinismE0ES3_S7_PKhNS0_17constant_iteratorIjlEEPhPlSF_S6_NS0_8equal_toIhEEEE10hipError_tPvRmT2_T3_mT4_T5_T6_T7_T8_P12ihipStream_tbENKUlT_T0_E_clISt17integral_constantIbLb0EESZ_EEDaSU_SV_EUlSU_E_NS1_11comp_targetILNS1_3genE5ELNS1_11target_archE942ELNS1_3gpuE9ELNS1_3repE0EEENS1_30default_config_static_selectorELNS0_4arch9wavefront6targetE1EEEvT1_, .Lfunc_end167-_ZN7rocprim17ROCPRIM_400000_NS6detail17trampoline_kernelINS0_14default_configENS1_33run_length_encode_config_selectorIhjNS0_4plusIjEEEEZZNS1_33reduce_by_key_impl_wrapped_configILNS1_25lookback_scan_determinismE0ES3_S7_PKhNS0_17constant_iteratorIjlEEPhPlSF_S6_NS0_8equal_toIhEEEE10hipError_tPvRmT2_T3_mT4_T5_T6_T7_T8_P12ihipStream_tbENKUlT_T0_E_clISt17integral_constantIbLb0EESZ_EEDaSU_SV_EUlSU_E_NS1_11comp_targetILNS1_3genE5ELNS1_11target_archE942ELNS1_3gpuE9ELNS1_3repE0EEENS1_30default_config_static_selectorELNS0_4arch9wavefront6targetE1EEEvT1_
                                        ; -- End function
	.section	.AMDGPU.csdata,"",@progbits
; Kernel info:
; codeLenInByte = 14624
; NumSgprs: 70
; NumVgprs: 109
; NumAgprs: 0
; TotalNumVgprs: 109
; ScratchSize: 0
; MemoryBound: 0
; FloatMode: 240
; IeeeMode: 1
; LDSByteSize: 30720 bytes/workgroup (compile time only)
; SGPRBlocks: 8
; VGPRBlocks: 13
; NumSGPRsForWavesPerEU: 70
; NumVGPRsForWavesPerEU: 109
; AccumOffset: 112
; Occupancy: 4
; WaveLimiterHint : 1
; COMPUTE_PGM_RSRC2:SCRATCH_EN: 0
; COMPUTE_PGM_RSRC2:USER_SGPR: 2
; COMPUTE_PGM_RSRC2:TRAP_HANDLER: 0
; COMPUTE_PGM_RSRC2:TGID_X_EN: 1
; COMPUTE_PGM_RSRC2:TGID_Y_EN: 0
; COMPUTE_PGM_RSRC2:TGID_Z_EN: 0
; COMPUTE_PGM_RSRC2:TIDIG_COMP_CNT: 0
; COMPUTE_PGM_RSRC3_GFX90A:ACCUM_OFFSET: 27
; COMPUTE_PGM_RSRC3_GFX90A:TG_SPLIT: 0
	.section	.text._ZN7rocprim17ROCPRIM_400000_NS6detail17trampoline_kernelINS0_14default_configENS1_33run_length_encode_config_selectorIhjNS0_4plusIjEEEEZZNS1_33reduce_by_key_impl_wrapped_configILNS1_25lookback_scan_determinismE0ES3_S7_PKhNS0_17constant_iteratorIjlEEPhPlSF_S6_NS0_8equal_toIhEEEE10hipError_tPvRmT2_T3_mT4_T5_T6_T7_T8_P12ihipStream_tbENKUlT_T0_E_clISt17integral_constantIbLb0EESZ_EEDaSU_SV_EUlSU_E_NS1_11comp_targetILNS1_3genE4ELNS1_11target_archE910ELNS1_3gpuE8ELNS1_3repE0EEENS1_30default_config_static_selectorELNS0_4arch9wavefront6targetE1EEEvT1_,"axG",@progbits,_ZN7rocprim17ROCPRIM_400000_NS6detail17trampoline_kernelINS0_14default_configENS1_33run_length_encode_config_selectorIhjNS0_4plusIjEEEEZZNS1_33reduce_by_key_impl_wrapped_configILNS1_25lookback_scan_determinismE0ES3_S7_PKhNS0_17constant_iteratorIjlEEPhPlSF_S6_NS0_8equal_toIhEEEE10hipError_tPvRmT2_T3_mT4_T5_T6_T7_T8_P12ihipStream_tbENKUlT_T0_E_clISt17integral_constantIbLb0EESZ_EEDaSU_SV_EUlSU_E_NS1_11comp_targetILNS1_3genE4ELNS1_11target_archE910ELNS1_3gpuE8ELNS1_3repE0EEENS1_30default_config_static_selectorELNS0_4arch9wavefront6targetE1EEEvT1_,comdat
	.protected	_ZN7rocprim17ROCPRIM_400000_NS6detail17trampoline_kernelINS0_14default_configENS1_33run_length_encode_config_selectorIhjNS0_4plusIjEEEEZZNS1_33reduce_by_key_impl_wrapped_configILNS1_25lookback_scan_determinismE0ES3_S7_PKhNS0_17constant_iteratorIjlEEPhPlSF_S6_NS0_8equal_toIhEEEE10hipError_tPvRmT2_T3_mT4_T5_T6_T7_T8_P12ihipStream_tbENKUlT_T0_E_clISt17integral_constantIbLb0EESZ_EEDaSU_SV_EUlSU_E_NS1_11comp_targetILNS1_3genE4ELNS1_11target_archE910ELNS1_3gpuE8ELNS1_3repE0EEENS1_30default_config_static_selectorELNS0_4arch9wavefront6targetE1EEEvT1_ ; -- Begin function _ZN7rocprim17ROCPRIM_400000_NS6detail17trampoline_kernelINS0_14default_configENS1_33run_length_encode_config_selectorIhjNS0_4plusIjEEEEZZNS1_33reduce_by_key_impl_wrapped_configILNS1_25lookback_scan_determinismE0ES3_S7_PKhNS0_17constant_iteratorIjlEEPhPlSF_S6_NS0_8equal_toIhEEEE10hipError_tPvRmT2_T3_mT4_T5_T6_T7_T8_P12ihipStream_tbENKUlT_T0_E_clISt17integral_constantIbLb0EESZ_EEDaSU_SV_EUlSU_E_NS1_11comp_targetILNS1_3genE4ELNS1_11target_archE910ELNS1_3gpuE8ELNS1_3repE0EEENS1_30default_config_static_selectorELNS0_4arch9wavefront6targetE1EEEvT1_
	.globl	_ZN7rocprim17ROCPRIM_400000_NS6detail17trampoline_kernelINS0_14default_configENS1_33run_length_encode_config_selectorIhjNS0_4plusIjEEEEZZNS1_33reduce_by_key_impl_wrapped_configILNS1_25lookback_scan_determinismE0ES3_S7_PKhNS0_17constant_iteratorIjlEEPhPlSF_S6_NS0_8equal_toIhEEEE10hipError_tPvRmT2_T3_mT4_T5_T6_T7_T8_P12ihipStream_tbENKUlT_T0_E_clISt17integral_constantIbLb0EESZ_EEDaSU_SV_EUlSU_E_NS1_11comp_targetILNS1_3genE4ELNS1_11target_archE910ELNS1_3gpuE8ELNS1_3repE0EEENS1_30default_config_static_selectorELNS0_4arch9wavefront6targetE1EEEvT1_
	.p2align	8
	.type	_ZN7rocprim17ROCPRIM_400000_NS6detail17trampoline_kernelINS0_14default_configENS1_33run_length_encode_config_selectorIhjNS0_4plusIjEEEEZZNS1_33reduce_by_key_impl_wrapped_configILNS1_25lookback_scan_determinismE0ES3_S7_PKhNS0_17constant_iteratorIjlEEPhPlSF_S6_NS0_8equal_toIhEEEE10hipError_tPvRmT2_T3_mT4_T5_T6_T7_T8_P12ihipStream_tbENKUlT_T0_E_clISt17integral_constantIbLb0EESZ_EEDaSU_SV_EUlSU_E_NS1_11comp_targetILNS1_3genE4ELNS1_11target_archE910ELNS1_3gpuE8ELNS1_3repE0EEENS1_30default_config_static_selectorELNS0_4arch9wavefront6targetE1EEEvT1_,@function
_ZN7rocprim17ROCPRIM_400000_NS6detail17trampoline_kernelINS0_14default_configENS1_33run_length_encode_config_selectorIhjNS0_4plusIjEEEEZZNS1_33reduce_by_key_impl_wrapped_configILNS1_25lookback_scan_determinismE0ES3_S7_PKhNS0_17constant_iteratorIjlEEPhPlSF_S6_NS0_8equal_toIhEEEE10hipError_tPvRmT2_T3_mT4_T5_T6_T7_T8_P12ihipStream_tbENKUlT_T0_E_clISt17integral_constantIbLb0EESZ_EEDaSU_SV_EUlSU_E_NS1_11comp_targetILNS1_3genE4ELNS1_11target_archE910ELNS1_3gpuE8ELNS1_3repE0EEENS1_30default_config_static_selectorELNS0_4arch9wavefront6targetE1EEEvT1_: ; @_ZN7rocprim17ROCPRIM_400000_NS6detail17trampoline_kernelINS0_14default_configENS1_33run_length_encode_config_selectorIhjNS0_4plusIjEEEEZZNS1_33reduce_by_key_impl_wrapped_configILNS1_25lookback_scan_determinismE0ES3_S7_PKhNS0_17constant_iteratorIjlEEPhPlSF_S6_NS0_8equal_toIhEEEE10hipError_tPvRmT2_T3_mT4_T5_T6_T7_T8_P12ihipStream_tbENKUlT_T0_E_clISt17integral_constantIbLb0EESZ_EEDaSU_SV_EUlSU_E_NS1_11comp_targetILNS1_3genE4ELNS1_11target_archE910ELNS1_3gpuE8ELNS1_3repE0EEENS1_30default_config_static_selectorELNS0_4arch9wavefront6targetE1EEEvT1_
; %bb.0:
	.section	.rodata,"a",@progbits
	.p2align	6, 0x0
	.amdhsa_kernel _ZN7rocprim17ROCPRIM_400000_NS6detail17trampoline_kernelINS0_14default_configENS1_33run_length_encode_config_selectorIhjNS0_4plusIjEEEEZZNS1_33reduce_by_key_impl_wrapped_configILNS1_25lookback_scan_determinismE0ES3_S7_PKhNS0_17constant_iteratorIjlEEPhPlSF_S6_NS0_8equal_toIhEEEE10hipError_tPvRmT2_T3_mT4_T5_T6_T7_T8_P12ihipStream_tbENKUlT_T0_E_clISt17integral_constantIbLb0EESZ_EEDaSU_SV_EUlSU_E_NS1_11comp_targetILNS1_3genE4ELNS1_11target_archE910ELNS1_3gpuE8ELNS1_3repE0EEENS1_30default_config_static_selectorELNS0_4arch9wavefront6targetE1EEEvT1_
		.amdhsa_group_segment_fixed_size 0
		.amdhsa_private_segment_fixed_size 0
		.amdhsa_kernarg_size 128
		.amdhsa_user_sgpr_count 2
		.amdhsa_user_sgpr_dispatch_ptr 0
		.amdhsa_user_sgpr_queue_ptr 0
		.amdhsa_user_sgpr_kernarg_segment_ptr 1
		.amdhsa_user_sgpr_dispatch_id 0
		.amdhsa_user_sgpr_kernarg_preload_length 0
		.amdhsa_user_sgpr_kernarg_preload_offset 0
		.amdhsa_user_sgpr_private_segment_size 0
		.amdhsa_uses_dynamic_stack 0
		.amdhsa_enable_private_segment 0
		.amdhsa_system_sgpr_workgroup_id_x 1
		.amdhsa_system_sgpr_workgroup_id_y 0
		.amdhsa_system_sgpr_workgroup_id_z 0
		.amdhsa_system_sgpr_workgroup_info 0
		.amdhsa_system_vgpr_workitem_id 0
		.amdhsa_next_free_vgpr 1
		.amdhsa_next_free_sgpr 0
		.amdhsa_accum_offset 4
		.amdhsa_reserve_vcc 0
		.amdhsa_float_round_mode_32 0
		.amdhsa_float_round_mode_16_64 0
		.amdhsa_float_denorm_mode_32 3
		.amdhsa_float_denorm_mode_16_64 3
		.amdhsa_dx10_clamp 1
		.amdhsa_ieee_mode 1
		.amdhsa_fp16_overflow 0
		.amdhsa_tg_split 0
		.amdhsa_exception_fp_ieee_invalid_op 0
		.amdhsa_exception_fp_denorm_src 0
		.amdhsa_exception_fp_ieee_div_zero 0
		.amdhsa_exception_fp_ieee_overflow 0
		.amdhsa_exception_fp_ieee_underflow 0
		.amdhsa_exception_fp_ieee_inexact 0
		.amdhsa_exception_int_div_zero 0
	.end_amdhsa_kernel
	.section	.text._ZN7rocprim17ROCPRIM_400000_NS6detail17trampoline_kernelINS0_14default_configENS1_33run_length_encode_config_selectorIhjNS0_4plusIjEEEEZZNS1_33reduce_by_key_impl_wrapped_configILNS1_25lookback_scan_determinismE0ES3_S7_PKhNS0_17constant_iteratorIjlEEPhPlSF_S6_NS0_8equal_toIhEEEE10hipError_tPvRmT2_T3_mT4_T5_T6_T7_T8_P12ihipStream_tbENKUlT_T0_E_clISt17integral_constantIbLb0EESZ_EEDaSU_SV_EUlSU_E_NS1_11comp_targetILNS1_3genE4ELNS1_11target_archE910ELNS1_3gpuE8ELNS1_3repE0EEENS1_30default_config_static_selectorELNS0_4arch9wavefront6targetE1EEEvT1_,"axG",@progbits,_ZN7rocprim17ROCPRIM_400000_NS6detail17trampoline_kernelINS0_14default_configENS1_33run_length_encode_config_selectorIhjNS0_4plusIjEEEEZZNS1_33reduce_by_key_impl_wrapped_configILNS1_25lookback_scan_determinismE0ES3_S7_PKhNS0_17constant_iteratorIjlEEPhPlSF_S6_NS0_8equal_toIhEEEE10hipError_tPvRmT2_T3_mT4_T5_T6_T7_T8_P12ihipStream_tbENKUlT_T0_E_clISt17integral_constantIbLb0EESZ_EEDaSU_SV_EUlSU_E_NS1_11comp_targetILNS1_3genE4ELNS1_11target_archE910ELNS1_3gpuE8ELNS1_3repE0EEENS1_30default_config_static_selectorELNS0_4arch9wavefront6targetE1EEEvT1_,comdat
.Lfunc_end168:
	.size	_ZN7rocprim17ROCPRIM_400000_NS6detail17trampoline_kernelINS0_14default_configENS1_33run_length_encode_config_selectorIhjNS0_4plusIjEEEEZZNS1_33reduce_by_key_impl_wrapped_configILNS1_25lookback_scan_determinismE0ES3_S7_PKhNS0_17constant_iteratorIjlEEPhPlSF_S6_NS0_8equal_toIhEEEE10hipError_tPvRmT2_T3_mT4_T5_T6_T7_T8_P12ihipStream_tbENKUlT_T0_E_clISt17integral_constantIbLb0EESZ_EEDaSU_SV_EUlSU_E_NS1_11comp_targetILNS1_3genE4ELNS1_11target_archE910ELNS1_3gpuE8ELNS1_3repE0EEENS1_30default_config_static_selectorELNS0_4arch9wavefront6targetE1EEEvT1_, .Lfunc_end168-_ZN7rocprim17ROCPRIM_400000_NS6detail17trampoline_kernelINS0_14default_configENS1_33run_length_encode_config_selectorIhjNS0_4plusIjEEEEZZNS1_33reduce_by_key_impl_wrapped_configILNS1_25lookback_scan_determinismE0ES3_S7_PKhNS0_17constant_iteratorIjlEEPhPlSF_S6_NS0_8equal_toIhEEEE10hipError_tPvRmT2_T3_mT4_T5_T6_T7_T8_P12ihipStream_tbENKUlT_T0_E_clISt17integral_constantIbLb0EESZ_EEDaSU_SV_EUlSU_E_NS1_11comp_targetILNS1_3genE4ELNS1_11target_archE910ELNS1_3gpuE8ELNS1_3repE0EEENS1_30default_config_static_selectorELNS0_4arch9wavefront6targetE1EEEvT1_
                                        ; -- End function
	.section	.AMDGPU.csdata,"",@progbits
; Kernel info:
; codeLenInByte = 0
; NumSgprs: 6
; NumVgprs: 0
; NumAgprs: 0
; TotalNumVgprs: 0
; ScratchSize: 0
; MemoryBound: 0
; FloatMode: 240
; IeeeMode: 1
; LDSByteSize: 0 bytes/workgroup (compile time only)
; SGPRBlocks: 0
; VGPRBlocks: 0
; NumSGPRsForWavesPerEU: 6
; NumVGPRsForWavesPerEU: 1
; AccumOffset: 4
; Occupancy: 8
; WaveLimiterHint : 0
; COMPUTE_PGM_RSRC2:SCRATCH_EN: 0
; COMPUTE_PGM_RSRC2:USER_SGPR: 2
; COMPUTE_PGM_RSRC2:TRAP_HANDLER: 0
; COMPUTE_PGM_RSRC2:TGID_X_EN: 1
; COMPUTE_PGM_RSRC2:TGID_Y_EN: 0
; COMPUTE_PGM_RSRC2:TGID_Z_EN: 0
; COMPUTE_PGM_RSRC2:TIDIG_COMP_CNT: 0
; COMPUTE_PGM_RSRC3_GFX90A:ACCUM_OFFSET: 0
; COMPUTE_PGM_RSRC3_GFX90A:TG_SPLIT: 0
	.section	.text._ZN7rocprim17ROCPRIM_400000_NS6detail17trampoline_kernelINS0_14default_configENS1_33run_length_encode_config_selectorIhjNS0_4plusIjEEEEZZNS1_33reduce_by_key_impl_wrapped_configILNS1_25lookback_scan_determinismE0ES3_S7_PKhNS0_17constant_iteratorIjlEEPhPlSF_S6_NS0_8equal_toIhEEEE10hipError_tPvRmT2_T3_mT4_T5_T6_T7_T8_P12ihipStream_tbENKUlT_T0_E_clISt17integral_constantIbLb0EESZ_EEDaSU_SV_EUlSU_E_NS1_11comp_targetILNS1_3genE3ELNS1_11target_archE908ELNS1_3gpuE7ELNS1_3repE0EEENS1_30default_config_static_selectorELNS0_4arch9wavefront6targetE1EEEvT1_,"axG",@progbits,_ZN7rocprim17ROCPRIM_400000_NS6detail17trampoline_kernelINS0_14default_configENS1_33run_length_encode_config_selectorIhjNS0_4plusIjEEEEZZNS1_33reduce_by_key_impl_wrapped_configILNS1_25lookback_scan_determinismE0ES3_S7_PKhNS0_17constant_iteratorIjlEEPhPlSF_S6_NS0_8equal_toIhEEEE10hipError_tPvRmT2_T3_mT4_T5_T6_T7_T8_P12ihipStream_tbENKUlT_T0_E_clISt17integral_constantIbLb0EESZ_EEDaSU_SV_EUlSU_E_NS1_11comp_targetILNS1_3genE3ELNS1_11target_archE908ELNS1_3gpuE7ELNS1_3repE0EEENS1_30default_config_static_selectorELNS0_4arch9wavefront6targetE1EEEvT1_,comdat
	.protected	_ZN7rocprim17ROCPRIM_400000_NS6detail17trampoline_kernelINS0_14default_configENS1_33run_length_encode_config_selectorIhjNS0_4plusIjEEEEZZNS1_33reduce_by_key_impl_wrapped_configILNS1_25lookback_scan_determinismE0ES3_S7_PKhNS0_17constant_iteratorIjlEEPhPlSF_S6_NS0_8equal_toIhEEEE10hipError_tPvRmT2_T3_mT4_T5_T6_T7_T8_P12ihipStream_tbENKUlT_T0_E_clISt17integral_constantIbLb0EESZ_EEDaSU_SV_EUlSU_E_NS1_11comp_targetILNS1_3genE3ELNS1_11target_archE908ELNS1_3gpuE7ELNS1_3repE0EEENS1_30default_config_static_selectorELNS0_4arch9wavefront6targetE1EEEvT1_ ; -- Begin function _ZN7rocprim17ROCPRIM_400000_NS6detail17trampoline_kernelINS0_14default_configENS1_33run_length_encode_config_selectorIhjNS0_4plusIjEEEEZZNS1_33reduce_by_key_impl_wrapped_configILNS1_25lookback_scan_determinismE0ES3_S7_PKhNS0_17constant_iteratorIjlEEPhPlSF_S6_NS0_8equal_toIhEEEE10hipError_tPvRmT2_T3_mT4_T5_T6_T7_T8_P12ihipStream_tbENKUlT_T0_E_clISt17integral_constantIbLb0EESZ_EEDaSU_SV_EUlSU_E_NS1_11comp_targetILNS1_3genE3ELNS1_11target_archE908ELNS1_3gpuE7ELNS1_3repE0EEENS1_30default_config_static_selectorELNS0_4arch9wavefront6targetE1EEEvT1_
	.globl	_ZN7rocprim17ROCPRIM_400000_NS6detail17trampoline_kernelINS0_14default_configENS1_33run_length_encode_config_selectorIhjNS0_4plusIjEEEEZZNS1_33reduce_by_key_impl_wrapped_configILNS1_25lookback_scan_determinismE0ES3_S7_PKhNS0_17constant_iteratorIjlEEPhPlSF_S6_NS0_8equal_toIhEEEE10hipError_tPvRmT2_T3_mT4_T5_T6_T7_T8_P12ihipStream_tbENKUlT_T0_E_clISt17integral_constantIbLb0EESZ_EEDaSU_SV_EUlSU_E_NS1_11comp_targetILNS1_3genE3ELNS1_11target_archE908ELNS1_3gpuE7ELNS1_3repE0EEENS1_30default_config_static_selectorELNS0_4arch9wavefront6targetE1EEEvT1_
	.p2align	8
	.type	_ZN7rocprim17ROCPRIM_400000_NS6detail17trampoline_kernelINS0_14default_configENS1_33run_length_encode_config_selectorIhjNS0_4plusIjEEEEZZNS1_33reduce_by_key_impl_wrapped_configILNS1_25lookback_scan_determinismE0ES3_S7_PKhNS0_17constant_iteratorIjlEEPhPlSF_S6_NS0_8equal_toIhEEEE10hipError_tPvRmT2_T3_mT4_T5_T6_T7_T8_P12ihipStream_tbENKUlT_T0_E_clISt17integral_constantIbLb0EESZ_EEDaSU_SV_EUlSU_E_NS1_11comp_targetILNS1_3genE3ELNS1_11target_archE908ELNS1_3gpuE7ELNS1_3repE0EEENS1_30default_config_static_selectorELNS0_4arch9wavefront6targetE1EEEvT1_,@function
_ZN7rocprim17ROCPRIM_400000_NS6detail17trampoline_kernelINS0_14default_configENS1_33run_length_encode_config_selectorIhjNS0_4plusIjEEEEZZNS1_33reduce_by_key_impl_wrapped_configILNS1_25lookback_scan_determinismE0ES3_S7_PKhNS0_17constant_iteratorIjlEEPhPlSF_S6_NS0_8equal_toIhEEEE10hipError_tPvRmT2_T3_mT4_T5_T6_T7_T8_P12ihipStream_tbENKUlT_T0_E_clISt17integral_constantIbLb0EESZ_EEDaSU_SV_EUlSU_E_NS1_11comp_targetILNS1_3genE3ELNS1_11target_archE908ELNS1_3gpuE7ELNS1_3repE0EEENS1_30default_config_static_selectorELNS0_4arch9wavefront6targetE1EEEvT1_: ; @_ZN7rocprim17ROCPRIM_400000_NS6detail17trampoline_kernelINS0_14default_configENS1_33run_length_encode_config_selectorIhjNS0_4plusIjEEEEZZNS1_33reduce_by_key_impl_wrapped_configILNS1_25lookback_scan_determinismE0ES3_S7_PKhNS0_17constant_iteratorIjlEEPhPlSF_S6_NS0_8equal_toIhEEEE10hipError_tPvRmT2_T3_mT4_T5_T6_T7_T8_P12ihipStream_tbENKUlT_T0_E_clISt17integral_constantIbLb0EESZ_EEDaSU_SV_EUlSU_E_NS1_11comp_targetILNS1_3genE3ELNS1_11target_archE908ELNS1_3gpuE7ELNS1_3repE0EEENS1_30default_config_static_selectorELNS0_4arch9wavefront6targetE1EEEvT1_
; %bb.0:
	.section	.rodata,"a",@progbits
	.p2align	6, 0x0
	.amdhsa_kernel _ZN7rocprim17ROCPRIM_400000_NS6detail17trampoline_kernelINS0_14default_configENS1_33run_length_encode_config_selectorIhjNS0_4plusIjEEEEZZNS1_33reduce_by_key_impl_wrapped_configILNS1_25lookback_scan_determinismE0ES3_S7_PKhNS0_17constant_iteratorIjlEEPhPlSF_S6_NS0_8equal_toIhEEEE10hipError_tPvRmT2_T3_mT4_T5_T6_T7_T8_P12ihipStream_tbENKUlT_T0_E_clISt17integral_constantIbLb0EESZ_EEDaSU_SV_EUlSU_E_NS1_11comp_targetILNS1_3genE3ELNS1_11target_archE908ELNS1_3gpuE7ELNS1_3repE0EEENS1_30default_config_static_selectorELNS0_4arch9wavefront6targetE1EEEvT1_
		.amdhsa_group_segment_fixed_size 0
		.amdhsa_private_segment_fixed_size 0
		.amdhsa_kernarg_size 128
		.amdhsa_user_sgpr_count 2
		.amdhsa_user_sgpr_dispatch_ptr 0
		.amdhsa_user_sgpr_queue_ptr 0
		.amdhsa_user_sgpr_kernarg_segment_ptr 1
		.amdhsa_user_sgpr_dispatch_id 0
		.amdhsa_user_sgpr_kernarg_preload_length 0
		.amdhsa_user_sgpr_kernarg_preload_offset 0
		.amdhsa_user_sgpr_private_segment_size 0
		.amdhsa_uses_dynamic_stack 0
		.amdhsa_enable_private_segment 0
		.amdhsa_system_sgpr_workgroup_id_x 1
		.amdhsa_system_sgpr_workgroup_id_y 0
		.amdhsa_system_sgpr_workgroup_id_z 0
		.amdhsa_system_sgpr_workgroup_info 0
		.amdhsa_system_vgpr_workitem_id 0
		.amdhsa_next_free_vgpr 1
		.amdhsa_next_free_sgpr 0
		.amdhsa_accum_offset 4
		.amdhsa_reserve_vcc 0
		.amdhsa_float_round_mode_32 0
		.amdhsa_float_round_mode_16_64 0
		.amdhsa_float_denorm_mode_32 3
		.amdhsa_float_denorm_mode_16_64 3
		.amdhsa_dx10_clamp 1
		.amdhsa_ieee_mode 1
		.amdhsa_fp16_overflow 0
		.amdhsa_tg_split 0
		.amdhsa_exception_fp_ieee_invalid_op 0
		.amdhsa_exception_fp_denorm_src 0
		.amdhsa_exception_fp_ieee_div_zero 0
		.amdhsa_exception_fp_ieee_overflow 0
		.amdhsa_exception_fp_ieee_underflow 0
		.amdhsa_exception_fp_ieee_inexact 0
		.amdhsa_exception_int_div_zero 0
	.end_amdhsa_kernel
	.section	.text._ZN7rocprim17ROCPRIM_400000_NS6detail17trampoline_kernelINS0_14default_configENS1_33run_length_encode_config_selectorIhjNS0_4plusIjEEEEZZNS1_33reduce_by_key_impl_wrapped_configILNS1_25lookback_scan_determinismE0ES3_S7_PKhNS0_17constant_iteratorIjlEEPhPlSF_S6_NS0_8equal_toIhEEEE10hipError_tPvRmT2_T3_mT4_T5_T6_T7_T8_P12ihipStream_tbENKUlT_T0_E_clISt17integral_constantIbLb0EESZ_EEDaSU_SV_EUlSU_E_NS1_11comp_targetILNS1_3genE3ELNS1_11target_archE908ELNS1_3gpuE7ELNS1_3repE0EEENS1_30default_config_static_selectorELNS0_4arch9wavefront6targetE1EEEvT1_,"axG",@progbits,_ZN7rocprim17ROCPRIM_400000_NS6detail17trampoline_kernelINS0_14default_configENS1_33run_length_encode_config_selectorIhjNS0_4plusIjEEEEZZNS1_33reduce_by_key_impl_wrapped_configILNS1_25lookback_scan_determinismE0ES3_S7_PKhNS0_17constant_iteratorIjlEEPhPlSF_S6_NS0_8equal_toIhEEEE10hipError_tPvRmT2_T3_mT4_T5_T6_T7_T8_P12ihipStream_tbENKUlT_T0_E_clISt17integral_constantIbLb0EESZ_EEDaSU_SV_EUlSU_E_NS1_11comp_targetILNS1_3genE3ELNS1_11target_archE908ELNS1_3gpuE7ELNS1_3repE0EEENS1_30default_config_static_selectorELNS0_4arch9wavefront6targetE1EEEvT1_,comdat
.Lfunc_end169:
	.size	_ZN7rocprim17ROCPRIM_400000_NS6detail17trampoline_kernelINS0_14default_configENS1_33run_length_encode_config_selectorIhjNS0_4plusIjEEEEZZNS1_33reduce_by_key_impl_wrapped_configILNS1_25lookback_scan_determinismE0ES3_S7_PKhNS0_17constant_iteratorIjlEEPhPlSF_S6_NS0_8equal_toIhEEEE10hipError_tPvRmT2_T3_mT4_T5_T6_T7_T8_P12ihipStream_tbENKUlT_T0_E_clISt17integral_constantIbLb0EESZ_EEDaSU_SV_EUlSU_E_NS1_11comp_targetILNS1_3genE3ELNS1_11target_archE908ELNS1_3gpuE7ELNS1_3repE0EEENS1_30default_config_static_selectorELNS0_4arch9wavefront6targetE1EEEvT1_, .Lfunc_end169-_ZN7rocprim17ROCPRIM_400000_NS6detail17trampoline_kernelINS0_14default_configENS1_33run_length_encode_config_selectorIhjNS0_4plusIjEEEEZZNS1_33reduce_by_key_impl_wrapped_configILNS1_25lookback_scan_determinismE0ES3_S7_PKhNS0_17constant_iteratorIjlEEPhPlSF_S6_NS0_8equal_toIhEEEE10hipError_tPvRmT2_T3_mT4_T5_T6_T7_T8_P12ihipStream_tbENKUlT_T0_E_clISt17integral_constantIbLb0EESZ_EEDaSU_SV_EUlSU_E_NS1_11comp_targetILNS1_3genE3ELNS1_11target_archE908ELNS1_3gpuE7ELNS1_3repE0EEENS1_30default_config_static_selectorELNS0_4arch9wavefront6targetE1EEEvT1_
                                        ; -- End function
	.section	.AMDGPU.csdata,"",@progbits
; Kernel info:
; codeLenInByte = 0
; NumSgprs: 6
; NumVgprs: 0
; NumAgprs: 0
; TotalNumVgprs: 0
; ScratchSize: 0
; MemoryBound: 0
; FloatMode: 240
; IeeeMode: 1
; LDSByteSize: 0 bytes/workgroup (compile time only)
; SGPRBlocks: 0
; VGPRBlocks: 0
; NumSGPRsForWavesPerEU: 6
; NumVGPRsForWavesPerEU: 1
; AccumOffset: 4
; Occupancy: 8
; WaveLimiterHint : 0
; COMPUTE_PGM_RSRC2:SCRATCH_EN: 0
; COMPUTE_PGM_RSRC2:USER_SGPR: 2
; COMPUTE_PGM_RSRC2:TRAP_HANDLER: 0
; COMPUTE_PGM_RSRC2:TGID_X_EN: 1
; COMPUTE_PGM_RSRC2:TGID_Y_EN: 0
; COMPUTE_PGM_RSRC2:TGID_Z_EN: 0
; COMPUTE_PGM_RSRC2:TIDIG_COMP_CNT: 0
; COMPUTE_PGM_RSRC3_GFX90A:ACCUM_OFFSET: 0
; COMPUTE_PGM_RSRC3_GFX90A:TG_SPLIT: 0
	.section	.text._ZN7rocprim17ROCPRIM_400000_NS6detail17trampoline_kernelINS0_14default_configENS1_33run_length_encode_config_selectorIhjNS0_4plusIjEEEEZZNS1_33reduce_by_key_impl_wrapped_configILNS1_25lookback_scan_determinismE0ES3_S7_PKhNS0_17constant_iteratorIjlEEPhPlSF_S6_NS0_8equal_toIhEEEE10hipError_tPvRmT2_T3_mT4_T5_T6_T7_T8_P12ihipStream_tbENKUlT_T0_E_clISt17integral_constantIbLb0EESZ_EEDaSU_SV_EUlSU_E_NS1_11comp_targetILNS1_3genE2ELNS1_11target_archE906ELNS1_3gpuE6ELNS1_3repE0EEENS1_30default_config_static_selectorELNS0_4arch9wavefront6targetE1EEEvT1_,"axG",@progbits,_ZN7rocprim17ROCPRIM_400000_NS6detail17trampoline_kernelINS0_14default_configENS1_33run_length_encode_config_selectorIhjNS0_4plusIjEEEEZZNS1_33reduce_by_key_impl_wrapped_configILNS1_25lookback_scan_determinismE0ES3_S7_PKhNS0_17constant_iteratorIjlEEPhPlSF_S6_NS0_8equal_toIhEEEE10hipError_tPvRmT2_T3_mT4_T5_T6_T7_T8_P12ihipStream_tbENKUlT_T0_E_clISt17integral_constantIbLb0EESZ_EEDaSU_SV_EUlSU_E_NS1_11comp_targetILNS1_3genE2ELNS1_11target_archE906ELNS1_3gpuE6ELNS1_3repE0EEENS1_30default_config_static_selectorELNS0_4arch9wavefront6targetE1EEEvT1_,comdat
	.protected	_ZN7rocprim17ROCPRIM_400000_NS6detail17trampoline_kernelINS0_14default_configENS1_33run_length_encode_config_selectorIhjNS0_4plusIjEEEEZZNS1_33reduce_by_key_impl_wrapped_configILNS1_25lookback_scan_determinismE0ES3_S7_PKhNS0_17constant_iteratorIjlEEPhPlSF_S6_NS0_8equal_toIhEEEE10hipError_tPvRmT2_T3_mT4_T5_T6_T7_T8_P12ihipStream_tbENKUlT_T0_E_clISt17integral_constantIbLb0EESZ_EEDaSU_SV_EUlSU_E_NS1_11comp_targetILNS1_3genE2ELNS1_11target_archE906ELNS1_3gpuE6ELNS1_3repE0EEENS1_30default_config_static_selectorELNS0_4arch9wavefront6targetE1EEEvT1_ ; -- Begin function _ZN7rocprim17ROCPRIM_400000_NS6detail17trampoline_kernelINS0_14default_configENS1_33run_length_encode_config_selectorIhjNS0_4plusIjEEEEZZNS1_33reduce_by_key_impl_wrapped_configILNS1_25lookback_scan_determinismE0ES3_S7_PKhNS0_17constant_iteratorIjlEEPhPlSF_S6_NS0_8equal_toIhEEEE10hipError_tPvRmT2_T3_mT4_T5_T6_T7_T8_P12ihipStream_tbENKUlT_T0_E_clISt17integral_constantIbLb0EESZ_EEDaSU_SV_EUlSU_E_NS1_11comp_targetILNS1_3genE2ELNS1_11target_archE906ELNS1_3gpuE6ELNS1_3repE0EEENS1_30default_config_static_selectorELNS0_4arch9wavefront6targetE1EEEvT1_
	.globl	_ZN7rocprim17ROCPRIM_400000_NS6detail17trampoline_kernelINS0_14default_configENS1_33run_length_encode_config_selectorIhjNS0_4plusIjEEEEZZNS1_33reduce_by_key_impl_wrapped_configILNS1_25lookback_scan_determinismE0ES3_S7_PKhNS0_17constant_iteratorIjlEEPhPlSF_S6_NS0_8equal_toIhEEEE10hipError_tPvRmT2_T3_mT4_T5_T6_T7_T8_P12ihipStream_tbENKUlT_T0_E_clISt17integral_constantIbLb0EESZ_EEDaSU_SV_EUlSU_E_NS1_11comp_targetILNS1_3genE2ELNS1_11target_archE906ELNS1_3gpuE6ELNS1_3repE0EEENS1_30default_config_static_selectorELNS0_4arch9wavefront6targetE1EEEvT1_
	.p2align	8
	.type	_ZN7rocprim17ROCPRIM_400000_NS6detail17trampoline_kernelINS0_14default_configENS1_33run_length_encode_config_selectorIhjNS0_4plusIjEEEEZZNS1_33reduce_by_key_impl_wrapped_configILNS1_25lookback_scan_determinismE0ES3_S7_PKhNS0_17constant_iteratorIjlEEPhPlSF_S6_NS0_8equal_toIhEEEE10hipError_tPvRmT2_T3_mT4_T5_T6_T7_T8_P12ihipStream_tbENKUlT_T0_E_clISt17integral_constantIbLb0EESZ_EEDaSU_SV_EUlSU_E_NS1_11comp_targetILNS1_3genE2ELNS1_11target_archE906ELNS1_3gpuE6ELNS1_3repE0EEENS1_30default_config_static_selectorELNS0_4arch9wavefront6targetE1EEEvT1_,@function
_ZN7rocprim17ROCPRIM_400000_NS6detail17trampoline_kernelINS0_14default_configENS1_33run_length_encode_config_selectorIhjNS0_4plusIjEEEEZZNS1_33reduce_by_key_impl_wrapped_configILNS1_25lookback_scan_determinismE0ES3_S7_PKhNS0_17constant_iteratorIjlEEPhPlSF_S6_NS0_8equal_toIhEEEE10hipError_tPvRmT2_T3_mT4_T5_T6_T7_T8_P12ihipStream_tbENKUlT_T0_E_clISt17integral_constantIbLb0EESZ_EEDaSU_SV_EUlSU_E_NS1_11comp_targetILNS1_3genE2ELNS1_11target_archE906ELNS1_3gpuE6ELNS1_3repE0EEENS1_30default_config_static_selectorELNS0_4arch9wavefront6targetE1EEEvT1_: ; @_ZN7rocprim17ROCPRIM_400000_NS6detail17trampoline_kernelINS0_14default_configENS1_33run_length_encode_config_selectorIhjNS0_4plusIjEEEEZZNS1_33reduce_by_key_impl_wrapped_configILNS1_25lookback_scan_determinismE0ES3_S7_PKhNS0_17constant_iteratorIjlEEPhPlSF_S6_NS0_8equal_toIhEEEE10hipError_tPvRmT2_T3_mT4_T5_T6_T7_T8_P12ihipStream_tbENKUlT_T0_E_clISt17integral_constantIbLb0EESZ_EEDaSU_SV_EUlSU_E_NS1_11comp_targetILNS1_3genE2ELNS1_11target_archE906ELNS1_3gpuE6ELNS1_3repE0EEENS1_30default_config_static_selectorELNS0_4arch9wavefront6targetE1EEEvT1_
; %bb.0:
	.section	.rodata,"a",@progbits
	.p2align	6, 0x0
	.amdhsa_kernel _ZN7rocprim17ROCPRIM_400000_NS6detail17trampoline_kernelINS0_14default_configENS1_33run_length_encode_config_selectorIhjNS0_4plusIjEEEEZZNS1_33reduce_by_key_impl_wrapped_configILNS1_25lookback_scan_determinismE0ES3_S7_PKhNS0_17constant_iteratorIjlEEPhPlSF_S6_NS0_8equal_toIhEEEE10hipError_tPvRmT2_T3_mT4_T5_T6_T7_T8_P12ihipStream_tbENKUlT_T0_E_clISt17integral_constantIbLb0EESZ_EEDaSU_SV_EUlSU_E_NS1_11comp_targetILNS1_3genE2ELNS1_11target_archE906ELNS1_3gpuE6ELNS1_3repE0EEENS1_30default_config_static_selectorELNS0_4arch9wavefront6targetE1EEEvT1_
		.amdhsa_group_segment_fixed_size 0
		.amdhsa_private_segment_fixed_size 0
		.amdhsa_kernarg_size 128
		.amdhsa_user_sgpr_count 2
		.amdhsa_user_sgpr_dispatch_ptr 0
		.amdhsa_user_sgpr_queue_ptr 0
		.amdhsa_user_sgpr_kernarg_segment_ptr 1
		.amdhsa_user_sgpr_dispatch_id 0
		.amdhsa_user_sgpr_kernarg_preload_length 0
		.amdhsa_user_sgpr_kernarg_preload_offset 0
		.amdhsa_user_sgpr_private_segment_size 0
		.amdhsa_uses_dynamic_stack 0
		.amdhsa_enable_private_segment 0
		.amdhsa_system_sgpr_workgroup_id_x 1
		.amdhsa_system_sgpr_workgroup_id_y 0
		.amdhsa_system_sgpr_workgroup_id_z 0
		.amdhsa_system_sgpr_workgroup_info 0
		.amdhsa_system_vgpr_workitem_id 0
		.amdhsa_next_free_vgpr 1
		.amdhsa_next_free_sgpr 0
		.amdhsa_accum_offset 4
		.amdhsa_reserve_vcc 0
		.amdhsa_float_round_mode_32 0
		.amdhsa_float_round_mode_16_64 0
		.amdhsa_float_denorm_mode_32 3
		.amdhsa_float_denorm_mode_16_64 3
		.amdhsa_dx10_clamp 1
		.amdhsa_ieee_mode 1
		.amdhsa_fp16_overflow 0
		.amdhsa_tg_split 0
		.amdhsa_exception_fp_ieee_invalid_op 0
		.amdhsa_exception_fp_denorm_src 0
		.amdhsa_exception_fp_ieee_div_zero 0
		.amdhsa_exception_fp_ieee_overflow 0
		.amdhsa_exception_fp_ieee_underflow 0
		.amdhsa_exception_fp_ieee_inexact 0
		.amdhsa_exception_int_div_zero 0
	.end_amdhsa_kernel
	.section	.text._ZN7rocprim17ROCPRIM_400000_NS6detail17trampoline_kernelINS0_14default_configENS1_33run_length_encode_config_selectorIhjNS0_4plusIjEEEEZZNS1_33reduce_by_key_impl_wrapped_configILNS1_25lookback_scan_determinismE0ES3_S7_PKhNS0_17constant_iteratorIjlEEPhPlSF_S6_NS0_8equal_toIhEEEE10hipError_tPvRmT2_T3_mT4_T5_T6_T7_T8_P12ihipStream_tbENKUlT_T0_E_clISt17integral_constantIbLb0EESZ_EEDaSU_SV_EUlSU_E_NS1_11comp_targetILNS1_3genE2ELNS1_11target_archE906ELNS1_3gpuE6ELNS1_3repE0EEENS1_30default_config_static_selectorELNS0_4arch9wavefront6targetE1EEEvT1_,"axG",@progbits,_ZN7rocprim17ROCPRIM_400000_NS6detail17trampoline_kernelINS0_14default_configENS1_33run_length_encode_config_selectorIhjNS0_4plusIjEEEEZZNS1_33reduce_by_key_impl_wrapped_configILNS1_25lookback_scan_determinismE0ES3_S7_PKhNS0_17constant_iteratorIjlEEPhPlSF_S6_NS0_8equal_toIhEEEE10hipError_tPvRmT2_T3_mT4_T5_T6_T7_T8_P12ihipStream_tbENKUlT_T0_E_clISt17integral_constantIbLb0EESZ_EEDaSU_SV_EUlSU_E_NS1_11comp_targetILNS1_3genE2ELNS1_11target_archE906ELNS1_3gpuE6ELNS1_3repE0EEENS1_30default_config_static_selectorELNS0_4arch9wavefront6targetE1EEEvT1_,comdat
.Lfunc_end170:
	.size	_ZN7rocprim17ROCPRIM_400000_NS6detail17trampoline_kernelINS0_14default_configENS1_33run_length_encode_config_selectorIhjNS0_4plusIjEEEEZZNS1_33reduce_by_key_impl_wrapped_configILNS1_25lookback_scan_determinismE0ES3_S7_PKhNS0_17constant_iteratorIjlEEPhPlSF_S6_NS0_8equal_toIhEEEE10hipError_tPvRmT2_T3_mT4_T5_T6_T7_T8_P12ihipStream_tbENKUlT_T0_E_clISt17integral_constantIbLb0EESZ_EEDaSU_SV_EUlSU_E_NS1_11comp_targetILNS1_3genE2ELNS1_11target_archE906ELNS1_3gpuE6ELNS1_3repE0EEENS1_30default_config_static_selectorELNS0_4arch9wavefront6targetE1EEEvT1_, .Lfunc_end170-_ZN7rocprim17ROCPRIM_400000_NS6detail17trampoline_kernelINS0_14default_configENS1_33run_length_encode_config_selectorIhjNS0_4plusIjEEEEZZNS1_33reduce_by_key_impl_wrapped_configILNS1_25lookback_scan_determinismE0ES3_S7_PKhNS0_17constant_iteratorIjlEEPhPlSF_S6_NS0_8equal_toIhEEEE10hipError_tPvRmT2_T3_mT4_T5_T6_T7_T8_P12ihipStream_tbENKUlT_T0_E_clISt17integral_constantIbLb0EESZ_EEDaSU_SV_EUlSU_E_NS1_11comp_targetILNS1_3genE2ELNS1_11target_archE906ELNS1_3gpuE6ELNS1_3repE0EEENS1_30default_config_static_selectorELNS0_4arch9wavefront6targetE1EEEvT1_
                                        ; -- End function
	.section	.AMDGPU.csdata,"",@progbits
; Kernel info:
; codeLenInByte = 0
; NumSgprs: 6
; NumVgprs: 0
; NumAgprs: 0
; TotalNumVgprs: 0
; ScratchSize: 0
; MemoryBound: 0
; FloatMode: 240
; IeeeMode: 1
; LDSByteSize: 0 bytes/workgroup (compile time only)
; SGPRBlocks: 0
; VGPRBlocks: 0
; NumSGPRsForWavesPerEU: 6
; NumVGPRsForWavesPerEU: 1
; AccumOffset: 4
; Occupancy: 8
; WaveLimiterHint : 0
; COMPUTE_PGM_RSRC2:SCRATCH_EN: 0
; COMPUTE_PGM_RSRC2:USER_SGPR: 2
; COMPUTE_PGM_RSRC2:TRAP_HANDLER: 0
; COMPUTE_PGM_RSRC2:TGID_X_EN: 1
; COMPUTE_PGM_RSRC2:TGID_Y_EN: 0
; COMPUTE_PGM_RSRC2:TGID_Z_EN: 0
; COMPUTE_PGM_RSRC2:TIDIG_COMP_CNT: 0
; COMPUTE_PGM_RSRC3_GFX90A:ACCUM_OFFSET: 0
; COMPUTE_PGM_RSRC3_GFX90A:TG_SPLIT: 0
	.section	.text._ZN7rocprim17ROCPRIM_400000_NS6detail17trampoline_kernelINS0_14default_configENS1_33run_length_encode_config_selectorIhjNS0_4plusIjEEEEZZNS1_33reduce_by_key_impl_wrapped_configILNS1_25lookback_scan_determinismE0ES3_S7_PKhNS0_17constant_iteratorIjlEEPhPlSF_S6_NS0_8equal_toIhEEEE10hipError_tPvRmT2_T3_mT4_T5_T6_T7_T8_P12ihipStream_tbENKUlT_T0_E_clISt17integral_constantIbLb0EESZ_EEDaSU_SV_EUlSU_E_NS1_11comp_targetILNS1_3genE10ELNS1_11target_archE1201ELNS1_3gpuE5ELNS1_3repE0EEENS1_30default_config_static_selectorELNS0_4arch9wavefront6targetE1EEEvT1_,"axG",@progbits,_ZN7rocprim17ROCPRIM_400000_NS6detail17trampoline_kernelINS0_14default_configENS1_33run_length_encode_config_selectorIhjNS0_4plusIjEEEEZZNS1_33reduce_by_key_impl_wrapped_configILNS1_25lookback_scan_determinismE0ES3_S7_PKhNS0_17constant_iteratorIjlEEPhPlSF_S6_NS0_8equal_toIhEEEE10hipError_tPvRmT2_T3_mT4_T5_T6_T7_T8_P12ihipStream_tbENKUlT_T0_E_clISt17integral_constantIbLb0EESZ_EEDaSU_SV_EUlSU_E_NS1_11comp_targetILNS1_3genE10ELNS1_11target_archE1201ELNS1_3gpuE5ELNS1_3repE0EEENS1_30default_config_static_selectorELNS0_4arch9wavefront6targetE1EEEvT1_,comdat
	.protected	_ZN7rocprim17ROCPRIM_400000_NS6detail17trampoline_kernelINS0_14default_configENS1_33run_length_encode_config_selectorIhjNS0_4plusIjEEEEZZNS1_33reduce_by_key_impl_wrapped_configILNS1_25lookback_scan_determinismE0ES3_S7_PKhNS0_17constant_iteratorIjlEEPhPlSF_S6_NS0_8equal_toIhEEEE10hipError_tPvRmT2_T3_mT4_T5_T6_T7_T8_P12ihipStream_tbENKUlT_T0_E_clISt17integral_constantIbLb0EESZ_EEDaSU_SV_EUlSU_E_NS1_11comp_targetILNS1_3genE10ELNS1_11target_archE1201ELNS1_3gpuE5ELNS1_3repE0EEENS1_30default_config_static_selectorELNS0_4arch9wavefront6targetE1EEEvT1_ ; -- Begin function _ZN7rocprim17ROCPRIM_400000_NS6detail17trampoline_kernelINS0_14default_configENS1_33run_length_encode_config_selectorIhjNS0_4plusIjEEEEZZNS1_33reduce_by_key_impl_wrapped_configILNS1_25lookback_scan_determinismE0ES3_S7_PKhNS0_17constant_iteratorIjlEEPhPlSF_S6_NS0_8equal_toIhEEEE10hipError_tPvRmT2_T3_mT4_T5_T6_T7_T8_P12ihipStream_tbENKUlT_T0_E_clISt17integral_constantIbLb0EESZ_EEDaSU_SV_EUlSU_E_NS1_11comp_targetILNS1_3genE10ELNS1_11target_archE1201ELNS1_3gpuE5ELNS1_3repE0EEENS1_30default_config_static_selectorELNS0_4arch9wavefront6targetE1EEEvT1_
	.globl	_ZN7rocprim17ROCPRIM_400000_NS6detail17trampoline_kernelINS0_14default_configENS1_33run_length_encode_config_selectorIhjNS0_4plusIjEEEEZZNS1_33reduce_by_key_impl_wrapped_configILNS1_25lookback_scan_determinismE0ES3_S7_PKhNS0_17constant_iteratorIjlEEPhPlSF_S6_NS0_8equal_toIhEEEE10hipError_tPvRmT2_T3_mT4_T5_T6_T7_T8_P12ihipStream_tbENKUlT_T0_E_clISt17integral_constantIbLb0EESZ_EEDaSU_SV_EUlSU_E_NS1_11comp_targetILNS1_3genE10ELNS1_11target_archE1201ELNS1_3gpuE5ELNS1_3repE0EEENS1_30default_config_static_selectorELNS0_4arch9wavefront6targetE1EEEvT1_
	.p2align	8
	.type	_ZN7rocprim17ROCPRIM_400000_NS6detail17trampoline_kernelINS0_14default_configENS1_33run_length_encode_config_selectorIhjNS0_4plusIjEEEEZZNS1_33reduce_by_key_impl_wrapped_configILNS1_25lookback_scan_determinismE0ES3_S7_PKhNS0_17constant_iteratorIjlEEPhPlSF_S6_NS0_8equal_toIhEEEE10hipError_tPvRmT2_T3_mT4_T5_T6_T7_T8_P12ihipStream_tbENKUlT_T0_E_clISt17integral_constantIbLb0EESZ_EEDaSU_SV_EUlSU_E_NS1_11comp_targetILNS1_3genE10ELNS1_11target_archE1201ELNS1_3gpuE5ELNS1_3repE0EEENS1_30default_config_static_selectorELNS0_4arch9wavefront6targetE1EEEvT1_,@function
_ZN7rocprim17ROCPRIM_400000_NS6detail17trampoline_kernelINS0_14default_configENS1_33run_length_encode_config_selectorIhjNS0_4plusIjEEEEZZNS1_33reduce_by_key_impl_wrapped_configILNS1_25lookback_scan_determinismE0ES3_S7_PKhNS0_17constant_iteratorIjlEEPhPlSF_S6_NS0_8equal_toIhEEEE10hipError_tPvRmT2_T3_mT4_T5_T6_T7_T8_P12ihipStream_tbENKUlT_T0_E_clISt17integral_constantIbLb0EESZ_EEDaSU_SV_EUlSU_E_NS1_11comp_targetILNS1_3genE10ELNS1_11target_archE1201ELNS1_3gpuE5ELNS1_3repE0EEENS1_30default_config_static_selectorELNS0_4arch9wavefront6targetE1EEEvT1_: ; @_ZN7rocprim17ROCPRIM_400000_NS6detail17trampoline_kernelINS0_14default_configENS1_33run_length_encode_config_selectorIhjNS0_4plusIjEEEEZZNS1_33reduce_by_key_impl_wrapped_configILNS1_25lookback_scan_determinismE0ES3_S7_PKhNS0_17constant_iteratorIjlEEPhPlSF_S6_NS0_8equal_toIhEEEE10hipError_tPvRmT2_T3_mT4_T5_T6_T7_T8_P12ihipStream_tbENKUlT_T0_E_clISt17integral_constantIbLb0EESZ_EEDaSU_SV_EUlSU_E_NS1_11comp_targetILNS1_3genE10ELNS1_11target_archE1201ELNS1_3gpuE5ELNS1_3repE0EEENS1_30default_config_static_selectorELNS0_4arch9wavefront6targetE1EEEvT1_
; %bb.0:
	.section	.rodata,"a",@progbits
	.p2align	6, 0x0
	.amdhsa_kernel _ZN7rocprim17ROCPRIM_400000_NS6detail17trampoline_kernelINS0_14default_configENS1_33run_length_encode_config_selectorIhjNS0_4plusIjEEEEZZNS1_33reduce_by_key_impl_wrapped_configILNS1_25lookback_scan_determinismE0ES3_S7_PKhNS0_17constant_iteratorIjlEEPhPlSF_S6_NS0_8equal_toIhEEEE10hipError_tPvRmT2_T3_mT4_T5_T6_T7_T8_P12ihipStream_tbENKUlT_T0_E_clISt17integral_constantIbLb0EESZ_EEDaSU_SV_EUlSU_E_NS1_11comp_targetILNS1_3genE10ELNS1_11target_archE1201ELNS1_3gpuE5ELNS1_3repE0EEENS1_30default_config_static_selectorELNS0_4arch9wavefront6targetE1EEEvT1_
		.amdhsa_group_segment_fixed_size 0
		.amdhsa_private_segment_fixed_size 0
		.amdhsa_kernarg_size 128
		.amdhsa_user_sgpr_count 2
		.amdhsa_user_sgpr_dispatch_ptr 0
		.amdhsa_user_sgpr_queue_ptr 0
		.amdhsa_user_sgpr_kernarg_segment_ptr 1
		.amdhsa_user_sgpr_dispatch_id 0
		.amdhsa_user_sgpr_kernarg_preload_length 0
		.amdhsa_user_sgpr_kernarg_preload_offset 0
		.amdhsa_user_sgpr_private_segment_size 0
		.amdhsa_uses_dynamic_stack 0
		.amdhsa_enable_private_segment 0
		.amdhsa_system_sgpr_workgroup_id_x 1
		.amdhsa_system_sgpr_workgroup_id_y 0
		.amdhsa_system_sgpr_workgroup_id_z 0
		.amdhsa_system_sgpr_workgroup_info 0
		.amdhsa_system_vgpr_workitem_id 0
		.amdhsa_next_free_vgpr 1
		.amdhsa_next_free_sgpr 0
		.amdhsa_accum_offset 4
		.amdhsa_reserve_vcc 0
		.amdhsa_float_round_mode_32 0
		.amdhsa_float_round_mode_16_64 0
		.amdhsa_float_denorm_mode_32 3
		.amdhsa_float_denorm_mode_16_64 3
		.amdhsa_dx10_clamp 1
		.amdhsa_ieee_mode 1
		.amdhsa_fp16_overflow 0
		.amdhsa_tg_split 0
		.amdhsa_exception_fp_ieee_invalid_op 0
		.amdhsa_exception_fp_denorm_src 0
		.amdhsa_exception_fp_ieee_div_zero 0
		.amdhsa_exception_fp_ieee_overflow 0
		.amdhsa_exception_fp_ieee_underflow 0
		.amdhsa_exception_fp_ieee_inexact 0
		.amdhsa_exception_int_div_zero 0
	.end_amdhsa_kernel
	.section	.text._ZN7rocprim17ROCPRIM_400000_NS6detail17trampoline_kernelINS0_14default_configENS1_33run_length_encode_config_selectorIhjNS0_4plusIjEEEEZZNS1_33reduce_by_key_impl_wrapped_configILNS1_25lookback_scan_determinismE0ES3_S7_PKhNS0_17constant_iteratorIjlEEPhPlSF_S6_NS0_8equal_toIhEEEE10hipError_tPvRmT2_T3_mT4_T5_T6_T7_T8_P12ihipStream_tbENKUlT_T0_E_clISt17integral_constantIbLb0EESZ_EEDaSU_SV_EUlSU_E_NS1_11comp_targetILNS1_3genE10ELNS1_11target_archE1201ELNS1_3gpuE5ELNS1_3repE0EEENS1_30default_config_static_selectorELNS0_4arch9wavefront6targetE1EEEvT1_,"axG",@progbits,_ZN7rocprim17ROCPRIM_400000_NS6detail17trampoline_kernelINS0_14default_configENS1_33run_length_encode_config_selectorIhjNS0_4plusIjEEEEZZNS1_33reduce_by_key_impl_wrapped_configILNS1_25lookback_scan_determinismE0ES3_S7_PKhNS0_17constant_iteratorIjlEEPhPlSF_S6_NS0_8equal_toIhEEEE10hipError_tPvRmT2_T3_mT4_T5_T6_T7_T8_P12ihipStream_tbENKUlT_T0_E_clISt17integral_constantIbLb0EESZ_EEDaSU_SV_EUlSU_E_NS1_11comp_targetILNS1_3genE10ELNS1_11target_archE1201ELNS1_3gpuE5ELNS1_3repE0EEENS1_30default_config_static_selectorELNS0_4arch9wavefront6targetE1EEEvT1_,comdat
.Lfunc_end171:
	.size	_ZN7rocprim17ROCPRIM_400000_NS6detail17trampoline_kernelINS0_14default_configENS1_33run_length_encode_config_selectorIhjNS0_4plusIjEEEEZZNS1_33reduce_by_key_impl_wrapped_configILNS1_25lookback_scan_determinismE0ES3_S7_PKhNS0_17constant_iteratorIjlEEPhPlSF_S6_NS0_8equal_toIhEEEE10hipError_tPvRmT2_T3_mT4_T5_T6_T7_T8_P12ihipStream_tbENKUlT_T0_E_clISt17integral_constantIbLb0EESZ_EEDaSU_SV_EUlSU_E_NS1_11comp_targetILNS1_3genE10ELNS1_11target_archE1201ELNS1_3gpuE5ELNS1_3repE0EEENS1_30default_config_static_selectorELNS0_4arch9wavefront6targetE1EEEvT1_, .Lfunc_end171-_ZN7rocprim17ROCPRIM_400000_NS6detail17trampoline_kernelINS0_14default_configENS1_33run_length_encode_config_selectorIhjNS0_4plusIjEEEEZZNS1_33reduce_by_key_impl_wrapped_configILNS1_25lookback_scan_determinismE0ES3_S7_PKhNS0_17constant_iteratorIjlEEPhPlSF_S6_NS0_8equal_toIhEEEE10hipError_tPvRmT2_T3_mT4_T5_T6_T7_T8_P12ihipStream_tbENKUlT_T0_E_clISt17integral_constantIbLb0EESZ_EEDaSU_SV_EUlSU_E_NS1_11comp_targetILNS1_3genE10ELNS1_11target_archE1201ELNS1_3gpuE5ELNS1_3repE0EEENS1_30default_config_static_selectorELNS0_4arch9wavefront6targetE1EEEvT1_
                                        ; -- End function
	.section	.AMDGPU.csdata,"",@progbits
; Kernel info:
; codeLenInByte = 0
; NumSgprs: 6
; NumVgprs: 0
; NumAgprs: 0
; TotalNumVgprs: 0
; ScratchSize: 0
; MemoryBound: 0
; FloatMode: 240
; IeeeMode: 1
; LDSByteSize: 0 bytes/workgroup (compile time only)
; SGPRBlocks: 0
; VGPRBlocks: 0
; NumSGPRsForWavesPerEU: 6
; NumVGPRsForWavesPerEU: 1
; AccumOffset: 4
; Occupancy: 8
; WaveLimiterHint : 0
; COMPUTE_PGM_RSRC2:SCRATCH_EN: 0
; COMPUTE_PGM_RSRC2:USER_SGPR: 2
; COMPUTE_PGM_RSRC2:TRAP_HANDLER: 0
; COMPUTE_PGM_RSRC2:TGID_X_EN: 1
; COMPUTE_PGM_RSRC2:TGID_Y_EN: 0
; COMPUTE_PGM_RSRC2:TGID_Z_EN: 0
; COMPUTE_PGM_RSRC2:TIDIG_COMP_CNT: 0
; COMPUTE_PGM_RSRC3_GFX90A:ACCUM_OFFSET: 0
; COMPUTE_PGM_RSRC3_GFX90A:TG_SPLIT: 0
	.section	.text._ZN7rocprim17ROCPRIM_400000_NS6detail17trampoline_kernelINS0_14default_configENS1_33run_length_encode_config_selectorIhjNS0_4plusIjEEEEZZNS1_33reduce_by_key_impl_wrapped_configILNS1_25lookback_scan_determinismE0ES3_S7_PKhNS0_17constant_iteratorIjlEEPhPlSF_S6_NS0_8equal_toIhEEEE10hipError_tPvRmT2_T3_mT4_T5_T6_T7_T8_P12ihipStream_tbENKUlT_T0_E_clISt17integral_constantIbLb0EESZ_EEDaSU_SV_EUlSU_E_NS1_11comp_targetILNS1_3genE10ELNS1_11target_archE1200ELNS1_3gpuE4ELNS1_3repE0EEENS1_30default_config_static_selectorELNS0_4arch9wavefront6targetE1EEEvT1_,"axG",@progbits,_ZN7rocprim17ROCPRIM_400000_NS6detail17trampoline_kernelINS0_14default_configENS1_33run_length_encode_config_selectorIhjNS0_4plusIjEEEEZZNS1_33reduce_by_key_impl_wrapped_configILNS1_25lookback_scan_determinismE0ES3_S7_PKhNS0_17constant_iteratorIjlEEPhPlSF_S6_NS0_8equal_toIhEEEE10hipError_tPvRmT2_T3_mT4_T5_T6_T7_T8_P12ihipStream_tbENKUlT_T0_E_clISt17integral_constantIbLb0EESZ_EEDaSU_SV_EUlSU_E_NS1_11comp_targetILNS1_3genE10ELNS1_11target_archE1200ELNS1_3gpuE4ELNS1_3repE0EEENS1_30default_config_static_selectorELNS0_4arch9wavefront6targetE1EEEvT1_,comdat
	.protected	_ZN7rocprim17ROCPRIM_400000_NS6detail17trampoline_kernelINS0_14default_configENS1_33run_length_encode_config_selectorIhjNS0_4plusIjEEEEZZNS1_33reduce_by_key_impl_wrapped_configILNS1_25lookback_scan_determinismE0ES3_S7_PKhNS0_17constant_iteratorIjlEEPhPlSF_S6_NS0_8equal_toIhEEEE10hipError_tPvRmT2_T3_mT4_T5_T6_T7_T8_P12ihipStream_tbENKUlT_T0_E_clISt17integral_constantIbLb0EESZ_EEDaSU_SV_EUlSU_E_NS1_11comp_targetILNS1_3genE10ELNS1_11target_archE1200ELNS1_3gpuE4ELNS1_3repE0EEENS1_30default_config_static_selectorELNS0_4arch9wavefront6targetE1EEEvT1_ ; -- Begin function _ZN7rocprim17ROCPRIM_400000_NS6detail17trampoline_kernelINS0_14default_configENS1_33run_length_encode_config_selectorIhjNS0_4plusIjEEEEZZNS1_33reduce_by_key_impl_wrapped_configILNS1_25lookback_scan_determinismE0ES3_S7_PKhNS0_17constant_iteratorIjlEEPhPlSF_S6_NS0_8equal_toIhEEEE10hipError_tPvRmT2_T3_mT4_T5_T6_T7_T8_P12ihipStream_tbENKUlT_T0_E_clISt17integral_constantIbLb0EESZ_EEDaSU_SV_EUlSU_E_NS1_11comp_targetILNS1_3genE10ELNS1_11target_archE1200ELNS1_3gpuE4ELNS1_3repE0EEENS1_30default_config_static_selectorELNS0_4arch9wavefront6targetE1EEEvT1_
	.globl	_ZN7rocprim17ROCPRIM_400000_NS6detail17trampoline_kernelINS0_14default_configENS1_33run_length_encode_config_selectorIhjNS0_4plusIjEEEEZZNS1_33reduce_by_key_impl_wrapped_configILNS1_25lookback_scan_determinismE0ES3_S7_PKhNS0_17constant_iteratorIjlEEPhPlSF_S6_NS0_8equal_toIhEEEE10hipError_tPvRmT2_T3_mT4_T5_T6_T7_T8_P12ihipStream_tbENKUlT_T0_E_clISt17integral_constantIbLb0EESZ_EEDaSU_SV_EUlSU_E_NS1_11comp_targetILNS1_3genE10ELNS1_11target_archE1200ELNS1_3gpuE4ELNS1_3repE0EEENS1_30default_config_static_selectorELNS0_4arch9wavefront6targetE1EEEvT1_
	.p2align	8
	.type	_ZN7rocprim17ROCPRIM_400000_NS6detail17trampoline_kernelINS0_14default_configENS1_33run_length_encode_config_selectorIhjNS0_4plusIjEEEEZZNS1_33reduce_by_key_impl_wrapped_configILNS1_25lookback_scan_determinismE0ES3_S7_PKhNS0_17constant_iteratorIjlEEPhPlSF_S6_NS0_8equal_toIhEEEE10hipError_tPvRmT2_T3_mT4_T5_T6_T7_T8_P12ihipStream_tbENKUlT_T0_E_clISt17integral_constantIbLb0EESZ_EEDaSU_SV_EUlSU_E_NS1_11comp_targetILNS1_3genE10ELNS1_11target_archE1200ELNS1_3gpuE4ELNS1_3repE0EEENS1_30default_config_static_selectorELNS0_4arch9wavefront6targetE1EEEvT1_,@function
_ZN7rocprim17ROCPRIM_400000_NS6detail17trampoline_kernelINS0_14default_configENS1_33run_length_encode_config_selectorIhjNS0_4plusIjEEEEZZNS1_33reduce_by_key_impl_wrapped_configILNS1_25lookback_scan_determinismE0ES3_S7_PKhNS0_17constant_iteratorIjlEEPhPlSF_S6_NS0_8equal_toIhEEEE10hipError_tPvRmT2_T3_mT4_T5_T6_T7_T8_P12ihipStream_tbENKUlT_T0_E_clISt17integral_constantIbLb0EESZ_EEDaSU_SV_EUlSU_E_NS1_11comp_targetILNS1_3genE10ELNS1_11target_archE1200ELNS1_3gpuE4ELNS1_3repE0EEENS1_30default_config_static_selectorELNS0_4arch9wavefront6targetE1EEEvT1_: ; @_ZN7rocprim17ROCPRIM_400000_NS6detail17trampoline_kernelINS0_14default_configENS1_33run_length_encode_config_selectorIhjNS0_4plusIjEEEEZZNS1_33reduce_by_key_impl_wrapped_configILNS1_25lookback_scan_determinismE0ES3_S7_PKhNS0_17constant_iteratorIjlEEPhPlSF_S6_NS0_8equal_toIhEEEE10hipError_tPvRmT2_T3_mT4_T5_T6_T7_T8_P12ihipStream_tbENKUlT_T0_E_clISt17integral_constantIbLb0EESZ_EEDaSU_SV_EUlSU_E_NS1_11comp_targetILNS1_3genE10ELNS1_11target_archE1200ELNS1_3gpuE4ELNS1_3repE0EEENS1_30default_config_static_selectorELNS0_4arch9wavefront6targetE1EEEvT1_
; %bb.0:
	.section	.rodata,"a",@progbits
	.p2align	6, 0x0
	.amdhsa_kernel _ZN7rocprim17ROCPRIM_400000_NS6detail17trampoline_kernelINS0_14default_configENS1_33run_length_encode_config_selectorIhjNS0_4plusIjEEEEZZNS1_33reduce_by_key_impl_wrapped_configILNS1_25lookback_scan_determinismE0ES3_S7_PKhNS0_17constant_iteratorIjlEEPhPlSF_S6_NS0_8equal_toIhEEEE10hipError_tPvRmT2_T3_mT4_T5_T6_T7_T8_P12ihipStream_tbENKUlT_T0_E_clISt17integral_constantIbLb0EESZ_EEDaSU_SV_EUlSU_E_NS1_11comp_targetILNS1_3genE10ELNS1_11target_archE1200ELNS1_3gpuE4ELNS1_3repE0EEENS1_30default_config_static_selectorELNS0_4arch9wavefront6targetE1EEEvT1_
		.amdhsa_group_segment_fixed_size 0
		.amdhsa_private_segment_fixed_size 0
		.amdhsa_kernarg_size 128
		.amdhsa_user_sgpr_count 2
		.amdhsa_user_sgpr_dispatch_ptr 0
		.amdhsa_user_sgpr_queue_ptr 0
		.amdhsa_user_sgpr_kernarg_segment_ptr 1
		.amdhsa_user_sgpr_dispatch_id 0
		.amdhsa_user_sgpr_kernarg_preload_length 0
		.amdhsa_user_sgpr_kernarg_preload_offset 0
		.amdhsa_user_sgpr_private_segment_size 0
		.amdhsa_uses_dynamic_stack 0
		.amdhsa_enable_private_segment 0
		.amdhsa_system_sgpr_workgroup_id_x 1
		.amdhsa_system_sgpr_workgroup_id_y 0
		.amdhsa_system_sgpr_workgroup_id_z 0
		.amdhsa_system_sgpr_workgroup_info 0
		.amdhsa_system_vgpr_workitem_id 0
		.amdhsa_next_free_vgpr 1
		.amdhsa_next_free_sgpr 0
		.amdhsa_accum_offset 4
		.amdhsa_reserve_vcc 0
		.amdhsa_float_round_mode_32 0
		.amdhsa_float_round_mode_16_64 0
		.amdhsa_float_denorm_mode_32 3
		.amdhsa_float_denorm_mode_16_64 3
		.amdhsa_dx10_clamp 1
		.amdhsa_ieee_mode 1
		.amdhsa_fp16_overflow 0
		.amdhsa_tg_split 0
		.amdhsa_exception_fp_ieee_invalid_op 0
		.amdhsa_exception_fp_denorm_src 0
		.amdhsa_exception_fp_ieee_div_zero 0
		.amdhsa_exception_fp_ieee_overflow 0
		.amdhsa_exception_fp_ieee_underflow 0
		.amdhsa_exception_fp_ieee_inexact 0
		.amdhsa_exception_int_div_zero 0
	.end_amdhsa_kernel
	.section	.text._ZN7rocprim17ROCPRIM_400000_NS6detail17trampoline_kernelINS0_14default_configENS1_33run_length_encode_config_selectorIhjNS0_4plusIjEEEEZZNS1_33reduce_by_key_impl_wrapped_configILNS1_25lookback_scan_determinismE0ES3_S7_PKhNS0_17constant_iteratorIjlEEPhPlSF_S6_NS0_8equal_toIhEEEE10hipError_tPvRmT2_T3_mT4_T5_T6_T7_T8_P12ihipStream_tbENKUlT_T0_E_clISt17integral_constantIbLb0EESZ_EEDaSU_SV_EUlSU_E_NS1_11comp_targetILNS1_3genE10ELNS1_11target_archE1200ELNS1_3gpuE4ELNS1_3repE0EEENS1_30default_config_static_selectorELNS0_4arch9wavefront6targetE1EEEvT1_,"axG",@progbits,_ZN7rocprim17ROCPRIM_400000_NS6detail17trampoline_kernelINS0_14default_configENS1_33run_length_encode_config_selectorIhjNS0_4plusIjEEEEZZNS1_33reduce_by_key_impl_wrapped_configILNS1_25lookback_scan_determinismE0ES3_S7_PKhNS0_17constant_iteratorIjlEEPhPlSF_S6_NS0_8equal_toIhEEEE10hipError_tPvRmT2_T3_mT4_T5_T6_T7_T8_P12ihipStream_tbENKUlT_T0_E_clISt17integral_constantIbLb0EESZ_EEDaSU_SV_EUlSU_E_NS1_11comp_targetILNS1_3genE10ELNS1_11target_archE1200ELNS1_3gpuE4ELNS1_3repE0EEENS1_30default_config_static_selectorELNS0_4arch9wavefront6targetE1EEEvT1_,comdat
.Lfunc_end172:
	.size	_ZN7rocprim17ROCPRIM_400000_NS6detail17trampoline_kernelINS0_14default_configENS1_33run_length_encode_config_selectorIhjNS0_4plusIjEEEEZZNS1_33reduce_by_key_impl_wrapped_configILNS1_25lookback_scan_determinismE0ES3_S7_PKhNS0_17constant_iteratorIjlEEPhPlSF_S6_NS0_8equal_toIhEEEE10hipError_tPvRmT2_T3_mT4_T5_T6_T7_T8_P12ihipStream_tbENKUlT_T0_E_clISt17integral_constantIbLb0EESZ_EEDaSU_SV_EUlSU_E_NS1_11comp_targetILNS1_3genE10ELNS1_11target_archE1200ELNS1_3gpuE4ELNS1_3repE0EEENS1_30default_config_static_selectorELNS0_4arch9wavefront6targetE1EEEvT1_, .Lfunc_end172-_ZN7rocprim17ROCPRIM_400000_NS6detail17trampoline_kernelINS0_14default_configENS1_33run_length_encode_config_selectorIhjNS0_4plusIjEEEEZZNS1_33reduce_by_key_impl_wrapped_configILNS1_25lookback_scan_determinismE0ES3_S7_PKhNS0_17constant_iteratorIjlEEPhPlSF_S6_NS0_8equal_toIhEEEE10hipError_tPvRmT2_T3_mT4_T5_T6_T7_T8_P12ihipStream_tbENKUlT_T0_E_clISt17integral_constantIbLb0EESZ_EEDaSU_SV_EUlSU_E_NS1_11comp_targetILNS1_3genE10ELNS1_11target_archE1200ELNS1_3gpuE4ELNS1_3repE0EEENS1_30default_config_static_selectorELNS0_4arch9wavefront6targetE1EEEvT1_
                                        ; -- End function
	.section	.AMDGPU.csdata,"",@progbits
; Kernel info:
; codeLenInByte = 0
; NumSgprs: 6
; NumVgprs: 0
; NumAgprs: 0
; TotalNumVgprs: 0
; ScratchSize: 0
; MemoryBound: 0
; FloatMode: 240
; IeeeMode: 1
; LDSByteSize: 0 bytes/workgroup (compile time only)
; SGPRBlocks: 0
; VGPRBlocks: 0
; NumSGPRsForWavesPerEU: 6
; NumVGPRsForWavesPerEU: 1
; AccumOffset: 4
; Occupancy: 8
; WaveLimiterHint : 0
; COMPUTE_PGM_RSRC2:SCRATCH_EN: 0
; COMPUTE_PGM_RSRC2:USER_SGPR: 2
; COMPUTE_PGM_RSRC2:TRAP_HANDLER: 0
; COMPUTE_PGM_RSRC2:TGID_X_EN: 1
; COMPUTE_PGM_RSRC2:TGID_Y_EN: 0
; COMPUTE_PGM_RSRC2:TGID_Z_EN: 0
; COMPUTE_PGM_RSRC2:TIDIG_COMP_CNT: 0
; COMPUTE_PGM_RSRC3_GFX90A:ACCUM_OFFSET: 0
; COMPUTE_PGM_RSRC3_GFX90A:TG_SPLIT: 0
	.section	.text._ZN7rocprim17ROCPRIM_400000_NS6detail17trampoline_kernelINS0_14default_configENS1_33run_length_encode_config_selectorIhjNS0_4plusIjEEEEZZNS1_33reduce_by_key_impl_wrapped_configILNS1_25lookback_scan_determinismE0ES3_S7_PKhNS0_17constant_iteratorIjlEEPhPlSF_S6_NS0_8equal_toIhEEEE10hipError_tPvRmT2_T3_mT4_T5_T6_T7_T8_P12ihipStream_tbENKUlT_T0_E_clISt17integral_constantIbLb0EESZ_EEDaSU_SV_EUlSU_E_NS1_11comp_targetILNS1_3genE9ELNS1_11target_archE1100ELNS1_3gpuE3ELNS1_3repE0EEENS1_30default_config_static_selectorELNS0_4arch9wavefront6targetE1EEEvT1_,"axG",@progbits,_ZN7rocprim17ROCPRIM_400000_NS6detail17trampoline_kernelINS0_14default_configENS1_33run_length_encode_config_selectorIhjNS0_4plusIjEEEEZZNS1_33reduce_by_key_impl_wrapped_configILNS1_25lookback_scan_determinismE0ES3_S7_PKhNS0_17constant_iteratorIjlEEPhPlSF_S6_NS0_8equal_toIhEEEE10hipError_tPvRmT2_T3_mT4_T5_T6_T7_T8_P12ihipStream_tbENKUlT_T0_E_clISt17integral_constantIbLb0EESZ_EEDaSU_SV_EUlSU_E_NS1_11comp_targetILNS1_3genE9ELNS1_11target_archE1100ELNS1_3gpuE3ELNS1_3repE0EEENS1_30default_config_static_selectorELNS0_4arch9wavefront6targetE1EEEvT1_,comdat
	.protected	_ZN7rocprim17ROCPRIM_400000_NS6detail17trampoline_kernelINS0_14default_configENS1_33run_length_encode_config_selectorIhjNS0_4plusIjEEEEZZNS1_33reduce_by_key_impl_wrapped_configILNS1_25lookback_scan_determinismE0ES3_S7_PKhNS0_17constant_iteratorIjlEEPhPlSF_S6_NS0_8equal_toIhEEEE10hipError_tPvRmT2_T3_mT4_T5_T6_T7_T8_P12ihipStream_tbENKUlT_T0_E_clISt17integral_constantIbLb0EESZ_EEDaSU_SV_EUlSU_E_NS1_11comp_targetILNS1_3genE9ELNS1_11target_archE1100ELNS1_3gpuE3ELNS1_3repE0EEENS1_30default_config_static_selectorELNS0_4arch9wavefront6targetE1EEEvT1_ ; -- Begin function _ZN7rocprim17ROCPRIM_400000_NS6detail17trampoline_kernelINS0_14default_configENS1_33run_length_encode_config_selectorIhjNS0_4plusIjEEEEZZNS1_33reduce_by_key_impl_wrapped_configILNS1_25lookback_scan_determinismE0ES3_S7_PKhNS0_17constant_iteratorIjlEEPhPlSF_S6_NS0_8equal_toIhEEEE10hipError_tPvRmT2_T3_mT4_T5_T6_T7_T8_P12ihipStream_tbENKUlT_T0_E_clISt17integral_constantIbLb0EESZ_EEDaSU_SV_EUlSU_E_NS1_11comp_targetILNS1_3genE9ELNS1_11target_archE1100ELNS1_3gpuE3ELNS1_3repE0EEENS1_30default_config_static_selectorELNS0_4arch9wavefront6targetE1EEEvT1_
	.globl	_ZN7rocprim17ROCPRIM_400000_NS6detail17trampoline_kernelINS0_14default_configENS1_33run_length_encode_config_selectorIhjNS0_4plusIjEEEEZZNS1_33reduce_by_key_impl_wrapped_configILNS1_25lookback_scan_determinismE0ES3_S7_PKhNS0_17constant_iteratorIjlEEPhPlSF_S6_NS0_8equal_toIhEEEE10hipError_tPvRmT2_T3_mT4_T5_T6_T7_T8_P12ihipStream_tbENKUlT_T0_E_clISt17integral_constantIbLb0EESZ_EEDaSU_SV_EUlSU_E_NS1_11comp_targetILNS1_3genE9ELNS1_11target_archE1100ELNS1_3gpuE3ELNS1_3repE0EEENS1_30default_config_static_selectorELNS0_4arch9wavefront6targetE1EEEvT1_
	.p2align	8
	.type	_ZN7rocprim17ROCPRIM_400000_NS6detail17trampoline_kernelINS0_14default_configENS1_33run_length_encode_config_selectorIhjNS0_4plusIjEEEEZZNS1_33reduce_by_key_impl_wrapped_configILNS1_25lookback_scan_determinismE0ES3_S7_PKhNS0_17constant_iteratorIjlEEPhPlSF_S6_NS0_8equal_toIhEEEE10hipError_tPvRmT2_T3_mT4_T5_T6_T7_T8_P12ihipStream_tbENKUlT_T0_E_clISt17integral_constantIbLb0EESZ_EEDaSU_SV_EUlSU_E_NS1_11comp_targetILNS1_3genE9ELNS1_11target_archE1100ELNS1_3gpuE3ELNS1_3repE0EEENS1_30default_config_static_selectorELNS0_4arch9wavefront6targetE1EEEvT1_,@function
_ZN7rocprim17ROCPRIM_400000_NS6detail17trampoline_kernelINS0_14default_configENS1_33run_length_encode_config_selectorIhjNS0_4plusIjEEEEZZNS1_33reduce_by_key_impl_wrapped_configILNS1_25lookback_scan_determinismE0ES3_S7_PKhNS0_17constant_iteratorIjlEEPhPlSF_S6_NS0_8equal_toIhEEEE10hipError_tPvRmT2_T3_mT4_T5_T6_T7_T8_P12ihipStream_tbENKUlT_T0_E_clISt17integral_constantIbLb0EESZ_EEDaSU_SV_EUlSU_E_NS1_11comp_targetILNS1_3genE9ELNS1_11target_archE1100ELNS1_3gpuE3ELNS1_3repE0EEENS1_30default_config_static_selectorELNS0_4arch9wavefront6targetE1EEEvT1_: ; @_ZN7rocprim17ROCPRIM_400000_NS6detail17trampoline_kernelINS0_14default_configENS1_33run_length_encode_config_selectorIhjNS0_4plusIjEEEEZZNS1_33reduce_by_key_impl_wrapped_configILNS1_25lookback_scan_determinismE0ES3_S7_PKhNS0_17constant_iteratorIjlEEPhPlSF_S6_NS0_8equal_toIhEEEE10hipError_tPvRmT2_T3_mT4_T5_T6_T7_T8_P12ihipStream_tbENKUlT_T0_E_clISt17integral_constantIbLb0EESZ_EEDaSU_SV_EUlSU_E_NS1_11comp_targetILNS1_3genE9ELNS1_11target_archE1100ELNS1_3gpuE3ELNS1_3repE0EEENS1_30default_config_static_selectorELNS0_4arch9wavefront6targetE1EEEvT1_
; %bb.0:
	.section	.rodata,"a",@progbits
	.p2align	6, 0x0
	.amdhsa_kernel _ZN7rocprim17ROCPRIM_400000_NS6detail17trampoline_kernelINS0_14default_configENS1_33run_length_encode_config_selectorIhjNS0_4plusIjEEEEZZNS1_33reduce_by_key_impl_wrapped_configILNS1_25lookback_scan_determinismE0ES3_S7_PKhNS0_17constant_iteratorIjlEEPhPlSF_S6_NS0_8equal_toIhEEEE10hipError_tPvRmT2_T3_mT4_T5_T6_T7_T8_P12ihipStream_tbENKUlT_T0_E_clISt17integral_constantIbLb0EESZ_EEDaSU_SV_EUlSU_E_NS1_11comp_targetILNS1_3genE9ELNS1_11target_archE1100ELNS1_3gpuE3ELNS1_3repE0EEENS1_30default_config_static_selectorELNS0_4arch9wavefront6targetE1EEEvT1_
		.amdhsa_group_segment_fixed_size 0
		.amdhsa_private_segment_fixed_size 0
		.amdhsa_kernarg_size 128
		.amdhsa_user_sgpr_count 2
		.amdhsa_user_sgpr_dispatch_ptr 0
		.amdhsa_user_sgpr_queue_ptr 0
		.amdhsa_user_sgpr_kernarg_segment_ptr 1
		.amdhsa_user_sgpr_dispatch_id 0
		.amdhsa_user_sgpr_kernarg_preload_length 0
		.amdhsa_user_sgpr_kernarg_preload_offset 0
		.amdhsa_user_sgpr_private_segment_size 0
		.amdhsa_uses_dynamic_stack 0
		.amdhsa_enable_private_segment 0
		.amdhsa_system_sgpr_workgroup_id_x 1
		.amdhsa_system_sgpr_workgroup_id_y 0
		.amdhsa_system_sgpr_workgroup_id_z 0
		.amdhsa_system_sgpr_workgroup_info 0
		.amdhsa_system_vgpr_workitem_id 0
		.amdhsa_next_free_vgpr 1
		.amdhsa_next_free_sgpr 0
		.amdhsa_accum_offset 4
		.amdhsa_reserve_vcc 0
		.amdhsa_float_round_mode_32 0
		.amdhsa_float_round_mode_16_64 0
		.amdhsa_float_denorm_mode_32 3
		.amdhsa_float_denorm_mode_16_64 3
		.amdhsa_dx10_clamp 1
		.amdhsa_ieee_mode 1
		.amdhsa_fp16_overflow 0
		.amdhsa_tg_split 0
		.amdhsa_exception_fp_ieee_invalid_op 0
		.amdhsa_exception_fp_denorm_src 0
		.amdhsa_exception_fp_ieee_div_zero 0
		.amdhsa_exception_fp_ieee_overflow 0
		.amdhsa_exception_fp_ieee_underflow 0
		.amdhsa_exception_fp_ieee_inexact 0
		.amdhsa_exception_int_div_zero 0
	.end_amdhsa_kernel
	.section	.text._ZN7rocprim17ROCPRIM_400000_NS6detail17trampoline_kernelINS0_14default_configENS1_33run_length_encode_config_selectorIhjNS0_4plusIjEEEEZZNS1_33reduce_by_key_impl_wrapped_configILNS1_25lookback_scan_determinismE0ES3_S7_PKhNS0_17constant_iteratorIjlEEPhPlSF_S6_NS0_8equal_toIhEEEE10hipError_tPvRmT2_T3_mT4_T5_T6_T7_T8_P12ihipStream_tbENKUlT_T0_E_clISt17integral_constantIbLb0EESZ_EEDaSU_SV_EUlSU_E_NS1_11comp_targetILNS1_3genE9ELNS1_11target_archE1100ELNS1_3gpuE3ELNS1_3repE0EEENS1_30default_config_static_selectorELNS0_4arch9wavefront6targetE1EEEvT1_,"axG",@progbits,_ZN7rocprim17ROCPRIM_400000_NS6detail17trampoline_kernelINS0_14default_configENS1_33run_length_encode_config_selectorIhjNS0_4plusIjEEEEZZNS1_33reduce_by_key_impl_wrapped_configILNS1_25lookback_scan_determinismE0ES3_S7_PKhNS0_17constant_iteratorIjlEEPhPlSF_S6_NS0_8equal_toIhEEEE10hipError_tPvRmT2_T3_mT4_T5_T6_T7_T8_P12ihipStream_tbENKUlT_T0_E_clISt17integral_constantIbLb0EESZ_EEDaSU_SV_EUlSU_E_NS1_11comp_targetILNS1_3genE9ELNS1_11target_archE1100ELNS1_3gpuE3ELNS1_3repE0EEENS1_30default_config_static_selectorELNS0_4arch9wavefront6targetE1EEEvT1_,comdat
.Lfunc_end173:
	.size	_ZN7rocprim17ROCPRIM_400000_NS6detail17trampoline_kernelINS0_14default_configENS1_33run_length_encode_config_selectorIhjNS0_4plusIjEEEEZZNS1_33reduce_by_key_impl_wrapped_configILNS1_25lookback_scan_determinismE0ES3_S7_PKhNS0_17constant_iteratorIjlEEPhPlSF_S6_NS0_8equal_toIhEEEE10hipError_tPvRmT2_T3_mT4_T5_T6_T7_T8_P12ihipStream_tbENKUlT_T0_E_clISt17integral_constantIbLb0EESZ_EEDaSU_SV_EUlSU_E_NS1_11comp_targetILNS1_3genE9ELNS1_11target_archE1100ELNS1_3gpuE3ELNS1_3repE0EEENS1_30default_config_static_selectorELNS0_4arch9wavefront6targetE1EEEvT1_, .Lfunc_end173-_ZN7rocprim17ROCPRIM_400000_NS6detail17trampoline_kernelINS0_14default_configENS1_33run_length_encode_config_selectorIhjNS0_4plusIjEEEEZZNS1_33reduce_by_key_impl_wrapped_configILNS1_25lookback_scan_determinismE0ES3_S7_PKhNS0_17constant_iteratorIjlEEPhPlSF_S6_NS0_8equal_toIhEEEE10hipError_tPvRmT2_T3_mT4_T5_T6_T7_T8_P12ihipStream_tbENKUlT_T0_E_clISt17integral_constantIbLb0EESZ_EEDaSU_SV_EUlSU_E_NS1_11comp_targetILNS1_3genE9ELNS1_11target_archE1100ELNS1_3gpuE3ELNS1_3repE0EEENS1_30default_config_static_selectorELNS0_4arch9wavefront6targetE1EEEvT1_
                                        ; -- End function
	.section	.AMDGPU.csdata,"",@progbits
; Kernel info:
; codeLenInByte = 0
; NumSgprs: 6
; NumVgprs: 0
; NumAgprs: 0
; TotalNumVgprs: 0
; ScratchSize: 0
; MemoryBound: 0
; FloatMode: 240
; IeeeMode: 1
; LDSByteSize: 0 bytes/workgroup (compile time only)
; SGPRBlocks: 0
; VGPRBlocks: 0
; NumSGPRsForWavesPerEU: 6
; NumVGPRsForWavesPerEU: 1
; AccumOffset: 4
; Occupancy: 8
; WaveLimiterHint : 0
; COMPUTE_PGM_RSRC2:SCRATCH_EN: 0
; COMPUTE_PGM_RSRC2:USER_SGPR: 2
; COMPUTE_PGM_RSRC2:TRAP_HANDLER: 0
; COMPUTE_PGM_RSRC2:TGID_X_EN: 1
; COMPUTE_PGM_RSRC2:TGID_Y_EN: 0
; COMPUTE_PGM_RSRC2:TGID_Z_EN: 0
; COMPUTE_PGM_RSRC2:TIDIG_COMP_CNT: 0
; COMPUTE_PGM_RSRC3_GFX90A:ACCUM_OFFSET: 0
; COMPUTE_PGM_RSRC3_GFX90A:TG_SPLIT: 0
	.section	.text._ZN7rocprim17ROCPRIM_400000_NS6detail17trampoline_kernelINS0_14default_configENS1_33run_length_encode_config_selectorIhjNS0_4plusIjEEEEZZNS1_33reduce_by_key_impl_wrapped_configILNS1_25lookback_scan_determinismE0ES3_S7_PKhNS0_17constant_iteratorIjlEEPhPlSF_S6_NS0_8equal_toIhEEEE10hipError_tPvRmT2_T3_mT4_T5_T6_T7_T8_P12ihipStream_tbENKUlT_T0_E_clISt17integral_constantIbLb0EESZ_EEDaSU_SV_EUlSU_E_NS1_11comp_targetILNS1_3genE8ELNS1_11target_archE1030ELNS1_3gpuE2ELNS1_3repE0EEENS1_30default_config_static_selectorELNS0_4arch9wavefront6targetE1EEEvT1_,"axG",@progbits,_ZN7rocprim17ROCPRIM_400000_NS6detail17trampoline_kernelINS0_14default_configENS1_33run_length_encode_config_selectorIhjNS0_4plusIjEEEEZZNS1_33reduce_by_key_impl_wrapped_configILNS1_25lookback_scan_determinismE0ES3_S7_PKhNS0_17constant_iteratorIjlEEPhPlSF_S6_NS0_8equal_toIhEEEE10hipError_tPvRmT2_T3_mT4_T5_T6_T7_T8_P12ihipStream_tbENKUlT_T0_E_clISt17integral_constantIbLb0EESZ_EEDaSU_SV_EUlSU_E_NS1_11comp_targetILNS1_3genE8ELNS1_11target_archE1030ELNS1_3gpuE2ELNS1_3repE0EEENS1_30default_config_static_selectorELNS0_4arch9wavefront6targetE1EEEvT1_,comdat
	.protected	_ZN7rocprim17ROCPRIM_400000_NS6detail17trampoline_kernelINS0_14default_configENS1_33run_length_encode_config_selectorIhjNS0_4plusIjEEEEZZNS1_33reduce_by_key_impl_wrapped_configILNS1_25lookback_scan_determinismE0ES3_S7_PKhNS0_17constant_iteratorIjlEEPhPlSF_S6_NS0_8equal_toIhEEEE10hipError_tPvRmT2_T3_mT4_T5_T6_T7_T8_P12ihipStream_tbENKUlT_T0_E_clISt17integral_constantIbLb0EESZ_EEDaSU_SV_EUlSU_E_NS1_11comp_targetILNS1_3genE8ELNS1_11target_archE1030ELNS1_3gpuE2ELNS1_3repE0EEENS1_30default_config_static_selectorELNS0_4arch9wavefront6targetE1EEEvT1_ ; -- Begin function _ZN7rocprim17ROCPRIM_400000_NS6detail17trampoline_kernelINS0_14default_configENS1_33run_length_encode_config_selectorIhjNS0_4plusIjEEEEZZNS1_33reduce_by_key_impl_wrapped_configILNS1_25lookback_scan_determinismE0ES3_S7_PKhNS0_17constant_iteratorIjlEEPhPlSF_S6_NS0_8equal_toIhEEEE10hipError_tPvRmT2_T3_mT4_T5_T6_T7_T8_P12ihipStream_tbENKUlT_T0_E_clISt17integral_constantIbLb0EESZ_EEDaSU_SV_EUlSU_E_NS1_11comp_targetILNS1_3genE8ELNS1_11target_archE1030ELNS1_3gpuE2ELNS1_3repE0EEENS1_30default_config_static_selectorELNS0_4arch9wavefront6targetE1EEEvT1_
	.globl	_ZN7rocprim17ROCPRIM_400000_NS6detail17trampoline_kernelINS0_14default_configENS1_33run_length_encode_config_selectorIhjNS0_4plusIjEEEEZZNS1_33reduce_by_key_impl_wrapped_configILNS1_25lookback_scan_determinismE0ES3_S7_PKhNS0_17constant_iteratorIjlEEPhPlSF_S6_NS0_8equal_toIhEEEE10hipError_tPvRmT2_T3_mT4_T5_T6_T7_T8_P12ihipStream_tbENKUlT_T0_E_clISt17integral_constantIbLb0EESZ_EEDaSU_SV_EUlSU_E_NS1_11comp_targetILNS1_3genE8ELNS1_11target_archE1030ELNS1_3gpuE2ELNS1_3repE0EEENS1_30default_config_static_selectorELNS0_4arch9wavefront6targetE1EEEvT1_
	.p2align	8
	.type	_ZN7rocprim17ROCPRIM_400000_NS6detail17trampoline_kernelINS0_14default_configENS1_33run_length_encode_config_selectorIhjNS0_4plusIjEEEEZZNS1_33reduce_by_key_impl_wrapped_configILNS1_25lookback_scan_determinismE0ES3_S7_PKhNS0_17constant_iteratorIjlEEPhPlSF_S6_NS0_8equal_toIhEEEE10hipError_tPvRmT2_T3_mT4_T5_T6_T7_T8_P12ihipStream_tbENKUlT_T0_E_clISt17integral_constantIbLb0EESZ_EEDaSU_SV_EUlSU_E_NS1_11comp_targetILNS1_3genE8ELNS1_11target_archE1030ELNS1_3gpuE2ELNS1_3repE0EEENS1_30default_config_static_selectorELNS0_4arch9wavefront6targetE1EEEvT1_,@function
_ZN7rocprim17ROCPRIM_400000_NS6detail17trampoline_kernelINS0_14default_configENS1_33run_length_encode_config_selectorIhjNS0_4plusIjEEEEZZNS1_33reduce_by_key_impl_wrapped_configILNS1_25lookback_scan_determinismE0ES3_S7_PKhNS0_17constant_iteratorIjlEEPhPlSF_S6_NS0_8equal_toIhEEEE10hipError_tPvRmT2_T3_mT4_T5_T6_T7_T8_P12ihipStream_tbENKUlT_T0_E_clISt17integral_constantIbLb0EESZ_EEDaSU_SV_EUlSU_E_NS1_11comp_targetILNS1_3genE8ELNS1_11target_archE1030ELNS1_3gpuE2ELNS1_3repE0EEENS1_30default_config_static_selectorELNS0_4arch9wavefront6targetE1EEEvT1_: ; @_ZN7rocprim17ROCPRIM_400000_NS6detail17trampoline_kernelINS0_14default_configENS1_33run_length_encode_config_selectorIhjNS0_4plusIjEEEEZZNS1_33reduce_by_key_impl_wrapped_configILNS1_25lookback_scan_determinismE0ES3_S7_PKhNS0_17constant_iteratorIjlEEPhPlSF_S6_NS0_8equal_toIhEEEE10hipError_tPvRmT2_T3_mT4_T5_T6_T7_T8_P12ihipStream_tbENKUlT_T0_E_clISt17integral_constantIbLb0EESZ_EEDaSU_SV_EUlSU_E_NS1_11comp_targetILNS1_3genE8ELNS1_11target_archE1030ELNS1_3gpuE2ELNS1_3repE0EEENS1_30default_config_static_selectorELNS0_4arch9wavefront6targetE1EEEvT1_
; %bb.0:
	.section	.rodata,"a",@progbits
	.p2align	6, 0x0
	.amdhsa_kernel _ZN7rocprim17ROCPRIM_400000_NS6detail17trampoline_kernelINS0_14default_configENS1_33run_length_encode_config_selectorIhjNS0_4plusIjEEEEZZNS1_33reduce_by_key_impl_wrapped_configILNS1_25lookback_scan_determinismE0ES3_S7_PKhNS0_17constant_iteratorIjlEEPhPlSF_S6_NS0_8equal_toIhEEEE10hipError_tPvRmT2_T3_mT4_T5_T6_T7_T8_P12ihipStream_tbENKUlT_T0_E_clISt17integral_constantIbLb0EESZ_EEDaSU_SV_EUlSU_E_NS1_11comp_targetILNS1_3genE8ELNS1_11target_archE1030ELNS1_3gpuE2ELNS1_3repE0EEENS1_30default_config_static_selectorELNS0_4arch9wavefront6targetE1EEEvT1_
		.amdhsa_group_segment_fixed_size 0
		.amdhsa_private_segment_fixed_size 0
		.amdhsa_kernarg_size 128
		.amdhsa_user_sgpr_count 2
		.amdhsa_user_sgpr_dispatch_ptr 0
		.amdhsa_user_sgpr_queue_ptr 0
		.amdhsa_user_sgpr_kernarg_segment_ptr 1
		.amdhsa_user_sgpr_dispatch_id 0
		.amdhsa_user_sgpr_kernarg_preload_length 0
		.amdhsa_user_sgpr_kernarg_preload_offset 0
		.amdhsa_user_sgpr_private_segment_size 0
		.amdhsa_uses_dynamic_stack 0
		.amdhsa_enable_private_segment 0
		.amdhsa_system_sgpr_workgroup_id_x 1
		.amdhsa_system_sgpr_workgroup_id_y 0
		.amdhsa_system_sgpr_workgroup_id_z 0
		.amdhsa_system_sgpr_workgroup_info 0
		.amdhsa_system_vgpr_workitem_id 0
		.amdhsa_next_free_vgpr 1
		.amdhsa_next_free_sgpr 0
		.amdhsa_accum_offset 4
		.amdhsa_reserve_vcc 0
		.amdhsa_float_round_mode_32 0
		.amdhsa_float_round_mode_16_64 0
		.amdhsa_float_denorm_mode_32 3
		.amdhsa_float_denorm_mode_16_64 3
		.amdhsa_dx10_clamp 1
		.amdhsa_ieee_mode 1
		.amdhsa_fp16_overflow 0
		.amdhsa_tg_split 0
		.amdhsa_exception_fp_ieee_invalid_op 0
		.amdhsa_exception_fp_denorm_src 0
		.amdhsa_exception_fp_ieee_div_zero 0
		.amdhsa_exception_fp_ieee_overflow 0
		.amdhsa_exception_fp_ieee_underflow 0
		.amdhsa_exception_fp_ieee_inexact 0
		.amdhsa_exception_int_div_zero 0
	.end_amdhsa_kernel
	.section	.text._ZN7rocprim17ROCPRIM_400000_NS6detail17trampoline_kernelINS0_14default_configENS1_33run_length_encode_config_selectorIhjNS0_4plusIjEEEEZZNS1_33reduce_by_key_impl_wrapped_configILNS1_25lookback_scan_determinismE0ES3_S7_PKhNS0_17constant_iteratorIjlEEPhPlSF_S6_NS0_8equal_toIhEEEE10hipError_tPvRmT2_T3_mT4_T5_T6_T7_T8_P12ihipStream_tbENKUlT_T0_E_clISt17integral_constantIbLb0EESZ_EEDaSU_SV_EUlSU_E_NS1_11comp_targetILNS1_3genE8ELNS1_11target_archE1030ELNS1_3gpuE2ELNS1_3repE0EEENS1_30default_config_static_selectorELNS0_4arch9wavefront6targetE1EEEvT1_,"axG",@progbits,_ZN7rocprim17ROCPRIM_400000_NS6detail17trampoline_kernelINS0_14default_configENS1_33run_length_encode_config_selectorIhjNS0_4plusIjEEEEZZNS1_33reduce_by_key_impl_wrapped_configILNS1_25lookback_scan_determinismE0ES3_S7_PKhNS0_17constant_iteratorIjlEEPhPlSF_S6_NS0_8equal_toIhEEEE10hipError_tPvRmT2_T3_mT4_T5_T6_T7_T8_P12ihipStream_tbENKUlT_T0_E_clISt17integral_constantIbLb0EESZ_EEDaSU_SV_EUlSU_E_NS1_11comp_targetILNS1_3genE8ELNS1_11target_archE1030ELNS1_3gpuE2ELNS1_3repE0EEENS1_30default_config_static_selectorELNS0_4arch9wavefront6targetE1EEEvT1_,comdat
.Lfunc_end174:
	.size	_ZN7rocprim17ROCPRIM_400000_NS6detail17trampoline_kernelINS0_14default_configENS1_33run_length_encode_config_selectorIhjNS0_4plusIjEEEEZZNS1_33reduce_by_key_impl_wrapped_configILNS1_25lookback_scan_determinismE0ES3_S7_PKhNS0_17constant_iteratorIjlEEPhPlSF_S6_NS0_8equal_toIhEEEE10hipError_tPvRmT2_T3_mT4_T5_T6_T7_T8_P12ihipStream_tbENKUlT_T0_E_clISt17integral_constantIbLb0EESZ_EEDaSU_SV_EUlSU_E_NS1_11comp_targetILNS1_3genE8ELNS1_11target_archE1030ELNS1_3gpuE2ELNS1_3repE0EEENS1_30default_config_static_selectorELNS0_4arch9wavefront6targetE1EEEvT1_, .Lfunc_end174-_ZN7rocprim17ROCPRIM_400000_NS6detail17trampoline_kernelINS0_14default_configENS1_33run_length_encode_config_selectorIhjNS0_4plusIjEEEEZZNS1_33reduce_by_key_impl_wrapped_configILNS1_25lookback_scan_determinismE0ES3_S7_PKhNS0_17constant_iteratorIjlEEPhPlSF_S6_NS0_8equal_toIhEEEE10hipError_tPvRmT2_T3_mT4_T5_T6_T7_T8_P12ihipStream_tbENKUlT_T0_E_clISt17integral_constantIbLb0EESZ_EEDaSU_SV_EUlSU_E_NS1_11comp_targetILNS1_3genE8ELNS1_11target_archE1030ELNS1_3gpuE2ELNS1_3repE0EEENS1_30default_config_static_selectorELNS0_4arch9wavefront6targetE1EEEvT1_
                                        ; -- End function
	.section	.AMDGPU.csdata,"",@progbits
; Kernel info:
; codeLenInByte = 0
; NumSgprs: 6
; NumVgprs: 0
; NumAgprs: 0
; TotalNumVgprs: 0
; ScratchSize: 0
; MemoryBound: 0
; FloatMode: 240
; IeeeMode: 1
; LDSByteSize: 0 bytes/workgroup (compile time only)
; SGPRBlocks: 0
; VGPRBlocks: 0
; NumSGPRsForWavesPerEU: 6
; NumVGPRsForWavesPerEU: 1
; AccumOffset: 4
; Occupancy: 8
; WaveLimiterHint : 0
; COMPUTE_PGM_RSRC2:SCRATCH_EN: 0
; COMPUTE_PGM_RSRC2:USER_SGPR: 2
; COMPUTE_PGM_RSRC2:TRAP_HANDLER: 0
; COMPUTE_PGM_RSRC2:TGID_X_EN: 1
; COMPUTE_PGM_RSRC2:TGID_Y_EN: 0
; COMPUTE_PGM_RSRC2:TGID_Z_EN: 0
; COMPUTE_PGM_RSRC2:TIDIG_COMP_CNT: 0
; COMPUTE_PGM_RSRC3_GFX90A:ACCUM_OFFSET: 0
; COMPUTE_PGM_RSRC3_GFX90A:TG_SPLIT: 0
	.section	.text._ZN7rocprim17ROCPRIM_400000_NS6detail17trampoline_kernelINS0_14default_configENS1_33run_length_encode_config_selectorIhjNS0_4plusIjEEEEZZNS1_33reduce_by_key_impl_wrapped_configILNS1_25lookback_scan_determinismE0ES3_S7_PKhNS0_17constant_iteratorIjlEEPhPlSF_S6_NS0_8equal_toIhEEEE10hipError_tPvRmT2_T3_mT4_T5_T6_T7_T8_P12ihipStream_tbENKUlT_T0_E_clISt17integral_constantIbLb1EESZ_EEDaSU_SV_EUlSU_E_NS1_11comp_targetILNS1_3genE0ELNS1_11target_archE4294967295ELNS1_3gpuE0ELNS1_3repE0EEENS1_30default_config_static_selectorELNS0_4arch9wavefront6targetE1EEEvT1_,"axG",@progbits,_ZN7rocprim17ROCPRIM_400000_NS6detail17trampoline_kernelINS0_14default_configENS1_33run_length_encode_config_selectorIhjNS0_4plusIjEEEEZZNS1_33reduce_by_key_impl_wrapped_configILNS1_25lookback_scan_determinismE0ES3_S7_PKhNS0_17constant_iteratorIjlEEPhPlSF_S6_NS0_8equal_toIhEEEE10hipError_tPvRmT2_T3_mT4_T5_T6_T7_T8_P12ihipStream_tbENKUlT_T0_E_clISt17integral_constantIbLb1EESZ_EEDaSU_SV_EUlSU_E_NS1_11comp_targetILNS1_3genE0ELNS1_11target_archE4294967295ELNS1_3gpuE0ELNS1_3repE0EEENS1_30default_config_static_selectorELNS0_4arch9wavefront6targetE1EEEvT1_,comdat
	.protected	_ZN7rocprim17ROCPRIM_400000_NS6detail17trampoline_kernelINS0_14default_configENS1_33run_length_encode_config_selectorIhjNS0_4plusIjEEEEZZNS1_33reduce_by_key_impl_wrapped_configILNS1_25lookback_scan_determinismE0ES3_S7_PKhNS0_17constant_iteratorIjlEEPhPlSF_S6_NS0_8equal_toIhEEEE10hipError_tPvRmT2_T3_mT4_T5_T6_T7_T8_P12ihipStream_tbENKUlT_T0_E_clISt17integral_constantIbLb1EESZ_EEDaSU_SV_EUlSU_E_NS1_11comp_targetILNS1_3genE0ELNS1_11target_archE4294967295ELNS1_3gpuE0ELNS1_3repE0EEENS1_30default_config_static_selectorELNS0_4arch9wavefront6targetE1EEEvT1_ ; -- Begin function _ZN7rocprim17ROCPRIM_400000_NS6detail17trampoline_kernelINS0_14default_configENS1_33run_length_encode_config_selectorIhjNS0_4plusIjEEEEZZNS1_33reduce_by_key_impl_wrapped_configILNS1_25lookback_scan_determinismE0ES3_S7_PKhNS0_17constant_iteratorIjlEEPhPlSF_S6_NS0_8equal_toIhEEEE10hipError_tPvRmT2_T3_mT4_T5_T6_T7_T8_P12ihipStream_tbENKUlT_T0_E_clISt17integral_constantIbLb1EESZ_EEDaSU_SV_EUlSU_E_NS1_11comp_targetILNS1_3genE0ELNS1_11target_archE4294967295ELNS1_3gpuE0ELNS1_3repE0EEENS1_30default_config_static_selectorELNS0_4arch9wavefront6targetE1EEEvT1_
	.globl	_ZN7rocprim17ROCPRIM_400000_NS6detail17trampoline_kernelINS0_14default_configENS1_33run_length_encode_config_selectorIhjNS0_4plusIjEEEEZZNS1_33reduce_by_key_impl_wrapped_configILNS1_25lookback_scan_determinismE0ES3_S7_PKhNS0_17constant_iteratorIjlEEPhPlSF_S6_NS0_8equal_toIhEEEE10hipError_tPvRmT2_T3_mT4_T5_T6_T7_T8_P12ihipStream_tbENKUlT_T0_E_clISt17integral_constantIbLb1EESZ_EEDaSU_SV_EUlSU_E_NS1_11comp_targetILNS1_3genE0ELNS1_11target_archE4294967295ELNS1_3gpuE0ELNS1_3repE0EEENS1_30default_config_static_selectorELNS0_4arch9wavefront6targetE1EEEvT1_
	.p2align	8
	.type	_ZN7rocprim17ROCPRIM_400000_NS6detail17trampoline_kernelINS0_14default_configENS1_33run_length_encode_config_selectorIhjNS0_4plusIjEEEEZZNS1_33reduce_by_key_impl_wrapped_configILNS1_25lookback_scan_determinismE0ES3_S7_PKhNS0_17constant_iteratorIjlEEPhPlSF_S6_NS0_8equal_toIhEEEE10hipError_tPvRmT2_T3_mT4_T5_T6_T7_T8_P12ihipStream_tbENKUlT_T0_E_clISt17integral_constantIbLb1EESZ_EEDaSU_SV_EUlSU_E_NS1_11comp_targetILNS1_3genE0ELNS1_11target_archE4294967295ELNS1_3gpuE0ELNS1_3repE0EEENS1_30default_config_static_selectorELNS0_4arch9wavefront6targetE1EEEvT1_,@function
_ZN7rocprim17ROCPRIM_400000_NS6detail17trampoline_kernelINS0_14default_configENS1_33run_length_encode_config_selectorIhjNS0_4plusIjEEEEZZNS1_33reduce_by_key_impl_wrapped_configILNS1_25lookback_scan_determinismE0ES3_S7_PKhNS0_17constant_iteratorIjlEEPhPlSF_S6_NS0_8equal_toIhEEEE10hipError_tPvRmT2_T3_mT4_T5_T6_T7_T8_P12ihipStream_tbENKUlT_T0_E_clISt17integral_constantIbLb1EESZ_EEDaSU_SV_EUlSU_E_NS1_11comp_targetILNS1_3genE0ELNS1_11target_archE4294967295ELNS1_3gpuE0ELNS1_3repE0EEENS1_30default_config_static_selectorELNS0_4arch9wavefront6targetE1EEEvT1_: ; @_ZN7rocprim17ROCPRIM_400000_NS6detail17trampoline_kernelINS0_14default_configENS1_33run_length_encode_config_selectorIhjNS0_4plusIjEEEEZZNS1_33reduce_by_key_impl_wrapped_configILNS1_25lookback_scan_determinismE0ES3_S7_PKhNS0_17constant_iteratorIjlEEPhPlSF_S6_NS0_8equal_toIhEEEE10hipError_tPvRmT2_T3_mT4_T5_T6_T7_T8_P12ihipStream_tbENKUlT_T0_E_clISt17integral_constantIbLb1EESZ_EEDaSU_SV_EUlSU_E_NS1_11comp_targetILNS1_3genE0ELNS1_11target_archE4294967295ELNS1_3gpuE0ELNS1_3repE0EEENS1_30default_config_static_selectorELNS0_4arch9wavefront6targetE1EEEvT1_
; %bb.0:
	.section	.rodata,"a",@progbits
	.p2align	6, 0x0
	.amdhsa_kernel _ZN7rocprim17ROCPRIM_400000_NS6detail17trampoline_kernelINS0_14default_configENS1_33run_length_encode_config_selectorIhjNS0_4plusIjEEEEZZNS1_33reduce_by_key_impl_wrapped_configILNS1_25lookback_scan_determinismE0ES3_S7_PKhNS0_17constant_iteratorIjlEEPhPlSF_S6_NS0_8equal_toIhEEEE10hipError_tPvRmT2_T3_mT4_T5_T6_T7_T8_P12ihipStream_tbENKUlT_T0_E_clISt17integral_constantIbLb1EESZ_EEDaSU_SV_EUlSU_E_NS1_11comp_targetILNS1_3genE0ELNS1_11target_archE4294967295ELNS1_3gpuE0ELNS1_3repE0EEENS1_30default_config_static_selectorELNS0_4arch9wavefront6targetE1EEEvT1_
		.amdhsa_group_segment_fixed_size 0
		.amdhsa_private_segment_fixed_size 0
		.amdhsa_kernarg_size 128
		.amdhsa_user_sgpr_count 2
		.amdhsa_user_sgpr_dispatch_ptr 0
		.amdhsa_user_sgpr_queue_ptr 0
		.amdhsa_user_sgpr_kernarg_segment_ptr 1
		.amdhsa_user_sgpr_dispatch_id 0
		.amdhsa_user_sgpr_kernarg_preload_length 0
		.amdhsa_user_sgpr_kernarg_preload_offset 0
		.amdhsa_user_sgpr_private_segment_size 0
		.amdhsa_uses_dynamic_stack 0
		.amdhsa_enable_private_segment 0
		.amdhsa_system_sgpr_workgroup_id_x 1
		.amdhsa_system_sgpr_workgroup_id_y 0
		.amdhsa_system_sgpr_workgroup_id_z 0
		.amdhsa_system_sgpr_workgroup_info 0
		.amdhsa_system_vgpr_workitem_id 0
		.amdhsa_next_free_vgpr 1
		.amdhsa_next_free_sgpr 0
		.amdhsa_accum_offset 4
		.amdhsa_reserve_vcc 0
		.amdhsa_float_round_mode_32 0
		.amdhsa_float_round_mode_16_64 0
		.amdhsa_float_denorm_mode_32 3
		.amdhsa_float_denorm_mode_16_64 3
		.amdhsa_dx10_clamp 1
		.amdhsa_ieee_mode 1
		.amdhsa_fp16_overflow 0
		.amdhsa_tg_split 0
		.amdhsa_exception_fp_ieee_invalid_op 0
		.amdhsa_exception_fp_denorm_src 0
		.amdhsa_exception_fp_ieee_div_zero 0
		.amdhsa_exception_fp_ieee_overflow 0
		.amdhsa_exception_fp_ieee_underflow 0
		.amdhsa_exception_fp_ieee_inexact 0
		.amdhsa_exception_int_div_zero 0
	.end_amdhsa_kernel
	.section	.text._ZN7rocprim17ROCPRIM_400000_NS6detail17trampoline_kernelINS0_14default_configENS1_33run_length_encode_config_selectorIhjNS0_4plusIjEEEEZZNS1_33reduce_by_key_impl_wrapped_configILNS1_25lookback_scan_determinismE0ES3_S7_PKhNS0_17constant_iteratorIjlEEPhPlSF_S6_NS0_8equal_toIhEEEE10hipError_tPvRmT2_T3_mT4_T5_T6_T7_T8_P12ihipStream_tbENKUlT_T0_E_clISt17integral_constantIbLb1EESZ_EEDaSU_SV_EUlSU_E_NS1_11comp_targetILNS1_3genE0ELNS1_11target_archE4294967295ELNS1_3gpuE0ELNS1_3repE0EEENS1_30default_config_static_selectorELNS0_4arch9wavefront6targetE1EEEvT1_,"axG",@progbits,_ZN7rocprim17ROCPRIM_400000_NS6detail17trampoline_kernelINS0_14default_configENS1_33run_length_encode_config_selectorIhjNS0_4plusIjEEEEZZNS1_33reduce_by_key_impl_wrapped_configILNS1_25lookback_scan_determinismE0ES3_S7_PKhNS0_17constant_iteratorIjlEEPhPlSF_S6_NS0_8equal_toIhEEEE10hipError_tPvRmT2_T3_mT4_T5_T6_T7_T8_P12ihipStream_tbENKUlT_T0_E_clISt17integral_constantIbLb1EESZ_EEDaSU_SV_EUlSU_E_NS1_11comp_targetILNS1_3genE0ELNS1_11target_archE4294967295ELNS1_3gpuE0ELNS1_3repE0EEENS1_30default_config_static_selectorELNS0_4arch9wavefront6targetE1EEEvT1_,comdat
.Lfunc_end175:
	.size	_ZN7rocprim17ROCPRIM_400000_NS6detail17trampoline_kernelINS0_14default_configENS1_33run_length_encode_config_selectorIhjNS0_4plusIjEEEEZZNS1_33reduce_by_key_impl_wrapped_configILNS1_25lookback_scan_determinismE0ES3_S7_PKhNS0_17constant_iteratorIjlEEPhPlSF_S6_NS0_8equal_toIhEEEE10hipError_tPvRmT2_T3_mT4_T5_T6_T7_T8_P12ihipStream_tbENKUlT_T0_E_clISt17integral_constantIbLb1EESZ_EEDaSU_SV_EUlSU_E_NS1_11comp_targetILNS1_3genE0ELNS1_11target_archE4294967295ELNS1_3gpuE0ELNS1_3repE0EEENS1_30default_config_static_selectorELNS0_4arch9wavefront6targetE1EEEvT1_, .Lfunc_end175-_ZN7rocprim17ROCPRIM_400000_NS6detail17trampoline_kernelINS0_14default_configENS1_33run_length_encode_config_selectorIhjNS0_4plusIjEEEEZZNS1_33reduce_by_key_impl_wrapped_configILNS1_25lookback_scan_determinismE0ES3_S7_PKhNS0_17constant_iteratorIjlEEPhPlSF_S6_NS0_8equal_toIhEEEE10hipError_tPvRmT2_T3_mT4_T5_T6_T7_T8_P12ihipStream_tbENKUlT_T0_E_clISt17integral_constantIbLb1EESZ_EEDaSU_SV_EUlSU_E_NS1_11comp_targetILNS1_3genE0ELNS1_11target_archE4294967295ELNS1_3gpuE0ELNS1_3repE0EEENS1_30default_config_static_selectorELNS0_4arch9wavefront6targetE1EEEvT1_
                                        ; -- End function
	.section	.AMDGPU.csdata,"",@progbits
; Kernel info:
; codeLenInByte = 0
; NumSgprs: 6
; NumVgprs: 0
; NumAgprs: 0
; TotalNumVgprs: 0
; ScratchSize: 0
; MemoryBound: 0
; FloatMode: 240
; IeeeMode: 1
; LDSByteSize: 0 bytes/workgroup (compile time only)
; SGPRBlocks: 0
; VGPRBlocks: 0
; NumSGPRsForWavesPerEU: 6
; NumVGPRsForWavesPerEU: 1
; AccumOffset: 4
; Occupancy: 8
; WaveLimiterHint : 0
; COMPUTE_PGM_RSRC2:SCRATCH_EN: 0
; COMPUTE_PGM_RSRC2:USER_SGPR: 2
; COMPUTE_PGM_RSRC2:TRAP_HANDLER: 0
; COMPUTE_PGM_RSRC2:TGID_X_EN: 1
; COMPUTE_PGM_RSRC2:TGID_Y_EN: 0
; COMPUTE_PGM_RSRC2:TGID_Z_EN: 0
; COMPUTE_PGM_RSRC2:TIDIG_COMP_CNT: 0
; COMPUTE_PGM_RSRC3_GFX90A:ACCUM_OFFSET: 0
; COMPUTE_PGM_RSRC3_GFX90A:TG_SPLIT: 0
	.section	.text._ZN7rocprim17ROCPRIM_400000_NS6detail17trampoline_kernelINS0_14default_configENS1_33run_length_encode_config_selectorIhjNS0_4plusIjEEEEZZNS1_33reduce_by_key_impl_wrapped_configILNS1_25lookback_scan_determinismE0ES3_S7_PKhNS0_17constant_iteratorIjlEEPhPlSF_S6_NS0_8equal_toIhEEEE10hipError_tPvRmT2_T3_mT4_T5_T6_T7_T8_P12ihipStream_tbENKUlT_T0_E_clISt17integral_constantIbLb1EESZ_EEDaSU_SV_EUlSU_E_NS1_11comp_targetILNS1_3genE5ELNS1_11target_archE942ELNS1_3gpuE9ELNS1_3repE0EEENS1_30default_config_static_selectorELNS0_4arch9wavefront6targetE1EEEvT1_,"axG",@progbits,_ZN7rocprim17ROCPRIM_400000_NS6detail17trampoline_kernelINS0_14default_configENS1_33run_length_encode_config_selectorIhjNS0_4plusIjEEEEZZNS1_33reduce_by_key_impl_wrapped_configILNS1_25lookback_scan_determinismE0ES3_S7_PKhNS0_17constant_iteratorIjlEEPhPlSF_S6_NS0_8equal_toIhEEEE10hipError_tPvRmT2_T3_mT4_T5_T6_T7_T8_P12ihipStream_tbENKUlT_T0_E_clISt17integral_constantIbLb1EESZ_EEDaSU_SV_EUlSU_E_NS1_11comp_targetILNS1_3genE5ELNS1_11target_archE942ELNS1_3gpuE9ELNS1_3repE0EEENS1_30default_config_static_selectorELNS0_4arch9wavefront6targetE1EEEvT1_,comdat
	.protected	_ZN7rocprim17ROCPRIM_400000_NS6detail17trampoline_kernelINS0_14default_configENS1_33run_length_encode_config_selectorIhjNS0_4plusIjEEEEZZNS1_33reduce_by_key_impl_wrapped_configILNS1_25lookback_scan_determinismE0ES3_S7_PKhNS0_17constant_iteratorIjlEEPhPlSF_S6_NS0_8equal_toIhEEEE10hipError_tPvRmT2_T3_mT4_T5_T6_T7_T8_P12ihipStream_tbENKUlT_T0_E_clISt17integral_constantIbLb1EESZ_EEDaSU_SV_EUlSU_E_NS1_11comp_targetILNS1_3genE5ELNS1_11target_archE942ELNS1_3gpuE9ELNS1_3repE0EEENS1_30default_config_static_selectorELNS0_4arch9wavefront6targetE1EEEvT1_ ; -- Begin function _ZN7rocprim17ROCPRIM_400000_NS6detail17trampoline_kernelINS0_14default_configENS1_33run_length_encode_config_selectorIhjNS0_4plusIjEEEEZZNS1_33reduce_by_key_impl_wrapped_configILNS1_25lookback_scan_determinismE0ES3_S7_PKhNS0_17constant_iteratorIjlEEPhPlSF_S6_NS0_8equal_toIhEEEE10hipError_tPvRmT2_T3_mT4_T5_T6_T7_T8_P12ihipStream_tbENKUlT_T0_E_clISt17integral_constantIbLb1EESZ_EEDaSU_SV_EUlSU_E_NS1_11comp_targetILNS1_3genE5ELNS1_11target_archE942ELNS1_3gpuE9ELNS1_3repE0EEENS1_30default_config_static_selectorELNS0_4arch9wavefront6targetE1EEEvT1_
	.globl	_ZN7rocprim17ROCPRIM_400000_NS6detail17trampoline_kernelINS0_14default_configENS1_33run_length_encode_config_selectorIhjNS0_4plusIjEEEEZZNS1_33reduce_by_key_impl_wrapped_configILNS1_25lookback_scan_determinismE0ES3_S7_PKhNS0_17constant_iteratorIjlEEPhPlSF_S6_NS0_8equal_toIhEEEE10hipError_tPvRmT2_T3_mT4_T5_T6_T7_T8_P12ihipStream_tbENKUlT_T0_E_clISt17integral_constantIbLb1EESZ_EEDaSU_SV_EUlSU_E_NS1_11comp_targetILNS1_3genE5ELNS1_11target_archE942ELNS1_3gpuE9ELNS1_3repE0EEENS1_30default_config_static_selectorELNS0_4arch9wavefront6targetE1EEEvT1_
	.p2align	8
	.type	_ZN7rocprim17ROCPRIM_400000_NS6detail17trampoline_kernelINS0_14default_configENS1_33run_length_encode_config_selectorIhjNS0_4plusIjEEEEZZNS1_33reduce_by_key_impl_wrapped_configILNS1_25lookback_scan_determinismE0ES3_S7_PKhNS0_17constant_iteratorIjlEEPhPlSF_S6_NS0_8equal_toIhEEEE10hipError_tPvRmT2_T3_mT4_T5_T6_T7_T8_P12ihipStream_tbENKUlT_T0_E_clISt17integral_constantIbLb1EESZ_EEDaSU_SV_EUlSU_E_NS1_11comp_targetILNS1_3genE5ELNS1_11target_archE942ELNS1_3gpuE9ELNS1_3repE0EEENS1_30default_config_static_selectorELNS0_4arch9wavefront6targetE1EEEvT1_,@function
_ZN7rocprim17ROCPRIM_400000_NS6detail17trampoline_kernelINS0_14default_configENS1_33run_length_encode_config_selectorIhjNS0_4plusIjEEEEZZNS1_33reduce_by_key_impl_wrapped_configILNS1_25lookback_scan_determinismE0ES3_S7_PKhNS0_17constant_iteratorIjlEEPhPlSF_S6_NS0_8equal_toIhEEEE10hipError_tPvRmT2_T3_mT4_T5_T6_T7_T8_P12ihipStream_tbENKUlT_T0_E_clISt17integral_constantIbLb1EESZ_EEDaSU_SV_EUlSU_E_NS1_11comp_targetILNS1_3genE5ELNS1_11target_archE942ELNS1_3gpuE9ELNS1_3repE0EEENS1_30default_config_static_selectorELNS0_4arch9wavefront6targetE1EEEvT1_: ; @_ZN7rocprim17ROCPRIM_400000_NS6detail17trampoline_kernelINS0_14default_configENS1_33run_length_encode_config_selectorIhjNS0_4plusIjEEEEZZNS1_33reduce_by_key_impl_wrapped_configILNS1_25lookback_scan_determinismE0ES3_S7_PKhNS0_17constant_iteratorIjlEEPhPlSF_S6_NS0_8equal_toIhEEEE10hipError_tPvRmT2_T3_mT4_T5_T6_T7_T8_P12ihipStream_tbENKUlT_T0_E_clISt17integral_constantIbLb1EESZ_EEDaSU_SV_EUlSU_E_NS1_11comp_targetILNS1_3genE5ELNS1_11target_archE942ELNS1_3gpuE9ELNS1_3repE0EEENS1_30default_config_static_selectorELNS0_4arch9wavefront6targetE1EEEvT1_
; %bb.0:
	s_load_dword s10, s[0:1], 0x10
	s_load_dwordx4 s[44:47], s[0:1], 0x20
	s_load_dwordx2 s[48:49], s[0:1], 0x30
	s_load_dwordx2 s[50:51], s[0:1], 0x70
	s_load_dwordx4 s[28:31], s[0:1], 0x60
	s_load_dwordx8 s[36:43], s[0:1], 0x40
	v_cmp_ne_u32_e64 s[2:3], 0, v0
	v_cmp_eq_u32_e64 s[34:35], 0, v0
	s_and_saveexec_b64 s[4:5], s[34:35]
	s_cbranch_execz .LBB176_4
; %bb.1:
	s_mov_b64 s[8:9], exec
	v_mbcnt_lo_u32_b32 v1, s8, 0
	v_mbcnt_hi_u32_b32 v1, s9, v1
	v_cmp_eq_u32_e32 vcc, 0, v1
                                        ; implicit-def: $vgpr2
	s_and_saveexec_b64 s[6:7], vcc
	s_cbranch_execz .LBB176_3
; %bb.2:
	s_load_dwordx2 s[12:13], s[0:1], 0x78
	s_bcnt1_i32_b64 s8, s[8:9]
	v_mov_b32_e32 v2, 0
	v_mov_b32_e32 v3, s8
	s_waitcnt lgkmcnt(0)
	global_atomic_add v2, v2, v3, s[12:13] sc0
.LBB176_3:
	s_or_b64 exec, exec, s[6:7]
	s_waitcnt vmcnt(0)
	v_readfirstlane_b32 s6, v2
	v_mov_b32_e32 v2, 0
	s_nop 0
	v_add_u32_e32 v1, s6, v1
	ds_write_b32 v2, v1
.LBB176_4:
	s_or_b64 exec, exec, s[4:5]
	s_load_dwordx4 s[4:7], s[0:1], 0x0
	v_mov_b32_e32 v5, 0
	s_waitcnt lgkmcnt(0)
	s_barrier
	ds_read_b32 v1, v5
	s_mul_i32 s0, s40, s39
	s_mul_hi_u32 s1, s40, s38
	s_add_i32 s0, s1, s0
	s_mul_i32 s1, s41, s38
	s_add_i32 s8, s0, s1
	s_add_u32 s0, s4, s6
	s_movk_i32 s4, 0x1e00
	s_mul_i32 s9, s40, s38
	s_addc_u32 s1, s5, s7
	s_waitcnt lgkmcnt(0)
	v_readfirstlane_b32 s60, v1
	v_mul_lo_u32 v4, v1, s4
	v_lshl_add_u64 v[2:3], s[0:1], 0, v[4:5]
	s_add_u32 s0, s9, s60
	s_addc_u32 s1, s8, 0
	s_add_u32 s4, s42, -1
	s_addc_u32 s5, s43, -1
	s_cmp_eq_u64 s[0:1], s[4:5]
	s_cselect_b64 s[40:41], -1, 0
	s_cmp_lg_u64 s[0:1], s[4:5]
	s_mov_b64 s[8:9], -1
	s_cselect_b64 s[6:7], -1, 0
	s_mul_i32 s33, s4, 0xffffe200
	s_and_b64 vcc, exec, s[40:41]
	v_mad_u32_u24 v4, v0, 14, v0
	s_barrier
	s_cbranch_vccnz .LBB176_6
; %bb.5:
	v_mov_b32_e32 v1, v5
	v_lshl_add_u64 v[6:7], v[2:3], 0, v[0:1]
	v_add_co_u32_e32 v6, vcc, 0x1000, v6
	v_readfirstlane_b32 s4, v2
	v_readfirstlane_b32 s5, v3
	v_addc_co_u32_e32 v7, vcc, 0, v7, vcc
	s_nop 3
	global_load_ubyte v1, v0, s[4:5]
	global_load_ubyte v5, v0, s[4:5] offset:512
	global_load_ubyte v8, v0, s[4:5] offset:1024
	;; [unrolled: 1-line block ×7, first 2 shown]
	global_load_ubyte v14, v[6:7], off
	global_load_ubyte v15, v[6:7], off offset:512
	global_load_ubyte v16, v[6:7], off offset:1024
	;; [unrolled: 1-line block ×6, first 2 shown]
	s_mov_b64 s[4:5], -1
	s_waitcnt vmcnt(14)
	ds_write_b8 v0, v1
	s_waitcnt vmcnt(13)
	ds_write_b8 v0, v5 offset:512
	s_waitcnt vmcnt(12)
	ds_write_b8 v0, v8 offset:1024
	;; [unrolled: 2-line block ×14, first 2 shown]
	s_waitcnt lgkmcnt(0)
	s_barrier
	ds_read_b96 v[8:10], v4
	ds_read_u8 v21, v4 offset:12
	ds_read_u8 v11, v4 offset:13
	;; [unrolled: 1-line block ×3, first 2 shown]
	s_waitcnt lgkmcnt(3)
	v_lshrrev_b32_e32 v66, 8, v8
	v_lshrrev_b32_e32 v65, 16, v8
	;; [unrolled: 1-line block ×9, first 2 shown]
	s_add_i32 s33, s33, s28
	s_cbranch_execz .LBB176_7
	s_branch .LBB176_38
.LBB176_6:
	s_mov_b64 s[4:5], 0
                                        ; implicit-def: $vgpr8
                                        ; implicit-def: $vgpr66
                                        ; implicit-def: $vgpr65
                                        ; implicit-def: $vgpr63
                                        ; implicit-def: $vgpr61
                                        ; implicit-def: $vgpr60
                                        ; implicit-def: $vgpr59
                                        ; implicit-def: $vgpr58
                                        ; implicit-def: $vgpr57
                                        ; implicit-def: $vgpr56
                                        ; implicit-def: $vgpr21
                                        ; implicit-def: $vgpr11
                                        ; implicit-def: $vgpr1
	s_add_i32 s33, s33, s28
	s_andn2_b64 vcc, exec, s[8:9]
	s_cbranch_vccnz .LBB176_38
.LBB176_7:
	v_cmp_gt_u32_e32 vcc, s33, v0
                                        ; implicit-def: $vgpr1
	s_and_saveexec_b64 s[4:5], vcc
	s_cbranch_execz .LBB176_9
; %bb.8:
	v_readfirstlane_b32 s8, v2
	v_readfirstlane_b32 s9, v3
	s_waitcnt lgkmcnt(0)
	s_nop 3
	global_load_ubyte v1, v0, s[8:9]
.LBB176_9:
	s_or_b64 exec, exec, s[4:5]
	v_or_b32_e32 v5, 0x200, v0
	v_cmp_gt_u32_e32 vcc, s33, v5
                                        ; implicit-def: $vgpr5
	s_and_saveexec_b64 s[4:5], vcc
	s_cbranch_execz .LBB176_11
; %bb.10:
	v_readfirstlane_b32 s8, v2
	v_readfirstlane_b32 s9, v3
	s_nop 4
	global_load_ubyte v5, v0, s[8:9] offset:512
.LBB176_11:
	s_or_b64 exec, exec, s[4:5]
	v_or_b32_e32 v6, 0x400, v0
	v_cmp_gt_u32_e32 vcc, s33, v6
                                        ; implicit-def: $vgpr6
	s_and_saveexec_b64 s[4:5], vcc
	s_cbranch_execz .LBB176_13
; %bb.12:
	v_readfirstlane_b32 s8, v2
	v_readfirstlane_b32 s9, v3
	s_nop 4
	global_load_ubyte v6, v0, s[8:9] offset:1024
.LBB176_13:
	s_or_b64 exec, exec, s[4:5]
	v_or_b32_e32 v7, 0x600, v0
	v_cmp_gt_u32_e32 vcc, s33, v7
                                        ; implicit-def: $vgpr7
	s_and_saveexec_b64 s[4:5], vcc
	s_cbranch_execz .LBB176_15
; %bb.14:
	v_readfirstlane_b32 s8, v2
	v_readfirstlane_b32 s9, v3
	s_nop 4
	global_load_ubyte v7, v0, s[8:9] offset:1536
.LBB176_15:
	s_or_b64 exec, exec, s[4:5]
	v_or_b32_e32 v8, 0x800, v0
	v_cmp_gt_u32_e32 vcc, s33, v8
                                        ; implicit-def: $vgpr8
	s_and_saveexec_b64 s[4:5], vcc
	s_cbranch_execz .LBB176_17
; %bb.16:
	v_readfirstlane_b32 s8, v2
	v_readfirstlane_b32 s9, v3
	s_nop 4
	global_load_ubyte v8, v0, s[8:9] offset:2048
.LBB176_17:
	s_or_b64 exec, exec, s[4:5]
	v_or_b32_e32 v9, 0xa00, v0
	v_cmp_gt_u32_e32 vcc, s33, v9
                                        ; implicit-def: $vgpr9
	s_and_saveexec_b64 s[4:5], vcc
	s_cbranch_execz .LBB176_19
; %bb.18:
	v_readfirstlane_b32 s8, v2
	v_readfirstlane_b32 s9, v3
	s_nop 4
	global_load_ubyte v9, v0, s[8:9] offset:2560
.LBB176_19:
	s_or_b64 exec, exec, s[4:5]
	v_or_b32_e32 v10, 0xc00, v0
	v_cmp_gt_u32_e32 vcc, s33, v10
                                        ; implicit-def: $vgpr10
	s_and_saveexec_b64 s[4:5], vcc
	s_cbranch_execz .LBB176_21
; %bb.20:
	v_readfirstlane_b32 s8, v2
	v_readfirstlane_b32 s9, v3
	s_nop 4
	global_load_ubyte v10, v0, s[8:9] offset:3072
.LBB176_21:
	s_or_b64 exec, exec, s[4:5]
	s_waitcnt lgkmcnt(1)
	v_or_b32_e32 v11, 0xe00, v0
	v_cmp_gt_u32_e32 vcc, s33, v11
                                        ; implicit-def: $vgpr11
	s_and_saveexec_b64 s[4:5], vcc
	s_cbranch_execz .LBB176_23
; %bb.22:
	v_readfirstlane_b32 s8, v2
	v_readfirstlane_b32 s9, v3
	s_nop 4
	global_load_ubyte v11, v0, s[8:9] offset:3584
.LBB176_23:
	s_or_b64 exec, exec, s[4:5]
	v_or_b32_e32 v13, 0x1000, v0
	v_cmp_gt_u32_e32 vcc, s33, v13
                                        ; implicit-def: $vgpr12
	s_and_saveexec_b64 s[4:5], vcc
	s_cbranch_execz .LBB176_25
; %bb.24:
	v_readfirstlane_b32 s8, v2
	v_readfirstlane_b32 s9, v3
	s_nop 4
	global_load_ubyte v12, v13, s[8:9]
.LBB176_25:
	s_or_b64 exec, exec, s[4:5]
	v_or_b32_e32 v14, 0x1200, v0
	v_cmp_gt_u32_e32 vcc, s33, v14
                                        ; implicit-def: $vgpr13
	s_and_saveexec_b64 s[4:5], vcc
	s_cbranch_execz .LBB176_27
; %bb.26:
	v_readfirstlane_b32 s8, v2
	v_readfirstlane_b32 s9, v3
	s_nop 4
	global_load_ubyte v13, v14, s[8:9]
.LBB176_27:
	s_or_b64 exec, exec, s[4:5]
	v_or_b32_e32 v15, 0x1400, v0
	v_cmp_gt_u32_e32 vcc, s33, v15
                                        ; implicit-def: $vgpr14
	s_and_saveexec_b64 s[4:5], vcc
	s_cbranch_execz .LBB176_29
; %bb.28:
	v_readfirstlane_b32 s8, v2
	v_readfirstlane_b32 s9, v3
	s_nop 4
	global_load_ubyte v14, v15, s[8:9]
.LBB176_29:
	s_or_b64 exec, exec, s[4:5]
	v_or_b32_e32 v16, 0x1600, v0
	v_cmp_gt_u32_e32 vcc, s33, v16
                                        ; implicit-def: $vgpr15
	s_and_saveexec_b64 s[4:5], vcc
	s_cbranch_execz .LBB176_31
; %bb.30:
	v_readfirstlane_b32 s8, v2
	v_readfirstlane_b32 s9, v3
	s_nop 4
	global_load_ubyte v15, v16, s[8:9]
.LBB176_31:
	s_or_b64 exec, exec, s[4:5]
	v_or_b32_e32 v17, 0x1800, v0
	v_cmp_gt_u32_e32 vcc, s33, v17
                                        ; implicit-def: $vgpr16
	s_and_saveexec_b64 s[4:5], vcc
	s_cbranch_execz .LBB176_33
; %bb.32:
	v_readfirstlane_b32 s8, v2
	v_readfirstlane_b32 s9, v3
	s_nop 4
	global_load_ubyte v16, v17, s[8:9]
.LBB176_33:
	s_or_b64 exec, exec, s[4:5]
	v_or_b32_e32 v18, 0x1a00, v0
	v_cmp_gt_u32_e32 vcc, s33, v18
                                        ; implicit-def: $vgpr17
	s_and_saveexec_b64 s[4:5], vcc
	s_cbranch_execz .LBB176_35
; %bb.34:
	v_readfirstlane_b32 s8, v2
	v_readfirstlane_b32 s9, v3
	s_nop 4
	global_load_ubyte v17, v18, s[8:9]
.LBB176_35:
	s_or_b64 exec, exec, s[4:5]
	v_or_b32_e32 v19, 0x1c00, v0
	v_cmp_gt_u32_e32 vcc, s33, v19
                                        ; implicit-def: $vgpr18
	s_and_saveexec_b64 s[4:5], vcc
	s_cbranch_execz .LBB176_37
; %bb.36:
	v_readfirstlane_b32 s8, v2
	v_readfirstlane_b32 s9, v3
	s_nop 4
	global_load_ubyte v18, v19, s[8:9]
.LBB176_37:
	s_or_b64 exec, exec, s[4:5]
	s_waitcnt vmcnt(0) lgkmcnt(0)
	ds_write_b8 v0, v1
	ds_write_b8 v0, v5 offset:512
	ds_write_b8 v0, v6 offset:1024
	;; [unrolled: 1-line block ×14, first 2 shown]
	s_waitcnt lgkmcnt(0)
	s_barrier
	ds_read_b96 v[8:10], v4
	ds_read_u8 v21, v4 offset:12
	ds_read_u8 v11, v4 offset:13
	;; [unrolled: 1-line block ×3, first 2 shown]
	v_mad_u32_u24 v4, v0, 15, 14
	s_waitcnt lgkmcnt(3)
	v_lshrrev_b32_e32 v66, 8, v8
	v_lshrrev_b32_e32 v65, 16, v8
	;; [unrolled: 1-line block ×9, first 2 shown]
	v_cmp_gt_u32_e64 s[4:5], s33, v4
.LBB176_38:
	v_mov_b32_e32 v52, s10
                                        ; implicit-def: $vgpr53
	s_and_saveexec_b64 s[8:9], s[4:5]
; %bb.39:
	v_mov_b32_e32 v53, s10
; %bb.40:
	s_or_b64 exec, exec, s[8:9]
	s_cmp_eq_u64 s[0:1], 0
	s_cselect_b64 s[42:43], -1, 0
	s_cmp_lg_u64 s[0:1], 0
	s_mov_b64 s[4:5], 0
	s_cselect_b64 s[8:9], -1, 0
	s_and_b64 vcc, exec, s[6:7]
	s_waitcnt lgkmcnt(0)
	s_barrier
	s_cbranch_vccz .LBB176_46
; %bb.41:
	s_and_b64 vcc, exec, s[8:9]
	s_cbranch_vccz .LBB176_47
; %bb.42:
	global_load_ubyte v4, v[2:3], off offset:-1
	v_cmp_ne_u16_sdwa s[4:5], v11, v1 src0_sel:BYTE_0 src1_sel:BYTE_0
	v_cmp_ne_u16_sdwa s[6:7], v21, v11 src0_sel:BYTE_0 src1_sel:BYTE_0
	;; [unrolled: 1-line block ×14, first 2 shown]
	ds_write_b8 v0, v1
	s_waitcnt lgkmcnt(0)
	s_barrier
	s_and_saveexec_b64 s[58:59], s[2:3]
	s_cbranch_execz .LBB176_44
; %bb.43:
	s_waitcnt vmcnt(0)
	v_add_u32_e32 v4, -1, v0
	ds_read_u8 v4, v4
.LBB176_44:
	s_or_b64 exec, exec, s[58:59]
	s_waitcnt vmcnt(0) lgkmcnt(0)
	v_and_b32_e32 v4, 0xff, v4
	v_cndmask_b32_e64 v62, 0, 1, s[4:5]
	v_cndmask_b32_e64 v64, 0, 1, s[6:7]
	;; [unrolled: 1-line block ×14, first 2 shown]
	v_cmp_ne_u16_sdwa s[6:7], v4, v8 src0_sel:DWORD src1_sel:BYTE_0
	s_mov_b64 s[4:5], -1
.LBB176_45:
                                        ; implicit-def: $sgpr12
	s_branch .LBB176_59
.LBB176_46:
                                        ; implicit-def: $sgpr6_sgpr7
                                        ; implicit-def: $vgpr62
                                        ; implicit-def: $vgpr64
                                        ; implicit-def: $vgpr67
                                        ; implicit-def: $vgpr68
                                        ; implicit-def: $vgpr69
                                        ; implicit-def: $vgpr70
                                        ; implicit-def: $vgpr71
                                        ; implicit-def: $vgpr72
                                        ; implicit-def: $vgpr73
                                        ; implicit-def: $vgpr74
                                        ; implicit-def: $vgpr75
                                        ; implicit-def: $vgpr76
                                        ; implicit-def: $vgpr77
                                        ; implicit-def: $vgpr78
                                        ; implicit-def: $sgpr12
	s_cbranch_execnz .LBB176_51
	s_branch .LBB176_59
.LBB176_47:
                                        ; implicit-def: $sgpr6_sgpr7
                                        ; implicit-def: $vgpr62
                                        ; implicit-def: $vgpr64
                                        ; implicit-def: $vgpr67
                                        ; implicit-def: $vgpr68
                                        ; implicit-def: $vgpr69
                                        ; implicit-def: $vgpr70
                                        ; implicit-def: $vgpr71
                                        ; implicit-def: $vgpr72
                                        ; implicit-def: $vgpr73
                                        ; implicit-def: $vgpr74
                                        ; implicit-def: $vgpr75
                                        ; implicit-def: $vgpr76
                                        ; implicit-def: $vgpr77
                                        ; implicit-def: $vgpr78
	s_cbranch_execz .LBB176_45
; %bb.48:
	v_cmp_ne_u16_sdwa s[6:7], v11, v1 src0_sel:BYTE_0 src1_sel:BYTE_0
	ds_write_b8 v0, v1
	s_waitcnt lgkmcnt(0)
	v_cndmask_b32_e64 v62, 0, 1, s[6:7]
	v_cmp_ne_u16_sdwa s[6:7], v21, v11 src0_sel:BYTE_0 src1_sel:BYTE_0
	s_barrier
	s_nop 0
	v_cndmask_b32_e64 v64, 0, 1, s[6:7]
	v_cmp_ne_u16_sdwa s[6:7], v56, v21 src0_sel:BYTE_0 src1_sel:BYTE_0
	s_nop 1
	v_cndmask_b32_e64 v67, 0, 1, s[6:7]
	v_cmp_ne_u16_sdwa s[6:7], v57, v56 src0_sel:BYTE_0 src1_sel:BYTE_0
	;; [unrolled: 3-line block ×12, first 2 shown]
	s_nop 1
	v_cndmask_b32_e64 v78, 0, 1, s[6:7]
                                        ; implicit-def: $sgpr6_sgpr7
	s_and_saveexec_b64 s[10:11], s[2:3]
	s_xor_b64 s[10:11], exec, s[10:11]
	s_cbranch_execz .LBB176_50
; %bb.49:
	v_add_u32_e32 v4, -1, v0
	ds_read_u8 v4, v4
	s_or_b64 s[4:5], s[4:5], exec
	s_waitcnt lgkmcnt(0)
	v_cmp_ne_u16_sdwa s[6:7], v4, v8 src0_sel:DWORD src1_sel:BYTE_0
	s_and_b64 s[6:7], s[6:7], exec
.LBB176_50:
	s_or_b64 exec, exec, s[10:11]
	s_mov_b32 s12, 1
	s_branch .LBB176_59
.LBB176_51:
	s_mul_hi_u32 s6, s0, 0xffffe200
	s_mulk_i32 s1, 0xe200
	s_sub_i32 s6, s6, s0
	s_add_i32 s6, s6, s1
	s_mulk_i32 s0, 0xe200
	s_add_u32 s0, s0, s28
	s_addc_u32 s1, s6, s29
	s_and_b64 vcc, exec, s[8:9]
	s_cbranch_vccz .LBB176_56
; %bb.52:
	global_load_ubyte v6, v[2:3], off offset:-1
	v_mad_u32_u24 v4, v0, 15, 14
	v_mov_b32_e32 v5, 0
	v_cmp_gt_u64_e32 vcc, s[0:1], v[4:5]
	v_cmp_ne_u16_sdwa s[4:5], v11, v1 src0_sel:BYTE_0 src1_sel:BYTE_0
	v_mad_u32_u24 v4, v0, 15, 13
	s_and_b64 s[4:5], vcc, s[4:5]
	v_cmp_gt_u64_e32 vcc, s[0:1], v[4:5]
	v_cmp_ne_u16_sdwa s[6:7], v21, v11 src0_sel:BYTE_0 src1_sel:BYTE_0
	v_mad_u32_u24 v4, v0, 15, 12
	s_and_b64 s[6:7], vcc, s[6:7]
	;; [unrolled: 4-line block ×13, first 2 shown]
	v_cmp_gt_u64_e32 vcc, s[0:1], v[4:5]
	v_cmp_ne_u16_sdwa s[52:53], v8, v66 src0_sel:BYTE_0 src1_sel:BYTE_0
	v_mul_u32_u24_e32 v2, 15, v0
	s_and_b64 s[52:53], vcc, s[52:53]
	ds_write_b8 v0, v1
	s_waitcnt lgkmcnt(0)
	s_barrier
	s_and_saveexec_b64 s[54:55], s[2:3]
	s_cbranch_execz .LBB176_54
; %bb.53:
	v_add_u32_e32 v3, -1, v0
	s_waitcnt vmcnt(0)
	ds_read_u8 v6, v3
.LBB176_54:
	s_or_b64 exec, exec, s[54:55]
	v_mov_b32_e32 v3, v5
	v_cmp_gt_u64_e32 vcc, s[0:1], v[2:3]
	s_waitcnt vmcnt(0) lgkmcnt(0)
	v_and_b32_e32 v2, 0xff, v6
	v_cndmask_b32_e64 v62, 0, 1, s[4:5]
	v_cmp_ne_u16_sdwa s[4:5], v2, v8 src0_sel:DWORD src1_sel:BYTE_0
	v_cndmask_b32_e64 v64, 0, 1, s[6:7]
	v_cndmask_b32_e64 v67, 0, 1, s[8:9]
	;; [unrolled: 1-line block ×13, first 2 shown]
	s_and_b64 s[6:7], vcc, s[4:5]
	s_mov_b64 s[4:5], -1
.LBB176_55:
                                        ; implicit-def: $sgpr12
	v_mov_b32_e32 v79, s12
	s_and_saveexec_b64 s[0:1], s[4:5]
	s_cbranch_execnz .LBB176_60
	s_branch .LBB176_61
.LBB176_56:
                                        ; implicit-def: $sgpr6_sgpr7
                                        ; implicit-def: $vgpr62
                                        ; implicit-def: $vgpr64
                                        ; implicit-def: $vgpr67
                                        ; implicit-def: $vgpr68
                                        ; implicit-def: $vgpr69
                                        ; implicit-def: $vgpr70
                                        ; implicit-def: $vgpr71
                                        ; implicit-def: $vgpr72
                                        ; implicit-def: $vgpr73
                                        ; implicit-def: $vgpr74
                                        ; implicit-def: $vgpr75
                                        ; implicit-def: $vgpr76
                                        ; implicit-def: $vgpr77
                                        ; implicit-def: $vgpr78
	s_cbranch_execz .LBB176_55
; %bb.57:
	v_mad_u32_u24 v2, v0, 15, 14
	v_mov_b32_e32 v3, 0
	v_cmp_gt_u64_e32 vcc, s[0:1], v[2:3]
	v_cmp_ne_u16_sdwa s[6:7], v11, v1 src0_sel:BYTE_0 src1_sel:BYTE_0
	s_and_b64 s[6:7], vcc, s[6:7]
	v_mad_u32_u24 v2, v0, 15, 13
	v_cndmask_b32_e64 v62, 0, 1, s[6:7]
	v_cmp_gt_u64_e32 vcc, s[0:1], v[2:3]
	v_cmp_ne_u16_sdwa s[6:7], v21, v11 src0_sel:BYTE_0 src1_sel:BYTE_0
	s_and_b64 s[6:7], vcc, s[6:7]
	v_mad_u32_u24 v2, v0, 15, 12
	v_cndmask_b32_e64 v64, 0, 1, s[6:7]
	;; [unrolled: 5-line block ×13, first 2 shown]
	v_cmp_gt_u64_e32 vcc, s[0:1], v[2:3]
	v_cmp_ne_u16_sdwa s[6:7], v8, v66 src0_sel:BYTE_0 src1_sel:BYTE_0
	s_and_b64 s[6:7], vcc, s[6:7]
	s_mov_b32 s12, 1
	v_cndmask_b32_e64 v78, 0, 1, s[6:7]
	ds_write_b8 v0, v1
	s_waitcnt lgkmcnt(0)
	s_barrier
	s_waitcnt lgkmcnt(0)
                                        ; implicit-def: $sgpr6_sgpr7
	s_and_saveexec_b64 s[8:9], s[2:3]
	s_cbranch_execz .LBB176_153
; %bb.58:
	v_add_u32_e32 v2, -1, v0
	ds_read_u8 v4, v2
	v_mul_u32_u24_e32 v2, 15, v0
	v_cmp_gt_u64_e32 vcc, s[0:1], v[2:3]
	s_or_b64 s[4:5], s[4:5], exec
	s_waitcnt lgkmcnt(0)
	v_and_b32_e32 v2, 0xff, v4
	v_cmp_ne_u16_sdwa s[0:1], v2, v8 src0_sel:DWORD src1_sel:BYTE_0
	s_and_b64 s[0:1], vcc, s[0:1]
	s_and_b64 s[6:7], s[0:1], exec
	s_or_b64 exec, exec, s[8:9]
.LBB176_59:
	v_mov_b32_e32 v79, s12
	s_and_saveexec_b64 s[0:1], s[4:5]
.LBB176_60:
	v_cndmask_b32_e64 v79, 0, 1, s[6:7]
.LBB176_61:
	s_or_b64 exec, exec, s[0:1]
	s_cmp_eq_u64 s[38:39], 0
	v_add3_u32 v2, v78, v79, v77
	s_cselect_b64 s[38:39], -1, 0
	s_cmp_lg_u32 s60, 0
	v_cmp_eq_u32_e64 s[26:27], 0, v78
	v_cmp_eq_u32_e64 s[24:25], 0, v77
	;; [unrolled: 1-line block ×3, first 2 shown]
	v_add3_u32 v81, v2, v76, v75
	v_cmp_eq_u32_e64 s[20:21], 0, v75
	v_cmp_eq_u32_e64 s[18:19], 0, v74
	;; [unrolled: 1-line block ×10, first 2 shown]
	v_cmp_eq_u32_e32 vcc, 0, v62
	v_mbcnt_lo_u32_b32 v80, -1, 0
	v_lshrrev_b32_e32 v54, 6, v0
	v_or_b32_e32 v55, 63, v0
	s_cbranch_scc0 .LBB176_92
; %bb.62:
	v_cndmask_b32_e64 v2, 0, v52, s[26:27]
	v_add_u32_e32 v2, v2, v52
	v_cndmask_b32_e64 v2, 0, v2, s[24:25]
	v_add_u32_e32 v2, v2, v52
	v_cndmask_b32_e64 v2, 0, v2, s[22:23]
	v_add_u32_e32 v2, v2, v52
	v_cndmask_b32_e64 v2, 0, v2, s[20:21]
	v_add_u32_e32 v2, v2, v52
	v_cndmask_b32_e64 v2, 0, v2, s[18:19]
	v_add_u32_e32 v2, v2, v52
	v_cndmask_b32_e64 v2, 0, v2, s[16:17]
	v_add_u32_e32 v2, v2, v52
	v_cndmask_b32_e64 v2, 0, v2, s[14:15]
	v_add_u32_e32 v2, v2, v52
	v_cndmask_b32_e64 v2, 0, v2, s[12:13]
	v_add_u32_e32 v2, v2, v52
	v_cndmask_b32_e64 v2, 0, v2, s[10:11]
	v_add_u32_e32 v2, v2, v52
	v_cndmask_b32_e64 v2, 0, v2, s[8:9]
	v_add_u32_e32 v2, v2, v52
	v_cndmask_b32_e64 v2, 0, v2, s[6:7]
	v_add_u32_e32 v2, v2, v52
	v_cndmask_b32_e64 v2, 0, v2, s[4:5]
	v_add3_u32 v3, v81, v74, v73
	v_add_u32_e32 v2, v2, v52
	v_add3_u32 v3, v3, v72, v71
	v_cndmask_b32_e64 v2, 0, v2, s[2:3]
	v_add3_u32 v3, v3, v70, v69
	v_add_u32_e32 v2, v2, v52
	v_add3_u32 v3, v3, v68, v67
	v_cndmask_b32_e32 v2, 0, v2, vcc
	v_add3_u32 v3, v3, v64, v62
	v_add_u32_e32 v2, v2, v53
	v_mbcnt_hi_u32_b32 v15, -1, v80
	v_and_b32_e32 v4, 15, v15
	v_mov_b32_dpp v6, v2 row_shr:1 row_mask:0xf bank_mask:0xf
	v_cmp_eq_u32_e32 vcc, 0, v3
	v_mov_b32_dpp v5, v3 row_shr:1 row_mask:0xf bank_mask:0xf
	v_cmp_lt_u32_e64 s[0:1], 1, v4
	v_cndmask_b32_e32 v6, 0, v6, vcc
	v_cmp_eq_u32_e32 vcc, 0, v4
	s_nop 1
	v_cndmask_b32_e64 v5, v5, 0, vcc
	v_add_u32_e32 v3, v5, v3
	v_cndmask_b32_e64 v5, v6, 0, vcc
	v_add_u32_e32 v2, v5, v2
	v_cmp_eq_u32_e32 vcc, 0, v3
	v_mov_b32_dpp v5, v3 row_shr:2 row_mask:0xf bank_mask:0xf
	v_mov_b32_dpp v6, v2 row_shr:2 row_mask:0xf bank_mask:0xf
	v_cndmask_b32_e64 v5, 0, v5, s[0:1]
	s_and_b64 vcc, s[0:1], vcc
	v_cndmask_b32_e32 v6, 0, v6, vcc
	v_add_u32_e32 v3, v3, v5
	v_add_u32_e32 v2, v6, v2
	v_cmp_eq_u32_e32 vcc, 0, v3
	v_mov_b32_dpp v5, v3 row_shr:4 row_mask:0xf bank_mask:0xf
	v_cmp_lt_u32_e64 s[0:1], 3, v4
	v_mov_b32_dpp v6, v2 row_shr:4 row_mask:0xf bank_mask:0xf
	s_and_b64 vcc, s[0:1], vcc
	v_cndmask_b32_e64 v5, 0, v5, s[0:1]
	v_cndmask_b32_e32 v6, 0, v6, vcc
	v_add_u32_e32 v3, v5, v3
	v_add_u32_e32 v2, v2, v6
	v_cmp_eq_u32_e32 vcc, 0, v3
	v_cmp_lt_u32_e64 s[0:1], 7, v4
	v_mov_b32_dpp v5, v3 row_shr:8 row_mask:0xf bank_mask:0xf
	v_mov_b32_dpp v6, v2 row_shr:8 row_mask:0xf bank_mask:0xf
	s_and_b64 vcc, s[0:1], vcc
	v_cndmask_b32_e64 v4, 0, v5, s[0:1]
	v_cndmask_b32_e32 v5, 0, v6, vcc
	v_add_u32_e32 v2, v5, v2
	v_add_u32_e32 v3, v4, v3
	v_bfe_i32 v6, v15, 4, 1
	v_mov_b32_dpp v5, v2 row_bcast:15 row_mask:0xf bank_mask:0xf
	v_mov_b32_dpp v4, v3 row_bcast:15 row_mask:0xf bank_mask:0xf
	v_cmp_eq_u32_e32 vcc, 0, v3
	v_and_b32_e32 v4, v6, v4
	v_add_u32_e32 v3, v4, v3
	v_cndmask_b32_e32 v5, 0, v5, vcc
	v_and_b32_e32 v4, v6, v5
	v_add_u32_e32 v4, v4, v2
	v_mov_b32_dpp v2, v3 row_bcast:31 row_mask:0xf bank_mask:0xf
	v_cmp_eq_u32_e32 vcc, 0, v3
	v_cmp_lt_u32_e64 s[0:1], 31, v15
	v_mov_b32_dpp v5, v4 row_bcast:31 row_mask:0xf bank_mask:0xf
	s_and_b64 vcc, s[0:1], vcc
	v_cndmask_b32_e64 v2, 0, v2, s[0:1]
	v_add_u32_e32 v2, v2, v3
	v_cndmask_b32_e32 v3, 0, v5, vcc
	v_add_u32_e32 v3, v3, v4
	v_cmp_eq_u32_e32 vcc, v55, v0
	v_lshlrev_b32_e32 v4, 3, v54
	s_and_saveexec_b64 s[0:1], vcc
	s_cbranch_execz .LBB176_64
; %bb.63:
	ds_write_b64 v4, v[2:3] offset:1040
.LBB176_64:
	s_or_b64 exec, exec, s[0:1]
	v_cmp_gt_u32_e32 vcc, 8, v0
	s_waitcnt lgkmcnt(0)
	s_barrier
	s_and_saveexec_b64 s[28:29], vcc
	s_cbranch_execz .LBB176_66
; %bb.65:
	v_lshlrev_b32_e32 v5, 3, v0
	ds_read_b64 v[6:7], v5 offset:1040
	v_and_b32_e32 v12, 7, v15
	v_cmp_lt_u32_e64 s[0:1], 1, v12
	s_waitcnt lgkmcnt(0)
	v_mov_b32_dpp v14, v7 row_shr:1 row_mask:0xf bank_mask:0xf
	v_cmp_eq_u32_e32 vcc, 0, v6
	v_mov_b32_dpp v13, v6 row_shr:1 row_mask:0xf bank_mask:0xf
	s_nop 0
	v_cndmask_b32_e32 v14, 0, v14, vcc
	v_cmp_eq_u32_e32 vcc, 0, v12
	s_nop 1
	v_cndmask_b32_e64 v13, v13, 0, vcc
	v_add_u32_e32 v6, v13, v6
	v_cndmask_b32_e64 v13, v14, 0, vcc
	v_add_u32_e32 v7, v13, v7
	v_cmp_eq_u32_e32 vcc, 0, v6
	v_mov_b32_dpp v13, v6 row_shr:2 row_mask:0xf bank_mask:0xf
	v_mov_b32_dpp v14, v7 row_shr:2 row_mask:0xf bank_mask:0xf
	v_cndmask_b32_e64 v13, 0, v13, s[0:1]
	s_and_b64 vcc, s[0:1], vcc
	v_cndmask_b32_e32 v14, 0, v14, vcc
	v_add_u32_e32 v6, v13, v6
	v_add_u32_e32 v7, v14, v7
	v_cmp_eq_u32_e32 vcc, 0, v6
	v_mov_b32_dpp v13, v6 row_shr:4 row_mask:0xf bank_mask:0xf
	v_cmp_lt_u32_e64 s[0:1], 3, v12
	v_mov_b32_dpp v14, v7 row_shr:4 row_mask:0xf bank_mask:0xf
	s_and_b64 vcc, s[0:1], vcc
	v_cndmask_b32_e64 v12, 0, v13, s[0:1]
	v_add_u32_e32 v6, v12, v6
	v_cndmask_b32_e32 v12, 0, v14, vcc
	v_add_u32_e32 v7, v12, v7
	ds_write_b64 v5, v[6:7] offset:1040
.LBB176_66:
	s_or_b64 exec, exec, s[28:29]
	v_cmp_gt_u32_e32 vcc, 64, v0
	v_cmp_lt_u32_e64 s[0:1], 63, v0
	v_mov_b32_e32 v12, 0
	v_mov_b32_e32 v13, 0
	s_waitcnt lgkmcnt(0)
	s_barrier
	s_and_saveexec_b64 s[28:29], s[0:1]
	s_cbranch_execz .LBB176_68
; %bb.67:
	ds_read_b64 v[12:13], v4 offset:1032
	v_cmp_eq_u32_e64 s[0:1], 0, v2
	s_waitcnt lgkmcnt(0)
	v_add_u32_e32 v4, v12, v2
	v_cndmask_b32_e64 v2, 0, v13, s[0:1]
	v_add_u32_e32 v3, v2, v3
	v_mov_b32_e32 v2, v4
.LBB176_68:
	s_or_b64 exec, exec, s[28:29]
	v_add_u32_e32 v4, -1, v15
	v_and_b32_e32 v5, 64, v15
	v_cmp_lt_i32_e64 s[0:1], v4, v5
	v_cmp_eq_u32_e64 s[28:29], 0, v15
	s_nop 0
	v_cndmask_b32_e64 v4, v4, v15, s[0:1]
	v_lshlrev_b32_e32 v4, 2, v4
	ds_bpermute_b32 v20, v4, v2
	ds_bpermute_b32 v22, v4, v3
	s_and_saveexec_b64 s[52:53], vcc
	s_cbranch_execz .LBB176_91
; %bb.69:
	v_mov_b32_e32 v7, 0
	ds_read_b64 v[2:3], v7 offset:1096
	s_waitcnt lgkmcnt(0)
	v_readfirstlane_b32 s56, v2
	v_readfirstlane_b32 s57, v3
	s_and_saveexec_b64 s[0:1], s[28:29]
	s_cbranch_execz .LBB176_71
; %bb.70:
	s_add_i32 s54, s60, 64
	s_mov_b32 s55, 0
	s_lshl_b64 s[58:59], s[54:55], 4
	s_add_u32 s58, s36, s58
	s_addc_u32 s59, s37, s59
	s_and_b32 s63, s57, 0xff000000
	s_mov_b32 s62, s55
	s_and_b32 s65, s57, 0xff0000
	s_mov_b32 s64, s55
	s_or_b64 s[62:63], s[64:65], s[62:63]
	s_and_b32 s65, s57, 0xff00
	s_or_b64 s[62:63], s[62:63], s[64:65]
	s_and_b32 s65, s57, 0xff
	s_or_b64 s[54:55], s[62:63], s[64:65]
	v_mov_b32_e32 v4, s56
	v_mov_b32_e32 v5, s55
	;; [unrolled: 1-line block ×3, first 2 shown]
	v_mov_b64_e32 v[2:3], s[58:59]
	;;#ASMSTART
	global_store_dwordx4 v[2:3], v[4:7] off sc1	
s_waitcnt vmcnt(0)
	;;#ASMEND
.LBB176_71:
	s_or_b64 exec, exec, s[0:1]
	v_xad_u32 v14, v15, -1, s60
	v_add_u32_e32 v6, 64, v14
	v_lshl_add_u64 v[16:17], v[6:7], 4, s[36:37]
	;;#ASMSTART
	global_load_dwordx4 v[2:5], v[16:17] off sc1	
s_waitcnt vmcnt(0)
	;;#ASMEND
	s_nop 0
	v_and_b32_e32 v5, 0xff, v3
	v_and_b32_e32 v6, 0xff00, v3
	v_or3_b32 v2, v2, 0, 0
	v_and_b32_e32 v18, 0xff000000, v3
	v_or3_b32 v5, 0, v5, v6
	;; [unrolled: 2-line block ×3, first 2 shown]
	v_or3_b32 v2, v2, 0, 0
	v_cmp_eq_u16_sdwa s[54:55], v4, v7 src0_sel:BYTE_0 src1_sel:DWORD
	s_and_saveexec_b64 s[0:1], s[54:55]
	s_cbranch_execz .LBB176_77
; %bb.72:
	s_mov_b32 s58, 1
	s_mov_b64 s[54:55], 0
	v_mov_b32_e32 v6, 0
.LBB176_73:                             ; =>This Loop Header: Depth=1
                                        ;     Child Loop BB176_74 Depth 2
	s_max_u32 s59, s58, 1
.LBB176_74:                             ;   Parent Loop BB176_73 Depth=1
                                        ; =>  This Inner Loop Header: Depth=2
	s_add_i32 s59, s59, -1
	s_cmp_eq_u32 s59, 0
	s_sleep 1
	s_cbranch_scc0 .LBB176_74
; %bb.75:                               ;   in Loop: Header=BB176_73 Depth=1
	s_cmp_lt_u32 s58, 32
	s_cselect_b64 s[62:63], -1, 0
	s_cmp_lg_u64 s[62:63], 0
	s_addc_u32 s58, s58, 0
	;;#ASMSTART
	global_load_dwordx4 v[2:5], v[16:17] off sc1	
s_waitcnt vmcnt(0)
	;;#ASMEND
	s_nop 0
	v_cmp_ne_u16_sdwa s[62:63], v4, v6 src0_sel:BYTE_0 src1_sel:DWORD
	s_or_b64 s[54:55], s[62:63], s[54:55]
	s_andn2_b64 exec, exec, s[54:55]
	s_cbranch_execnz .LBB176_73
; %bb.76:
	s_or_b64 exec, exec, s[54:55]
.LBB176_77:
	s_or_b64 exec, exec, s[0:1]
	v_mov_b32_e32 v23, 2
	v_cmp_eq_u16_sdwa s[0:1], v4, v23 src0_sel:BYTE_0 src1_sel:DWORD
	v_lshlrev_b64 v[16:17], v15, -1
	v_and_b32_e32 v24, 63, v15
	v_and_b32_e32 v5, s1, v17
	v_or_b32_e32 v5, 0x80000000, v5
	v_cmp_ne_u32_e32 vcc, 63, v24
	v_and_b32_e32 v6, s0, v16
	v_ffbl_b32_e32 v5, v5
	v_addc_co_u32_e32 v7, vcc, 0, v15, vcc
	v_add_u32_e32 v5, 32, v5
	v_ffbl_b32_e32 v6, v6
	v_lshlrev_b32_e32 v25, 2, v7
	v_min_u32_e32 v5, v6, v5
	ds_bpermute_b32 v6, v25, v3
	v_cmp_eq_u32_e32 vcc, 0, v2
	v_cmp_lt_u32_e64 s[0:1], v24, v5
	ds_bpermute_b32 v7, v25, v2
	s_and_b64 vcc, s[0:1], vcc
	s_waitcnt lgkmcnt(1)
	v_cndmask_b32_e32 v6, 0, v6, vcc
	v_cmp_gt_u32_e32 vcc, 62, v24
	v_add_u32_e32 v3, v6, v3
	s_waitcnt lgkmcnt(0)
	v_cndmask_b32_e64 v7, 0, v7, s[0:1]
	v_cndmask_b32_e64 v6, 0, 1, vcc
	v_lshlrev_b32_e32 v6, 1, v6
	v_add_lshl_u32 v26, v6, v15, 2
	ds_bpermute_b32 v6, v26, v3
	v_add_u32_e32 v2, v7, v2
	ds_bpermute_b32 v7, v26, v2
	v_add_u32_e32 v27, 2, v24
	v_cmp_eq_u32_e32 vcc, 0, v2
	v_add_u32_e32 v29, 4, v24
	v_add_u32_e32 v31, 8, v24
	s_waitcnt lgkmcnt(1)
	v_cndmask_b32_e32 v6, 0, v6, vcc
	v_cmp_gt_u32_e32 vcc, v27, v5
	v_add_u32_e32 v33, 16, v24
	v_add_u32_e32 v35, 32, v24
	v_cndmask_b32_e64 v6, v6, 0, vcc
	v_add_u32_e32 v3, v6, v3
	s_waitcnt lgkmcnt(0)
	v_cndmask_b32_e64 v6, v7, 0, vcc
	v_cmp_gt_u32_e32 vcc, 60, v24
	v_add_u32_e32 v2, v2, v6
	s_nop 0
	v_cndmask_b32_e64 v7, 0, 1, vcc
	v_lshlrev_b32_e32 v7, 2, v7
	v_add_lshl_u32 v28, v7, v15, 2
	ds_bpermute_b32 v7, v28, v3
	ds_bpermute_b32 v6, v28, v2
	v_cmp_eq_u32_e32 vcc, 0, v2
	s_waitcnt lgkmcnt(1)
	s_nop 0
	v_cndmask_b32_e32 v7, 0, v7, vcc
	v_cmp_gt_u32_e32 vcc, v29, v5
	s_nop 1
	v_cndmask_b32_e64 v7, v7, 0, vcc
	s_waitcnt lgkmcnt(0)
	v_cndmask_b32_e64 v6, v6, 0, vcc
	v_cmp_gt_u32_e32 vcc, 56, v24
	v_add_u32_e32 v3, v3, v7
	v_add_u32_e32 v2, v2, v6
	v_cndmask_b32_e64 v7, 0, 1, vcc
	v_lshlrev_b32_e32 v7, 3, v7
	v_add_lshl_u32 v30, v7, v15, 2
	ds_bpermute_b32 v7, v30, v3
	ds_bpermute_b32 v6, v30, v2
	v_cmp_eq_u32_e32 vcc, 0, v2
	s_waitcnt lgkmcnt(1)
	s_nop 0
	v_cndmask_b32_e32 v7, 0, v7, vcc
	v_cmp_gt_u32_e32 vcc, v31, v5
	s_nop 1
	v_cndmask_b32_e64 v7, v7, 0, vcc
	s_waitcnt lgkmcnt(0)
	v_cndmask_b32_e64 v6, v6, 0, vcc
	v_cmp_gt_u32_e32 vcc, 48, v24
	v_add_u32_e32 v3, v3, v7
	v_add_u32_e32 v2, v2, v6
	;; [unrolled: 17-line block ×3, first 2 shown]
	v_cndmask_b32_e64 v7, 0, 1, vcc
	v_lshlrev_b32_e32 v7, 5, v7
	v_add_lshl_u32 v34, v7, v15, 2
	ds_bpermute_b32 v7, v34, v3
	ds_bpermute_b32 v6, v34, v2
	v_cmp_eq_u32_e32 vcc, 0, v2
	v_mov_b32_e32 v15, 0
	s_waitcnt lgkmcnt(1)
	v_cndmask_b32_e32 v7, 0, v7, vcc
	v_cmp_gt_u32_e32 vcc, v35, v5
	s_nop 1
	v_cndmask_b32_e64 v5, v7, 0, vcc
	v_add_u32_e32 v3, v5, v3
	s_waitcnt lgkmcnt(0)
	v_cndmask_b32_e64 v5, v6, 0, vcc
	v_add_u32_e32 v2, v5, v2
	s_branch .LBB176_79
.LBB176_78:                             ;   in Loop: Header=BB176_79 Depth=1
	s_or_b64 exec, exec, s[0:1]
	v_cmp_eq_u16_sdwa s[0:1], v4, v23 src0_sel:BYTE_0 src1_sel:DWORD
	v_cmp_eq_u32_e32 vcc, 0, v2
	ds_bpermute_b32 v19, v25, v2
	v_and_b32_e32 v5, s1, v17
	v_or_b32_e32 v5, 0x80000000, v5
	v_and_b32_e32 v18, s0, v16
	v_ffbl_b32_e32 v5, v5
	v_add_u32_e32 v5, 32, v5
	v_ffbl_b32_e32 v18, v18
	v_min_u32_e32 v5, v18, v5
	ds_bpermute_b32 v18, v25, v3
	v_cmp_lt_u32_e64 s[0:1], v24, v5
	s_and_b64 vcc, s[0:1], vcc
	v_subrev_u32_e32 v14, 64, v14
	s_waitcnt lgkmcnt(1)
	v_cndmask_b32_e64 v19, 0, v19, s[0:1]
	s_waitcnt lgkmcnt(0)
	v_cndmask_b32_e32 v18, 0, v18, vcc
	v_add_u32_e32 v3, v18, v3
	ds_bpermute_b32 v18, v26, v3
	v_add_u32_e32 v2, v19, v2
	v_cmp_eq_u32_e32 vcc, 0, v2
	ds_bpermute_b32 v19, v26, v2
	s_waitcnt lgkmcnt(1)
	v_cndmask_b32_e32 v18, 0, v18, vcc
	v_cmp_gt_u32_e32 vcc, v27, v5
	s_nop 1
	v_cndmask_b32_e64 v18, v18, 0, vcc
	v_add_u32_e32 v3, v18, v3
	ds_bpermute_b32 v18, v28, v3
	s_waitcnt lgkmcnt(1)
	v_cndmask_b32_e64 v19, v19, 0, vcc
	v_add_u32_e32 v2, v2, v19
	v_cmp_eq_u32_e32 vcc, 0, v2
	ds_bpermute_b32 v19, v28, v2
	s_waitcnt lgkmcnt(1)
	v_cndmask_b32_e32 v18, 0, v18, vcc
	v_cmp_gt_u32_e32 vcc, v29, v5
	s_nop 1
	v_cndmask_b32_e64 v18, v18, 0, vcc
	v_add_u32_e32 v3, v3, v18
	ds_bpermute_b32 v18, v30, v3
	s_waitcnt lgkmcnt(1)
	v_cndmask_b32_e64 v19, v19, 0, vcc
	v_add_u32_e32 v2, v2, v19
	ds_bpermute_b32 v19, v30, v2
	v_cmp_eq_u32_e32 vcc, 0, v2
	s_waitcnt lgkmcnt(1)
	s_nop 0
	v_cndmask_b32_e32 v18, 0, v18, vcc
	v_cmp_gt_u32_e32 vcc, v31, v5
	s_nop 1
	v_cndmask_b32_e64 v18, v18, 0, vcc
	v_add_u32_e32 v3, v3, v18
	ds_bpermute_b32 v18, v32, v3
	s_waitcnt lgkmcnt(1)
	v_cndmask_b32_e64 v19, v19, 0, vcc
	v_add_u32_e32 v2, v2, v19
	ds_bpermute_b32 v19, v32, v2
	v_cmp_eq_u32_e32 vcc, 0, v2
	s_waitcnt lgkmcnt(1)
	s_nop 0
	;; [unrolled: 13-line block ×3, first 2 shown]
	v_cndmask_b32_e32 v18, 0, v18, vcc
	v_cmp_gt_u32_e32 vcc, v35, v5
	s_nop 1
	v_cndmask_b32_e64 v5, v18, 0, vcc
	v_add_u32_e32 v3, v5, v3
	s_waitcnt lgkmcnt(0)
	v_cndmask_b32_e64 v5, v19, 0, vcc
	v_cmp_eq_u32_e32 vcc, 0, v6
	v_add3_u32 v2, v2, v6, v5
	s_nop 0
	v_cndmask_b32_e32 v3, 0, v3, vcc
	v_add_u32_e32 v3, v3, v7
.LBB176_79:                             ; =>This Loop Header: Depth=1
                                        ;     Child Loop BB176_82 Depth 2
                                        ;       Child Loop BB176_83 Depth 3
	v_cmp_ne_u16_sdwa s[0:1], v4, v23 src0_sel:BYTE_0 src1_sel:DWORD
	v_mov_b32_e32 v7, v3
	v_mov_b32_e32 v6, v2
	v_cndmask_b32_e64 v3, 0, 1, s[0:1]
	;;#ASMSTART
	;;#ASMEND
	s_nop 0
	v_cmp_ne_u32_e32 vcc, 0, v3
	s_cmp_lg_u64 vcc, exec
	s_cbranch_scc1 .LBB176_86
; %bb.80:                               ;   in Loop: Header=BB176_79 Depth=1
	v_lshl_add_u64 v[18:19], v[14:15], 4, s[36:37]
	;;#ASMSTART
	global_load_dwordx4 v[2:5], v[18:19] off sc1	
s_waitcnt vmcnt(0)
	;;#ASMEND
	s_nop 0
	v_and_b32_e32 v5, 0xff, v3
	v_and_b32_e32 v36, 0xff00, v3
	v_or3_b32 v2, v2, 0, 0
	v_and_b32_e32 v37, 0xff000000, v3
	v_or3_b32 v5, 0, v5, v36
	;; [unrolled: 2-line block ×3, first 2 shown]
	v_or3_b32 v2, v2, 0, 0
	v_cmp_eq_u16_sdwa s[54:55], v4, v15 src0_sel:BYTE_0 src1_sel:DWORD
	s_and_saveexec_b64 s[0:1], s[54:55]
	s_cbranch_execz .LBB176_78
; %bb.81:                               ;   in Loop: Header=BB176_79 Depth=1
	s_mov_b32 s58, 1
	s_mov_b64 s[54:55], 0
.LBB176_82:                             ;   Parent Loop BB176_79 Depth=1
                                        ; =>  This Loop Header: Depth=2
                                        ;       Child Loop BB176_83 Depth 3
	s_max_u32 s59, s58, 1
.LBB176_83:                             ;   Parent Loop BB176_79 Depth=1
                                        ;     Parent Loop BB176_82 Depth=2
                                        ; =>    This Inner Loop Header: Depth=3
	s_add_i32 s59, s59, -1
	s_cmp_eq_u32 s59, 0
	s_sleep 1
	s_cbranch_scc0 .LBB176_83
; %bb.84:                               ;   in Loop: Header=BB176_82 Depth=2
	s_cmp_lt_u32 s58, 32
	s_cselect_b64 s[62:63], -1, 0
	s_cmp_lg_u64 s[62:63], 0
	s_addc_u32 s58, s58, 0
	;;#ASMSTART
	global_load_dwordx4 v[2:5], v[18:19] off sc1	
s_waitcnt vmcnt(0)
	;;#ASMEND
	s_nop 0
	v_cmp_ne_u16_sdwa s[62:63], v4, v15 src0_sel:BYTE_0 src1_sel:DWORD
	s_or_b64 s[54:55], s[62:63], s[54:55]
	s_andn2_b64 exec, exec, s[54:55]
	s_cbranch_execnz .LBB176_82
; %bb.85:                               ;   in Loop: Header=BB176_79 Depth=1
	s_or_b64 exec, exec, s[54:55]
	s_branch .LBB176_78
.LBB176_86:                             ;   in Loop: Header=BB176_79 Depth=1
                                        ; implicit-def: $vgpr3
                                        ; implicit-def: $vgpr2
                                        ; implicit-def: $vgpr4
	s_cbranch_execz .LBB176_79
; %bb.87:
	s_and_saveexec_b64 s[0:1], s[28:29]
	s_cbranch_execz .LBB176_89
; %bb.88:
	s_cmp_eq_u32 s56, 0
	s_cselect_b64 vcc, -1, 0
	s_mov_b32 s55, 0
	v_cndmask_b32_e32 v2, 0, v7, vcc
	s_add_i32 s54, s60, 64
	v_add_u32_e32 v2, s57, v2
	s_lshl_b64 s[54:55], s[54:55], 4
	s_add_u32 s54, s36, s54
	v_and_b32_e32 v3, 0xff000000, v2
	v_and_b32_e32 v4, 0xff0000, v2
	s_addc_u32 s55, s37, s55
	v_or_b32_e32 v3, v4, v3
	v_and_b32_e32 v4, 0xff00, v2
	v_and_b32_e32 v2, 0xff, v2
	v_add_u32_e32 v14, s56, v6
	v_mov_b32_e32 v17, 0
	v_or3_b32 v15, v3, v4, v2
	v_mov_b32_e32 v16, 2
	v_mov_b64_e32 v[2:3], s[54:55]
	;;#ASMSTART
	global_store_dwordx4 v[2:3], v[14:17] off sc1	
s_waitcnt vmcnt(0)
	;;#ASMEND
	v_mov_b32_e32 v4, s56
	v_mov_b32_e32 v5, s57
	ds_write_b128 v17, v[4:7] offset:1024
.LBB176_89:
	s_or_b64 exec, exec, s[0:1]
	s_and_b64 exec, exec, s[34:35]
	s_cbranch_execz .LBB176_91
; %bb.90:
	v_mov_b32_e32 v2, 0
	ds_write_b64 v2, v[6:7] offset:1096
.LBB176_91:
	s_or_b64 exec, exec, s[52:53]
	v_mov_b32_e32 v4, 0
	s_waitcnt lgkmcnt(0)
	s_barrier
	ds_read_b64 v[2:3], v4 offset:1096
	v_cndmask_b32_e64 v6, v20, v12, s[28:29]
	v_cmp_eq_u32_e32 vcc, 0, v6
	v_cndmask_b32_e64 v5, v22, v13, s[28:29]
	s_waitcnt lgkmcnt(0)
	v_cndmask_b32_e32 v7, 0, v3, vcc
	v_add_u32_e32 v5, v7, v5
	v_cndmask_b32_e64 v51, v5, v3, s[34:35]
	v_cndmask_b32_e64 v3, v6, 0, s[34:35]
	v_cmp_eq_u32_e32 vcc, 0, v79
	v_add_u32_e32 v50, v2, v3
	v_add_u32_e32 v48, v50, v79
	v_cndmask_b32_e32 v2, 0, v51, vcc
	v_add_u32_e32 v49, v2, v52
	v_cndmask_b32_e64 v2, 0, v49, s[26:27]
	v_add_u32_e32 v47, v2, v52
	v_cndmask_b32_e64 v2, 0, v47, s[24:25]
	;; [unrolled: 2-line block ×7, first 2 shown]
	v_add_u32_e32 v35, v2, v52
	v_add_u32_e32 v46, v48, v78
	v_cndmask_b32_e64 v2, 0, v35, s[12:13]
	v_add_u32_e32 v44, v46, v77
	v_add_u32_e32 v33, v2, v52
	v_add_u32_e32 v42, v44, v76
	v_cndmask_b32_e64 v2, 0, v33, s[10:11]
	v_add_u32_e32 v40, v42, v75
	;; [unrolled: 4-line block ×3, first 2 shown]
	v_add_u32_e32 v29, v2, v52
	s_barrier
	ds_read_b128 v[16:19], v4 offset:1024
	v_add_u32_e32 v34, v36, v72
	v_cndmask_b32_e64 v2, 0, v29, s[6:7]
	v_add_u32_e32 v32, v34, v71
	v_add_u32_e32 v27, v2, v52
	;; [unrolled: 1-line block ×3, first 2 shown]
	v_cndmask_b32_e64 v2, 0, v27, s[4:5]
	v_add_u32_e32 v28, v30, v69
	v_add_u32_e32 v23, v2, v52
	v_add_u32_e32 v26, v28, v68
	v_cndmask_b32_e64 v2, 0, v23, s[2:3]
	s_waitcnt lgkmcnt(0)
	v_cmp_eq_u32_e32 vcc, 0, v16
	v_add_u32_e32 v22, v26, v67
	v_add_u32_e32 v25, v2, v52
	v_cndmask_b32_e32 v2, 0, v19, vcc
	v_add_u32_e32 v24, v22, v64
	v_add_u32_e32 v20, v2, v17
	s_branch .LBB176_104
.LBB176_92:
                                        ; implicit-def: $vgpr16
                                        ; implicit-def: $vgpr20
                                        ; implicit-def: $vgpr24_vgpr25
                                        ; implicit-def: $vgpr22_vgpr23
                                        ; implicit-def: $vgpr26_vgpr27
                                        ; implicit-def: $vgpr28_vgpr29
                                        ; implicit-def: $vgpr50_vgpr51
                                        ; implicit-def: $vgpr48_vgpr49
                                        ; implicit-def: $vgpr46_vgpr47
                                        ; implicit-def: $vgpr44_vgpr45
                                        ; implicit-def: $vgpr42_vgpr43
                                        ; implicit-def: $vgpr40_vgpr41
                                        ; implicit-def: $vgpr38_vgpr39
                                        ; implicit-def: $vgpr36_vgpr37
                                        ; implicit-def: $vgpr34_vgpr35
                                        ; implicit-def: $vgpr32_vgpr33
                                        ; implicit-def: $vgpr30_vgpr31
	s_cbranch_execz .LBB176_104
; %bb.93:
	s_and_b64 s[0:1], s[38:39], exec
	s_cselect_b32 s1, 0, s51
	s_cselect_b32 s0, 0, s50
	s_cmp_eq_u64 s[0:1], 0
	v_mov_b32_e32 v6, v52
	s_cbranch_scc1 .LBB176_95
; %bb.94:
	v_mov_b32_e32 v2, 0
	global_load_dword v6, v2, s[0:1]
.LBB176_95:
	v_cmp_eq_u32_e64 s[2:3], 0, v78
	v_cmp_eq_u32_e64 s[4:5], 0, v77
	v_cmp_eq_u32_e64 s[6:7], 0, v76
	v_cndmask_b32_e64 v2, 0, v52, s[2:3]
	v_add_u32_e32 v2, v2, v52
	v_cndmask_b32_e64 v2, 0, v2, s[4:5]
	v_add_u32_e32 v2, v2, v52
	v_cndmask_b32_e64 v2, 0, v2, s[6:7]
	v_add_u32_e32 v2, v2, v52
	v_cmp_eq_u32_e64 s[8:9], 0, v75
	v_cmp_eq_u32_e64 s[10:11], 0, v74
	v_cmp_eq_u32_e64 s[12:13], 0, v73
	v_cndmask_b32_e64 v2, 0, v2, s[8:9]
	v_add_u32_e32 v2, v2, v52
	v_cndmask_b32_e64 v2, 0, v2, s[10:11]
	v_add_u32_e32 v2, v2, v52
	v_cndmask_b32_e64 v2, 0, v2, s[12:13]
	v_add_u32_e32 v2, v2, v52
	;; [unrolled: 9-line block ×3, first 2 shown]
	v_cmp_eq_u32_e64 s[20:21], 0, v69
	v_cmp_eq_u32_e64 s[22:23], 0, v68
	;; [unrolled: 1-line block ×3, first 2 shown]
	v_cndmask_b32_e64 v2, 0, v2, s[20:21]
	v_add_u32_e32 v2, v2, v52
	v_cndmask_b32_e64 v2, 0, v2, s[22:23]
	v_add_u32_e32 v2, v2, v52
	v_cndmask_b32_e64 v2, 0, v2, s[24:25]
	v_add3_u32 v3, v81, v74, v73
	v_add_u32_e32 v2, v2, v52
	v_cmp_eq_u32_e32 vcc, 0, v64
	v_add3_u32 v3, v3, v72, v71
	v_add3_u32 v3, v3, v70, v69
	v_cndmask_b32_e32 v2, 0, v2, vcc
	v_add_u32_e32 v2, v2, v52
	v_cmp_eq_u32_e64 s[0:1], 0, v62
	v_add3_u32 v3, v3, v68, v67
	v_add3_u32 v3, v3, v64, v62
	v_cndmask_b32_e64 v2, 0, v2, s[0:1]
	v_add_u32_e32 v2, v2, v53
	v_mbcnt_hi_u32_b32 v7, -1, v80
	v_and_b32_e32 v4, 15, v7
	v_mov_b32_dpp v12, v2 row_shr:1 row_mask:0xf bank_mask:0xf
	v_cmp_eq_u32_e64 s[0:1], 0, v3
	v_mov_b32_dpp v5, v3 row_shr:1 row_mask:0xf bank_mask:0xf
	v_cmp_lt_u32_e64 s[26:27], 1, v4
	v_cndmask_b32_e64 v12, 0, v12, s[0:1]
	v_cmp_eq_u32_e64 s[0:1], 0, v4
	s_nop 1
	v_cndmask_b32_e64 v5, v5, 0, s[0:1]
	v_add_u32_e32 v3, v5, v3
	v_cndmask_b32_e64 v5, v12, 0, s[0:1]
	v_add_u32_e32 v2, v5, v2
	v_cmp_eq_u32_e64 s[0:1], 0, v3
	v_mov_b32_dpp v5, v3 row_shr:2 row_mask:0xf bank_mask:0xf
	v_mov_b32_dpp v12, v2 row_shr:2 row_mask:0xf bank_mask:0xf
	v_cndmask_b32_e64 v5, 0, v5, s[26:27]
	s_and_b64 s[0:1], s[26:27], s[0:1]
	v_cndmask_b32_e64 v12, 0, v12, s[0:1]
	v_add_u32_e32 v3, v3, v5
	v_add_u32_e32 v2, v12, v2
	v_cmp_eq_u32_e64 s[0:1], 0, v3
	v_mov_b32_dpp v5, v3 row_shr:4 row_mask:0xf bank_mask:0xf
	v_cmp_lt_u32_e64 s[26:27], 3, v4
	v_mov_b32_dpp v12, v2 row_shr:4 row_mask:0xf bank_mask:0xf
	s_and_b64 s[0:1], s[26:27], s[0:1]
	v_cndmask_b32_e64 v5, 0, v5, s[26:27]
	v_cndmask_b32_e64 v12, 0, v12, s[0:1]
	v_add_u32_e32 v3, v5, v3
	v_add_u32_e32 v2, v2, v12
	v_cmp_eq_u32_e64 s[0:1], 0, v3
	v_cmp_lt_u32_e64 s[26:27], 7, v4
	v_mov_b32_dpp v5, v3 row_shr:8 row_mask:0xf bank_mask:0xf
	v_mov_b32_dpp v12, v2 row_shr:8 row_mask:0xf bank_mask:0xf
	s_and_b64 s[0:1], s[26:27], s[0:1]
	v_cndmask_b32_e64 v4, 0, v5, s[26:27]
	v_cndmask_b32_e64 v5, 0, v12, s[0:1]
	v_add_u32_e32 v2, v5, v2
	v_add_u32_e32 v3, v4, v3
	v_bfe_i32 v12, v7, 4, 1
	v_mov_b32_dpp v5, v2 row_bcast:15 row_mask:0xf bank_mask:0xf
	v_mov_b32_dpp v4, v3 row_bcast:15 row_mask:0xf bank_mask:0xf
	v_cmp_eq_u32_e64 s[0:1], 0, v3
	v_and_b32_e32 v4, v12, v4
	v_add_u32_e32 v3, v4, v3
	v_cndmask_b32_e64 v5, 0, v5, s[0:1]
	v_and_b32_e32 v4, v12, v5
	v_add_u32_e32 v4, v4, v2
	v_mov_b32_dpp v2, v3 row_bcast:31 row_mask:0xf bank_mask:0xf
	v_cmp_eq_u32_e64 s[0:1], 0, v3
	v_cmp_lt_u32_e64 s[26:27], 31, v7
	v_mov_b32_dpp v5, v4 row_bcast:31 row_mask:0xf bank_mask:0xf
	s_and_b64 s[0:1], s[26:27], s[0:1]
	v_cndmask_b32_e64 v2, 0, v2, s[26:27]
	v_add_u32_e32 v2, v2, v3
	v_cndmask_b32_e64 v3, 0, v5, s[0:1]
	v_add_u32_e32 v3, v3, v4
	v_cmp_eq_u32_e64 s[0:1], v55, v0
	s_and_saveexec_b64 s[26:27], s[0:1]
	s_cbranch_execz .LBB176_97
; %bb.96:
	v_lshlrev_b32_e32 v4, 3, v54
	ds_write_b64 v4, v[2:3] offset:1040
.LBB176_97:
	s_or_b64 exec, exec, s[26:27]
	v_cmp_gt_u32_e64 s[0:1], 8, v0
	s_waitcnt lgkmcnt(0)
	s_barrier
	s_and_saveexec_b64 s[28:29], s[0:1]
	s_cbranch_execz .LBB176_99
; %bb.98:
	v_lshlrev_b32_e32 v12, 3, v0
	ds_read_b64 v[4:5], v12 offset:1040
	v_and_b32_e32 v13, 7, v7
	v_cmp_lt_u32_e64 s[26:27], 1, v13
	s_waitcnt lgkmcnt(0)
	v_mov_b32_dpp v15, v5 row_shr:1 row_mask:0xf bank_mask:0xf
	v_cmp_eq_u32_e64 s[0:1], 0, v4
	v_mov_b32_dpp v14, v4 row_shr:1 row_mask:0xf bank_mask:0xf
	s_nop 0
	v_cndmask_b32_e64 v15, 0, v15, s[0:1]
	v_cmp_eq_u32_e64 s[0:1], 0, v13
	s_nop 1
	v_cndmask_b32_e64 v14, v14, 0, s[0:1]
	v_add_u32_e32 v4, v14, v4
	v_cndmask_b32_e64 v14, v15, 0, s[0:1]
	v_add_u32_e32 v5, v14, v5
	v_cmp_eq_u32_e64 s[0:1], 0, v4
	v_mov_b32_dpp v14, v4 row_shr:2 row_mask:0xf bank_mask:0xf
	v_mov_b32_dpp v15, v5 row_shr:2 row_mask:0xf bank_mask:0xf
	v_cndmask_b32_e64 v14, 0, v14, s[26:27]
	s_and_b64 s[0:1], s[26:27], s[0:1]
	v_cndmask_b32_e64 v15, 0, v15, s[0:1]
	v_add_u32_e32 v4, v14, v4
	v_add_u32_e32 v5, v15, v5
	v_cmp_eq_u32_e64 s[0:1], 0, v4
	v_mov_b32_dpp v14, v4 row_shr:4 row_mask:0xf bank_mask:0xf
	v_cmp_lt_u32_e64 s[26:27], 3, v13
	v_mov_b32_dpp v15, v5 row_shr:4 row_mask:0xf bank_mask:0xf
	s_and_b64 s[0:1], s[26:27], s[0:1]
	v_cndmask_b32_e64 v13, 0, v14, s[26:27]
	v_add_u32_e32 v4, v13, v4
	v_cndmask_b32_e64 v13, 0, v15, s[0:1]
	v_add_u32_e32 v5, v13, v5
	ds_write_b64 v12, v[4:5] offset:1040
.LBB176_99:
	s_or_b64 exec, exec, s[28:29]
	v_cmp_lt_u32_e64 s[0:1], 63, v0
	v_mov_b32_e32 v12, 0
	v_mov_b32_e32 v4, 0
	s_waitcnt vmcnt(0)
	v_mov_b32_e32 v5, v6
	s_waitcnt lgkmcnt(0)
	s_barrier
	s_and_saveexec_b64 s[26:27], s[0:1]
	s_cbranch_execz .LBB176_101
; %bb.100:
	v_lshlrev_b32_e32 v4, 3, v54
	ds_read_b64 v[4:5], v4 offset:1032
	s_waitcnt lgkmcnt(0)
	v_cmp_eq_u32_e64 s[0:1], 0, v4
	s_nop 1
	v_cndmask_b32_e64 v13, 0, v6, s[0:1]
	v_add_u32_e32 v5, v13, v5
.LBB176_101:
	s_or_b64 exec, exec, s[26:27]
	v_cmp_eq_u32_e64 s[0:1], 0, v2
	v_add_u32_e32 v13, v4, v2
	v_and_b32_e32 v14, 64, v7
	v_cndmask_b32_e64 v2, 0, v5, s[0:1]
	v_add_u32_e32 v2, v2, v3
	v_add_u32_e32 v3, -1, v7
	v_cmp_lt_i32_e64 s[0:1], v3, v14
	ds_read_b64 v[16:17], v12 offset:1096
	s_nop 0
	v_cndmask_b32_e64 v3, v3, v7, s[0:1]
	v_lshlrev_b32_e32 v3, 2, v3
	ds_bpermute_b32 v2, v3, v2
	ds_bpermute_b32 v13, v3, v13
	v_cmp_eq_u32_e64 s[0:1], 0, v7
	s_waitcnt lgkmcnt(1)
	s_nop 0
	v_cndmask_b32_e64 v2, v2, v5, s[0:1]
	s_waitcnt lgkmcnt(0)
	v_cndmask_b32_e64 v3, v13, v4, s[0:1]
	v_cndmask_b32_e64 v51, v2, v6, s[34:35]
	v_cmp_eq_u32_e64 s[0:1], 0, v79
	v_cndmask_b32_e64 v50, v3, 0, s[34:35]
	v_add_u32_e32 v48, v50, v79
	v_cndmask_b32_e64 v2, 0, v51, s[0:1]
	v_add_u32_e32 v49, v2, v52
	;; [unrolled: 2-line block ×9, first 2 shown]
	v_add_u32_e32 v46, v48, v78
	v_cndmask_b32_e64 v2, 0, v35, s[16:17]
	v_add_u32_e32 v44, v46, v77
	v_add_u32_e32 v33, v2, v52
	v_add_u32_e32 v42, v44, v76
	v_cndmask_b32_e64 v2, 0, v33, s[18:19]
	v_add_u32_e32 v40, v42, v75
	v_add_u32_e32 v31, v2, v52
	;; [unrolled: 4-line block ×5, first 2 shown]
	v_add_u32_e32 v26, v28, v68
	v_cndmask_b32_e32 v2, 0, v23, vcc
	v_cmp_eq_u32_e32 vcc, 0, v16
	v_add_u32_e32 v22, v26, v67
	v_add_u32_e32 v25, v2, v52
	v_cndmask_b32_e32 v2, 0, v6, vcc
	v_add_u32_e32 v24, v22, v64
	v_add_u32_e32 v20, v2, v17
	s_and_saveexec_b64 s[0:1], s[34:35]
	s_cbranch_execz .LBB176_103
; %bb.102:
	s_add_u32 s2, s36, 0x400
	v_and_b32_e32 v2, 0xff000000, v20
	v_and_b32_e32 v3, 0xff0000, v20
	s_addc_u32 s3, s37, 0
	v_or_b32_e32 v2, v3, v2
	v_and_b32_e32 v3, 0xff00, v20
	v_and_b32_e32 v4, 0xff, v20
	v_mov_b32_e32 v19, 0
	v_or3_b32 v17, v2, v3, v4
	v_mov_b32_e32 v18, 2
	v_mov_b64_e32 v[2:3], s[2:3]
	;;#ASMSTART
	global_store_dwordx4 v[2:3], v[16:19] off sc1	
s_waitcnt vmcnt(0)
	;;#ASMEND
.LBB176_103:
	s_or_b64 exec, exec, s[0:1]
	v_mov_b32_e32 v18, 0
.LBB176_104:
	s_and_b64 s[0:1], s[38:39], exec
	s_cselect_b32 s1, 0, s31
	s_cselect_b32 s0, 0, s30
	s_cmp_eq_u64 s[0:1], 0
	v_mov_b64_e32 v[52:53], 0
	s_barrier
	s_cbranch_scc1 .LBB176_106
; %bb.105:
	v_mov_b32_e32 v2, 0
	global_load_dwordx2 v[52:53], v2, s[0:1]
.LBB176_106:
	s_waitcnt vmcnt(0)
	v_lshl_add_u64 v[2:3], s[44:45], 0, v[52:53]
	v_mov_b32_e32 v19, 0
	v_cmp_eq_u32_e32 vcc, 0, v79
	v_lshl_add_u64 v[54:55], v[2:3], 0, v[18:19]
	s_movk_i32 s0, 0x200
	v_cndmask_b32_e64 v2, 1, 2, vcc
	v_cmp_eq_u32_e32 vcc, 0, v78
	v_cmp_ne_u32_e64 s[30:31], 0, v79
	v_cmp_ne_u32_e64 s[28:29], 0, v78
	v_cndmask_b32_e64 v3, 1, 2, vcc
	v_cmp_eq_u32_e32 vcc, 0, v77
	v_and_b32_e32 v2, v3, v2
	v_cmp_ne_u32_e64 s[26:27], 0, v77
	v_cndmask_b32_e64 v3, 1, 2, vcc
	v_cmp_eq_u32_e32 vcc, 0, v76
	v_and_b32_e32 v2, v2, v3
	;; [unrolled: 4-line block ×13, first 2 shown]
	v_cmp_ne_u32_e64 s[2:3], 0, v62
	v_cndmask_b32_e64 v3, 1, 2, vcc
	v_and_b32_e32 v2, v2, v3
	v_cmp_gt_u32_e32 vcc, s0, v16
	s_mov_b64 s[36:37], -1
	v_cmp_gt_i16_e64 s[0:1], 2, v2
	s_cbranch_vccz .LBB176_113
; %bb.107:
	s_and_saveexec_b64 s[36:37], s[0:1]
	s_cbranch_execz .LBB176_112
; %bb.108:
	v_cmp_ne_u16_e32 vcc, 1, v2
	s_mov_b64 s[38:39], 0
	s_and_saveexec_b64 s[0:1], vcc
	s_xor_b64 s[0:1], exec, s[0:1]
	s_cbranch_execnz .LBB176_154
; %bb.109:
	s_andn2_saveexec_b64 s[0:1], s[0:1]
	s_cbranch_execnz .LBB176_170
.LBB176_110:
	s_or_b64 exec, exec, s[0:1]
	s_and_b64 exec, exec, s[38:39]
	s_cbranch_execz .LBB176_112
.LBB176_111:
	v_sub_u32_e32 v3, v24, v18
	v_readfirstlane_b32 s0, v54
	v_readfirstlane_b32 s1, v55
	s_nop 4
	global_store_byte v3, v1, s[0:1]
.LBB176_112:
	s_or_b64 exec, exec, s[36:37]
	s_mov_b64 s[36:37], 0
.LBB176_113:
	s_and_b64 vcc, exec, s[36:37]
	s_cbranch_vccz .LBB176_132
; %bb.114:
	v_cmp_gt_i16_e32 vcc, 2, v2
	s_and_saveexec_b64 s[0:1], vcc
	s_cbranch_execz .LBB176_119
; %bb.115:
	v_cmp_ne_u16_e32 vcc, 1, v2
	s_mov_b64 s[38:39], 0
	s_and_saveexec_b64 s[36:37], vcc
	s_xor_b64 s[36:37], exec, s[36:37]
	s_cbranch_execnz .LBB176_171
; %bb.116:
	s_andn2_saveexec_b64 s[2:3], s[36:37]
	s_cbranch_execnz .LBB176_187
.LBB176_117:
	s_or_b64 exec, exec, s[2:3]
	s_and_b64 exec, exec, s[38:39]
	s_cbranch_execz .LBB176_119
.LBB176_118:
	v_sub_u32_e32 v2, v24, v18
	ds_write_b8 v2, v1
.LBB176_119:
	s_or_b64 exec, exec, s[0:1]
	v_cmp_lt_u32_e32 vcc, v0, v16
	s_waitcnt lgkmcnt(0)
	s_barrier
	s_and_saveexec_b64 s[0:1], vcc
	s_cbranch_execz .LBB176_131
; %bb.120:
	v_xad_u32 v2, v0, -1, v16
	s_movk_i32 s2, 0xdff
	v_cmp_lt_u32_e32 vcc, s2, v2
	s_mov_b64 s[4:5], -1
	v_mov_b32_e32 v1, v0
	s_and_saveexec_b64 s[2:3], vcc
	s_cbranch_execz .LBB176_128
; %bb.121:
	v_lshrrev_b32_e32 v17, 9, v2
	v_or_b32_e32 v7, 0xe00, v0
	v_or_b32_e32 v6, 0xc00, v0
	v_or_b32_e32 v5, 0xa00, v0
	v_or_b32_e32 v4, 0x800, v0
	v_or_b32_e32 v3, 0x600, v0
	v_or_b32_e32 v2, 0x400, v0
	v_or_b32_e32 v1, 0x200, v0
	v_add_u32_e32 v21, -7, v17
	v_mov_b64_e32 v[14:15], v[6:7]
	v_cmp_lt_u32_e32 vcc, 7, v21
	v_mov_b32_e32 v60, 0
	v_mov_b64_e32 v[12:13], v[4:5]
	v_mov_b64_e32 v[10:11], v[2:3]
	;; [unrolled: 1-line block ×3, first 2 shown]
	s_and_saveexec_b64 s[4:5], vcc
	s_cbranch_execz .LBB176_125
; %bb.122:
	v_lshrrev_b32_e32 v8, 3, v21
	v_add_u32_e32 v8, 1, v8
	v_and_b32_e32 v58, 0x3ffffffe, v8
	v_mov_b64_e32 v[14:15], v[6:7]
	s_mov_b32 s8, 0
	s_mov_b64 s[6:7], 0
	v_mov_b32_e32 v57, 0
	v_mov_b32_e32 v59, v0
	v_mov_b64_e32 v[12:13], v[4:5]
	v_mov_b64_e32 v[10:11], v[2:3]
	;; [unrolled: 1-line block ×3, first 2 shown]
.LBB176_123:                            ; =>This Inner Loop Header: Depth=1
	v_mov_b32_e32 v56, v8
	v_lshl_add_u64 v[86:87], v[54:55], 0, v[56:57]
	v_mov_b32_e32 v56, v9
	v_lshl_add_u64 v[90:91], v[54:55], 0, v[56:57]
	;; [unrolled: 2-line block ×3, first 2 shown]
	v_mov_b32_e32 v56, v11
	ds_read_u8 v1, v59
	ds_read_u8 v63, v59 offset:512
	ds_read_u8 v65, v59 offset:1024
	;; [unrolled: 1-line block ×7, first 2 shown]
	v_lshl_add_u64 v[94:95], v[54:55], 0, v[56:57]
	v_mov_b32_e32 v56, v12
	ds_read_u8 v102, v59 offset:4096
	ds_read_u8 v103, v59 offset:4608
	;; [unrolled: 1-line block ×8, first 2 shown]
	v_lshl_add_u64 v[96:97], v[54:55], 0, v[56:57]
	v_mov_b32_e32 v56, v13
	s_waitcnt lgkmcnt(14)
	global_store_byte v[86:87], v1, off
	global_store_byte v[90:91], v63, off
	s_waitcnt lgkmcnt(13)
	global_store_byte v[92:93], v65, off
	s_waitcnt lgkmcnt(12)
	global_store_byte v[94:95], v66, off
	v_lshl_add_u64 v[86:87], v[54:55], 0, v[56:57]
	v_mov_b32_e32 v56, v14
	v_add_u32_e32 v58, -2, v58
	v_lshl_add_u64 v[90:91], v[54:55], 0, v[56:57]
	v_mov_b32_e32 v56, v15
	v_add_u32_e32 v60, 0x1000, v12
	v_mov_b32_e32 v61, v57
	s_add_i32 s8, s8, 16
	v_cmp_eq_u32_e32 vcc, 0, v58
	s_waitcnt lgkmcnt(11)
	global_store_byte v[96:97], v98, off
	s_waitcnt lgkmcnt(10)
	global_store_byte v[86:87], v99, off
	v_lshl_add_u64 v[86:87], v[54:55], 0, v[56:57]
	v_add_u32_e32 v56, 0x1000, v8
	v_add_u32_e32 v2, 0x1000, v15
	;; [unrolled: 1-line block ×7, first 2 shown]
	v_mov_b32_e32 v85, v57
	v_mov_b32_e32 v83, v57
	v_mov_b32_e32 v81, v57
	v_mov_b32_e32 v7, v57
	v_mov_b32_e32 v5, v57
	v_mov_b32_e32 v3, v57
	v_add_u32_e32 v59, 0x2000, v59
	v_lshl_add_u64 v[88:89], v[54:55], 0, v[60:61]
	v_add_u32_e32 v9, 0x2000, v9
	v_mov_b32_e32 v60, s8
	v_add_u32_e32 v10, 0x2000, v10
	s_or_b64 s[6:7], vcc, s[6:7]
	v_add_u32_e32 v11, 0x2000, v11
	v_add_u32_e32 v12, 0x2000, v12
	;; [unrolled: 1-line block ×5, first 2 shown]
	s_waitcnt lgkmcnt(9)
	global_store_byte v[90:91], v100, off
	v_add_u32_e32 v8, 0x2000, v8
	s_waitcnt lgkmcnt(8)
	global_store_byte v[86:87], v101, off
	v_lshl_add_u64 v[86:87], v[54:55], 0, v[56:57]
	v_lshl_add_u64 v[84:85], v[54:55], 0, v[84:85]
	;; [unrolled: 1-line block ×7, first 2 shown]
	s_waitcnt lgkmcnt(7)
	global_store_byte v[86:87], v102, off
	s_waitcnt lgkmcnt(6)
	global_store_byte v[84:85], v103, off
	;; [unrolled: 2-line block ×8, first 2 shown]
	s_andn2_b64 exec, exec, s[6:7]
	s_cbranch_execnz .LBB176_123
; %bb.124:
	s_or_b64 exec, exec, s[6:7]
.LBB176_125:
	s_or_b64 exec, exec, s[4:5]
	v_and_b32_e32 v1, 8, v21
	v_cmp_eq_u32_e32 vcc, 0, v1
	s_and_saveexec_b64 s[4:5], vcc
	s_cbranch_execz .LBB176_127
; %bb.126:
	v_mov_b32_e32 v3, 0
	v_mov_b32_e32 v2, v8
	v_lshl_add_u64 v[4:5], v[54:55], 0, v[2:3]
	v_mov_b32_e32 v2, v9
	v_lshl_or_b32 v1, v60, 9, v0
	v_lshl_add_u64 v[6:7], v[54:55], 0, v[2:3]
	v_mov_b32_e32 v2, v10
	ds_read_u8 v21, v1
	ds_read_u8 v60, v1 offset:512
	ds_read_u8 v61, v1 offset:1024
	;; [unrolled: 1-line block ×7, first 2 shown]
	v_lshl_add_u64 v[8:9], v[54:55], 0, v[2:3]
	v_mov_b32_e32 v2, v11
	v_lshl_add_u64 v[10:11], v[54:55], 0, v[2:3]
	v_mov_b32_e32 v2, v12
	;; [unrolled: 2-line block ×5, first 2 shown]
	v_lshl_add_u64 v[2:3], v[54:55], 0, v[2:3]
	s_waitcnt lgkmcnt(7)
	global_store_byte v[4:5], v21, off
	s_waitcnt lgkmcnt(6)
	global_store_byte v[6:7], v60, off
	;; [unrolled: 2-line block ×8, first 2 shown]
.LBB176_127:
	s_or_b64 exec, exec, s[4:5]
	v_add_u32_e32 v2, 1, v17
	v_and_b32_e32 v3, 0xfffff8, v2
	v_cmp_ne_u32_e32 vcc, v2, v3
	v_lshl_or_b32 v1, v3, 9, v0
	s_orn2_b64 s[4:5], vcc, exec
.LBB176_128:
	s_or_b64 exec, exec, s[2:3]
	s_and_b64 exec, exec, s[4:5]
	s_cbranch_execz .LBB176_131
; %bb.129:
	s_mov_b64 s[2:3], 0
.LBB176_130:                            ; =>This Inner Loop Header: Depth=1
	ds_read_u8 v2, v1
	v_readfirstlane_b32 s4, v54
	v_readfirstlane_b32 s5, v55
	s_waitcnt lgkmcnt(0)
	s_nop 3
	global_store_byte v1, v2, s[4:5]
	v_add_u32_e32 v1, 0x200, v1
	v_cmp_ge_u32_e32 vcc, v1, v16
	s_or_b64 s[2:3], vcc, s[2:3]
	s_andn2_b64 exec, exec, s[2:3]
	s_cbranch_execnz .LBB176_130
.LBB176_131:
	s_or_b64 exec, exec, s[0:1]
.LBB176_132:
	s_cmpk_lg_i32 s33, 0x1e00
	s_cselect_b64 s[0:1], -1, 0
	v_cndmask_b32_e64 v10, 0, 1, s[42:43]
	s_and_b64 s[0:1], s[0:1], s[40:41]
	v_sub_u32_e32 v1, v16, v10
	v_cndmask_b32_e64 v2, 0, 1, s[0:1]
	s_and_b64 s[0:1], s[34:35], s[42:43]
	v_add_u32_e32 v1, v1, v2
	v_cndmask_b32_e64 v2, v79, 0, s[0:1]
	s_mul_hi_u32 s0, s33, 0x88888889
	s_lshr_b32 s0, s0, 3
	v_mad_i32_i24 v3, v0, -15, s33
	v_cmp_eq_u32_e32 vcc, s0, v0
	v_cmp_ne_u32_e64 s[0:1], 0, v3
	s_and_b64 vcc, vcc, s[40:41]
	s_mov_b32 s2, 0
	v_cndmask_b32_e64 v4, 1, v2, s[0:1]
	v_cmp_ne_u32_e64 s[0:1], 1, v3
	v_cndmask_b32_e32 v63, v2, v4, vcc
	s_movk_i32 s30, 0x200
	v_cndmask_b32_e64 v5, 1, v78, s[0:1]
	v_cmp_ne_u32_e64 s[0:1], 2, v3
	s_mov_b64 s[34:35], -1
	v_cmp_ne_u32_e64 s[28:29], 0, v63
	v_cndmask_b32_e64 v6, 1, v77, s[0:1]
	v_cmp_ne_u32_e64 s[0:1], 3, v3
	v_cndmask_b32_e32 v61, v77, v6, vcc
	v_cmp_ne_u32_e64 s[24:25], 0, v61
	v_cndmask_b32_e64 v7, 1, v76, s[0:1]
	v_cmp_ne_u32_e64 s[0:1], 4, v3
	v_cndmask_b32_e32 v60, v76, v7, vcc
	v_lshlrev_b64 v[6:7], 3, v[18:19]
	v_cndmask_b32_e64 v8, 1, v75, s[0:1]
	v_cmp_ne_u32_e64 s[0:1], 5, v3
	v_cndmask_b32_e32 v59, v75, v8, vcc
	v_cmp_ne_u32_e64 s[22:23], 0, v60
	v_cndmask_b32_e64 v9, 1, v74, s[0:1]
	v_cmp_ne_u32_e64 s[0:1], 6, v3
	v_cndmask_b32_e32 v58, v74, v9, vcc
	v_cmp_ne_u32_e64 s[20:21], 0, v59
	v_cndmask_b32_e64 v11, 1, v73, s[0:1]
	v_cmp_ne_u32_e64 s[0:1], 7, v3
	v_cndmask_b32_e32 v57, v73, v11, vcc
	v_mov_b32_e32 v11, s2
	v_cndmask_b32_e64 v12, 1, v72, s[0:1]
	v_cmp_ne_u32_e64 s[0:1], 8, v3
	v_cndmask_b32_e32 v56, v72, v12, vcc
	v_lshl_add_u64 v[8:9], v[10:11], 0, -1
	v_cndmask_b32_e64 v13, 1, v71, s[0:1]
	v_cmp_ne_u32_e64 s[0:1], 9, v3
	v_cndmask_b32_e32 v13, v71, v13, vcc
	v_add_u32_e32 v12, v18, v10
	v_cndmask_b32_e64 v14, 1, v70, s[0:1]
	v_cmp_ne_u32_e64 s[0:1], 10, v3
	v_cndmask_b32_e32 v14, v70, v14, vcc
	v_cmp_ne_u32_e64 s[12:13], 0, v13
	v_cndmask_b32_e64 v15, 1, v69, s[0:1]
	v_cmp_ne_u32_e64 s[0:1], 11, v3
	v_cndmask_b32_e32 v15, v69, v15, vcc
	v_cmp_ne_u32_e64 s[18:19], 0, v58
	;; [unrolled: 4-line block ×5, first 2 shown]
	v_cndmask_b32_e64 v3, 1, v62, s[0:1]
	v_cndmask_b32_e32 v55, v62, v3, vcc
	v_cndmask_b32_e32 v62, v78, v5, vcc
	v_cmp_eq_u32_e32 vcc, 0, v63
	v_lshlrev_b64 v[4:5], 3, v[52:53]
	v_lshl_add_u64 v[2:3], s[46:47], 0, v[4:5]
	v_cndmask_b32_e64 v10, 1, 2, vcc
	v_cmp_eq_u32_e32 vcc, 0, v62
	v_lshl_add_u64 v[2:3], v[2:3], 0, v[6:7]
	v_cmp_ne_u32_e64 s[26:27], 0, v62
	v_cndmask_b32_e64 v11, 1, 2, vcc
	v_cmp_eq_u32_e32 vcc, 0, v61
	v_and_b32_e32 v10, v11, v10
	v_cmp_ne_u32_e64 s[8:9], 0, v15
	v_cndmask_b32_e64 v11, 1, 2, vcc
	v_cmp_eq_u32_e32 vcc, 0, v60
	v_and_b32_e32 v10, v10, v11
	;; [unrolled: 4-line block ×6, first 2 shown]
	s_nop 0
	v_cndmask_b32_e64 v11, 1, 2, vcc
	v_cmp_eq_u32_e32 vcc, 0, v13
	v_and_b32_e32 v10, v10, v11
	s_barrier
	v_cndmask_b32_e64 v11, 1, 2, vcc
	v_cmp_eq_u32_e32 vcc, 0, v14
	v_and_b32_e32 v10, v10, v11
	s_nop 0
	v_cndmask_b32_e64 v11, 1, 2, vcc
	v_cmp_eq_u32_e32 vcc, 0, v15
	v_and_b32_e32 v10, v10, v11
	s_nop 0
	;; [unrolled: 4-line block ×6, first 2 shown]
	v_cndmask_b32_e64 v11, 1, 2, vcc
	v_and_b32_e32 v13, v10, v11
	v_cmp_gt_u32_e32 vcc, s30, v1
	v_cmp_gt_i16_e64 s[30:31], 2, v13
	s_cbranch_vccz .LBB176_139
; %bb.133:
	s_and_saveexec_b64 s[34:35], s[30:31]
	s_cbranch_execz .LBB176_138
; %bb.134:
	v_lshlrev_b64 v[10:11], 3, v[8:9]
	v_lshl_add_u64 v[10:11], v[2:3], 0, v[10:11]
	v_cmp_ne_u16_e32 vcc, 1, v13
	s_mov_b64 s[36:37], 0
	s_and_saveexec_b64 s[30:31], vcc
	s_xor_b64 s[30:31], exec, s[30:31]
	s_cbranch_execnz .LBB176_188
; %bb.135:
	s_andn2_saveexec_b64 s[30:31], s[30:31]
	s_cbranch_execnz .LBB176_204
.LBB176_136:
	s_or_b64 exec, exec, s[30:31]
	s_and_b64 exec, exec, s[36:37]
	s_cbranch_execz .LBB176_138
.LBB176_137:
	v_mov_b32_e32 v15, 0
	v_sub_u32_e32 v54, v24, v12
	v_mov_b32_e32 v55, v15
	v_mov_b32_e32 v14, v25
	v_lshl_add_u64 v[10:11], v[54:55], 3, v[10:11]
	global_store_dwordx2 v[10:11], v[14:15], off
.LBB176_138:
	s_or_b64 exec, exec, s[34:35]
	s_mov_b64 s[34:35], 0
.LBB176_139:
	s_and_b64 vcc, exec, s[34:35]
	s_cbranch_vccz .LBB176_149
; %bb.140:
	v_cmp_gt_i16_e32 vcc, 2, v13
	s_and_saveexec_b64 s[30:31], vcc
	s_cbranch_execz .LBB176_145
; %bb.141:
	v_cmp_ne_u16_e32 vcc, 1, v13
	s_mov_b64 s[36:37], 0
	s_and_saveexec_b64 s[34:35], vcc
	s_xor_b64 s[34:35], exec, s[34:35]
	s_cbranch_execnz .LBB176_205
; %bb.142:
	s_andn2_saveexec_b64 s[0:1], s[34:35]
	s_cbranch_execnz .LBB176_221
.LBB176_143:
	s_or_b64 exec, exec, s[0:1]
	s_and_b64 exec, exec, s[36:37]
	s_cbranch_execz .LBB176_145
.LBB176_144:
	v_sub_u32_e32 v10, v24, v12
	v_lshlrev_b32_e32 v10, 2, v10
	ds_write_b32 v10, v25
.LBB176_145:
	s_or_b64 exec, exec, s[30:31]
	v_cmp_lt_u32_e32 vcc, v0, v1
	s_waitcnt lgkmcnt(0)
	s_barrier
	s_and_saveexec_b64 s[0:1], vcc
	s_cbranch_execz .LBB176_148
; %bb.146:
	v_lshlrev_b64 v[8:9], 3, v[8:9]
	v_lshl_add_u64 v[4:5], v[4:5], 0, v[8:9]
	v_lshl_add_u64 v[6:7], v[4:5], 0, v[6:7]
	v_lshlrev_b32_e32 v4, 3, v0
	v_mov_b32_e32 v5, 0
	v_lshl_add_u64 v[6:7], s[46:47], 0, v[6:7]
	v_lshlrev_b32_e32 v10, 2, v0
	v_lshl_add_u64 v[6:7], v[6:7], 0, v[4:5]
	s_mov_b64 s[2:3], 0
	s_mov_b64 s[4:5], 0x1000
	v_mov_b32_e32 v8, v0
.LBB176_147:                            ; =>This Inner Loop Header: Depth=1
	ds_read_b32 v4, v10
	v_add_u32_e32 v8, 0x200, v8
	v_cmp_ge_u32_e32 vcc, v8, v1
	v_add_u32_e32 v10, 0x800, v10
	s_or_b64 s[2:3], vcc, s[2:3]
	s_waitcnt lgkmcnt(0)
	global_store_dwordx2 v[6:7], v[4:5], off
	v_lshl_add_u64 v[6:7], v[6:7], 0, s[4:5]
	s_andn2_b64 exec, exec, s[2:3]
	s_cbranch_execnz .LBB176_147
.LBB176_148:
	s_or_b64 exec, exec, s[0:1]
.LBB176_149:
	s_movk_i32 s0, 0x1ff
	v_cmp_eq_u32_e32 vcc, s0, v0
	s_and_b64 s[0:1], vcc, s[40:41]
	s_and_saveexec_b64 s[2:3], s[0:1]
	s_cbranch_execz .LBB176_152
; %bb.150:
	v_mov_b32_e32 v17, 0
	v_lshl_add_u64 v[0:1], v[16:17], 0, v[18:19]
	v_lshl_add_u64 v[0:1], v[0:1], 0, v[52:53]
	s_cmpk_lg_i32 s33, 0x1e00
	global_store_dwordx2 v17, v[0:1], s[48:49]
	s_cbranch_scc1 .LBB176_152
; %bb.151:
	v_lshlrev_b64 v[0:1], 3, v[16:17]
	v_mov_b32_e32 v21, v17
	v_lshl_add_u64 v[0:1], v[2:3], 0, v[0:1]
	global_store_dwordx2 v[0:1], v[20:21], off offset:-8
.LBB176_152:
	s_endpgm
.LBB176_153:
	s_or_b64 exec, exec, s[8:9]
	v_mov_b32_e32 v79, s12
	s_and_saveexec_b64 s[0:1], s[4:5]
	s_cbranch_execnz .LBB176_60
	s_branch .LBB176_61
.LBB176_154:
	s_and_saveexec_b64 s[38:39], s[30:31]
	s_cbranch_execnz .LBB176_222
; %bb.155:
	s_or_b64 exec, exec, s[38:39]
	s_and_saveexec_b64 s[38:39], s[28:29]
	s_cbranch_execnz .LBB176_223
.LBB176_156:
	s_or_b64 exec, exec, s[38:39]
	s_and_saveexec_b64 s[38:39], s[26:27]
	s_cbranch_execnz .LBB176_224
.LBB176_157:
	s_or_b64 exec, exec, s[38:39]
	s_and_saveexec_b64 s[38:39], s[24:25]
	s_cbranch_execnz .LBB176_225
.LBB176_158:
	s_or_b64 exec, exec, s[38:39]
	s_and_saveexec_b64 s[38:39], s[22:23]
	s_cbranch_execnz .LBB176_226
.LBB176_159:
	s_or_b64 exec, exec, s[38:39]
	s_and_saveexec_b64 s[38:39], s[20:21]
	s_cbranch_execnz .LBB176_227
.LBB176_160:
	s_or_b64 exec, exec, s[38:39]
	s_and_saveexec_b64 s[38:39], s[18:19]
	s_cbranch_execnz .LBB176_228
.LBB176_161:
	s_or_b64 exec, exec, s[38:39]
	s_and_saveexec_b64 s[38:39], s[16:17]
	s_cbranch_execnz .LBB176_229
.LBB176_162:
	s_or_b64 exec, exec, s[38:39]
	s_and_saveexec_b64 s[38:39], s[14:15]
	s_cbranch_execnz .LBB176_230
.LBB176_163:
	s_or_b64 exec, exec, s[38:39]
	s_and_saveexec_b64 s[38:39], s[12:13]
	s_cbranch_execnz .LBB176_231
.LBB176_164:
	s_or_b64 exec, exec, s[38:39]
	s_and_saveexec_b64 s[38:39], s[10:11]
	s_cbranch_execnz .LBB176_232
.LBB176_165:
	s_or_b64 exec, exec, s[38:39]
	s_and_saveexec_b64 s[38:39], s[8:9]
	s_cbranch_execnz .LBB176_233
.LBB176_166:
	s_or_b64 exec, exec, s[38:39]
	s_and_saveexec_b64 s[38:39], s[6:7]
	s_cbranch_execnz .LBB176_234
.LBB176_167:
	s_or_b64 exec, exec, s[38:39]
	s_and_saveexec_b64 s[38:39], s[4:5]
	s_cbranch_execz .LBB176_169
.LBB176_168:
	v_sub_u32_e32 v3, v22, v18
	v_readfirstlane_b32 s44, v54
	v_readfirstlane_b32 s45, v55
	s_nop 4
	global_store_byte v3, v11, s[44:45]
.LBB176_169:
	s_or_b64 exec, exec, s[38:39]
	s_and_b64 s[38:39], s[2:3], exec
	s_andn2_saveexec_b64 s[0:1], s[0:1]
	s_cbranch_execz .LBB176_110
.LBB176_170:
	v_sub_u32_e32 v3, v50, v18
	v_readfirstlane_b32 s44, v54
	v_readfirstlane_b32 s45, v55
	s_or_b64 s[38:39], s[38:39], exec
	s_nop 3
	global_store_byte v3, v8, s[44:45]
	v_sub_u32_e32 v3, v48, v18
	global_store_byte v3, v66, s[44:45]
	v_sub_u32_e32 v3, v46, v18
	;; [unrolled: 2-line block ×13, first 2 shown]
	global_store_byte v3, v11, s[44:45]
	s_or_b64 exec, exec, s[0:1]
	s_and_b64 exec, exec, s[38:39]
	s_cbranch_execnz .LBB176_111
	s_branch .LBB176_112
.LBB176_171:
	s_and_saveexec_b64 s[38:39], s[30:31]
	s_cbranch_execnz .LBB176_235
; %bb.172:
	s_or_b64 exec, exec, s[38:39]
	s_and_saveexec_b64 s[30:31], s[28:29]
	s_cbranch_execnz .LBB176_236
.LBB176_173:
	s_or_b64 exec, exec, s[30:31]
	s_and_saveexec_b64 s[28:29], s[26:27]
	s_cbranch_execnz .LBB176_237
.LBB176_174:
	s_or_b64 exec, exec, s[28:29]
	s_and_saveexec_b64 s[26:27], s[24:25]
	s_cbranch_execnz .LBB176_238
.LBB176_175:
	s_or_b64 exec, exec, s[26:27]
	s_and_saveexec_b64 s[24:25], s[22:23]
	s_cbranch_execnz .LBB176_239
.LBB176_176:
	s_or_b64 exec, exec, s[24:25]
	s_and_saveexec_b64 s[22:23], s[20:21]
	s_cbranch_execnz .LBB176_240
.LBB176_177:
	s_or_b64 exec, exec, s[22:23]
	s_and_saveexec_b64 s[20:21], s[18:19]
	s_cbranch_execnz .LBB176_241
.LBB176_178:
	s_or_b64 exec, exec, s[20:21]
	s_and_saveexec_b64 s[18:19], s[16:17]
	s_cbranch_execnz .LBB176_242
.LBB176_179:
	s_or_b64 exec, exec, s[18:19]
	s_and_saveexec_b64 s[16:17], s[14:15]
	s_cbranch_execnz .LBB176_243
.LBB176_180:
	s_or_b64 exec, exec, s[16:17]
	s_and_saveexec_b64 s[14:15], s[12:13]
	s_cbranch_execnz .LBB176_244
.LBB176_181:
	s_or_b64 exec, exec, s[14:15]
	s_and_saveexec_b64 s[12:13], s[10:11]
	s_cbranch_execnz .LBB176_245
.LBB176_182:
	s_or_b64 exec, exec, s[12:13]
	s_and_saveexec_b64 s[10:11], s[8:9]
	s_cbranch_execnz .LBB176_246
.LBB176_183:
	s_or_b64 exec, exec, s[10:11]
	s_and_saveexec_b64 s[8:9], s[6:7]
	s_cbranch_execnz .LBB176_247
.LBB176_184:
	s_or_b64 exec, exec, s[8:9]
	s_and_saveexec_b64 s[6:7], s[4:5]
	s_cbranch_execz .LBB176_186
.LBB176_185:
	v_sub_u32_e32 v2, v22, v18
	ds_write_b8 v2, v11
.LBB176_186:
	s_or_b64 exec, exec, s[6:7]
	s_and_b64 s[38:39], s[2:3], exec
                                        ; implicit-def: $vgpr11
                                        ; implicit-def: $vgpr21
                                        ; implicit-def: $vgpr56
                                        ; implicit-def: $vgpr57
                                        ; implicit-def: $vgpr58
                                        ; implicit-def: $vgpr10
                                        ; implicit-def: $vgpr59
                                        ; implicit-def: $vgpr60
                                        ; implicit-def: $vgpr61
                                        ; implicit-def: $vgpr63
                                        ; implicit-def: $vgpr65
                                        ; implicit-def: $vgpr66
	s_andn2_saveexec_b64 s[2:3], s[36:37]
	s_cbranch_execz .LBB176_117
.LBB176_187:
	v_sub_u32_e32 v2, v50, v18
	ds_write_b8 v2, v8
	v_sub_u32_e32 v2, v48, v18
	ds_write_b8 v2, v66
	;; [unrolled: 2-line block ×13, first 2 shown]
	v_sub_u32_e32 v2, v22, v18
	s_or_b64 s[38:39], s[38:39], exec
	ds_write_b8 v2, v11
	s_or_b64 exec, exec, s[2:3]
	s_and_b64 exec, exec, s[38:39]
	s_cbranch_execnz .LBB176_118
	s_branch .LBB176_119
.LBB176_188:
	s_and_saveexec_b64 s[36:37], s[28:29]
	s_cbranch_execnz .LBB176_248
; %bb.189:
	s_or_b64 exec, exec, s[36:37]
	s_and_saveexec_b64 s[36:37], s[26:27]
	s_cbranch_execnz .LBB176_249
.LBB176_190:
	s_or_b64 exec, exec, s[36:37]
	s_and_saveexec_b64 s[36:37], s[24:25]
	s_cbranch_execnz .LBB176_250
.LBB176_191:
	s_or_b64 exec, exec, s[36:37]
	s_and_saveexec_b64 s[36:37], s[22:23]
	s_cbranch_execnz .LBB176_251
.LBB176_192:
	s_or_b64 exec, exec, s[36:37]
	s_and_saveexec_b64 s[36:37], s[20:21]
	s_cbranch_execnz .LBB176_252
.LBB176_193:
	s_or_b64 exec, exec, s[36:37]
	s_and_saveexec_b64 s[36:37], s[18:19]
	s_cbranch_execnz .LBB176_253
.LBB176_194:
	s_or_b64 exec, exec, s[36:37]
	s_and_saveexec_b64 s[36:37], s[16:17]
	s_cbranch_execnz .LBB176_254
.LBB176_195:
	s_or_b64 exec, exec, s[36:37]
	s_and_saveexec_b64 s[36:37], s[14:15]
	s_cbranch_execnz .LBB176_255
.LBB176_196:
	s_or_b64 exec, exec, s[36:37]
	s_and_saveexec_b64 s[36:37], s[12:13]
	s_cbranch_execnz .LBB176_256
.LBB176_197:
	s_or_b64 exec, exec, s[36:37]
	s_and_saveexec_b64 s[36:37], s[10:11]
	s_cbranch_execnz .LBB176_257
.LBB176_198:
	s_or_b64 exec, exec, s[36:37]
	s_and_saveexec_b64 s[36:37], s[8:9]
	s_cbranch_execnz .LBB176_258
.LBB176_199:
	s_or_b64 exec, exec, s[36:37]
	s_and_saveexec_b64 s[36:37], s[6:7]
	s_cbranch_execnz .LBB176_259
.LBB176_200:
	s_or_b64 exec, exec, s[36:37]
	s_and_saveexec_b64 s[36:37], s[4:5]
	s_cbranch_execnz .LBB176_260
.LBB176_201:
	s_or_b64 exec, exec, s[36:37]
	s_and_saveexec_b64 s[36:37], s[2:3]
	s_cbranch_execz .LBB176_203
.LBB176_202:
	v_sub_u32_e32 v14, v22, v12
	v_mov_b32_e32 v15, 0
	v_lshl_add_u64 v[54:55], v[14:15], 3, v[10:11]
	v_mov_b32_e32 v14, v23
	global_store_dwordx2 v[54:55], v[14:15], off
.LBB176_203:
	s_or_b64 exec, exec, s[36:37]
	s_and_b64 s[36:37], s[0:1], exec
	s_andn2_saveexec_b64 s[30:31], s[30:31]
	s_cbranch_execz .LBB176_136
.LBB176_204:
	v_mov_b32_e32 v15, 0
	v_sub_u32_e32 v54, v50, v12
	v_mov_b32_e32 v55, v15
	v_mov_b32_e32 v14, v51
	v_lshl_add_u64 v[54:55], v[54:55], 3, v[10:11]
	global_store_dwordx2 v[54:55], v[14:15], off
	v_sub_u32_e32 v54, v48, v12
	v_mov_b32_e32 v55, v15
	v_mov_b32_e32 v14, v49
	v_lshl_add_u64 v[54:55], v[54:55], 3, v[10:11]
	global_store_dwordx2 v[54:55], v[14:15], off
	v_sub_u32_e32 v54, v46, v12
	v_mov_b32_e32 v55, v15
	v_mov_b32_e32 v14, v47
	v_lshl_add_u64 v[54:55], v[54:55], 3, v[10:11]
	global_store_dwordx2 v[54:55], v[14:15], off
	v_sub_u32_e32 v54, v44, v12
	v_mov_b32_e32 v55, v15
	v_mov_b32_e32 v14, v45
	v_lshl_add_u64 v[54:55], v[54:55], 3, v[10:11]
	global_store_dwordx2 v[54:55], v[14:15], off
	v_sub_u32_e32 v54, v42, v12
	v_mov_b32_e32 v55, v15
	v_mov_b32_e32 v14, v43
	v_lshl_add_u64 v[54:55], v[54:55], 3, v[10:11]
	global_store_dwordx2 v[54:55], v[14:15], off
	v_sub_u32_e32 v54, v40, v12
	v_mov_b32_e32 v55, v15
	v_mov_b32_e32 v14, v41
	v_lshl_add_u64 v[54:55], v[54:55], 3, v[10:11]
	global_store_dwordx2 v[54:55], v[14:15], off
	v_sub_u32_e32 v54, v38, v12
	v_mov_b32_e32 v55, v15
	v_mov_b32_e32 v14, v39
	v_lshl_add_u64 v[54:55], v[54:55], 3, v[10:11]
	global_store_dwordx2 v[54:55], v[14:15], off
	v_sub_u32_e32 v54, v36, v12
	v_mov_b32_e32 v55, v15
	v_mov_b32_e32 v14, v37
	v_lshl_add_u64 v[54:55], v[54:55], 3, v[10:11]
	global_store_dwordx2 v[54:55], v[14:15], off
	v_sub_u32_e32 v54, v34, v12
	v_mov_b32_e32 v55, v15
	v_mov_b32_e32 v14, v35
	v_lshl_add_u64 v[54:55], v[54:55], 3, v[10:11]
	global_store_dwordx2 v[54:55], v[14:15], off
	v_sub_u32_e32 v54, v32, v12
	v_mov_b32_e32 v55, v15
	v_mov_b32_e32 v14, v33
	v_lshl_add_u64 v[54:55], v[54:55], 3, v[10:11]
	global_store_dwordx2 v[54:55], v[14:15], off
	v_sub_u32_e32 v54, v30, v12
	v_mov_b32_e32 v55, v15
	v_mov_b32_e32 v14, v31
	v_lshl_add_u64 v[54:55], v[54:55], 3, v[10:11]
	global_store_dwordx2 v[54:55], v[14:15], off
	v_sub_u32_e32 v54, v28, v12
	v_mov_b32_e32 v55, v15
	v_mov_b32_e32 v14, v29
	v_lshl_add_u64 v[54:55], v[54:55], 3, v[10:11]
	global_store_dwordx2 v[54:55], v[14:15], off
	v_sub_u32_e32 v54, v26, v12
	v_mov_b32_e32 v55, v15
	v_mov_b32_e32 v14, v27
	v_lshl_add_u64 v[54:55], v[54:55], 3, v[10:11]
	global_store_dwordx2 v[54:55], v[14:15], off
	v_sub_u32_e32 v54, v22, v12
	v_mov_b32_e32 v55, v15
	v_mov_b32_e32 v14, v23
	v_lshl_add_u64 v[54:55], v[54:55], 3, v[10:11]
	s_or_b64 s[36:37], s[36:37], exec
	global_store_dwordx2 v[54:55], v[14:15], off
	s_or_b64 exec, exec, s[30:31]
	s_and_b64 exec, exec, s[36:37]
	s_cbranch_execnz .LBB176_137
	s_branch .LBB176_138
.LBB176_205:
	s_and_saveexec_b64 s[36:37], s[28:29]
	s_cbranch_execnz .LBB176_261
; %bb.206:
	s_or_b64 exec, exec, s[36:37]
	s_and_saveexec_b64 s[28:29], s[26:27]
	s_cbranch_execnz .LBB176_262
.LBB176_207:
	s_or_b64 exec, exec, s[28:29]
	s_and_saveexec_b64 s[26:27], s[24:25]
	s_cbranch_execnz .LBB176_263
.LBB176_208:
	s_or_b64 exec, exec, s[26:27]
	s_and_saveexec_b64 s[24:25], s[22:23]
	s_cbranch_execnz .LBB176_264
.LBB176_209:
	s_or_b64 exec, exec, s[24:25]
	s_and_saveexec_b64 s[22:23], s[20:21]
	s_cbranch_execnz .LBB176_265
.LBB176_210:
	s_or_b64 exec, exec, s[22:23]
	s_and_saveexec_b64 s[20:21], s[18:19]
	s_cbranch_execnz .LBB176_266
.LBB176_211:
	s_or_b64 exec, exec, s[20:21]
	s_and_saveexec_b64 s[18:19], s[16:17]
	s_cbranch_execnz .LBB176_267
.LBB176_212:
	s_or_b64 exec, exec, s[18:19]
	s_and_saveexec_b64 s[16:17], s[14:15]
	s_cbranch_execnz .LBB176_268
.LBB176_213:
	s_or_b64 exec, exec, s[16:17]
	s_and_saveexec_b64 s[14:15], s[12:13]
	s_cbranch_execnz .LBB176_269
.LBB176_214:
	s_or_b64 exec, exec, s[14:15]
	s_and_saveexec_b64 s[12:13], s[10:11]
	s_cbranch_execnz .LBB176_270
.LBB176_215:
	s_or_b64 exec, exec, s[12:13]
	s_and_saveexec_b64 s[10:11], s[8:9]
	s_cbranch_execnz .LBB176_271
.LBB176_216:
	s_or_b64 exec, exec, s[10:11]
	s_and_saveexec_b64 s[8:9], s[6:7]
	s_cbranch_execnz .LBB176_272
.LBB176_217:
	s_or_b64 exec, exec, s[8:9]
	s_and_saveexec_b64 s[6:7], s[4:5]
	s_cbranch_execnz .LBB176_273
.LBB176_218:
	s_or_b64 exec, exec, s[6:7]
	s_and_saveexec_b64 s[4:5], s[2:3]
	s_cbranch_execz .LBB176_220
.LBB176_219:
	v_sub_u32_e32 v10, v22, v12
	v_lshlrev_b32_e32 v10, 2, v10
	ds_write_b32 v10, v23
.LBB176_220:
	s_or_b64 exec, exec, s[4:5]
	s_and_b64 s[36:37], s[0:1], exec
                                        ; implicit-def: $vgpr22_vgpr23
                                        ; implicit-def: $vgpr26_vgpr27
                                        ; implicit-def: $vgpr28_vgpr29
                                        ; implicit-def: $vgpr50_vgpr51
                                        ; implicit-def: $vgpr48_vgpr49
                                        ; implicit-def: $vgpr46_vgpr47
                                        ; implicit-def: $vgpr44_vgpr45
                                        ; implicit-def: $vgpr42_vgpr43
                                        ; implicit-def: $vgpr40_vgpr41
                                        ; implicit-def: $vgpr38_vgpr39
                                        ; implicit-def: $vgpr36_vgpr37
                                        ; implicit-def: $vgpr34_vgpr35
                                        ; implicit-def: $vgpr32_vgpr33
                                        ; implicit-def: $vgpr30_vgpr31
	s_andn2_saveexec_b64 s[0:1], s[34:35]
	s_cbranch_execz .LBB176_143
.LBB176_221:
	v_sub_u32_e32 v10, v50, v12
	v_lshlrev_b32_e32 v10, 2, v10
	ds_write_b32 v10, v51
	v_sub_u32_e32 v10, v48, v12
	v_lshlrev_b32_e32 v10, 2, v10
	ds_write_b32 v10, v49
	v_sub_u32_e32 v10, v46, v12
	v_lshlrev_b32_e32 v10, 2, v10
	ds_write_b32 v10, v47
	v_sub_u32_e32 v10, v44, v12
	v_lshlrev_b32_e32 v10, 2, v10
	ds_write_b32 v10, v45
	v_sub_u32_e32 v10, v42, v12
	v_lshlrev_b32_e32 v10, 2, v10
	ds_write_b32 v10, v43
	v_sub_u32_e32 v10, v40, v12
	v_lshlrev_b32_e32 v10, 2, v10
	ds_write_b32 v10, v41
	v_sub_u32_e32 v10, v38, v12
	v_lshlrev_b32_e32 v10, 2, v10
	ds_write_b32 v10, v39
	v_sub_u32_e32 v10, v36, v12
	v_lshlrev_b32_e32 v10, 2, v10
	ds_write_b32 v10, v37
	v_sub_u32_e32 v10, v34, v12
	v_lshlrev_b32_e32 v10, 2, v10
	ds_write_b32 v10, v35
	v_sub_u32_e32 v10, v32, v12
	v_lshlrev_b32_e32 v10, 2, v10
	ds_write_b32 v10, v33
	v_sub_u32_e32 v10, v30, v12
	v_lshlrev_b32_e32 v10, 2, v10
	ds_write_b32 v10, v31
	v_sub_u32_e32 v10, v28, v12
	v_lshlrev_b32_e32 v10, 2, v10
	ds_write_b32 v10, v29
	v_sub_u32_e32 v10, v26, v12
	v_lshlrev_b32_e32 v10, 2, v10
	ds_write_b32 v10, v27
	v_sub_u32_e32 v10, v22, v12
	v_lshlrev_b32_e32 v10, 2, v10
	s_or_b64 s[36:37], s[36:37], exec
	ds_write_b32 v10, v23
	s_or_b64 exec, exec, s[0:1]
	s_and_b64 exec, exec, s[36:37]
	s_cbranch_execnz .LBB176_144
	s_branch .LBB176_145
.LBB176_222:
	v_sub_u32_e32 v3, v50, v18
	v_readfirstlane_b32 s44, v54
	v_readfirstlane_b32 s45, v55
	s_nop 4
	global_store_byte v3, v8, s[44:45]
	s_or_b64 exec, exec, s[38:39]
	s_and_saveexec_b64 s[38:39], s[28:29]
	s_cbranch_execz .LBB176_156
.LBB176_223:
	v_sub_u32_e32 v3, v48, v18
	v_readfirstlane_b32 s44, v54
	v_readfirstlane_b32 s45, v55
	s_nop 4
	global_store_byte v3, v66, s[44:45]
	s_or_b64 exec, exec, s[38:39]
	s_and_saveexec_b64 s[38:39], s[26:27]
	s_cbranch_execz .LBB176_157
.LBB176_224:
	v_sub_u32_e32 v3, v46, v18
	v_readfirstlane_b32 s44, v54
	v_readfirstlane_b32 s45, v55
	s_nop 4
	global_store_byte v3, v65, s[44:45]
	s_or_b64 exec, exec, s[38:39]
	s_and_saveexec_b64 s[38:39], s[24:25]
	s_cbranch_execz .LBB176_158
.LBB176_225:
	v_sub_u32_e32 v3, v44, v18
	v_readfirstlane_b32 s44, v54
	v_readfirstlane_b32 s45, v55
	s_nop 4
	global_store_byte v3, v63, s[44:45]
	s_or_b64 exec, exec, s[38:39]
	s_and_saveexec_b64 s[38:39], s[22:23]
	s_cbranch_execz .LBB176_159
.LBB176_226:
	v_sub_u32_e32 v3, v42, v18
	v_readfirstlane_b32 s44, v54
	v_readfirstlane_b32 s45, v55
	s_nop 4
	global_store_byte v3, v9, s[44:45]
	s_or_b64 exec, exec, s[38:39]
	s_and_saveexec_b64 s[38:39], s[20:21]
	s_cbranch_execz .LBB176_160
.LBB176_227:
	v_sub_u32_e32 v3, v40, v18
	v_readfirstlane_b32 s44, v54
	v_readfirstlane_b32 s45, v55
	s_nop 4
	global_store_byte v3, v61, s[44:45]
	s_or_b64 exec, exec, s[38:39]
	s_and_saveexec_b64 s[38:39], s[18:19]
	s_cbranch_execz .LBB176_161
.LBB176_228:
	v_sub_u32_e32 v3, v38, v18
	v_readfirstlane_b32 s44, v54
	v_readfirstlane_b32 s45, v55
	s_nop 4
	global_store_byte v3, v60, s[44:45]
	s_or_b64 exec, exec, s[38:39]
	s_and_saveexec_b64 s[38:39], s[16:17]
	s_cbranch_execz .LBB176_162
.LBB176_229:
	v_sub_u32_e32 v3, v36, v18
	v_readfirstlane_b32 s44, v54
	v_readfirstlane_b32 s45, v55
	s_nop 4
	global_store_byte v3, v59, s[44:45]
	s_or_b64 exec, exec, s[38:39]
	s_and_saveexec_b64 s[38:39], s[14:15]
	s_cbranch_execz .LBB176_163
.LBB176_230:
	v_sub_u32_e32 v3, v34, v18
	v_readfirstlane_b32 s44, v54
	v_readfirstlane_b32 s45, v55
	s_nop 4
	global_store_byte v3, v10, s[44:45]
	s_or_b64 exec, exec, s[38:39]
	s_and_saveexec_b64 s[38:39], s[12:13]
	s_cbranch_execz .LBB176_164
.LBB176_231:
	v_sub_u32_e32 v3, v32, v18
	v_readfirstlane_b32 s44, v54
	v_readfirstlane_b32 s45, v55
	s_nop 4
	global_store_byte v3, v58, s[44:45]
	s_or_b64 exec, exec, s[38:39]
	s_and_saveexec_b64 s[38:39], s[10:11]
	s_cbranch_execz .LBB176_165
.LBB176_232:
	v_sub_u32_e32 v3, v30, v18
	v_readfirstlane_b32 s44, v54
	v_readfirstlane_b32 s45, v55
	s_nop 4
	global_store_byte v3, v57, s[44:45]
	s_or_b64 exec, exec, s[38:39]
	s_and_saveexec_b64 s[38:39], s[8:9]
	s_cbranch_execz .LBB176_166
.LBB176_233:
	v_sub_u32_e32 v3, v28, v18
	v_readfirstlane_b32 s44, v54
	v_readfirstlane_b32 s45, v55
	s_nop 4
	global_store_byte v3, v56, s[44:45]
	s_or_b64 exec, exec, s[38:39]
	s_and_saveexec_b64 s[38:39], s[6:7]
	s_cbranch_execz .LBB176_167
.LBB176_234:
	v_sub_u32_e32 v3, v26, v18
	v_readfirstlane_b32 s44, v54
	v_readfirstlane_b32 s45, v55
	s_nop 4
	global_store_byte v3, v21, s[44:45]
	s_or_b64 exec, exec, s[38:39]
	s_and_saveexec_b64 s[38:39], s[4:5]
	s_cbranch_execnz .LBB176_168
	s_branch .LBB176_169
.LBB176_235:
	v_sub_u32_e32 v2, v50, v18
	ds_write_b8 v2, v8
	s_or_b64 exec, exec, s[38:39]
	s_and_saveexec_b64 s[30:31], s[28:29]
	s_cbranch_execz .LBB176_173
.LBB176_236:
	v_sub_u32_e32 v2, v48, v18
	ds_write_b8 v2, v66
	s_or_b64 exec, exec, s[30:31]
	s_and_saveexec_b64 s[28:29], s[26:27]
	s_cbranch_execz .LBB176_174
.LBB176_237:
	v_sub_u32_e32 v2, v46, v18
	ds_write_b8 v2, v65
	s_or_b64 exec, exec, s[28:29]
	s_and_saveexec_b64 s[26:27], s[24:25]
	s_cbranch_execz .LBB176_175
.LBB176_238:
	v_sub_u32_e32 v2, v44, v18
	ds_write_b8 v2, v63
	s_or_b64 exec, exec, s[26:27]
	s_and_saveexec_b64 s[24:25], s[22:23]
	s_cbranch_execz .LBB176_176
.LBB176_239:
	v_sub_u32_e32 v2, v42, v18
	ds_write_b8 v2, v9
	s_or_b64 exec, exec, s[24:25]
	s_and_saveexec_b64 s[22:23], s[20:21]
	s_cbranch_execz .LBB176_177
.LBB176_240:
	v_sub_u32_e32 v2, v40, v18
	ds_write_b8 v2, v61
	s_or_b64 exec, exec, s[22:23]
	s_and_saveexec_b64 s[20:21], s[18:19]
	s_cbranch_execz .LBB176_178
.LBB176_241:
	v_sub_u32_e32 v2, v38, v18
	ds_write_b8 v2, v60
	s_or_b64 exec, exec, s[20:21]
	s_and_saveexec_b64 s[18:19], s[16:17]
	s_cbranch_execz .LBB176_179
.LBB176_242:
	v_sub_u32_e32 v2, v36, v18
	ds_write_b8 v2, v59
	s_or_b64 exec, exec, s[18:19]
	s_and_saveexec_b64 s[16:17], s[14:15]
	s_cbranch_execz .LBB176_180
.LBB176_243:
	v_sub_u32_e32 v2, v34, v18
	ds_write_b8 v2, v10
	s_or_b64 exec, exec, s[16:17]
	s_and_saveexec_b64 s[14:15], s[12:13]
	s_cbranch_execz .LBB176_181
.LBB176_244:
	v_sub_u32_e32 v2, v32, v18
	ds_write_b8 v2, v58
	s_or_b64 exec, exec, s[14:15]
	s_and_saveexec_b64 s[12:13], s[10:11]
	s_cbranch_execz .LBB176_182
.LBB176_245:
	v_sub_u32_e32 v2, v30, v18
	ds_write_b8 v2, v57
	s_or_b64 exec, exec, s[12:13]
	s_and_saveexec_b64 s[10:11], s[8:9]
	s_cbranch_execz .LBB176_183
.LBB176_246:
	v_sub_u32_e32 v2, v28, v18
	ds_write_b8 v2, v56
	s_or_b64 exec, exec, s[10:11]
	s_and_saveexec_b64 s[8:9], s[6:7]
	s_cbranch_execz .LBB176_184
.LBB176_247:
	v_sub_u32_e32 v2, v26, v18
	ds_write_b8 v2, v21
	s_or_b64 exec, exec, s[8:9]
	s_and_saveexec_b64 s[6:7], s[4:5]
	s_cbranch_execnz .LBB176_185
	s_branch .LBB176_186
.LBB176_248:
	v_sub_u32_e32 v14, v50, v12
	v_mov_b32_e32 v15, 0
	v_lshl_add_u64 v[54:55], v[14:15], 3, v[10:11]
	v_mov_b32_e32 v14, v51
	global_store_dwordx2 v[54:55], v[14:15], off
	s_or_b64 exec, exec, s[36:37]
	s_and_saveexec_b64 s[36:37], s[26:27]
	s_cbranch_execz .LBB176_190
.LBB176_249:
	v_sub_u32_e32 v14, v48, v12
	v_mov_b32_e32 v15, 0
	v_lshl_add_u64 v[54:55], v[14:15], 3, v[10:11]
	v_mov_b32_e32 v14, v49
	global_store_dwordx2 v[54:55], v[14:15], off
	s_or_b64 exec, exec, s[36:37]
	s_and_saveexec_b64 s[36:37], s[24:25]
	s_cbranch_execz .LBB176_191
.LBB176_250:
	v_sub_u32_e32 v14, v46, v12
	v_mov_b32_e32 v15, 0
	v_lshl_add_u64 v[54:55], v[14:15], 3, v[10:11]
	v_mov_b32_e32 v14, v47
	global_store_dwordx2 v[54:55], v[14:15], off
	s_or_b64 exec, exec, s[36:37]
	s_and_saveexec_b64 s[36:37], s[22:23]
	s_cbranch_execz .LBB176_192
.LBB176_251:
	v_sub_u32_e32 v14, v44, v12
	v_mov_b32_e32 v15, 0
	v_lshl_add_u64 v[54:55], v[14:15], 3, v[10:11]
	v_mov_b32_e32 v14, v45
	global_store_dwordx2 v[54:55], v[14:15], off
	s_or_b64 exec, exec, s[36:37]
	s_and_saveexec_b64 s[36:37], s[20:21]
	s_cbranch_execz .LBB176_193
.LBB176_252:
	v_sub_u32_e32 v14, v42, v12
	v_mov_b32_e32 v15, 0
	v_lshl_add_u64 v[54:55], v[14:15], 3, v[10:11]
	v_mov_b32_e32 v14, v43
	global_store_dwordx2 v[54:55], v[14:15], off
	s_or_b64 exec, exec, s[36:37]
	s_and_saveexec_b64 s[36:37], s[18:19]
	s_cbranch_execz .LBB176_194
.LBB176_253:
	v_sub_u32_e32 v14, v40, v12
	v_mov_b32_e32 v15, 0
	v_lshl_add_u64 v[54:55], v[14:15], 3, v[10:11]
	v_mov_b32_e32 v14, v41
	global_store_dwordx2 v[54:55], v[14:15], off
	s_or_b64 exec, exec, s[36:37]
	s_and_saveexec_b64 s[36:37], s[16:17]
	s_cbranch_execz .LBB176_195
.LBB176_254:
	v_sub_u32_e32 v14, v38, v12
	v_mov_b32_e32 v15, 0
	v_lshl_add_u64 v[54:55], v[14:15], 3, v[10:11]
	v_mov_b32_e32 v14, v39
	global_store_dwordx2 v[54:55], v[14:15], off
	s_or_b64 exec, exec, s[36:37]
	s_and_saveexec_b64 s[36:37], s[14:15]
	s_cbranch_execz .LBB176_196
.LBB176_255:
	v_sub_u32_e32 v14, v36, v12
	v_mov_b32_e32 v15, 0
	v_lshl_add_u64 v[54:55], v[14:15], 3, v[10:11]
	v_mov_b32_e32 v14, v37
	global_store_dwordx2 v[54:55], v[14:15], off
	s_or_b64 exec, exec, s[36:37]
	s_and_saveexec_b64 s[36:37], s[12:13]
	s_cbranch_execz .LBB176_197
.LBB176_256:
	v_sub_u32_e32 v14, v34, v12
	v_mov_b32_e32 v15, 0
	v_lshl_add_u64 v[54:55], v[14:15], 3, v[10:11]
	v_mov_b32_e32 v14, v35
	global_store_dwordx2 v[54:55], v[14:15], off
	s_or_b64 exec, exec, s[36:37]
	s_and_saveexec_b64 s[36:37], s[10:11]
	s_cbranch_execz .LBB176_198
.LBB176_257:
	v_sub_u32_e32 v14, v32, v12
	v_mov_b32_e32 v15, 0
	v_lshl_add_u64 v[54:55], v[14:15], 3, v[10:11]
	v_mov_b32_e32 v14, v33
	global_store_dwordx2 v[54:55], v[14:15], off
	s_or_b64 exec, exec, s[36:37]
	s_and_saveexec_b64 s[36:37], s[8:9]
	s_cbranch_execz .LBB176_199
.LBB176_258:
	v_sub_u32_e32 v14, v30, v12
	v_mov_b32_e32 v15, 0
	v_lshl_add_u64 v[54:55], v[14:15], 3, v[10:11]
	v_mov_b32_e32 v14, v31
	global_store_dwordx2 v[54:55], v[14:15], off
	s_or_b64 exec, exec, s[36:37]
	s_and_saveexec_b64 s[36:37], s[6:7]
	s_cbranch_execz .LBB176_200
.LBB176_259:
	v_sub_u32_e32 v14, v28, v12
	v_mov_b32_e32 v15, 0
	v_lshl_add_u64 v[54:55], v[14:15], 3, v[10:11]
	v_mov_b32_e32 v14, v29
	global_store_dwordx2 v[54:55], v[14:15], off
	s_or_b64 exec, exec, s[36:37]
	s_and_saveexec_b64 s[36:37], s[4:5]
	s_cbranch_execz .LBB176_201
.LBB176_260:
	v_sub_u32_e32 v14, v26, v12
	v_mov_b32_e32 v15, 0
	v_lshl_add_u64 v[54:55], v[14:15], 3, v[10:11]
	v_mov_b32_e32 v14, v27
	global_store_dwordx2 v[54:55], v[14:15], off
	s_or_b64 exec, exec, s[36:37]
	s_and_saveexec_b64 s[36:37], s[2:3]
	s_cbranch_execnz .LBB176_202
	s_branch .LBB176_203
.LBB176_261:
	v_sub_u32_e32 v10, v50, v12
	v_lshlrev_b32_e32 v10, 2, v10
	ds_write_b32 v10, v51
	s_or_b64 exec, exec, s[36:37]
	s_and_saveexec_b64 s[28:29], s[26:27]
	s_cbranch_execz .LBB176_207
.LBB176_262:
	v_sub_u32_e32 v10, v48, v12
	v_lshlrev_b32_e32 v10, 2, v10
	ds_write_b32 v10, v49
	s_or_b64 exec, exec, s[28:29]
	s_and_saveexec_b64 s[26:27], s[24:25]
	s_cbranch_execz .LBB176_208
.LBB176_263:
	v_sub_u32_e32 v10, v46, v12
	v_lshlrev_b32_e32 v10, 2, v10
	ds_write_b32 v10, v47
	s_or_b64 exec, exec, s[26:27]
	s_and_saveexec_b64 s[24:25], s[22:23]
	s_cbranch_execz .LBB176_209
.LBB176_264:
	v_sub_u32_e32 v10, v44, v12
	v_lshlrev_b32_e32 v10, 2, v10
	ds_write_b32 v10, v45
	s_or_b64 exec, exec, s[24:25]
	s_and_saveexec_b64 s[22:23], s[20:21]
	s_cbranch_execz .LBB176_210
.LBB176_265:
	v_sub_u32_e32 v10, v42, v12
	v_lshlrev_b32_e32 v10, 2, v10
	ds_write_b32 v10, v43
	s_or_b64 exec, exec, s[22:23]
	s_and_saveexec_b64 s[20:21], s[18:19]
	s_cbranch_execz .LBB176_211
.LBB176_266:
	v_sub_u32_e32 v10, v40, v12
	v_lshlrev_b32_e32 v10, 2, v10
	ds_write_b32 v10, v41
	s_or_b64 exec, exec, s[20:21]
	s_and_saveexec_b64 s[18:19], s[16:17]
	s_cbranch_execz .LBB176_212
.LBB176_267:
	v_sub_u32_e32 v10, v38, v12
	v_lshlrev_b32_e32 v10, 2, v10
	ds_write_b32 v10, v39
	s_or_b64 exec, exec, s[18:19]
	s_and_saveexec_b64 s[16:17], s[14:15]
	s_cbranch_execz .LBB176_213
.LBB176_268:
	v_sub_u32_e32 v10, v36, v12
	v_lshlrev_b32_e32 v10, 2, v10
	ds_write_b32 v10, v37
	s_or_b64 exec, exec, s[16:17]
	s_and_saveexec_b64 s[14:15], s[12:13]
	s_cbranch_execz .LBB176_214
.LBB176_269:
	v_sub_u32_e32 v10, v34, v12
	v_lshlrev_b32_e32 v10, 2, v10
	ds_write_b32 v10, v35
	s_or_b64 exec, exec, s[14:15]
	s_and_saveexec_b64 s[12:13], s[10:11]
	s_cbranch_execz .LBB176_215
.LBB176_270:
	v_sub_u32_e32 v10, v32, v12
	v_lshlrev_b32_e32 v10, 2, v10
	ds_write_b32 v10, v33
	s_or_b64 exec, exec, s[12:13]
	s_and_saveexec_b64 s[10:11], s[8:9]
	s_cbranch_execz .LBB176_216
.LBB176_271:
	v_sub_u32_e32 v10, v30, v12
	v_lshlrev_b32_e32 v10, 2, v10
	ds_write_b32 v10, v31
	s_or_b64 exec, exec, s[10:11]
	s_and_saveexec_b64 s[8:9], s[6:7]
	s_cbranch_execz .LBB176_217
.LBB176_272:
	v_sub_u32_e32 v10, v28, v12
	v_lshlrev_b32_e32 v10, 2, v10
	ds_write_b32 v10, v29
	s_or_b64 exec, exec, s[8:9]
	s_and_saveexec_b64 s[6:7], s[4:5]
	s_cbranch_execz .LBB176_218
.LBB176_273:
	v_sub_u32_e32 v10, v26, v12
	v_lshlrev_b32_e32 v10, 2, v10
	ds_write_b32 v10, v27
	s_or_b64 exec, exec, s[6:7]
	s_and_saveexec_b64 s[4:5], s[2:3]
	s_cbranch_execnz .LBB176_219
	s_branch .LBB176_220
	.section	.rodata,"a",@progbits
	.p2align	6, 0x0
	.amdhsa_kernel _ZN7rocprim17ROCPRIM_400000_NS6detail17trampoline_kernelINS0_14default_configENS1_33run_length_encode_config_selectorIhjNS0_4plusIjEEEEZZNS1_33reduce_by_key_impl_wrapped_configILNS1_25lookback_scan_determinismE0ES3_S7_PKhNS0_17constant_iteratorIjlEEPhPlSF_S6_NS0_8equal_toIhEEEE10hipError_tPvRmT2_T3_mT4_T5_T6_T7_T8_P12ihipStream_tbENKUlT_T0_E_clISt17integral_constantIbLb1EESZ_EEDaSU_SV_EUlSU_E_NS1_11comp_targetILNS1_3genE5ELNS1_11target_archE942ELNS1_3gpuE9ELNS1_3repE0EEENS1_30default_config_static_selectorELNS0_4arch9wavefront6targetE1EEEvT1_
		.amdhsa_group_segment_fixed_size 30720
		.amdhsa_private_segment_fixed_size 0
		.amdhsa_kernarg_size 128
		.amdhsa_user_sgpr_count 2
		.amdhsa_user_sgpr_dispatch_ptr 0
		.amdhsa_user_sgpr_queue_ptr 0
		.amdhsa_user_sgpr_kernarg_segment_ptr 1
		.amdhsa_user_sgpr_dispatch_id 0
		.amdhsa_user_sgpr_kernarg_preload_length 0
		.amdhsa_user_sgpr_kernarg_preload_offset 0
		.amdhsa_user_sgpr_private_segment_size 0
		.amdhsa_uses_dynamic_stack 0
		.amdhsa_enable_private_segment 0
		.amdhsa_system_sgpr_workgroup_id_x 1
		.amdhsa_system_sgpr_workgroup_id_y 0
		.amdhsa_system_sgpr_workgroup_id_z 0
		.amdhsa_system_sgpr_workgroup_info 0
		.amdhsa_system_vgpr_workitem_id 0
		.amdhsa_next_free_vgpr 110
		.amdhsa_next_free_sgpr 66
		.amdhsa_accum_offset 112
		.amdhsa_reserve_vcc 1
		.amdhsa_float_round_mode_32 0
		.amdhsa_float_round_mode_16_64 0
		.amdhsa_float_denorm_mode_32 3
		.amdhsa_float_denorm_mode_16_64 3
		.amdhsa_dx10_clamp 1
		.amdhsa_ieee_mode 1
		.amdhsa_fp16_overflow 0
		.amdhsa_tg_split 0
		.amdhsa_exception_fp_ieee_invalid_op 0
		.amdhsa_exception_fp_denorm_src 0
		.amdhsa_exception_fp_ieee_div_zero 0
		.amdhsa_exception_fp_ieee_overflow 0
		.amdhsa_exception_fp_ieee_underflow 0
		.amdhsa_exception_fp_ieee_inexact 0
		.amdhsa_exception_int_div_zero 0
	.end_amdhsa_kernel
	.section	.text._ZN7rocprim17ROCPRIM_400000_NS6detail17trampoline_kernelINS0_14default_configENS1_33run_length_encode_config_selectorIhjNS0_4plusIjEEEEZZNS1_33reduce_by_key_impl_wrapped_configILNS1_25lookback_scan_determinismE0ES3_S7_PKhNS0_17constant_iteratorIjlEEPhPlSF_S6_NS0_8equal_toIhEEEE10hipError_tPvRmT2_T3_mT4_T5_T6_T7_T8_P12ihipStream_tbENKUlT_T0_E_clISt17integral_constantIbLb1EESZ_EEDaSU_SV_EUlSU_E_NS1_11comp_targetILNS1_3genE5ELNS1_11target_archE942ELNS1_3gpuE9ELNS1_3repE0EEENS1_30default_config_static_selectorELNS0_4arch9wavefront6targetE1EEEvT1_,"axG",@progbits,_ZN7rocprim17ROCPRIM_400000_NS6detail17trampoline_kernelINS0_14default_configENS1_33run_length_encode_config_selectorIhjNS0_4plusIjEEEEZZNS1_33reduce_by_key_impl_wrapped_configILNS1_25lookback_scan_determinismE0ES3_S7_PKhNS0_17constant_iteratorIjlEEPhPlSF_S6_NS0_8equal_toIhEEEE10hipError_tPvRmT2_T3_mT4_T5_T6_T7_T8_P12ihipStream_tbENKUlT_T0_E_clISt17integral_constantIbLb1EESZ_EEDaSU_SV_EUlSU_E_NS1_11comp_targetILNS1_3genE5ELNS1_11target_archE942ELNS1_3gpuE9ELNS1_3repE0EEENS1_30default_config_static_selectorELNS0_4arch9wavefront6targetE1EEEvT1_,comdat
.Lfunc_end176:
	.size	_ZN7rocprim17ROCPRIM_400000_NS6detail17trampoline_kernelINS0_14default_configENS1_33run_length_encode_config_selectorIhjNS0_4plusIjEEEEZZNS1_33reduce_by_key_impl_wrapped_configILNS1_25lookback_scan_determinismE0ES3_S7_PKhNS0_17constant_iteratorIjlEEPhPlSF_S6_NS0_8equal_toIhEEEE10hipError_tPvRmT2_T3_mT4_T5_T6_T7_T8_P12ihipStream_tbENKUlT_T0_E_clISt17integral_constantIbLb1EESZ_EEDaSU_SV_EUlSU_E_NS1_11comp_targetILNS1_3genE5ELNS1_11target_archE942ELNS1_3gpuE9ELNS1_3repE0EEENS1_30default_config_static_selectorELNS0_4arch9wavefront6targetE1EEEvT1_, .Lfunc_end176-_ZN7rocprim17ROCPRIM_400000_NS6detail17trampoline_kernelINS0_14default_configENS1_33run_length_encode_config_selectorIhjNS0_4plusIjEEEEZZNS1_33reduce_by_key_impl_wrapped_configILNS1_25lookback_scan_determinismE0ES3_S7_PKhNS0_17constant_iteratorIjlEEPhPlSF_S6_NS0_8equal_toIhEEEE10hipError_tPvRmT2_T3_mT4_T5_T6_T7_T8_P12ihipStream_tbENKUlT_T0_E_clISt17integral_constantIbLb1EESZ_EEDaSU_SV_EUlSU_E_NS1_11comp_targetILNS1_3genE5ELNS1_11target_archE942ELNS1_3gpuE9ELNS1_3repE0EEENS1_30default_config_static_selectorELNS0_4arch9wavefront6targetE1EEEvT1_
                                        ; -- End function
	.section	.AMDGPU.csdata,"",@progbits
; Kernel info:
; codeLenInByte = 15012
; NumSgprs: 72
; NumVgprs: 110
; NumAgprs: 0
; TotalNumVgprs: 110
; ScratchSize: 0
; MemoryBound: 0
; FloatMode: 240
; IeeeMode: 1
; LDSByteSize: 30720 bytes/workgroup (compile time only)
; SGPRBlocks: 8
; VGPRBlocks: 13
; NumSGPRsForWavesPerEU: 72
; NumVGPRsForWavesPerEU: 110
; AccumOffset: 112
; Occupancy: 4
; WaveLimiterHint : 1
; COMPUTE_PGM_RSRC2:SCRATCH_EN: 0
; COMPUTE_PGM_RSRC2:USER_SGPR: 2
; COMPUTE_PGM_RSRC2:TRAP_HANDLER: 0
; COMPUTE_PGM_RSRC2:TGID_X_EN: 1
; COMPUTE_PGM_RSRC2:TGID_Y_EN: 0
; COMPUTE_PGM_RSRC2:TGID_Z_EN: 0
; COMPUTE_PGM_RSRC2:TIDIG_COMP_CNT: 0
; COMPUTE_PGM_RSRC3_GFX90A:ACCUM_OFFSET: 27
; COMPUTE_PGM_RSRC3_GFX90A:TG_SPLIT: 0
	.section	.text._ZN7rocprim17ROCPRIM_400000_NS6detail17trampoline_kernelINS0_14default_configENS1_33run_length_encode_config_selectorIhjNS0_4plusIjEEEEZZNS1_33reduce_by_key_impl_wrapped_configILNS1_25lookback_scan_determinismE0ES3_S7_PKhNS0_17constant_iteratorIjlEEPhPlSF_S6_NS0_8equal_toIhEEEE10hipError_tPvRmT2_T3_mT4_T5_T6_T7_T8_P12ihipStream_tbENKUlT_T0_E_clISt17integral_constantIbLb1EESZ_EEDaSU_SV_EUlSU_E_NS1_11comp_targetILNS1_3genE4ELNS1_11target_archE910ELNS1_3gpuE8ELNS1_3repE0EEENS1_30default_config_static_selectorELNS0_4arch9wavefront6targetE1EEEvT1_,"axG",@progbits,_ZN7rocprim17ROCPRIM_400000_NS6detail17trampoline_kernelINS0_14default_configENS1_33run_length_encode_config_selectorIhjNS0_4plusIjEEEEZZNS1_33reduce_by_key_impl_wrapped_configILNS1_25lookback_scan_determinismE0ES3_S7_PKhNS0_17constant_iteratorIjlEEPhPlSF_S6_NS0_8equal_toIhEEEE10hipError_tPvRmT2_T3_mT4_T5_T6_T7_T8_P12ihipStream_tbENKUlT_T0_E_clISt17integral_constantIbLb1EESZ_EEDaSU_SV_EUlSU_E_NS1_11comp_targetILNS1_3genE4ELNS1_11target_archE910ELNS1_3gpuE8ELNS1_3repE0EEENS1_30default_config_static_selectorELNS0_4arch9wavefront6targetE1EEEvT1_,comdat
	.protected	_ZN7rocprim17ROCPRIM_400000_NS6detail17trampoline_kernelINS0_14default_configENS1_33run_length_encode_config_selectorIhjNS0_4plusIjEEEEZZNS1_33reduce_by_key_impl_wrapped_configILNS1_25lookback_scan_determinismE0ES3_S7_PKhNS0_17constant_iteratorIjlEEPhPlSF_S6_NS0_8equal_toIhEEEE10hipError_tPvRmT2_T3_mT4_T5_T6_T7_T8_P12ihipStream_tbENKUlT_T0_E_clISt17integral_constantIbLb1EESZ_EEDaSU_SV_EUlSU_E_NS1_11comp_targetILNS1_3genE4ELNS1_11target_archE910ELNS1_3gpuE8ELNS1_3repE0EEENS1_30default_config_static_selectorELNS0_4arch9wavefront6targetE1EEEvT1_ ; -- Begin function _ZN7rocprim17ROCPRIM_400000_NS6detail17trampoline_kernelINS0_14default_configENS1_33run_length_encode_config_selectorIhjNS0_4plusIjEEEEZZNS1_33reduce_by_key_impl_wrapped_configILNS1_25lookback_scan_determinismE0ES3_S7_PKhNS0_17constant_iteratorIjlEEPhPlSF_S6_NS0_8equal_toIhEEEE10hipError_tPvRmT2_T3_mT4_T5_T6_T7_T8_P12ihipStream_tbENKUlT_T0_E_clISt17integral_constantIbLb1EESZ_EEDaSU_SV_EUlSU_E_NS1_11comp_targetILNS1_3genE4ELNS1_11target_archE910ELNS1_3gpuE8ELNS1_3repE0EEENS1_30default_config_static_selectorELNS0_4arch9wavefront6targetE1EEEvT1_
	.globl	_ZN7rocprim17ROCPRIM_400000_NS6detail17trampoline_kernelINS0_14default_configENS1_33run_length_encode_config_selectorIhjNS0_4plusIjEEEEZZNS1_33reduce_by_key_impl_wrapped_configILNS1_25lookback_scan_determinismE0ES3_S7_PKhNS0_17constant_iteratorIjlEEPhPlSF_S6_NS0_8equal_toIhEEEE10hipError_tPvRmT2_T3_mT4_T5_T6_T7_T8_P12ihipStream_tbENKUlT_T0_E_clISt17integral_constantIbLb1EESZ_EEDaSU_SV_EUlSU_E_NS1_11comp_targetILNS1_3genE4ELNS1_11target_archE910ELNS1_3gpuE8ELNS1_3repE0EEENS1_30default_config_static_selectorELNS0_4arch9wavefront6targetE1EEEvT1_
	.p2align	8
	.type	_ZN7rocprim17ROCPRIM_400000_NS6detail17trampoline_kernelINS0_14default_configENS1_33run_length_encode_config_selectorIhjNS0_4plusIjEEEEZZNS1_33reduce_by_key_impl_wrapped_configILNS1_25lookback_scan_determinismE0ES3_S7_PKhNS0_17constant_iteratorIjlEEPhPlSF_S6_NS0_8equal_toIhEEEE10hipError_tPvRmT2_T3_mT4_T5_T6_T7_T8_P12ihipStream_tbENKUlT_T0_E_clISt17integral_constantIbLb1EESZ_EEDaSU_SV_EUlSU_E_NS1_11comp_targetILNS1_3genE4ELNS1_11target_archE910ELNS1_3gpuE8ELNS1_3repE0EEENS1_30default_config_static_selectorELNS0_4arch9wavefront6targetE1EEEvT1_,@function
_ZN7rocprim17ROCPRIM_400000_NS6detail17trampoline_kernelINS0_14default_configENS1_33run_length_encode_config_selectorIhjNS0_4plusIjEEEEZZNS1_33reduce_by_key_impl_wrapped_configILNS1_25lookback_scan_determinismE0ES3_S7_PKhNS0_17constant_iteratorIjlEEPhPlSF_S6_NS0_8equal_toIhEEEE10hipError_tPvRmT2_T3_mT4_T5_T6_T7_T8_P12ihipStream_tbENKUlT_T0_E_clISt17integral_constantIbLb1EESZ_EEDaSU_SV_EUlSU_E_NS1_11comp_targetILNS1_3genE4ELNS1_11target_archE910ELNS1_3gpuE8ELNS1_3repE0EEENS1_30default_config_static_selectorELNS0_4arch9wavefront6targetE1EEEvT1_: ; @_ZN7rocprim17ROCPRIM_400000_NS6detail17trampoline_kernelINS0_14default_configENS1_33run_length_encode_config_selectorIhjNS0_4plusIjEEEEZZNS1_33reduce_by_key_impl_wrapped_configILNS1_25lookback_scan_determinismE0ES3_S7_PKhNS0_17constant_iteratorIjlEEPhPlSF_S6_NS0_8equal_toIhEEEE10hipError_tPvRmT2_T3_mT4_T5_T6_T7_T8_P12ihipStream_tbENKUlT_T0_E_clISt17integral_constantIbLb1EESZ_EEDaSU_SV_EUlSU_E_NS1_11comp_targetILNS1_3genE4ELNS1_11target_archE910ELNS1_3gpuE8ELNS1_3repE0EEENS1_30default_config_static_selectorELNS0_4arch9wavefront6targetE1EEEvT1_
; %bb.0:
	.section	.rodata,"a",@progbits
	.p2align	6, 0x0
	.amdhsa_kernel _ZN7rocprim17ROCPRIM_400000_NS6detail17trampoline_kernelINS0_14default_configENS1_33run_length_encode_config_selectorIhjNS0_4plusIjEEEEZZNS1_33reduce_by_key_impl_wrapped_configILNS1_25lookback_scan_determinismE0ES3_S7_PKhNS0_17constant_iteratorIjlEEPhPlSF_S6_NS0_8equal_toIhEEEE10hipError_tPvRmT2_T3_mT4_T5_T6_T7_T8_P12ihipStream_tbENKUlT_T0_E_clISt17integral_constantIbLb1EESZ_EEDaSU_SV_EUlSU_E_NS1_11comp_targetILNS1_3genE4ELNS1_11target_archE910ELNS1_3gpuE8ELNS1_3repE0EEENS1_30default_config_static_selectorELNS0_4arch9wavefront6targetE1EEEvT1_
		.amdhsa_group_segment_fixed_size 0
		.amdhsa_private_segment_fixed_size 0
		.amdhsa_kernarg_size 128
		.amdhsa_user_sgpr_count 2
		.amdhsa_user_sgpr_dispatch_ptr 0
		.amdhsa_user_sgpr_queue_ptr 0
		.amdhsa_user_sgpr_kernarg_segment_ptr 1
		.amdhsa_user_sgpr_dispatch_id 0
		.amdhsa_user_sgpr_kernarg_preload_length 0
		.amdhsa_user_sgpr_kernarg_preload_offset 0
		.amdhsa_user_sgpr_private_segment_size 0
		.amdhsa_uses_dynamic_stack 0
		.amdhsa_enable_private_segment 0
		.amdhsa_system_sgpr_workgroup_id_x 1
		.amdhsa_system_sgpr_workgroup_id_y 0
		.amdhsa_system_sgpr_workgroup_id_z 0
		.amdhsa_system_sgpr_workgroup_info 0
		.amdhsa_system_vgpr_workitem_id 0
		.amdhsa_next_free_vgpr 1
		.amdhsa_next_free_sgpr 0
		.amdhsa_accum_offset 4
		.amdhsa_reserve_vcc 0
		.amdhsa_float_round_mode_32 0
		.amdhsa_float_round_mode_16_64 0
		.amdhsa_float_denorm_mode_32 3
		.amdhsa_float_denorm_mode_16_64 3
		.amdhsa_dx10_clamp 1
		.amdhsa_ieee_mode 1
		.amdhsa_fp16_overflow 0
		.amdhsa_tg_split 0
		.amdhsa_exception_fp_ieee_invalid_op 0
		.amdhsa_exception_fp_denorm_src 0
		.amdhsa_exception_fp_ieee_div_zero 0
		.amdhsa_exception_fp_ieee_overflow 0
		.amdhsa_exception_fp_ieee_underflow 0
		.amdhsa_exception_fp_ieee_inexact 0
		.amdhsa_exception_int_div_zero 0
	.end_amdhsa_kernel
	.section	.text._ZN7rocprim17ROCPRIM_400000_NS6detail17trampoline_kernelINS0_14default_configENS1_33run_length_encode_config_selectorIhjNS0_4plusIjEEEEZZNS1_33reduce_by_key_impl_wrapped_configILNS1_25lookback_scan_determinismE0ES3_S7_PKhNS0_17constant_iteratorIjlEEPhPlSF_S6_NS0_8equal_toIhEEEE10hipError_tPvRmT2_T3_mT4_T5_T6_T7_T8_P12ihipStream_tbENKUlT_T0_E_clISt17integral_constantIbLb1EESZ_EEDaSU_SV_EUlSU_E_NS1_11comp_targetILNS1_3genE4ELNS1_11target_archE910ELNS1_3gpuE8ELNS1_3repE0EEENS1_30default_config_static_selectorELNS0_4arch9wavefront6targetE1EEEvT1_,"axG",@progbits,_ZN7rocprim17ROCPRIM_400000_NS6detail17trampoline_kernelINS0_14default_configENS1_33run_length_encode_config_selectorIhjNS0_4plusIjEEEEZZNS1_33reduce_by_key_impl_wrapped_configILNS1_25lookback_scan_determinismE0ES3_S7_PKhNS0_17constant_iteratorIjlEEPhPlSF_S6_NS0_8equal_toIhEEEE10hipError_tPvRmT2_T3_mT4_T5_T6_T7_T8_P12ihipStream_tbENKUlT_T0_E_clISt17integral_constantIbLb1EESZ_EEDaSU_SV_EUlSU_E_NS1_11comp_targetILNS1_3genE4ELNS1_11target_archE910ELNS1_3gpuE8ELNS1_3repE0EEENS1_30default_config_static_selectorELNS0_4arch9wavefront6targetE1EEEvT1_,comdat
.Lfunc_end177:
	.size	_ZN7rocprim17ROCPRIM_400000_NS6detail17trampoline_kernelINS0_14default_configENS1_33run_length_encode_config_selectorIhjNS0_4plusIjEEEEZZNS1_33reduce_by_key_impl_wrapped_configILNS1_25lookback_scan_determinismE0ES3_S7_PKhNS0_17constant_iteratorIjlEEPhPlSF_S6_NS0_8equal_toIhEEEE10hipError_tPvRmT2_T3_mT4_T5_T6_T7_T8_P12ihipStream_tbENKUlT_T0_E_clISt17integral_constantIbLb1EESZ_EEDaSU_SV_EUlSU_E_NS1_11comp_targetILNS1_3genE4ELNS1_11target_archE910ELNS1_3gpuE8ELNS1_3repE0EEENS1_30default_config_static_selectorELNS0_4arch9wavefront6targetE1EEEvT1_, .Lfunc_end177-_ZN7rocprim17ROCPRIM_400000_NS6detail17trampoline_kernelINS0_14default_configENS1_33run_length_encode_config_selectorIhjNS0_4plusIjEEEEZZNS1_33reduce_by_key_impl_wrapped_configILNS1_25lookback_scan_determinismE0ES3_S7_PKhNS0_17constant_iteratorIjlEEPhPlSF_S6_NS0_8equal_toIhEEEE10hipError_tPvRmT2_T3_mT4_T5_T6_T7_T8_P12ihipStream_tbENKUlT_T0_E_clISt17integral_constantIbLb1EESZ_EEDaSU_SV_EUlSU_E_NS1_11comp_targetILNS1_3genE4ELNS1_11target_archE910ELNS1_3gpuE8ELNS1_3repE0EEENS1_30default_config_static_selectorELNS0_4arch9wavefront6targetE1EEEvT1_
                                        ; -- End function
	.section	.AMDGPU.csdata,"",@progbits
; Kernel info:
; codeLenInByte = 0
; NumSgprs: 6
; NumVgprs: 0
; NumAgprs: 0
; TotalNumVgprs: 0
; ScratchSize: 0
; MemoryBound: 0
; FloatMode: 240
; IeeeMode: 1
; LDSByteSize: 0 bytes/workgroup (compile time only)
; SGPRBlocks: 0
; VGPRBlocks: 0
; NumSGPRsForWavesPerEU: 6
; NumVGPRsForWavesPerEU: 1
; AccumOffset: 4
; Occupancy: 8
; WaveLimiterHint : 0
; COMPUTE_PGM_RSRC2:SCRATCH_EN: 0
; COMPUTE_PGM_RSRC2:USER_SGPR: 2
; COMPUTE_PGM_RSRC2:TRAP_HANDLER: 0
; COMPUTE_PGM_RSRC2:TGID_X_EN: 1
; COMPUTE_PGM_RSRC2:TGID_Y_EN: 0
; COMPUTE_PGM_RSRC2:TGID_Z_EN: 0
; COMPUTE_PGM_RSRC2:TIDIG_COMP_CNT: 0
; COMPUTE_PGM_RSRC3_GFX90A:ACCUM_OFFSET: 0
; COMPUTE_PGM_RSRC3_GFX90A:TG_SPLIT: 0
	.section	.text._ZN7rocprim17ROCPRIM_400000_NS6detail17trampoline_kernelINS0_14default_configENS1_33run_length_encode_config_selectorIhjNS0_4plusIjEEEEZZNS1_33reduce_by_key_impl_wrapped_configILNS1_25lookback_scan_determinismE0ES3_S7_PKhNS0_17constant_iteratorIjlEEPhPlSF_S6_NS0_8equal_toIhEEEE10hipError_tPvRmT2_T3_mT4_T5_T6_T7_T8_P12ihipStream_tbENKUlT_T0_E_clISt17integral_constantIbLb1EESZ_EEDaSU_SV_EUlSU_E_NS1_11comp_targetILNS1_3genE3ELNS1_11target_archE908ELNS1_3gpuE7ELNS1_3repE0EEENS1_30default_config_static_selectorELNS0_4arch9wavefront6targetE1EEEvT1_,"axG",@progbits,_ZN7rocprim17ROCPRIM_400000_NS6detail17trampoline_kernelINS0_14default_configENS1_33run_length_encode_config_selectorIhjNS0_4plusIjEEEEZZNS1_33reduce_by_key_impl_wrapped_configILNS1_25lookback_scan_determinismE0ES3_S7_PKhNS0_17constant_iteratorIjlEEPhPlSF_S6_NS0_8equal_toIhEEEE10hipError_tPvRmT2_T3_mT4_T5_T6_T7_T8_P12ihipStream_tbENKUlT_T0_E_clISt17integral_constantIbLb1EESZ_EEDaSU_SV_EUlSU_E_NS1_11comp_targetILNS1_3genE3ELNS1_11target_archE908ELNS1_3gpuE7ELNS1_3repE0EEENS1_30default_config_static_selectorELNS0_4arch9wavefront6targetE1EEEvT1_,comdat
	.protected	_ZN7rocprim17ROCPRIM_400000_NS6detail17trampoline_kernelINS0_14default_configENS1_33run_length_encode_config_selectorIhjNS0_4plusIjEEEEZZNS1_33reduce_by_key_impl_wrapped_configILNS1_25lookback_scan_determinismE0ES3_S7_PKhNS0_17constant_iteratorIjlEEPhPlSF_S6_NS0_8equal_toIhEEEE10hipError_tPvRmT2_T3_mT4_T5_T6_T7_T8_P12ihipStream_tbENKUlT_T0_E_clISt17integral_constantIbLb1EESZ_EEDaSU_SV_EUlSU_E_NS1_11comp_targetILNS1_3genE3ELNS1_11target_archE908ELNS1_3gpuE7ELNS1_3repE0EEENS1_30default_config_static_selectorELNS0_4arch9wavefront6targetE1EEEvT1_ ; -- Begin function _ZN7rocprim17ROCPRIM_400000_NS6detail17trampoline_kernelINS0_14default_configENS1_33run_length_encode_config_selectorIhjNS0_4plusIjEEEEZZNS1_33reduce_by_key_impl_wrapped_configILNS1_25lookback_scan_determinismE0ES3_S7_PKhNS0_17constant_iteratorIjlEEPhPlSF_S6_NS0_8equal_toIhEEEE10hipError_tPvRmT2_T3_mT4_T5_T6_T7_T8_P12ihipStream_tbENKUlT_T0_E_clISt17integral_constantIbLb1EESZ_EEDaSU_SV_EUlSU_E_NS1_11comp_targetILNS1_3genE3ELNS1_11target_archE908ELNS1_3gpuE7ELNS1_3repE0EEENS1_30default_config_static_selectorELNS0_4arch9wavefront6targetE1EEEvT1_
	.globl	_ZN7rocprim17ROCPRIM_400000_NS6detail17trampoline_kernelINS0_14default_configENS1_33run_length_encode_config_selectorIhjNS0_4plusIjEEEEZZNS1_33reduce_by_key_impl_wrapped_configILNS1_25lookback_scan_determinismE0ES3_S7_PKhNS0_17constant_iteratorIjlEEPhPlSF_S6_NS0_8equal_toIhEEEE10hipError_tPvRmT2_T3_mT4_T5_T6_T7_T8_P12ihipStream_tbENKUlT_T0_E_clISt17integral_constantIbLb1EESZ_EEDaSU_SV_EUlSU_E_NS1_11comp_targetILNS1_3genE3ELNS1_11target_archE908ELNS1_3gpuE7ELNS1_3repE0EEENS1_30default_config_static_selectorELNS0_4arch9wavefront6targetE1EEEvT1_
	.p2align	8
	.type	_ZN7rocprim17ROCPRIM_400000_NS6detail17trampoline_kernelINS0_14default_configENS1_33run_length_encode_config_selectorIhjNS0_4plusIjEEEEZZNS1_33reduce_by_key_impl_wrapped_configILNS1_25lookback_scan_determinismE0ES3_S7_PKhNS0_17constant_iteratorIjlEEPhPlSF_S6_NS0_8equal_toIhEEEE10hipError_tPvRmT2_T3_mT4_T5_T6_T7_T8_P12ihipStream_tbENKUlT_T0_E_clISt17integral_constantIbLb1EESZ_EEDaSU_SV_EUlSU_E_NS1_11comp_targetILNS1_3genE3ELNS1_11target_archE908ELNS1_3gpuE7ELNS1_3repE0EEENS1_30default_config_static_selectorELNS0_4arch9wavefront6targetE1EEEvT1_,@function
_ZN7rocprim17ROCPRIM_400000_NS6detail17trampoline_kernelINS0_14default_configENS1_33run_length_encode_config_selectorIhjNS0_4plusIjEEEEZZNS1_33reduce_by_key_impl_wrapped_configILNS1_25lookback_scan_determinismE0ES3_S7_PKhNS0_17constant_iteratorIjlEEPhPlSF_S6_NS0_8equal_toIhEEEE10hipError_tPvRmT2_T3_mT4_T5_T6_T7_T8_P12ihipStream_tbENKUlT_T0_E_clISt17integral_constantIbLb1EESZ_EEDaSU_SV_EUlSU_E_NS1_11comp_targetILNS1_3genE3ELNS1_11target_archE908ELNS1_3gpuE7ELNS1_3repE0EEENS1_30default_config_static_selectorELNS0_4arch9wavefront6targetE1EEEvT1_: ; @_ZN7rocprim17ROCPRIM_400000_NS6detail17trampoline_kernelINS0_14default_configENS1_33run_length_encode_config_selectorIhjNS0_4plusIjEEEEZZNS1_33reduce_by_key_impl_wrapped_configILNS1_25lookback_scan_determinismE0ES3_S7_PKhNS0_17constant_iteratorIjlEEPhPlSF_S6_NS0_8equal_toIhEEEE10hipError_tPvRmT2_T3_mT4_T5_T6_T7_T8_P12ihipStream_tbENKUlT_T0_E_clISt17integral_constantIbLb1EESZ_EEDaSU_SV_EUlSU_E_NS1_11comp_targetILNS1_3genE3ELNS1_11target_archE908ELNS1_3gpuE7ELNS1_3repE0EEENS1_30default_config_static_selectorELNS0_4arch9wavefront6targetE1EEEvT1_
; %bb.0:
	.section	.rodata,"a",@progbits
	.p2align	6, 0x0
	.amdhsa_kernel _ZN7rocprim17ROCPRIM_400000_NS6detail17trampoline_kernelINS0_14default_configENS1_33run_length_encode_config_selectorIhjNS0_4plusIjEEEEZZNS1_33reduce_by_key_impl_wrapped_configILNS1_25lookback_scan_determinismE0ES3_S7_PKhNS0_17constant_iteratorIjlEEPhPlSF_S6_NS0_8equal_toIhEEEE10hipError_tPvRmT2_T3_mT4_T5_T6_T7_T8_P12ihipStream_tbENKUlT_T0_E_clISt17integral_constantIbLb1EESZ_EEDaSU_SV_EUlSU_E_NS1_11comp_targetILNS1_3genE3ELNS1_11target_archE908ELNS1_3gpuE7ELNS1_3repE0EEENS1_30default_config_static_selectorELNS0_4arch9wavefront6targetE1EEEvT1_
		.amdhsa_group_segment_fixed_size 0
		.amdhsa_private_segment_fixed_size 0
		.amdhsa_kernarg_size 128
		.amdhsa_user_sgpr_count 2
		.amdhsa_user_sgpr_dispatch_ptr 0
		.amdhsa_user_sgpr_queue_ptr 0
		.amdhsa_user_sgpr_kernarg_segment_ptr 1
		.amdhsa_user_sgpr_dispatch_id 0
		.amdhsa_user_sgpr_kernarg_preload_length 0
		.amdhsa_user_sgpr_kernarg_preload_offset 0
		.amdhsa_user_sgpr_private_segment_size 0
		.amdhsa_uses_dynamic_stack 0
		.amdhsa_enable_private_segment 0
		.amdhsa_system_sgpr_workgroup_id_x 1
		.amdhsa_system_sgpr_workgroup_id_y 0
		.amdhsa_system_sgpr_workgroup_id_z 0
		.amdhsa_system_sgpr_workgroup_info 0
		.amdhsa_system_vgpr_workitem_id 0
		.amdhsa_next_free_vgpr 1
		.amdhsa_next_free_sgpr 0
		.amdhsa_accum_offset 4
		.amdhsa_reserve_vcc 0
		.amdhsa_float_round_mode_32 0
		.amdhsa_float_round_mode_16_64 0
		.amdhsa_float_denorm_mode_32 3
		.amdhsa_float_denorm_mode_16_64 3
		.amdhsa_dx10_clamp 1
		.amdhsa_ieee_mode 1
		.amdhsa_fp16_overflow 0
		.amdhsa_tg_split 0
		.amdhsa_exception_fp_ieee_invalid_op 0
		.amdhsa_exception_fp_denorm_src 0
		.amdhsa_exception_fp_ieee_div_zero 0
		.amdhsa_exception_fp_ieee_overflow 0
		.amdhsa_exception_fp_ieee_underflow 0
		.amdhsa_exception_fp_ieee_inexact 0
		.amdhsa_exception_int_div_zero 0
	.end_amdhsa_kernel
	.section	.text._ZN7rocprim17ROCPRIM_400000_NS6detail17trampoline_kernelINS0_14default_configENS1_33run_length_encode_config_selectorIhjNS0_4plusIjEEEEZZNS1_33reduce_by_key_impl_wrapped_configILNS1_25lookback_scan_determinismE0ES3_S7_PKhNS0_17constant_iteratorIjlEEPhPlSF_S6_NS0_8equal_toIhEEEE10hipError_tPvRmT2_T3_mT4_T5_T6_T7_T8_P12ihipStream_tbENKUlT_T0_E_clISt17integral_constantIbLb1EESZ_EEDaSU_SV_EUlSU_E_NS1_11comp_targetILNS1_3genE3ELNS1_11target_archE908ELNS1_3gpuE7ELNS1_3repE0EEENS1_30default_config_static_selectorELNS0_4arch9wavefront6targetE1EEEvT1_,"axG",@progbits,_ZN7rocprim17ROCPRIM_400000_NS6detail17trampoline_kernelINS0_14default_configENS1_33run_length_encode_config_selectorIhjNS0_4plusIjEEEEZZNS1_33reduce_by_key_impl_wrapped_configILNS1_25lookback_scan_determinismE0ES3_S7_PKhNS0_17constant_iteratorIjlEEPhPlSF_S6_NS0_8equal_toIhEEEE10hipError_tPvRmT2_T3_mT4_T5_T6_T7_T8_P12ihipStream_tbENKUlT_T0_E_clISt17integral_constantIbLb1EESZ_EEDaSU_SV_EUlSU_E_NS1_11comp_targetILNS1_3genE3ELNS1_11target_archE908ELNS1_3gpuE7ELNS1_3repE0EEENS1_30default_config_static_selectorELNS0_4arch9wavefront6targetE1EEEvT1_,comdat
.Lfunc_end178:
	.size	_ZN7rocprim17ROCPRIM_400000_NS6detail17trampoline_kernelINS0_14default_configENS1_33run_length_encode_config_selectorIhjNS0_4plusIjEEEEZZNS1_33reduce_by_key_impl_wrapped_configILNS1_25lookback_scan_determinismE0ES3_S7_PKhNS0_17constant_iteratorIjlEEPhPlSF_S6_NS0_8equal_toIhEEEE10hipError_tPvRmT2_T3_mT4_T5_T6_T7_T8_P12ihipStream_tbENKUlT_T0_E_clISt17integral_constantIbLb1EESZ_EEDaSU_SV_EUlSU_E_NS1_11comp_targetILNS1_3genE3ELNS1_11target_archE908ELNS1_3gpuE7ELNS1_3repE0EEENS1_30default_config_static_selectorELNS0_4arch9wavefront6targetE1EEEvT1_, .Lfunc_end178-_ZN7rocprim17ROCPRIM_400000_NS6detail17trampoline_kernelINS0_14default_configENS1_33run_length_encode_config_selectorIhjNS0_4plusIjEEEEZZNS1_33reduce_by_key_impl_wrapped_configILNS1_25lookback_scan_determinismE0ES3_S7_PKhNS0_17constant_iteratorIjlEEPhPlSF_S6_NS0_8equal_toIhEEEE10hipError_tPvRmT2_T3_mT4_T5_T6_T7_T8_P12ihipStream_tbENKUlT_T0_E_clISt17integral_constantIbLb1EESZ_EEDaSU_SV_EUlSU_E_NS1_11comp_targetILNS1_3genE3ELNS1_11target_archE908ELNS1_3gpuE7ELNS1_3repE0EEENS1_30default_config_static_selectorELNS0_4arch9wavefront6targetE1EEEvT1_
                                        ; -- End function
	.section	.AMDGPU.csdata,"",@progbits
; Kernel info:
; codeLenInByte = 0
; NumSgprs: 6
; NumVgprs: 0
; NumAgprs: 0
; TotalNumVgprs: 0
; ScratchSize: 0
; MemoryBound: 0
; FloatMode: 240
; IeeeMode: 1
; LDSByteSize: 0 bytes/workgroup (compile time only)
; SGPRBlocks: 0
; VGPRBlocks: 0
; NumSGPRsForWavesPerEU: 6
; NumVGPRsForWavesPerEU: 1
; AccumOffset: 4
; Occupancy: 8
; WaveLimiterHint : 0
; COMPUTE_PGM_RSRC2:SCRATCH_EN: 0
; COMPUTE_PGM_RSRC2:USER_SGPR: 2
; COMPUTE_PGM_RSRC2:TRAP_HANDLER: 0
; COMPUTE_PGM_RSRC2:TGID_X_EN: 1
; COMPUTE_PGM_RSRC2:TGID_Y_EN: 0
; COMPUTE_PGM_RSRC2:TGID_Z_EN: 0
; COMPUTE_PGM_RSRC2:TIDIG_COMP_CNT: 0
; COMPUTE_PGM_RSRC3_GFX90A:ACCUM_OFFSET: 0
; COMPUTE_PGM_RSRC3_GFX90A:TG_SPLIT: 0
	.section	.text._ZN7rocprim17ROCPRIM_400000_NS6detail17trampoline_kernelINS0_14default_configENS1_33run_length_encode_config_selectorIhjNS0_4plusIjEEEEZZNS1_33reduce_by_key_impl_wrapped_configILNS1_25lookback_scan_determinismE0ES3_S7_PKhNS0_17constant_iteratorIjlEEPhPlSF_S6_NS0_8equal_toIhEEEE10hipError_tPvRmT2_T3_mT4_T5_T6_T7_T8_P12ihipStream_tbENKUlT_T0_E_clISt17integral_constantIbLb1EESZ_EEDaSU_SV_EUlSU_E_NS1_11comp_targetILNS1_3genE2ELNS1_11target_archE906ELNS1_3gpuE6ELNS1_3repE0EEENS1_30default_config_static_selectorELNS0_4arch9wavefront6targetE1EEEvT1_,"axG",@progbits,_ZN7rocprim17ROCPRIM_400000_NS6detail17trampoline_kernelINS0_14default_configENS1_33run_length_encode_config_selectorIhjNS0_4plusIjEEEEZZNS1_33reduce_by_key_impl_wrapped_configILNS1_25lookback_scan_determinismE0ES3_S7_PKhNS0_17constant_iteratorIjlEEPhPlSF_S6_NS0_8equal_toIhEEEE10hipError_tPvRmT2_T3_mT4_T5_T6_T7_T8_P12ihipStream_tbENKUlT_T0_E_clISt17integral_constantIbLb1EESZ_EEDaSU_SV_EUlSU_E_NS1_11comp_targetILNS1_3genE2ELNS1_11target_archE906ELNS1_3gpuE6ELNS1_3repE0EEENS1_30default_config_static_selectorELNS0_4arch9wavefront6targetE1EEEvT1_,comdat
	.protected	_ZN7rocprim17ROCPRIM_400000_NS6detail17trampoline_kernelINS0_14default_configENS1_33run_length_encode_config_selectorIhjNS0_4plusIjEEEEZZNS1_33reduce_by_key_impl_wrapped_configILNS1_25lookback_scan_determinismE0ES3_S7_PKhNS0_17constant_iteratorIjlEEPhPlSF_S6_NS0_8equal_toIhEEEE10hipError_tPvRmT2_T3_mT4_T5_T6_T7_T8_P12ihipStream_tbENKUlT_T0_E_clISt17integral_constantIbLb1EESZ_EEDaSU_SV_EUlSU_E_NS1_11comp_targetILNS1_3genE2ELNS1_11target_archE906ELNS1_3gpuE6ELNS1_3repE0EEENS1_30default_config_static_selectorELNS0_4arch9wavefront6targetE1EEEvT1_ ; -- Begin function _ZN7rocprim17ROCPRIM_400000_NS6detail17trampoline_kernelINS0_14default_configENS1_33run_length_encode_config_selectorIhjNS0_4plusIjEEEEZZNS1_33reduce_by_key_impl_wrapped_configILNS1_25lookback_scan_determinismE0ES3_S7_PKhNS0_17constant_iteratorIjlEEPhPlSF_S6_NS0_8equal_toIhEEEE10hipError_tPvRmT2_T3_mT4_T5_T6_T7_T8_P12ihipStream_tbENKUlT_T0_E_clISt17integral_constantIbLb1EESZ_EEDaSU_SV_EUlSU_E_NS1_11comp_targetILNS1_3genE2ELNS1_11target_archE906ELNS1_3gpuE6ELNS1_3repE0EEENS1_30default_config_static_selectorELNS0_4arch9wavefront6targetE1EEEvT1_
	.globl	_ZN7rocprim17ROCPRIM_400000_NS6detail17trampoline_kernelINS0_14default_configENS1_33run_length_encode_config_selectorIhjNS0_4plusIjEEEEZZNS1_33reduce_by_key_impl_wrapped_configILNS1_25lookback_scan_determinismE0ES3_S7_PKhNS0_17constant_iteratorIjlEEPhPlSF_S6_NS0_8equal_toIhEEEE10hipError_tPvRmT2_T3_mT4_T5_T6_T7_T8_P12ihipStream_tbENKUlT_T0_E_clISt17integral_constantIbLb1EESZ_EEDaSU_SV_EUlSU_E_NS1_11comp_targetILNS1_3genE2ELNS1_11target_archE906ELNS1_3gpuE6ELNS1_3repE0EEENS1_30default_config_static_selectorELNS0_4arch9wavefront6targetE1EEEvT1_
	.p2align	8
	.type	_ZN7rocprim17ROCPRIM_400000_NS6detail17trampoline_kernelINS0_14default_configENS1_33run_length_encode_config_selectorIhjNS0_4plusIjEEEEZZNS1_33reduce_by_key_impl_wrapped_configILNS1_25lookback_scan_determinismE0ES3_S7_PKhNS0_17constant_iteratorIjlEEPhPlSF_S6_NS0_8equal_toIhEEEE10hipError_tPvRmT2_T3_mT4_T5_T6_T7_T8_P12ihipStream_tbENKUlT_T0_E_clISt17integral_constantIbLb1EESZ_EEDaSU_SV_EUlSU_E_NS1_11comp_targetILNS1_3genE2ELNS1_11target_archE906ELNS1_3gpuE6ELNS1_3repE0EEENS1_30default_config_static_selectorELNS0_4arch9wavefront6targetE1EEEvT1_,@function
_ZN7rocprim17ROCPRIM_400000_NS6detail17trampoline_kernelINS0_14default_configENS1_33run_length_encode_config_selectorIhjNS0_4plusIjEEEEZZNS1_33reduce_by_key_impl_wrapped_configILNS1_25lookback_scan_determinismE0ES3_S7_PKhNS0_17constant_iteratorIjlEEPhPlSF_S6_NS0_8equal_toIhEEEE10hipError_tPvRmT2_T3_mT4_T5_T6_T7_T8_P12ihipStream_tbENKUlT_T0_E_clISt17integral_constantIbLb1EESZ_EEDaSU_SV_EUlSU_E_NS1_11comp_targetILNS1_3genE2ELNS1_11target_archE906ELNS1_3gpuE6ELNS1_3repE0EEENS1_30default_config_static_selectorELNS0_4arch9wavefront6targetE1EEEvT1_: ; @_ZN7rocprim17ROCPRIM_400000_NS6detail17trampoline_kernelINS0_14default_configENS1_33run_length_encode_config_selectorIhjNS0_4plusIjEEEEZZNS1_33reduce_by_key_impl_wrapped_configILNS1_25lookback_scan_determinismE0ES3_S7_PKhNS0_17constant_iteratorIjlEEPhPlSF_S6_NS0_8equal_toIhEEEE10hipError_tPvRmT2_T3_mT4_T5_T6_T7_T8_P12ihipStream_tbENKUlT_T0_E_clISt17integral_constantIbLb1EESZ_EEDaSU_SV_EUlSU_E_NS1_11comp_targetILNS1_3genE2ELNS1_11target_archE906ELNS1_3gpuE6ELNS1_3repE0EEENS1_30default_config_static_selectorELNS0_4arch9wavefront6targetE1EEEvT1_
; %bb.0:
	.section	.rodata,"a",@progbits
	.p2align	6, 0x0
	.amdhsa_kernel _ZN7rocprim17ROCPRIM_400000_NS6detail17trampoline_kernelINS0_14default_configENS1_33run_length_encode_config_selectorIhjNS0_4plusIjEEEEZZNS1_33reduce_by_key_impl_wrapped_configILNS1_25lookback_scan_determinismE0ES3_S7_PKhNS0_17constant_iteratorIjlEEPhPlSF_S6_NS0_8equal_toIhEEEE10hipError_tPvRmT2_T3_mT4_T5_T6_T7_T8_P12ihipStream_tbENKUlT_T0_E_clISt17integral_constantIbLb1EESZ_EEDaSU_SV_EUlSU_E_NS1_11comp_targetILNS1_3genE2ELNS1_11target_archE906ELNS1_3gpuE6ELNS1_3repE0EEENS1_30default_config_static_selectorELNS0_4arch9wavefront6targetE1EEEvT1_
		.amdhsa_group_segment_fixed_size 0
		.amdhsa_private_segment_fixed_size 0
		.amdhsa_kernarg_size 128
		.amdhsa_user_sgpr_count 2
		.amdhsa_user_sgpr_dispatch_ptr 0
		.amdhsa_user_sgpr_queue_ptr 0
		.amdhsa_user_sgpr_kernarg_segment_ptr 1
		.amdhsa_user_sgpr_dispatch_id 0
		.amdhsa_user_sgpr_kernarg_preload_length 0
		.amdhsa_user_sgpr_kernarg_preload_offset 0
		.amdhsa_user_sgpr_private_segment_size 0
		.amdhsa_uses_dynamic_stack 0
		.amdhsa_enable_private_segment 0
		.amdhsa_system_sgpr_workgroup_id_x 1
		.amdhsa_system_sgpr_workgroup_id_y 0
		.amdhsa_system_sgpr_workgroup_id_z 0
		.amdhsa_system_sgpr_workgroup_info 0
		.amdhsa_system_vgpr_workitem_id 0
		.amdhsa_next_free_vgpr 1
		.amdhsa_next_free_sgpr 0
		.amdhsa_accum_offset 4
		.amdhsa_reserve_vcc 0
		.amdhsa_float_round_mode_32 0
		.amdhsa_float_round_mode_16_64 0
		.amdhsa_float_denorm_mode_32 3
		.amdhsa_float_denorm_mode_16_64 3
		.amdhsa_dx10_clamp 1
		.amdhsa_ieee_mode 1
		.amdhsa_fp16_overflow 0
		.amdhsa_tg_split 0
		.amdhsa_exception_fp_ieee_invalid_op 0
		.amdhsa_exception_fp_denorm_src 0
		.amdhsa_exception_fp_ieee_div_zero 0
		.amdhsa_exception_fp_ieee_overflow 0
		.amdhsa_exception_fp_ieee_underflow 0
		.amdhsa_exception_fp_ieee_inexact 0
		.amdhsa_exception_int_div_zero 0
	.end_amdhsa_kernel
	.section	.text._ZN7rocprim17ROCPRIM_400000_NS6detail17trampoline_kernelINS0_14default_configENS1_33run_length_encode_config_selectorIhjNS0_4plusIjEEEEZZNS1_33reduce_by_key_impl_wrapped_configILNS1_25lookback_scan_determinismE0ES3_S7_PKhNS0_17constant_iteratorIjlEEPhPlSF_S6_NS0_8equal_toIhEEEE10hipError_tPvRmT2_T3_mT4_T5_T6_T7_T8_P12ihipStream_tbENKUlT_T0_E_clISt17integral_constantIbLb1EESZ_EEDaSU_SV_EUlSU_E_NS1_11comp_targetILNS1_3genE2ELNS1_11target_archE906ELNS1_3gpuE6ELNS1_3repE0EEENS1_30default_config_static_selectorELNS0_4arch9wavefront6targetE1EEEvT1_,"axG",@progbits,_ZN7rocprim17ROCPRIM_400000_NS6detail17trampoline_kernelINS0_14default_configENS1_33run_length_encode_config_selectorIhjNS0_4plusIjEEEEZZNS1_33reduce_by_key_impl_wrapped_configILNS1_25lookback_scan_determinismE0ES3_S7_PKhNS0_17constant_iteratorIjlEEPhPlSF_S6_NS0_8equal_toIhEEEE10hipError_tPvRmT2_T3_mT4_T5_T6_T7_T8_P12ihipStream_tbENKUlT_T0_E_clISt17integral_constantIbLb1EESZ_EEDaSU_SV_EUlSU_E_NS1_11comp_targetILNS1_3genE2ELNS1_11target_archE906ELNS1_3gpuE6ELNS1_3repE0EEENS1_30default_config_static_selectorELNS0_4arch9wavefront6targetE1EEEvT1_,comdat
.Lfunc_end179:
	.size	_ZN7rocprim17ROCPRIM_400000_NS6detail17trampoline_kernelINS0_14default_configENS1_33run_length_encode_config_selectorIhjNS0_4plusIjEEEEZZNS1_33reduce_by_key_impl_wrapped_configILNS1_25lookback_scan_determinismE0ES3_S7_PKhNS0_17constant_iteratorIjlEEPhPlSF_S6_NS0_8equal_toIhEEEE10hipError_tPvRmT2_T3_mT4_T5_T6_T7_T8_P12ihipStream_tbENKUlT_T0_E_clISt17integral_constantIbLb1EESZ_EEDaSU_SV_EUlSU_E_NS1_11comp_targetILNS1_3genE2ELNS1_11target_archE906ELNS1_3gpuE6ELNS1_3repE0EEENS1_30default_config_static_selectorELNS0_4arch9wavefront6targetE1EEEvT1_, .Lfunc_end179-_ZN7rocprim17ROCPRIM_400000_NS6detail17trampoline_kernelINS0_14default_configENS1_33run_length_encode_config_selectorIhjNS0_4plusIjEEEEZZNS1_33reduce_by_key_impl_wrapped_configILNS1_25lookback_scan_determinismE0ES3_S7_PKhNS0_17constant_iteratorIjlEEPhPlSF_S6_NS0_8equal_toIhEEEE10hipError_tPvRmT2_T3_mT4_T5_T6_T7_T8_P12ihipStream_tbENKUlT_T0_E_clISt17integral_constantIbLb1EESZ_EEDaSU_SV_EUlSU_E_NS1_11comp_targetILNS1_3genE2ELNS1_11target_archE906ELNS1_3gpuE6ELNS1_3repE0EEENS1_30default_config_static_selectorELNS0_4arch9wavefront6targetE1EEEvT1_
                                        ; -- End function
	.section	.AMDGPU.csdata,"",@progbits
; Kernel info:
; codeLenInByte = 0
; NumSgprs: 6
; NumVgprs: 0
; NumAgprs: 0
; TotalNumVgprs: 0
; ScratchSize: 0
; MemoryBound: 0
; FloatMode: 240
; IeeeMode: 1
; LDSByteSize: 0 bytes/workgroup (compile time only)
; SGPRBlocks: 0
; VGPRBlocks: 0
; NumSGPRsForWavesPerEU: 6
; NumVGPRsForWavesPerEU: 1
; AccumOffset: 4
; Occupancy: 8
; WaveLimiterHint : 0
; COMPUTE_PGM_RSRC2:SCRATCH_EN: 0
; COMPUTE_PGM_RSRC2:USER_SGPR: 2
; COMPUTE_PGM_RSRC2:TRAP_HANDLER: 0
; COMPUTE_PGM_RSRC2:TGID_X_EN: 1
; COMPUTE_PGM_RSRC2:TGID_Y_EN: 0
; COMPUTE_PGM_RSRC2:TGID_Z_EN: 0
; COMPUTE_PGM_RSRC2:TIDIG_COMP_CNT: 0
; COMPUTE_PGM_RSRC3_GFX90A:ACCUM_OFFSET: 0
; COMPUTE_PGM_RSRC3_GFX90A:TG_SPLIT: 0
	.section	.text._ZN7rocprim17ROCPRIM_400000_NS6detail17trampoline_kernelINS0_14default_configENS1_33run_length_encode_config_selectorIhjNS0_4plusIjEEEEZZNS1_33reduce_by_key_impl_wrapped_configILNS1_25lookback_scan_determinismE0ES3_S7_PKhNS0_17constant_iteratorIjlEEPhPlSF_S6_NS0_8equal_toIhEEEE10hipError_tPvRmT2_T3_mT4_T5_T6_T7_T8_P12ihipStream_tbENKUlT_T0_E_clISt17integral_constantIbLb1EESZ_EEDaSU_SV_EUlSU_E_NS1_11comp_targetILNS1_3genE10ELNS1_11target_archE1201ELNS1_3gpuE5ELNS1_3repE0EEENS1_30default_config_static_selectorELNS0_4arch9wavefront6targetE1EEEvT1_,"axG",@progbits,_ZN7rocprim17ROCPRIM_400000_NS6detail17trampoline_kernelINS0_14default_configENS1_33run_length_encode_config_selectorIhjNS0_4plusIjEEEEZZNS1_33reduce_by_key_impl_wrapped_configILNS1_25lookback_scan_determinismE0ES3_S7_PKhNS0_17constant_iteratorIjlEEPhPlSF_S6_NS0_8equal_toIhEEEE10hipError_tPvRmT2_T3_mT4_T5_T6_T7_T8_P12ihipStream_tbENKUlT_T0_E_clISt17integral_constantIbLb1EESZ_EEDaSU_SV_EUlSU_E_NS1_11comp_targetILNS1_3genE10ELNS1_11target_archE1201ELNS1_3gpuE5ELNS1_3repE0EEENS1_30default_config_static_selectorELNS0_4arch9wavefront6targetE1EEEvT1_,comdat
	.protected	_ZN7rocprim17ROCPRIM_400000_NS6detail17trampoline_kernelINS0_14default_configENS1_33run_length_encode_config_selectorIhjNS0_4plusIjEEEEZZNS1_33reduce_by_key_impl_wrapped_configILNS1_25lookback_scan_determinismE0ES3_S7_PKhNS0_17constant_iteratorIjlEEPhPlSF_S6_NS0_8equal_toIhEEEE10hipError_tPvRmT2_T3_mT4_T5_T6_T7_T8_P12ihipStream_tbENKUlT_T0_E_clISt17integral_constantIbLb1EESZ_EEDaSU_SV_EUlSU_E_NS1_11comp_targetILNS1_3genE10ELNS1_11target_archE1201ELNS1_3gpuE5ELNS1_3repE0EEENS1_30default_config_static_selectorELNS0_4arch9wavefront6targetE1EEEvT1_ ; -- Begin function _ZN7rocprim17ROCPRIM_400000_NS6detail17trampoline_kernelINS0_14default_configENS1_33run_length_encode_config_selectorIhjNS0_4plusIjEEEEZZNS1_33reduce_by_key_impl_wrapped_configILNS1_25lookback_scan_determinismE0ES3_S7_PKhNS0_17constant_iteratorIjlEEPhPlSF_S6_NS0_8equal_toIhEEEE10hipError_tPvRmT2_T3_mT4_T5_T6_T7_T8_P12ihipStream_tbENKUlT_T0_E_clISt17integral_constantIbLb1EESZ_EEDaSU_SV_EUlSU_E_NS1_11comp_targetILNS1_3genE10ELNS1_11target_archE1201ELNS1_3gpuE5ELNS1_3repE0EEENS1_30default_config_static_selectorELNS0_4arch9wavefront6targetE1EEEvT1_
	.globl	_ZN7rocprim17ROCPRIM_400000_NS6detail17trampoline_kernelINS0_14default_configENS1_33run_length_encode_config_selectorIhjNS0_4plusIjEEEEZZNS1_33reduce_by_key_impl_wrapped_configILNS1_25lookback_scan_determinismE0ES3_S7_PKhNS0_17constant_iteratorIjlEEPhPlSF_S6_NS0_8equal_toIhEEEE10hipError_tPvRmT2_T3_mT4_T5_T6_T7_T8_P12ihipStream_tbENKUlT_T0_E_clISt17integral_constantIbLb1EESZ_EEDaSU_SV_EUlSU_E_NS1_11comp_targetILNS1_3genE10ELNS1_11target_archE1201ELNS1_3gpuE5ELNS1_3repE0EEENS1_30default_config_static_selectorELNS0_4arch9wavefront6targetE1EEEvT1_
	.p2align	8
	.type	_ZN7rocprim17ROCPRIM_400000_NS6detail17trampoline_kernelINS0_14default_configENS1_33run_length_encode_config_selectorIhjNS0_4plusIjEEEEZZNS1_33reduce_by_key_impl_wrapped_configILNS1_25lookback_scan_determinismE0ES3_S7_PKhNS0_17constant_iteratorIjlEEPhPlSF_S6_NS0_8equal_toIhEEEE10hipError_tPvRmT2_T3_mT4_T5_T6_T7_T8_P12ihipStream_tbENKUlT_T0_E_clISt17integral_constantIbLb1EESZ_EEDaSU_SV_EUlSU_E_NS1_11comp_targetILNS1_3genE10ELNS1_11target_archE1201ELNS1_3gpuE5ELNS1_3repE0EEENS1_30default_config_static_selectorELNS0_4arch9wavefront6targetE1EEEvT1_,@function
_ZN7rocprim17ROCPRIM_400000_NS6detail17trampoline_kernelINS0_14default_configENS1_33run_length_encode_config_selectorIhjNS0_4plusIjEEEEZZNS1_33reduce_by_key_impl_wrapped_configILNS1_25lookback_scan_determinismE0ES3_S7_PKhNS0_17constant_iteratorIjlEEPhPlSF_S6_NS0_8equal_toIhEEEE10hipError_tPvRmT2_T3_mT4_T5_T6_T7_T8_P12ihipStream_tbENKUlT_T0_E_clISt17integral_constantIbLb1EESZ_EEDaSU_SV_EUlSU_E_NS1_11comp_targetILNS1_3genE10ELNS1_11target_archE1201ELNS1_3gpuE5ELNS1_3repE0EEENS1_30default_config_static_selectorELNS0_4arch9wavefront6targetE1EEEvT1_: ; @_ZN7rocprim17ROCPRIM_400000_NS6detail17trampoline_kernelINS0_14default_configENS1_33run_length_encode_config_selectorIhjNS0_4plusIjEEEEZZNS1_33reduce_by_key_impl_wrapped_configILNS1_25lookback_scan_determinismE0ES3_S7_PKhNS0_17constant_iteratorIjlEEPhPlSF_S6_NS0_8equal_toIhEEEE10hipError_tPvRmT2_T3_mT4_T5_T6_T7_T8_P12ihipStream_tbENKUlT_T0_E_clISt17integral_constantIbLb1EESZ_EEDaSU_SV_EUlSU_E_NS1_11comp_targetILNS1_3genE10ELNS1_11target_archE1201ELNS1_3gpuE5ELNS1_3repE0EEENS1_30default_config_static_selectorELNS0_4arch9wavefront6targetE1EEEvT1_
; %bb.0:
	.section	.rodata,"a",@progbits
	.p2align	6, 0x0
	.amdhsa_kernel _ZN7rocprim17ROCPRIM_400000_NS6detail17trampoline_kernelINS0_14default_configENS1_33run_length_encode_config_selectorIhjNS0_4plusIjEEEEZZNS1_33reduce_by_key_impl_wrapped_configILNS1_25lookback_scan_determinismE0ES3_S7_PKhNS0_17constant_iteratorIjlEEPhPlSF_S6_NS0_8equal_toIhEEEE10hipError_tPvRmT2_T3_mT4_T5_T6_T7_T8_P12ihipStream_tbENKUlT_T0_E_clISt17integral_constantIbLb1EESZ_EEDaSU_SV_EUlSU_E_NS1_11comp_targetILNS1_3genE10ELNS1_11target_archE1201ELNS1_3gpuE5ELNS1_3repE0EEENS1_30default_config_static_selectorELNS0_4arch9wavefront6targetE1EEEvT1_
		.amdhsa_group_segment_fixed_size 0
		.amdhsa_private_segment_fixed_size 0
		.amdhsa_kernarg_size 128
		.amdhsa_user_sgpr_count 2
		.amdhsa_user_sgpr_dispatch_ptr 0
		.amdhsa_user_sgpr_queue_ptr 0
		.amdhsa_user_sgpr_kernarg_segment_ptr 1
		.amdhsa_user_sgpr_dispatch_id 0
		.amdhsa_user_sgpr_kernarg_preload_length 0
		.amdhsa_user_sgpr_kernarg_preload_offset 0
		.amdhsa_user_sgpr_private_segment_size 0
		.amdhsa_uses_dynamic_stack 0
		.amdhsa_enable_private_segment 0
		.amdhsa_system_sgpr_workgroup_id_x 1
		.amdhsa_system_sgpr_workgroup_id_y 0
		.amdhsa_system_sgpr_workgroup_id_z 0
		.amdhsa_system_sgpr_workgroup_info 0
		.amdhsa_system_vgpr_workitem_id 0
		.amdhsa_next_free_vgpr 1
		.amdhsa_next_free_sgpr 0
		.amdhsa_accum_offset 4
		.amdhsa_reserve_vcc 0
		.amdhsa_float_round_mode_32 0
		.amdhsa_float_round_mode_16_64 0
		.amdhsa_float_denorm_mode_32 3
		.amdhsa_float_denorm_mode_16_64 3
		.amdhsa_dx10_clamp 1
		.amdhsa_ieee_mode 1
		.amdhsa_fp16_overflow 0
		.amdhsa_tg_split 0
		.amdhsa_exception_fp_ieee_invalid_op 0
		.amdhsa_exception_fp_denorm_src 0
		.amdhsa_exception_fp_ieee_div_zero 0
		.amdhsa_exception_fp_ieee_overflow 0
		.amdhsa_exception_fp_ieee_underflow 0
		.amdhsa_exception_fp_ieee_inexact 0
		.amdhsa_exception_int_div_zero 0
	.end_amdhsa_kernel
	.section	.text._ZN7rocprim17ROCPRIM_400000_NS6detail17trampoline_kernelINS0_14default_configENS1_33run_length_encode_config_selectorIhjNS0_4plusIjEEEEZZNS1_33reduce_by_key_impl_wrapped_configILNS1_25lookback_scan_determinismE0ES3_S7_PKhNS0_17constant_iteratorIjlEEPhPlSF_S6_NS0_8equal_toIhEEEE10hipError_tPvRmT2_T3_mT4_T5_T6_T7_T8_P12ihipStream_tbENKUlT_T0_E_clISt17integral_constantIbLb1EESZ_EEDaSU_SV_EUlSU_E_NS1_11comp_targetILNS1_3genE10ELNS1_11target_archE1201ELNS1_3gpuE5ELNS1_3repE0EEENS1_30default_config_static_selectorELNS0_4arch9wavefront6targetE1EEEvT1_,"axG",@progbits,_ZN7rocprim17ROCPRIM_400000_NS6detail17trampoline_kernelINS0_14default_configENS1_33run_length_encode_config_selectorIhjNS0_4plusIjEEEEZZNS1_33reduce_by_key_impl_wrapped_configILNS1_25lookback_scan_determinismE0ES3_S7_PKhNS0_17constant_iteratorIjlEEPhPlSF_S6_NS0_8equal_toIhEEEE10hipError_tPvRmT2_T3_mT4_T5_T6_T7_T8_P12ihipStream_tbENKUlT_T0_E_clISt17integral_constantIbLb1EESZ_EEDaSU_SV_EUlSU_E_NS1_11comp_targetILNS1_3genE10ELNS1_11target_archE1201ELNS1_3gpuE5ELNS1_3repE0EEENS1_30default_config_static_selectorELNS0_4arch9wavefront6targetE1EEEvT1_,comdat
.Lfunc_end180:
	.size	_ZN7rocprim17ROCPRIM_400000_NS6detail17trampoline_kernelINS0_14default_configENS1_33run_length_encode_config_selectorIhjNS0_4plusIjEEEEZZNS1_33reduce_by_key_impl_wrapped_configILNS1_25lookback_scan_determinismE0ES3_S7_PKhNS0_17constant_iteratorIjlEEPhPlSF_S6_NS0_8equal_toIhEEEE10hipError_tPvRmT2_T3_mT4_T5_T6_T7_T8_P12ihipStream_tbENKUlT_T0_E_clISt17integral_constantIbLb1EESZ_EEDaSU_SV_EUlSU_E_NS1_11comp_targetILNS1_3genE10ELNS1_11target_archE1201ELNS1_3gpuE5ELNS1_3repE0EEENS1_30default_config_static_selectorELNS0_4arch9wavefront6targetE1EEEvT1_, .Lfunc_end180-_ZN7rocprim17ROCPRIM_400000_NS6detail17trampoline_kernelINS0_14default_configENS1_33run_length_encode_config_selectorIhjNS0_4plusIjEEEEZZNS1_33reduce_by_key_impl_wrapped_configILNS1_25lookback_scan_determinismE0ES3_S7_PKhNS0_17constant_iteratorIjlEEPhPlSF_S6_NS0_8equal_toIhEEEE10hipError_tPvRmT2_T3_mT4_T5_T6_T7_T8_P12ihipStream_tbENKUlT_T0_E_clISt17integral_constantIbLb1EESZ_EEDaSU_SV_EUlSU_E_NS1_11comp_targetILNS1_3genE10ELNS1_11target_archE1201ELNS1_3gpuE5ELNS1_3repE0EEENS1_30default_config_static_selectorELNS0_4arch9wavefront6targetE1EEEvT1_
                                        ; -- End function
	.section	.AMDGPU.csdata,"",@progbits
; Kernel info:
; codeLenInByte = 0
; NumSgprs: 6
; NumVgprs: 0
; NumAgprs: 0
; TotalNumVgprs: 0
; ScratchSize: 0
; MemoryBound: 0
; FloatMode: 240
; IeeeMode: 1
; LDSByteSize: 0 bytes/workgroup (compile time only)
; SGPRBlocks: 0
; VGPRBlocks: 0
; NumSGPRsForWavesPerEU: 6
; NumVGPRsForWavesPerEU: 1
; AccumOffset: 4
; Occupancy: 8
; WaveLimiterHint : 0
; COMPUTE_PGM_RSRC2:SCRATCH_EN: 0
; COMPUTE_PGM_RSRC2:USER_SGPR: 2
; COMPUTE_PGM_RSRC2:TRAP_HANDLER: 0
; COMPUTE_PGM_RSRC2:TGID_X_EN: 1
; COMPUTE_PGM_RSRC2:TGID_Y_EN: 0
; COMPUTE_PGM_RSRC2:TGID_Z_EN: 0
; COMPUTE_PGM_RSRC2:TIDIG_COMP_CNT: 0
; COMPUTE_PGM_RSRC3_GFX90A:ACCUM_OFFSET: 0
; COMPUTE_PGM_RSRC3_GFX90A:TG_SPLIT: 0
	.section	.text._ZN7rocprim17ROCPRIM_400000_NS6detail17trampoline_kernelINS0_14default_configENS1_33run_length_encode_config_selectorIhjNS0_4plusIjEEEEZZNS1_33reduce_by_key_impl_wrapped_configILNS1_25lookback_scan_determinismE0ES3_S7_PKhNS0_17constant_iteratorIjlEEPhPlSF_S6_NS0_8equal_toIhEEEE10hipError_tPvRmT2_T3_mT4_T5_T6_T7_T8_P12ihipStream_tbENKUlT_T0_E_clISt17integral_constantIbLb1EESZ_EEDaSU_SV_EUlSU_E_NS1_11comp_targetILNS1_3genE10ELNS1_11target_archE1200ELNS1_3gpuE4ELNS1_3repE0EEENS1_30default_config_static_selectorELNS0_4arch9wavefront6targetE1EEEvT1_,"axG",@progbits,_ZN7rocprim17ROCPRIM_400000_NS6detail17trampoline_kernelINS0_14default_configENS1_33run_length_encode_config_selectorIhjNS0_4plusIjEEEEZZNS1_33reduce_by_key_impl_wrapped_configILNS1_25lookback_scan_determinismE0ES3_S7_PKhNS0_17constant_iteratorIjlEEPhPlSF_S6_NS0_8equal_toIhEEEE10hipError_tPvRmT2_T3_mT4_T5_T6_T7_T8_P12ihipStream_tbENKUlT_T0_E_clISt17integral_constantIbLb1EESZ_EEDaSU_SV_EUlSU_E_NS1_11comp_targetILNS1_3genE10ELNS1_11target_archE1200ELNS1_3gpuE4ELNS1_3repE0EEENS1_30default_config_static_selectorELNS0_4arch9wavefront6targetE1EEEvT1_,comdat
	.protected	_ZN7rocprim17ROCPRIM_400000_NS6detail17trampoline_kernelINS0_14default_configENS1_33run_length_encode_config_selectorIhjNS0_4plusIjEEEEZZNS1_33reduce_by_key_impl_wrapped_configILNS1_25lookback_scan_determinismE0ES3_S7_PKhNS0_17constant_iteratorIjlEEPhPlSF_S6_NS0_8equal_toIhEEEE10hipError_tPvRmT2_T3_mT4_T5_T6_T7_T8_P12ihipStream_tbENKUlT_T0_E_clISt17integral_constantIbLb1EESZ_EEDaSU_SV_EUlSU_E_NS1_11comp_targetILNS1_3genE10ELNS1_11target_archE1200ELNS1_3gpuE4ELNS1_3repE0EEENS1_30default_config_static_selectorELNS0_4arch9wavefront6targetE1EEEvT1_ ; -- Begin function _ZN7rocprim17ROCPRIM_400000_NS6detail17trampoline_kernelINS0_14default_configENS1_33run_length_encode_config_selectorIhjNS0_4plusIjEEEEZZNS1_33reduce_by_key_impl_wrapped_configILNS1_25lookback_scan_determinismE0ES3_S7_PKhNS0_17constant_iteratorIjlEEPhPlSF_S6_NS0_8equal_toIhEEEE10hipError_tPvRmT2_T3_mT4_T5_T6_T7_T8_P12ihipStream_tbENKUlT_T0_E_clISt17integral_constantIbLb1EESZ_EEDaSU_SV_EUlSU_E_NS1_11comp_targetILNS1_3genE10ELNS1_11target_archE1200ELNS1_3gpuE4ELNS1_3repE0EEENS1_30default_config_static_selectorELNS0_4arch9wavefront6targetE1EEEvT1_
	.globl	_ZN7rocprim17ROCPRIM_400000_NS6detail17trampoline_kernelINS0_14default_configENS1_33run_length_encode_config_selectorIhjNS0_4plusIjEEEEZZNS1_33reduce_by_key_impl_wrapped_configILNS1_25lookback_scan_determinismE0ES3_S7_PKhNS0_17constant_iteratorIjlEEPhPlSF_S6_NS0_8equal_toIhEEEE10hipError_tPvRmT2_T3_mT4_T5_T6_T7_T8_P12ihipStream_tbENKUlT_T0_E_clISt17integral_constantIbLb1EESZ_EEDaSU_SV_EUlSU_E_NS1_11comp_targetILNS1_3genE10ELNS1_11target_archE1200ELNS1_3gpuE4ELNS1_3repE0EEENS1_30default_config_static_selectorELNS0_4arch9wavefront6targetE1EEEvT1_
	.p2align	8
	.type	_ZN7rocprim17ROCPRIM_400000_NS6detail17trampoline_kernelINS0_14default_configENS1_33run_length_encode_config_selectorIhjNS0_4plusIjEEEEZZNS1_33reduce_by_key_impl_wrapped_configILNS1_25lookback_scan_determinismE0ES3_S7_PKhNS0_17constant_iteratorIjlEEPhPlSF_S6_NS0_8equal_toIhEEEE10hipError_tPvRmT2_T3_mT4_T5_T6_T7_T8_P12ihipStream_tbENKUlT_T0_E_clISt17integral_constantIbLb1EESZ_EEDaSU_SV_EUlSU_E_NS1_11comp_targetILNS1_3genE10ELNS1_11target_archE1200ELNS1_3gpuE4ELNS1_3repE0EEENS1_30default_config_static_selectorELNS0_4arch9wavefront6targetE1EEEvT1_,@function
_ZN7rocprim17ROCPRIM_400000_NS6detail17trampoline_kernelINS0_14default_configENS1_33run_length_encode_config_selectorIhjNS0_4plusIjEEEEZZNS1_33reduce_by_key_impl_wrapped_configILNS1_25lookback_scan_determinismE0ES3_S7_PKhNS0_17constant_iteratorIjlEEPhPlSF_S6_NS0_8equal_toIhEEEE10hipError_tPvRmT2_T3_mT4_T5_T6_T7_T8_P12ihipStream_tbENKUlT_T0_E_clISt17integral_constantIbLb1EESZ_EEDaSU_SV_EUlSU_E_NS1_11comp_targetILNS1_3genE10ELNS1_11target_archE1200ELNS1_3gpuE4ELNS1_3repE0EEENS1_30default_config_static_selectorELNS0_4arch9wavefront6targetE1EEEvT1_: ; @_ZN7rocprim17ROCPRIM_400000_NS6detail17trampoline_kernelINS0_14default_configENS1_33run_length_encode_config_selectorIhjNS0_4plusIjEEEEZZNS1_33reduce_by_key_impl_wrapped_configILNS1_25lookback_scan_determinismE0ES3_S7_PKhNS0_17constant_iteratorIjlEEPhPlSF_S6_NS0_8equal_toIhEEEE10hipError_tPvRmT2_T3_mT4_T5_T6_T7_T8_P12ihipStream_tbENKUlT_T0_E_clISt17integral_constantIbLb1EESZ_EEDaSU_SV_EUlSU_E_NS1_11comp_targetILNS1_3genE10ELNS1_11target_archE1200ELNS1_3gpuE4ELNS1_3repE0EEENS1_30default_config_static_selectorELNS0_4arch9wavefront6targetE1EEEvT1_
; %bb.0:
	.section	.rodata,"a",@progbits
	.p2align	6, 0x0
	.amdhsa_kernel _ZN7rocprim17ROCPRIM_400000_NS6detail17trampoline_kernelINS0_14default_configENS1_33run_length_encode_config_selectorIhjNS0_4plusIjEEEEZZNS1_33reduce_by_key_impl_wrapped_configILNS1_25lookback_scan_determinismE0ES3_S7_PKhNS0_17constant_iteratorIjlEEPhPlSF_S6_NS0_8equal_toIhEEEE10hipError_tPvRmT2_T3_mT4_T5_T6_T7_T8_P12ihipStream_tbENKUlT_T0_E_clISt17integral_constantIbLb1EESZ_EEDaSU_SV_EUlSU_E_NS1_11comp_targetILNS1_3genE10ELNS1_11target_archE1200ELNS1_3gpuE4ELNS1_3repE0EEENS1_30default_config_static_selectorELNS0_4arch9wavefront6targetE1EEEvT1_
		.amdhsa_group_segment_fixed_size 0
		.amdhsa_private_segment_fixed_size 0
		.amdhsa_kernarg_size 128
		.amdhsa_user_sgpr_count 2
		.amdhsa_user_sgpr_dispatch_ptr 0
		.amdhsa_user_sgpr_queue_ptr 0
		.amdhsa_user_sgpr_kernarg_segment_ptr 1
		.amdhsa_user_sgpr_dispatch_id 0
		.amdhsa_user_sgpr_kernarg_preload_length 0
		.amdhsa_user_sgpr_kernarg_preload_offset 0
		.amdhsa_user_sgpr_private_segment_size 0
		.amdhsa_uses_dynamic_stack 0
		.amdhsa_enable_private_segment 0
		.amdhsa_system_sgpr_workgroup_id_x 1
		.amdhsa_system_sgpr_workgroup_id_y 0
		.amdhsa_system_sgpr_workgroup_id_z 0
		.amdhsa_system_sgpr_workgroup_info 0
		.amdhsa_system_vgpr_workitem_id 0
		.amdhsa_next_free_vgpr 1
		.amdhsa_next_free_sgpr 0
		.amdhsa_accum_offset 4
		.amdhsa_reserve_vcc 0
		.amdhsa_float_round_mode_32 0
		.amdhsa_float_round_mode_16_64 0
		.amdhsa_float_denorm_mode_32 3
		.amdhsa_float_denorm_mode_16_64 3
		.amdhsa_dx10_clamp 1
		.amdhsa_ieee_mode 1
		.amdhsa_fp16_overflow 0
		.amdhsa_tg_split 0
		.amdhsa_exception_fp_ieee_invalid_op 0
		.amdhsa_exception_fp_denorm_src 0
		.amdhsa_exception_fp_ieee_div_zero 0
		.amdhsa_exception_fp_ieee_overflow 0
		.amdhsa_exception_fp_ieee_underflow 0
		.amdhsa_exception_fp_ieee_inexact 0
		.amdhsa_exception_int_div_zero 0
	.end_amdhsa_kernel
	.section	.text._ZN7rocprim17ROCPRIM_400000_NS6detail17trampoline_kernelINS0_14default_configENS1_33run_length_encode_config_selectorIhjNS0_4plusIjEEEEZZNS1_33reduce_by_key_impl_wrapped_configILNS1_25lookback_scan_determinismE0ES3_S7_PKhNS0_17constant_iteratorIjlEEPhPlSF_S6_NS0_8equal_toIhEEEE10hipError_tPvRmT2_T3_mT4_T5_T6_T7_T8_P12ihipStream_tbENKUlT_T0_E_clISt17integral_constantIbLb1EESZ_EEDaSU_SV_EUlSU_E_NS1_11comp_targetILNS1_3genE10ELNS1_11target_archE1200ELNS1_3gpuE4ELNS1_3repE0EEENS1_30default_config_static_selectorELNS0_4arch9wavefront6targetE1EEEvT1_,"axG",@progbits,_ZN7rocprim17ROCPRIM_400000_NS6detail17trampoline_kernelINS0_14default_configENS1_33run_length_encode_config_selectorIhjNS0_4plusIjEEEEZZNS1_33reduce_by_key_impl_wrapped_configILNS1_25lookback_scan_determinismE0ES3_S7_PKhNS0_17constant_iteratorIjlEEPhPlSF_S6_NS0_8equal_toIhEEEE10hipError_tPvRmT2_T3_mT4_T5_T6_T7_T8_P12ihipStream_tbENKUlT_T0_E_clISt17integral_constantIbLb1EESZ_EEDaSU_SV_EUlSU_E_NS1_11comp_targetILNS1_3genE10ELNS1_11target_archE1200ELNS1_3gpuE4ELNS1_3repE0EEENS1_30default_config_static_selectorELNS0_4arch9wavefront6targetE1EEEvT1_,comdat
.Lfunc_end181:
	.size	_ZN7rocprim17ROCPRIM_400000_NS6detail17trampoline_kernelINS0_14default_configENS1_33run_length_encode_config_selectorIhjNS0_4plusIjEEEEZZNS1_33reduce_by_key_impl_wrapped_configILNS1_25lookback_scan_determinismE0ES3_S7_PKhNS0_17constant_iteratorIjlEEPhPlSF_S6_NS0_8equal_toIhEEEE10hipError_tPvRmT2_T3_mT4_T5_T6_T7_T8_P12ihipStream_tbENKUlT_T0_E_clISt17integral_constantIbLb1EESZ_EEDaSU_SV_EUlSU_E_NS1_11comp_targetILNS1_3genE10ELNS1_11target_archE1200ELNS1_3gpuE4ELNS1_3repE0EEENS1_30default_config_static_selectorELNS0_4arch9wavefront6targetE1EEEvT1_, .Lfunc_end181-_ZN7rocprim17ROCPRIM_400000_NS6detail17trampoline_kernelINS0_14default_configENS1_33run_length_encode_config_selectorIhjNS0_4plusIjEEEEZZNS1_33reduce_by_key_impl_wrapped_configILNS1_25lookback_scan_determinismE0ES3_S7_PKhNS0_17constant_iteratorIjlEEPhPlSF_S6_NS0_8equal_toIhEEEE10hipError_tPvRmT2_T3_mT4_T5_T6_T7_T8_P12ihipStream_tbENKUlT_T0_E_clISt17integral_constantIbLb1EESZ_EEDaSU_SV_EUlSU_E_NS1_11comp_targetILNS1_3genE10ELNS1_11target_archE1200ELNS1_3gpuE4ELNS1_3repE0EEENS1_30default_config_static_selectorELNS0_4arch9wavefront6targetE1EEEvT1_
                                        ; -- End function
	.section	.AMDGPU.csdata,"",@progbits
; Kernel info:
; codeLenInByte = 0
; NumSgprs: 6
; NumVgprs: 0
; NumAgprs: 0
; TotalNumVgprs: 0
; ScratchSize: 0
; MemoryBound: 0
; FloatMode: 240
; IeeeMode: 1
; LDSByteSize: 0 bytes/workgroup (compile time only)
; SGPRBlocks: 0
; VGPRBlocks: 0
; NumSGPRsForWavesPerEU: 6
; NumVGPRsForWavesPerEU: 1
; AccumOffset: 4
; Occupancy: 8
; WaveLimiterHint : 0
; COMPUTE_PGM_RSRC2:SCRATCH_EN: 0
; COMPUTE_PGM_RSRC2:USER_SGPR: 2
; COMPUTE_PGM_RSRC2:TRAP_HANDLER: 0
; COMPUTE_PGM_RSRC2:TGID_X_EN: 1
; COMPUTE_PGM_RSRC2:TGID_Y_EN: 0
; COMPUTE_PGM_RSRC2:TGID_Z_EN: 0
; COMPUTE_PGM_RSRC2:TIDIG_COMP_CNT: 0
; COMPUTE_PGM_RSRC3_GFX90A:ACCUM_OFFSET: 0
; COMPUTE_PGM_RSRC3_GFX90A:TG_SPLIT: 0
	.section	.text._ZN7rocprim17ROCPRIM_400000_NS6detail17trampoline_kernelINS0_14default_configENS1_33run_length_encode_config_selectorIhjNS0_4plusIjEEEEZZNS1_33reduce_by_key_impl_wrapped_configILNS1_25lookback_scan_determinismE0ES3_S7_PKhNS0_17constant_iteratorIjlEEPhPlSF_S6_NS0_8equal_toIhEEEE10hipError_tPvRmT2_T3_mT4_T5_T6_T7_T8_P12ihipStream_tbENKUlT_T0_E_clISt17integral_constantIbLb1EESZ_EEDaSU_SV_EUlSU_E_NS1_11comp_targetILNS1_3genE9ELNS1_11target_archE1100ELNS1_3gpuE3ELNS1_3repE0EEENS1_30default_config_static_selectorELNS0_4arch9wavefront6targetE1EEEvT1_,"axG",@progbits,_ZN7rocprim17ROCPRIM_400000_NS6detail17trampoline_kernelINS0_14default_configENS1_33run_length_encode_config_selectorIhjNS0_4plusIjEEEEZZNS1_33reduce_by_key_impl_wrapped_configILNS1_25lookback_scan_determinismE0ES3_S7_PKhNS0_17constant_iteratorIjlEEPhPlSF_S6_NS0_8equal_toIhEEEE10hipError_tPvRmT2_T3_mT4_T5_T6_T7_T8_P12ihipStream_tbENKUlT_T0_E_clISt17integral_constantIbLb1EESZ_EEDaSU_SV_EUlSU_E_NS1_11comp_targetILNS1_3genE9ELNS1_11target_archE1100ELNS1_3gpuE3ELNS1_3repE0EEENS1_30default_config_static_selectorELNS0_4arch9wavefront6targetE1EEEvT1_,comdat
	.protected	_ZN7rocprim17ROCPRIM_400000_NS6detail17trampoline_kernelINS0_14default_configENS1_33run_length_encode_config_selectorIhjNS0_4plusIjEEEEZZNS1_33reduce_by_key_impl_wrapped_configILNS1_25lookback_scan_determinismE0ES3_S7_PKhNS0_17constant_iteratorIjlEEPhPlSF_S6_NS0_8equal_toIhEEEE10hipError_tPvRmT2_T3_mT4_T5_T6_T7_T8_P12ihipStream_tbENKUlT_T0_E_clISt17integral_constantIbLb1EESZ_EEDaSU_SV_EUlSU_E_NS1_11comp_targetILNS1_3genE9ELNS1_11target_archE1100ELNS1_3gpuE3ELNS1_3repE0EEENS1_30default_config_static_selectorELNS0_4arch9wavefront6targetE1EEEvT1_ ; -- Begin function _ZN7rocprim17ROCPRIM_400000_NS6detail17trampoline_kernelINS0_14default_configENS1_33run_length_encode_config_selectorIhjNS0_4plusIjEEEEZZNS1_33reduce_by_key_impl_wrapped_configILNS1_25lookback_scan_determinismE0ES3_S7_PKhNS0_17constant_iteratorIjlEEPhPlSF_S6_NS0_8equal_toIhEEEE10hipError_tPvRmT2_T3_mT4_T5_T6_T7_T8_P12ihipStream_tbENKUlT_T0_E_clISt17integral_constantIbLb1EESZ_EEDaSU_SV_EUlSU_E_NS1_11comp_targetILNS1_3genE9ELNS1_11target_archE1100ELNS1_3gpuE3ELNS1_3repE0EEENS1_30default_config_static_selectorELNS0_4arch9wavefront6targetE1EEEvT1_
	.globl	_ZN7rocprim17ROCPRIM_400000_NS6detail17trampoline_kernelINS0_14default_configENS1_33run_length_encode_config_selectorIhjNS0_4plusIjEEEEZZNS1_33reduce_by_key_impl_wrapped_configILNS1_25lookback_scan_determinismE0ES3_S7_PKhNS0_17constant_iteratorIjlEEPhPlSF_S6_NS0_8equal_toIhEEEE10hipError_tPvRmT2_T3_mT4_T5_T6_T7_T8_P12ihipStream_tbENKUlT_T0_E_clISt17integral_constantIbLb1EESZ_EEDaSU_SV_EUlSU_E_NS1_11comp_targetILNS1_3genE9ELNS1_11target_archE1100ELNS1_3gpuE3ELNS1_3repE0EEENS1_30default_config_static_selectorELNS0_4arch9wavefront6targetE1EEEvT1_
	.p2align	8
	.type	_ZN7rocprim17ROCPRIM_400000_NS6detail17trampoline_kernelINS0_14default_configENS1_33run_length_encode_config_selectorIhjNS0_4plusIjEEEEZZNS1_33reduce_by_key_impl_wrapped_configILNS1_25lookback_scan_determinismE0ES3_S7_PKhNS0_17constant_iteratorIjlEEPhPlSF_S6_NS0_8equal_toIhEEEE10hipError_tPvRmT2_T3_mT4_T5_T6_T7_T8_P12ihipStream_tbENKUlT_T0_E_clISt17integral_constantIbLb1EESZ_EEDaSU_SV_EUlSU_E_NS1_11comp_targetILNS1_3genE9ELNS1_11target_archE1100ELNS1_3gpuE3ELNS1_3repE0EEENS1_30default_config_static_selectorELNS0_4arch9wavefront6targetE1EEEvT1_,@function
_ZN7rocprim17ROCPRIM_400000_NS6detail17trampoline_kernelINS0_14default_configENS1_33run_length_encode_config_selectorIhjNS0_4plusIjEEEEZZNS1_33reduce_by_key_impl_wrapped_configILNS1_25lookback_scan_determinismE0ES3_S7_PKhNS0_17constant_iteratorIjlEEPhPlSF_S6_NS0_8equal_toIhEEEE10hipError_tPvRmT2_T3_mT4_T5_T6_T7_T8_P12ihipStream_tbENKUlT_T0_E_clISt17integral_constantIbLb1EESZ_EEDaSU_SV_EUlSU_E_NS1_11comp_targetILNS1_3genE9ELNS1_11target_archE1100ELNS1_3gpuE3ELNS1_3repE0EEENS1_30default_config_static_selectorELNS0_4arch9wavefront6targetE1EEEvT1_: ; @_ZN7rocprim17ROCPRIM_400000_NS6detail17trampoline_kernelINS0_14default_configENS1_33run_length_encode_config_selectorIhjNS0_4plusIjEEEEZZNS1_33reduce_by_key_impl_wrapped_configILNS1_25lookback_scan_determinismE0ES3_S7_PKhNS0_17constant_iteratorIjlEEPhPlSF_S6_NS0_8equal_toIhEEEE10hipError_tPvRmT2_T3_mT4_T5_T6_T7_T8_P12ihipStream_tbENKUlT_T0_E_clISt17integral_constantIbLb1EESZ_EEDaSU_SV_EUlSU_E_NS1_11comp_targetILNS1_3genE9ELNS1_11target_archE1100ELNS1_3gpuE3ELNS1_3repE0EEENS1_30default_config_static_selectorELNS0_4arch9wavefront6targetE1EEEvT1_
; %bb.0:
	.section	.rodata,"a",@progbits
	.p2align	6, 0x0
	.amdhsa_kernel _ZN7rocprim17ROCPRIM_400000_NS6detail17trampoline_kernelINS0_14default_configENS1_33run_length_encode_config_selectorIhjNS0_4plusIjEEEEZZNS1_33reduce_by_key_impl_wrapped_configILNS1_25lookback_scan_determinismE0ES3_S7_PKhNS0_17constant_iteratorIjlEEPhPlSF_S6_NS0_8equal_toIhEEEE10hipError_tPvRmT2_T3_mT4_T5_T6_T7_T8_P12ihipStream_tbENKUlT_T0_E_clISt17integral_constantIbLb1EESZ_EEDaSU_SV_EUlSU_E_NS1_11comp_targetILNS1_3genE9ELNS1_11target_archE1100ELNS1_3gpuE3ELNS1_3repE0EEENS1_30default_config_static_selectorELNS0_4arch9wavefront6targetE1EEEvT1_
		.amdhsa_group_segment_fixed_size 0
		.amdhsa_private_segment_fixed_size 0
		.amdhsa_kernarg_size 128
		.amdhsa_user_sgpr_count 2
		.amdhsa_user_sgpr_dispatch_ptr 0
		.amdhsa_user_sgpr_queue_ptr 0
		.amdhsa_user_sgpr_kernarg_segment_ptr 1
		.amdhsa_user_sgpr_dispatch_id 0
		.amdhsa_user_sgpr_kernarg_preload_length 0
		.amdhsa_user_sgpr_kernarg_preload_offset 0
		.amdhsa_user_sgpr_private_segment_size 0
		.amdhsa_uses_dynamic_stack 0
		.amdhsa_enable_private_segment 0
		.amdhsa_system_sgpr_workgroup_id_x 1
		.amdhsa_system_sgpr_workgroup_id_y 0
		.amdhsa_system_sgpr_workgroup_id_z 0
		.amdhsa_system_sgpr_workgroup_info 0
		.amdhsa_system_vgpr_workitem_id 0
		.amdhsa_next_free_vgpr 1
		.amdhsa_next_free_sgpr 0
		.amdhsa_accum_offset 4
		.amdhsa_reserve_vcc 0
		.amdhsa_float_round_mode_32 0
		.amdhsa_float_round_mode_16_64 0
		.amdhsa_float_denorm_mode_32 3
		.amdhsa_float_denorm_mode_16_64 3
		.amdhsa_dx10_clamp 1
		.amdhsa_ieee_mode 1
		.amdhsa_fp16_overflow 0
		.amdhsa_tg_split 0
		.amdhsa_exception_fp_ieee_invalid_op 0
		.amdhsa_exception_fp_denorm_src 0
		.amdhsa_exception_fp_ieee_div_zero 0
		.amdhsa_exception_fp_ieee_overflow 0
		.amdhsa_exception_fp_ieee_underflow 0
		.amdhsa_exception_fp_ieee_inexact 0
		.amdhsa_exception_int_div_zero 0
	.end_amdhsa_kernel
	.section	.text._ZN7rocprim17ROCPRIM_400000_NS6detail17trampoline_kernelINS0_14default_configENS1_33run_length_encode_config_selectorIhjNS0_4plusIjEEEEZZNS1_33reduce_by_key_impl_wrapped_configILNS1_25lookback_scan_determinismE0ES3_S7_PKhNS0_17constant_iteratorIjlEEPhPlSF_S6_NS0_8equal_toIhEEEE10hipError_tPvRmT2_T3_mT4_T5_T6_T7_T8_P12ihipStream_tbENKUlT_T0_E_clISt17integral_constantIbLb1EESZ_EEDaSU_SV_EUlSU_E_NS1_11comp_targetILNS1_3genE9ELNS1_11target_archE1100ELNS1_3gpuE3ELNS1_3repE0EEENS1_30default_config_static_selectorELNS0_4arch9wavefront6targetE1EEEvT1_,"axG",@progbits,_ZN7rocprim17ROCPRIM_400000_NS6detail17trampoline_kernelINS0_14default_configENS1_33run_length_encode_config_selectorIhjNS0_4plusIjEEEEZZNS1_33reduce_by_key_impl_wrapped_configILNS1_25lookback_scan_determinismE0ES3_S7_PKhNS0_17constant_iteratorIjlEEPhPlSF_S6_NS0_8equal_toIhEEEE10hipError_tPvRmT2_T3_mT4_T5_T6_T7_T8_P12ihipStream_tbENKUlT_T0_E_clISt17integral_constantIbLb1EESZ_EEDaSU_SV_EUlSU_E_NS1_11comp_targetILNS1_3genE9ELNS1_11target_archE1100ELNS1_3gpuE3ELNS1_3repE0EEENS1_30default_config_static_selectorELNS0_4arch9wavefront6targetE1EEEvT1_,comdat
.Lfunc_end182:
	.size	_ZN7rocprim17ROCPRIM_400000_NS6detail17trampoline_kernelINS0_14default_configENS1_33run_length_encode_config_selectorIhjNS0_4plusIjEEEEZZNS1_33reduce_by_key_impl_wrapped_configILNS1_25lookback_scan_determinismE0ES3_S7_PKhNS0_17constant_iteratorIjlEEPhPlSF_S6_NS0_8equal_toIhEEEE10hipError_tPvRmT2_T3_mT4_T5_T6_T7_T8_P12ihipStream_tbENKUlT_T0_E_clISt17integral_constantIbLb1EESZ_EEDaSU_SV_EUlSU_E_NS1_11comp_targetILNS1_3genE9ELNS1_11target_archE1100ELNS1_3gpuE3ELNS1_3repE0EEENS1_30default_config_static_selectorELNS0_4arch9wavefront6targetE1EEEvT1_, .Lfunc_end182-_ZN7rocprim17ROCPRIM_400000_NS6detail17trampoline_kernelINS0_14default_configENS1_33run_length_encode_config_selectorIhjNS0_4plusIjEEEEZZNS1_33reduce_by_key_impl_wrapped_configILNS1_25lookback_scan_determinismE0ES3_S7_PKhNS0_17constant_iteratorIjlEEPhPlSF_S6_NS0_8equal_toIhEEEE10hipError_tPvRmT2_T3_mT4_T5_T6_T7_T8_P12ihipStream_tbENKUlT_T0_E_clISt17integral_constantIbLb1EESZ_EEDaSU_SV_EUlSU_E_NS1_11comp_targetILNS1_3genE9ELNS1_11target_archE1100ELNS1_3gpuE3ELNS1_3repE0EEENS1_30default_config_static_selectorELNS0_4arch9wavefront6targetE1EEEvT1_
                                        ; -- End function
	.section	.AMDGPU.csdata,"",@progbits
; Kernel info:
; codeLenInByte = 0
; NumSgprs: 6
; NumVgprs: 0
; NumAgprs: 0
; TotalNumVgprs: 0
; ScratchSize: 0
; MemoryBound: 0
; FloatMode: 240
; IeeeMode: 1
; LDSByteSize: 0 bytes/workgroup (compile time only)
; SGPRBlocks: 0
; VGPRBlocks: 0
; NumSGPRsForWavesPerEU: 6
; NumVGPRsForWavesPerEU: 1
; AccumOffset: 4
; Occupancy: 8
; WaveLimiterHint : 0
; COMPUTE_PGM_RSRC2:SCRATCH_EN: 0
; COMPUTE_PGM_RSRC2:USER_SGPR: 2
; COMPUTE_PGM_RSRC2:TRAP_HANDLER: 0
; COMPUTE_PGM_RSRC2:TGID_X_EN: 1
; COMPUTE_PGM_RSRC2:TGID_Y_EN: 0
; COMPUTE_PGM_RSRC2:TGID_Z_EN: 0
; COMPUTE_PGM_RSRC2:TIDIG_COMP_CNT: 0
; COMPUTE_PGM_RSRC3_GFX90A:ACCUM_OFFSET: 0
; COMPUTE_PGM_RSRC3_GFX90A:TG_SPLIT: 0
	.section	.text._ZN7rocprim17ROCPRIM_400000_NS6detail17trampoline_kernelINS0_14default_configENS1_33run_length_encode_config_selectorIhjNS0_4plusIjEEEEZZNS1_33reduce_by_key_impl_wrapped_configILNS1_25lookback_scan_determinismE0ES3_S7_PKhNS0_17constant_iteratorIjlEEPhPlSF_S6_NS0_8equal_toIhEEEE10hipError_tPvRmT2_T3_mT4_T5_T6_T7_T8_P12ihipStream_tbENKUlT_T0_E_clISt17integral_constantIbLb1EESZ_EEDaSU_SV_EUlSU_E_NS1_11comp_targetILNS1_3genE8ELNS1_11target_archE1030ELNS1_3gpuE2ELNS1_3repE0EEENS1_30default_config_static_selectorELNS0_4arch9wavefront6targetE1EEEvT1_,"axG",@progbits,_ZN7rocprim17ROCPRIM_400000_NS6detail17trampoline_kernelINS0_14default_configENS1_33run_length_encode_config_selectorIhjNS0_4plusIjEEEEZZNS1_33reduce_by_key_impl_wrapped_configILNS1_25lookback_scan_determinismE0ES3_S7_PKhNS0_17constant_iteratorIjlEEPhPlSF_S6_NS0_8equal_toIhEEEE10hipError_tPvRmT2_T3_mT4_T5_T6_T7_T8_P12ihipStream_tbENKUlT_T0_E_clISt17integral_constantIbLb1EESZ_EEDaSU_SV_EUlSU_E_NS1_11comp_targetILNS1_3genE8ELNS1_11target_archE1030ELNS1_3gpuE2ELNS1_3repE0EEENS1_30default_config_static_selectorELNS0_4arch9wavefront6targetE1EEEvT1_,comdat
	.protected	_ZN7rocprim17ROCPRIM_400000_NS6detail17trampoline_kernelINS0_14default_configENS1_33run_length_encode_config_selectorIhjNS0_4plusIjEEEEZZNS1_33reduce_by_key_impl_wrapped_configILNS1_25lookback_scan_determinismE0ES3_S7_PKhNS0_17constant_iteratorIjlEEPhPlSF_S6_NS0_8equal_toIhEEEE10hipError_tPvRmT2_T3_mT4_T5_T6_T7_T8_P12ihipStream_tbENKUlT_T0_E_clISt17integral_constantIbLb1EESZ_EEDaSU_SV_EUlSU_E_NS1_11comp_targetILNS1_3genE8ELNS1_11target_archE1030ELNS1_3gpuE2ELNS1_3repE0EEENS1_30default_config_static_selectorELNS0_4arch9wavefront6targetE1EEEvT1_ ; -- Begin function _ZN7rocprim17ROCPRIM_400000_NS6detail17trampoline_kernelINS0_14default_configENS1_33run_length_encode_config_selectorIhjNS0_4plusIjEEEEZZNS1_33reduce_by_key_impl_wrapped_configILNS1_25lookback_scan_determinismE0ES3_S7_PKhNS0_17constant_iteratorIjlEEPhPlSF_S6_NS0_8equal_toIhEEEE10hipError_tPvRmT2_T3_mT4_T5_T6_T7_T8_P12ihipStream_tbENKUlT_T0_E_clISt17integral_constantIbLb1EESZ_EEDaSU_SV_EUlSU_E_NS1_11comp_targetILNS1_3genE8ELNS1_11target_archE1030ELNS1_3gpuE2ELNS1_3repE0EEENS1_30default_config_static_selectorELNS0_4arch9wavefront6targetE1EEEvT1_
	.globl	_ZN7rocprim17ROCPRIM_400000_NS6detail17trampoline_kernelINS0_14default_configENS1_33run_length_encode_config_selectorIhjNS0_4plusIjEEEEZZNS1_33reduce_by_key_impl_wrapped_configILNS1_25lookback_scan_determinismE0ES3_S7_PKhNS0_17constant_iteratorIjlEEPhPlSF_S6_NS0_8equal_toIhEEEE10hipError_tPvRmT2_T3_mT4_T5_T6_T7_T8_P12ihipStream_tbENKUlT_T0_E_clISt17integral_constantIbLb1EESZ_EEDaSU_SV_EUlSU_E_NS1_11comp_targetILNS1_3genE8ELNS1_11target_archE1030ELNS1_3gpuE2ELNS1_3repE0EEENS1_30default_config_static_selectorELNS0_4arch9wavefront6targetE1EEEvT1_
	.p2align	8
	.type	_ZN7rocprim17ROCPRIM_400000_NS6detail17trampoline_kernelINS0_14default_configENS1_33run_length_encode_config_selectorIhjNS0_4plusIjEEEEZZNS1_33reduce_by_key_impl_wrapped_configILNS1_25lookback_scan_determinismE0ES3_S7_PKhNS0_17constant_iteratorIjlEEPhPlSF_S6_NS0_8equal_toIhEEEE10hipError_tPvRmT2_T3_mT4_T5_T6_T7_T8_P12ihipStream_tbENKUlT_T0_E_clISt17integral_constantIbLb1EESZ_EEDaSU_SV_EUlSU_E_NS1_11comp_targetILNS1_3genE8ELNS1_11target_archE1030ELNS1_3gpuE2ELNS1_3repE0EEENS1_30default_config_static_selectorELNS0_4arch9wavefront6targetE1EEEvT1_,@function
_ZN7rocprim17ROCPRIM_400000_NS6detail17trampoline_kernelINS0_14default_configENS1_33run_length_encode_config_selectorIhjNS0_4plusIjEEEEZZNS1_33reduce_by_key_impl_wrapped_configILNS1_25lookback_scan_determinismE0ES3_S7_PKhNS0_17constant_iteratorIjlEEPhPlSF_S6_NS0_8equal_toIhEEEE10hipError_tPvRmT2_T3_mT4_T5_T6_T7_T8_P12ihipStream_tbENKUlT_T0_E_clISt17integral_constantIbLb1EESZ_EEDaSU_SV_EUlSU_E_NS1_11comp_targetILNS1_3genE8ELNS1_11target_archE1030ELNS1_3gpuE2ELNS1_3repE0EEENS1_30default_config_static_selectorELNS0_4arch9wavefront6targetE1EEEvT1_: ; @_ZN7rocprim17ROCPRIM_400000_NS6detail17trampoline_kernelINS0_14default_configENS1_33run_length_encode_config_selectorIhjNS0_4plusIjEEEEZZNS1_33reduce_by_key_impl_wrapped_configILNS1_25lookback_scan_determinismE0ES3_S7_PKhNS0_17constant_iteratorIjlEEPhPlSF_S6_NS0_8equal_toIhEEEE10hipError_tPvRmT2_T3_mT4_T5_T6_T7_T8_P12ihipStream_tbENKUlT_T0_E_clISt17integral_constantIbLb1EESZ_EEDaSU_SV_EUlSU_E_NS1_11comp_targetILNS1_3genE8ELNS1_11target_archE1030ELNS1_3gpuE2ELNS1_3repE0EEENS1_30default_config_static_selectorELNS0_4arch9wavefront6targetE1EEEvT1_
; %bb.0:
	.section	.rodata,"a",@progbits
	.p2align	6, 0x0
	.amdhsa_kernel _ZN7rocprim17ROCPRIM_400000_NS6detail17trampoline_kernelINS0_14default_configENS1_33run_length_encode_config_selectorIhjNS0_4plusIjEEEEZZNS1_33reduce_by_key_impl_wrapped_configILNS1_25lookback_scan_determinismE0ES3_S7_PKhNS0_17constant_iteratorIjlEEPhPlSF_S6_NS0_8equal_toIhEEEE10hipError_tPvRmT2_T3_mT4_T5_T6_T7_T8_P12ihipStream_tbENKUlT_T0_E_clISt17integral_constantIbLb1EESZ_EEDaSU_SV_EUlSU_E_NS1_11comp_targetILNS1_3genE8ELNS1_11target_archE1030ELNS1_3gpuE2ELNS1_3repE0EEENS1_30default_config_static_selectorELNS0_4arch9wavefront6targetE1EEEvT1_
		.amdhsa_group_segment_fixed_size 0
		.amdhsa_private_segment_fixed_size 0
		.amdhsa_kernarg_size 128
		.amdhsa_user_sgpr_count 2
		.amdhsa_user_sgpr_dispatch_ptr 0
		.amdhsa_user_sgpr_queue_ptr 0
		.amdhsa_user_sgpr_kernarg_segment_ptr 1
		.amdhsa_user_sgpr_dispatch_id 0
		.amdhsa_user_sgpr_kernarg_preload_length 0
		.amdhsa_user_sgpr_kernarg_preload_offset 0
		.amdhsa_user_sgpr_private_segment_size 0
		.amdhsa_uses_dynamic_stack 0
		.amdhsa_enable_private_segment 0
		.amdhsa_system_sgpr_workgroup_id_x 1
		.amdhsa_system_sgpr_workgroup_id_y 0
		.amdhsa_system_sgpr_workgroup_id_z 0
		.amdhsa_system_sgpr_workgroup_info 0
		.amdhsa_system_vgpr_workitem_id 0
		.amdhsa_next_free_vgpr 1
		.amdhsa_next_free_sgpr 0
		.amdhsa_accum_offset 4
		.amdhsa_reserve_vcc 0
		.amdhsa_float_round_mode_32 0
		.amdhsa_float_round_mode_16_64 0
		.amdhsa_float_denorm_mode_32 3
		.amdhsa_float_denorm_mode_16_64 3
		.amdhsa_dx10_clamp 1
		.amdhsa_ieee_mode 1
		.amdhsa_fp16_overflow 0
		.amdhsa_tg_split 0
		.amdhsa_exception_fp_ieee_invalid_op 0
		.amdhsa_exception_fp_denorm_src 0
		.amdhsa_exception_fp_ieee_div_zero 0
		.amdhsa_exception_fp_ieee_overflow 0
		.amdhsa_exception_fp_ieee_underflow 0
		.amdhsa_exception_fp_ieee_inexact 0
		.amdhsa_exception_int_div_zero 0
	.end_amdhsa_kernel
	.section	.text._ZN7rocprim17ROCPRIM_400000_NS6detail17trampoline_kernelINS0_14default_configENS1_33run_length_encode_config_selectorIhjNS0_4plusIjEEEEZZNS1_33reduce_by_key_impl_wrapped_configILNS1_25lookback_scan_determinismE0ES3_S7_PKhNS0_17constant_iteratorIjlEEPhPlSF_S6_NS0_8equal_toIhEEEE10hipError_tPvRmT2_T3_mT4_T5_T6_T7_T8_P12ihipStream_tbENKUlT_T0_E_clISt17integral_constantIbLb1EESZ_EEDaSU_SV_EUlSU_E_NS1_11comp_targetILNS1_3genE8ELNS1_11target_archE1030ELNS1_3gpuE2ELNS1_3repE0EEENS1_30default_config_static_selectorELNS0_4arch9wavefront6targetE1EEEvT1_,"axG",@progbits,_ZN7rocprim17ROCPRIM_400000_NS6detail17trampoline_kernelINS0_14default_configENS1_33run_length_encode_config_selectorIhjNS0_4plusIjEEEEZZNS1_33reduce_by_key_impl_wrapped_configILNS1_25lookback_scan_determinismE0ES3_S7_PKhNS0_17constant_iteratorIjlEEPhPlSF_S6_NS0_8equal_toIhEEEE10hipError_tPvRmT2_T3_mT4_T5_T6_T7_T8_P12ihipStream_tbENKUlT_T0_E_clISt17integral_constantIbLb1EESZ_EEDaSU_SV_EUlSU_E_NS1_11comp_targetILNS1_3genE8ELNS1_11target_archE1030ELNS1_3gpuE2ELNS1_3repE0EEENS1_30default_config_static_selectorELNS0_4arch9wavefront6targetE1EEEvT1_,comdat
.Lfunc_end183:
	.size	_ZN7rocprim17ROCPRIM_400000_NS6detail17trampoline_kernelINS0_14default_configENS1_33run_length_encode_config_selectorIhjNS0_4plusIjEEEEZZNS1_33reduce_by_key_impl_wrapped_configILNS1_25lookback_scan_determinismE0ES3_S7_PKhNS0_17constant_iteratorIjlEEPhPlSF_S6_NS0_8equal_toIhEEEE10hipError_tPvRmT2_T3_mT4_T5_T6_T7_T8_P12ihipStream_tbENKUlT_T0_E_clISt17integral_constantIbLb1EESZ_EEDaSU_SV_EUlSU_E_NS1_11comp_targetILNS1_3genE8ELNS1_11target_archE1030ELNS1_3gpuE2ELNS1_3repE0EEENS1_30default_config_static_selectorELNS0_4arch9wavefront6targetE1EEEvT1_, .Lfunc_end183-_ZN7rocprim17ROCPRIM_400000_NS6detail17trampoline_kernelINS0_14default_configENS1_33run_length_encode_config_selectorIhjNS0_4plusIjEEEEZZNS1_33reduce_by_key_impl_wrapped_configILNS1_25lookback_scan_determinismE0ES3_S7_PKhNS0_17constant_iteratorIjlEEPhPlSF_S6_NS0_8equal_toIhEEEE10hipError_tPvRmT2_T3_mT4_T5_T6_T7_T8_P12ihipStream_tbENKUlT_T0_E_clISt17integral_constantIbLb1EESZ_EEDaSU_SV_EUlSU_E_NS1_11comp_targetILNS1_3genE8ELNS1_11target_archE1030ELNS1_3gpuE2ELNS1_3repE0EEENS1_30default_config_static_selectorELNS0_4arch9wavefront6targetE1EEEvT1_
                                        ; -- End function
	.section	.AMDGPU.csdata,"",@progbits
; Kernel info:
; codeLenInByte = 0
; NumSgprs: 6
; NumVgprs: 0
; NumAgprs: 0
; TotalNumVgprs: 0
; ScratchSize: 0
; MemoryBound: 0
; FloatMode: 240
; IeeeMode: 1
; LDSByteSize: 0 bytes/workgroup (compile time only)
; SGPRBlocks: 0
; VGPRBlocks: 0
; NumSGPRsForWavesPerEU: 6
; NumVGPRsForWavesPerEU: 1
; AccumOffset: 4
; Occupancy: 8
; WaveLimiterHint : 0
; COMPUTE_PGM_RSRC2:SCRATCH_EN: 0
; COMPUTE_PGM_RSRC2:USER_SGPR: 2
; COMPUTE_PGM_RSRC2:TRAP_HANDLER: 0
; COMPUTE_PGM_RSRC2:TGID_X_EN: 1
; COMPUTE_PGM_RSRC2:TGID_Y_EN: 0
; COMPUTE_PGM_RSRC2:TGID_Z_EN: 0
; COMPUTE_PGM_RSRC2:TIDIG_COMP_CNT: 0
; COMPUTE_PGM_RSRC3_GFX90A:ACCUM_OFFSET: 0
; COMPUTE_PGM_RSRC3_GFX90A:TG_SPLIT: 0
	.section	.text._ZN7rocprim17ROCPRIM_400000_NS6detail17trampoline_kernelINS0_14default_configENS1_33run_length_encode_config_selectorIhjNS0_4plusIjEEEEZZNS1_33reduce_by_key_impl_wrapped_configILNS1_25lookback_scan_determinismE0ES3_S7_PKhNS0_17constant_iteratorIjlEEPhPlSF_S6_NS0_8equal_toIhEEEE10hipError_tPvRmT2_T3_mT4_T5_T6_T7_T8_P12ihipStream_tbENKUlT_T0_E_clISt17integral_constantIbLb1EESY_IbLb0EEEEDaSU_SV_EUlSU_E_NS1_11comp_targetILNS1_3genE0ELNS1_11target_archE4294967295ELNS1_3gpuE0ELNS1_3repE0EEENS1_30default_config_static_selectorELNS0_4arch9wavefront6targetE1EEEvT1_,"axG",@progbits,_ZN7rocprim17ROCPRIM_400000_NS6detail17trampoline_kernelINS0_14default_configENS1_33run_length_encode_config_selectorIhjNS0_4plusIjEEEEZZNS1_33reduce_by_key_impl_wrapped_configILNS1_25lookback_scan_determinismE0ES3_S7_PKhNS0_17constant_iteratorIjlEEPhPlSF_S6_NS0_8equal_toIhEEEE10hipError_tPvRmT2_T3_mT4_T5_T6_T7_T8_P12ihipStream_tbENKUlT_T0_E_clISt17integral_constantIbLb1EESY_IbLb0EEEEDaSU_SV_EUlSU_E_NS1_11comp_targetILNS1_3genE0ELNS1_11target_archE4294967295ELNS1_3gpuE0ELNS1_3repE0EEENS1_30default_config_static_selectorELNS0_4arch9wavefront6targetE1EEEvT1_,comdat
	.protected	_ZN7rocprim17ROCPRIM_400000_NS6detail17trampoline_kernelINS0_14default_configENS1_33run_length_encode_config_selectorIhjNS0_4plusIjEEEEZZNS1_33reduce_by_key_impl_wrapped_configILNS1_25lookback_scan_determinismE0ES3_S7_PKhNS0_17constant_iteratorIjlEEPhPlSF_S6_NS0_8equal_toIhEEEE10hipError_tPvRmT2_T3_mT4_T5_T6_T7_T8_P12ihipStream_tbENKUlT_T0_E_clISt17integral_constantIbLb1EESY_IbLb0EEEEDaSU_SV_EUlSU_E_NS1_11comp_targetILNS1_3genE0ELNS1_11target_archE4294967295ELNS1_3gpuE0ELNS1_3repE0EEENS1_30default_config_static_selectorELNS0_4arch9wavefront6targetE1EEEvT1_ ; -- Begin function _ZN7rocprim17ROCPRIM_400000_NS6detail17trampoline_kernelINS0_14default_configENS1_33run_length_encode_config_selectorIhjNS0_4plusIjEEEEZZNS1_33reduce_by_key_impl_wrapped_configILNS1_25lookback_scan_determinismE0ES3_S7_PKhNS0_17constant_iteratorIjlEEPhPlSF_S6_NS0_8equal_toIhEEEE10hipError_tPvRmT2_T3_mT4_T5_T6_T7_T8_P12ihipStream_tbENKUlT_T0_E_clISt17integral_constantIbLb1EESY_IbLb0EEEEDaSU_SV_EUlSU_E_NS1_11comp_targetILNS1_3genE0ELNS1_11target_archE4294967295ELNS1_3gpuE0ELNS1_3repE0EEENS1_30default_config_static_selectorELNS0_4arch9wavefront6targetE1EEEvT1_
	.globl	_ZN7rocprim17ROCPRIM_400000_NS6detail17trampoline_kernelINS0_14default_configENS1_33run_length_encode_config_selectorIhjNS0_4plusIjEEEEZZNS1_33reduce_by_key_impl_wrapped_configILNS1_25lookback_scan_determinismE0ES3_S7_PKhNS0_17constant_iteratorIjlEEPhPlSF_S6_NS0_8equal_toIhEEEE10hipError_tPvRmT2_T3_mT4_T5_T6_T7_T8_P12ihipStream_tbENKUlT_T0_E_clISt17integral_constantIbLb1EESY_IbLb0EEEEDaSU_SV_EUlSU_E_NS1_11comp_targetILNS1_3genE0ELNS1_11target_archE4294967295ELNS1_3gpuE0ELNS1_3repE0EEENS1_30default_config_static_selectorELNS0_4arch9wavefront6targetE1EEEvT1_
	.p2align	8
	.type	_ZN7rocprim17ROCPRIM_400000_NS6detail17trampoline_kernelINS0_14default_configENS1_33run_length_encode_config_selectorIhjNS0_4plusIjEEEEZZNS1_33reduce_by_key_impl_wrapped_configILNS1_25lookback_scan_determinismE0ES3_S7_PKhNS0_17constant_iteratorIjlEEPhPlSF_S6_NS0_8equal_toIhEEEE10hipError_tPvRmT2_T3_mT4_T5_T6_T7_T8_P12ihipStream_tbENKUlT_T0_E_clISt17integral_constantIbLb1EESY_IbLb0EEEEDaSU_SV_EUlSU_E_NS1_11comp_targetILNS1_3genE0ELNS1_11target_archE4294967295ELNS1_3gpuE0ELNS1_3repE0EEENS1_30default_config_static_selectorELNS0_4arch9wavefront6targetE1EEEvT1_,@function
_ZN7rocprim17ROCPRIM_400000_NS6detail17trampoline_kernelINS0_14default_configENS1_33run_length_encode_config_selectorIhjNS0_4plusIjEEEEZZNS1_33reduce_by_key_impl_wrapped_configILNS1_25lookback_scan_determinismE0ES3_S7_PKhNS0_17constant_iteratorIjlEEPhPlSF_S6_NS0_8equal_toIhEEEE10hipError_tPvRmT2_T3_mT4_T5_T6_T7_T8_P12ihipStream_tbENKUlT_T0_E_clISt17integral_constantIbLb1EESY_IbLb0EEEEDaSU_SV_EUlSU_E_NS1_11comp_targetILNS1_3genE0ELNS1_11target_archE4294967295ELNS1_3gpuE0ELNS1_3repE0EEENS1_30default_config_static_selectorELNS0_4arch9wavefront6targetE1EEEvT1_: ; @_ZN7rocprim17ROCPRIM_400000_NS6detail17trampoline_kernelINS0_14default_configENS1_33run_length_encode_config_selectorIhjNS0_4plusIjEEEEZZNS1_33reduce_by_key_impl_wrapped_configILNS1_25lookback_scan_determinismE0ES3_S7_PKhNS0_17constant_iteratorIjlEEPhPlSF_S6_NS0_8equal_toIhEEEE10hipError_tPvRmT2_T3_mT4_T5_T6_T7_T8_P12ihipStream_tbENKUlT_T0_E_clISt17integral_constantIbLb1EESY_IbLb0EEEEDaSU_SV_EUlSU_E_NS1_11comp_targetILNS1_3genE0ELNS1_11target_archE4294967295ELNS1_3gpuE0ELNS1_3repE0EEENS1_30default_config_static_selectorELNS0_4arch9wavefront6targetE1EEEvT1_
; %bb.0:
	.section	.rodata,"a",@progbits
	.p2align	6, 0x0
	.amdhsa_kernel _ZN7rocprim17ROCPRIM_400000_NS6detail17trampoline_kernelINS0_14default_configENS1_33run_length_encode_config_selectorIhjNS0_4plusIjEEEEZZNS1_33reduce_by_key_impl_wrapped_configILNS1_25lookback_scan_determinismE0ES3_S7_PKhNS0_17constant_iteratorIjlEEPhPlSF_S6_NS0_8equal_toIhEEEE10hipError_tPvRmT2_T3_mT4_T5_T6_T7_T8_P12ihipStream_tbENKUlT_T0_E_clISt17integral_constantIbLb1EESY_IbLb0EEEEDaSU_SV_EUlSU_E_NS1_11comp_targetILNS1_3genE0ELNS1_11target_archE4294967295ELNS1_3gpuE0ELNS1_3repE0EEENS1_30default_config_static_selectorELNS0_4arch9wavefront6targetE1EEEvT1_
		.amdhsa_group_segment_fixed_size 0
		.amdhsa_private_segment_fixed_size 0
		.amdhsa_kernarg_size 128
		.amdhsa_user_sgpr_count 2
		.amdhsa_user_sgpr_dispatch_ptr 0
		.amdhsa_user_sgpr_queue_ptr 0
		.amdhsa_user_sgpr_kernarg_segment_ptr 1
		.amdhsa_user_sgpr_dispatch_id 0
		.amdhsa_user_sgpr_kernarg_preload_length 0
		.amdhsa_user_sgpr_kernarg_preload_offset 0
		.amdhsa_user_sgpr_private_segment_size 0
		.amdhsa_uses_dynamic_stack 0
		.amdhsa_enable_private_segment 0
		.amdhsa_system_sgpr_workgroup_id_x 1
		.amdhsa_system_sgpr_workgroup_id_y 0
		.amdhsa_system_sgpr_workgroup_id_z 0
		.amdhsa_system_sgpr_workgroup_info 0
		.amdhsa_system_vgpr_workitem_id 0
		.amdhsa_next_free_vgpr 1
		.amdhsa_next_free_sgpr 0
		.amdhsa_accum_offset 4
		.amdhsa_reserve_vcc 0
		.amdhsa_float_round_mode_32 0
		.amdhsa_float_round_mode_16_64 0
		.amdhsa_float_denorm_mode_32 3
		.amdhsa_float_denorm_mode_16_64 3
		.amdhsa_dx10_clamp 1
		.amdhsa_ieee_mode 1
		.amdhsa_fp16_overflow 0
		.amdhsa_tg_split 0
		.amdhsa_exception_fp_ieee_invalid_op 0
		.amdhsa_exception_fp_denorm_src 0
		.amdhsa_exception_fp_ieee_div_zero 0
		.amdhsa_exception_fp_ieee_overflow 0
		.amdhsa_exception_fp_ieee_underflow 0
		.amdhsa_exception_fp_ieee_inexact 0
		.amdhsa_exception_int_div_zero 0
	.end_amdhsa_kernel
	.section	.text._ZN7rocprim17ROCPRIM_400000_NS6detail17trampoline_kernelINS0_14default_configENS1_33run_length_encode_config_selectorIhjNS0_4plusIjEEEEZZNS1_33reduce_by_key_impl_wrapped_configILNS1_25lookback_scan_determinismE0ES3_S7_PKhNS0_17constant_iteratorIjlEEPhPlSF_S6_NS0_8equal_toIhEEEE10hipError_tPvRmT2_T3_mT4_T5_T6_T7_T8_P12ihipStream_tbENKUlT_T0_E_clISt17integral_constantIbLb1EESY_IbLb0EEEEDaSU_SV_EUlSU_E_NS1_11comp_targetILNS1_3genE0ELNS1_11target_archE4294967295ELNS1_3gpuE0ELNS1_3repE0EEENS1_30default_config_static_selectorELNS0_4arch9wavefront6targetE1EEEvT1_,"axG",@progbits,_ZN7rocprim17ROCPRIM_400000_NS6detail17trampoline_kernelINS0_14default_configENS1_33run_length_encode_config_selectorIhjNS0_4plusIjEEEEZZNS1_33reduce_by_key_impl_wrapped_configILNS1_25lookback_scan_determinismE0ES3_S7_PKhNS0_17constant_iteratorIjlEEPhPlSF_S6_NS0_8equal_toIhEEEE10hipError_tPvRmT2_T3_mT4_T5_T6_T7_T8_P12ihipStream_tbENKUlT_T0_E_clISt17integral_constantIbLb1EESY_IbLb0EEEEDaSU_SV_EUlSU_E_NS1_11comp_targetILNS1_3genE0ELNS1_11target_archE4294967295ELNS1_3gpuE0ELNS1_3repE0EEENS1_30default_config_static_selectorELNS0_4arch9wavefront6targetE1EEEvT1_,comdat
.Lfunc_end184:
	.size	_ZN7rocprim17ROCPRIM_400000_NS6detail17trampoline_kernelINS0_14default_configENS1_33run_length_encode_config_selectorIhjNS0_4plusIjEEEEZZNS1_33reduce_by_key_impl_wrapped_configILNS1_25lookback_scan_determinismE0ES3_S7_PKhNS0_17constant_iteratorIjlEEPhPlSF_S6_NS0_8equal_toIhEEEE10hipError_tPvRmT2_T3_mT4_T5_T6_T7_T8_P12ihipStream_tbENKUlT_T0_E_clISt17integral_constantIbLb1EESY_IbLb0EEEEDaSU_SV_EUlSU_E_NS1_11comp_targetILNS1_3genE0ELNS1_11target_archE4294967295ELNS1_3gpuE0ELNS1_3repE0EEENS1_30default_config_static_selectorELNS0_4arch9wavefront6targetE1EEEvT1_, .Lfunc_end184-_ZN7rocprim17ROCPRIM_400000_NS6detail17trampoline_kernelINS0_14default_configENS1_33run_length_encode_config_selectorIhjNS0_4plusIjEEEEZZNS1_33reduce_by_key_impl_wrapped_configILNS1_25lookback_scan_determinismE0ES3_S7_PKhNS0_17constant_iteratorIjlEEPhPlSF_S6_NS0_8equal_toIhEEEE10hipError_tPvRmT2_T3_mT4_T5_T6_T7_T8_P12ihipStream_tbENKUlT_T0_E_clISt17integral_constantIbLb1EESY_IbLb0EEEEDaSU_SV_EUlSU_E_NS1_11comp_targetILNS1_3genE0ELNS1_11target_archE4294967295ELNS1_3gpuE0ELNS1_3repE0EEENS1_30default_config_static_selectorELNS0_4arch9wavefront6targetE1EEEvT1_
                                        ; -- End function
	.section	.AMDGPU.csdata,"",@progbits
; Kernel info:
; codeLenInByte = 0
; NumSgprs: 6
; NumVgprs: 0
; NumAgprs: 0
; TotalNumVgprs: 0
; ScratchSize: 0
; MemoryBound: 0
; FloatMode: 240
; IeeeMode: 1
; LDSByteSize: 0 bytes/workgroup (compile time only)
; SGPRBlocks: 0
; VGPRBlocks: 0
; NumSGPRsForWavesPerEU: 6
; NumVGPRsForWavesPerEU: 1
; AccumOffset: 4
; Occupancy: 8
; WaveLimiterHint : 0
; COMPUTE_PGM_RSRC2:SCRATCH_EN: 0
; COMPUTE_PGM_RSRC2:USER_SGPR: 2
; COMPUTE_PGM_RSRC2:TRAP_HANDLER: 0
; COMPUTE_PGM_RSRC2:TGID_X_EN: 1
; COMPUTE_PGM_RSRC2:TGID_Y_EN: 0
; COMPUTE_PGM_RSRC2:TGID_Z_EN: 0
; COMPUTE_PGM_RSRC2:TIDIG_COMP_CNT: 0
; COMPUTE_PGM_RSRC3_GFX90A:ACCUM_OFFSET: 0
; COMPUTE_PGM_RSRC3_GFX90A:TG_SPLIT: 0
	.section	.text._ZN7rocprim17ROCPRIM_400000_NS6detail17trampoline_kernelINS0_14default_configENS1_33run_length_encode_config_selectorIhjNS0_4plusIjEEEEZZNS1_33reduce_by_key_impl_wrapped_configILNS1_25lookback_scan_determinismE0ES3_S7_PKhNS0_17constant_iteratorIjlEEPhPlSF_S6_NS0_8equal_toIhEEEE10hipError_tPvRmT2_T3_mT4_T5_T6_T7_T8_P12ihipStream_tbENKUlT_T0_E_clISt17integral_constantIbLb1EESY_IbLb0EEEEDaSU_SV_EUlSU_E_NS1_11comp_targetILNS1_3genE5ELNS1_11target_archE942ELNS1_3gpuE9ELNS1_3repE0EEENS1_30default_config_static_selectorELNS0_4arch9wavefront6targetE1EEEvT1_,"axG",@progbits,_ZN7rocprim17ROCPRIM_400000_NS6detail17trampoline_kernelINS0_14default_configENS1_33run_length_encode_config_selectorIhjNS0_4plusIjEEEEZZNS1_33reduce_by_key_impl_wrapped_configILNS1_25lookback_scan_determinismE0ES3_S7_PKhNS0_17constant_iteratorIjlEEPhPlSF_S6_NS0_8equal_toIhEEEE10hipError_tPvRmT2_T3_mT4_T5_T6_T7_T8_P12ihipStream_tbENKUlT_T0_E_clISt17integral_constantIbLb1EESY_IbLb0EEEEDaSU_SV_EUlSU_E_NS1_11comp_targetILNS1_3genE5ELNS1_11target_archE942ELNS1_3gpuE9ELNS1_3repE0EEENS1_30default_config_static_selectorELNS0_4arch9wavefront6targetE1EEEvT1_,comdat
	.protected	_ZN7rocprim17ROCPRIM_400000_NS6detail17trampoline_kernelINS0_14default_configENS1_33run_length_encode_config_selectorIhjNS0_4plusIjEEEEZZNS1_33reduce_by_key_impl_wrapped_configILNS1_25lookback_scan_determinismE0ES3_S7_PKhNS0_17constant_iteratorIjlEEPhPlSF_S6_NS0_8equal_toIhEEEE10hipError_tPvRmT2_T3_mT4_T5_T6_T7_T8_P12ihipStream_tbENKUlT_T0_E_clISt17integral_constantIbLb1EESY_IbLb0EEEEDaSU_SV_EUlSU_E_NS1_11comp_targetILNS1_3genE5ELNS1_11target_archE942ELNS1_3gpuE9ELNS1_3repE0EEENS1_30default_config_static_selectorELNS0_4arch9wavefront6targetE1EEEvT1_ ; -- Begin function _ZN7rocprim17ROCPRIM_400000_NS6detail17trampoline_kernelINS0_14default_configENS1_33run_length_encode_config_selectorIhjNS0_4plusIjEEEEZZNS1_33reduce_by_key_impl_wrapped_configILNS1_25lookback_scan_determinismE0ES3_S7_PKhNS0_17constant_iteratorIjlEEPhPlSF_S6_NS0_8equal_toIhEEEE10hipError_tPvRmT2_T3_mT4_T5_T6_T7_T8_P12ihipStream_tbENKUlT_T0_E_clISt17integral_constantIbLb1EESY_IbLb0EEEEDaSU_SV_EUlSU_E_NS1_11comp_targetILNS1_3genE5ELNS1_11target_archE942ELNS1_3gpuE9ELNS1_3repE0EEENS1_30default_config_static_selectorELNS0_4arch9wavefront6targetE1EEEvT1_
	.globl	_ZN7rocprim17ROCPRIM_400000_NS6detail17trampoline_kernelINS0_14default_configENS1_33run_length_encode_config_selectorIhjNS0_4plusIjEEEEZZNS1_33reduce_by_key_impl_wrapped_configILNS1_25lookback_scan_determinismE0ES3_S7_PKhNS0_17constant_iteratorIjlEEPhPlSF_S6_NS0_8equal_toIhEEEE10hipError_tPvRmT2_T3_mT4_T5_T6_T7_T8_P12ihipStream_tbENKUlT_T0_E_clISt17integral_constantIbLb1EESY_IbLb0EEEEDaSU_SV_EUlSU_E_NS1_11comp_targetILNS1_3genE5ELNS1_11target_archE942ELNS1_3gpuE9ELNS1_3repE0EEENS1_30default_config_static_selectorELNS0_4arch9wavefront6targetE1EEEvT1_
	.p2align	8
	.type	_ZN7rocprim17ROCPRIM_400000_NS6detail17trampoline_kernelINS0_14default_configENS1_33run_length_encode_config_selectorIhjNS0_4plusIjEEEEZZNS1_33reduce_by_key_impl_wrapped_configILNS1_25lookback_scan_determinismE0ES3_S7_PKhNS0_17constant_iteratorIjlEEPhPlSF_S6_NS0_8equal_toIhEEEE10hipError_tPvRmT2_T3_mT4_T5_T6_T7_T8_P12ihipStream_tbENKUlT_T0_E_clISt17integral_constantIbLb1EESY_IbLb0EEEEDaSU_SV_EUlSU_E_NS1_11comp_targetILNS1_3genE5ELNS1_11target_archE942ELNS1_3gpuE9ELNS1_3repE0EEENS1_30default_config_static_selectorELNS0_4arch9wavefront6targetE1EEEvT1_,@function
_ZN7rocprim17ROCPRIM_400000_NS6detail17trampoline_kernelINS0_14default_configENS1_33run_length_encode_config_selectorIhjNS0_4plusIjEEEEZZNS1_33reduce_by_key_impl_wrapped_configILNS1_25lookback_scan_determinismE0ES3_S7_PKhNS0_17constant_iteratorIjlEEPhPlSF_S6_NS0_8equal_toIhEEEE10hipError_tPvRmT2_T3_mT4_T5_T6_T7_T8_P12ihipStream_tbENKUlT_T0_E_clISt17integral_constantIbLb1EESY_IbLb0EEEEDaSU_SV_EUlSU_E_NS1_11comp_targetILNS1_3genE5ELNS1_11target_archE942ELNS1_3gpuE9ELNS1_3repE0EEENS1_30default_config_static_selectorELNS0_4arch9wavefront6targetE1EEEvT1_: ; @_ZN7rocprim17ROCPRIM_400000_NS6detail17trampoline_kernelINS0_14default_configENS1_33run_length_encode_config_selectorIhjNS0_4plusIjEEEEZZNS1_33reduce_by_key_impl_wrapped_configILNS1_25lookback_scan_determinismE0ES3_S7_PKhNS0_17constant_iteratorIjlEEPhPlSF_S6_NS0_8equal_toIhEEEE10hipError_tPvRmT2_T3_mT4_T5_T6_T7_T8_P12ihipStream_tbENKUlT_T0_E_clISt17integral_constantIbLb1EESY_IbLb0EEEEDaSU_SV_EUlSU_E_NS1_11comp_targetILNS1_3genE5ELNS1_11target_archE942ELNS1_3gpuE9ELNS1_3repE0EEENS1_30default_config_static_selectorELNS0_4arch9wavefront6targetE1EEEvT1_
; %bb.0:
	s_load_dwordx8 s[36:43], s[0:1], 0x40
	s_load_dwordx4 s[4:7], s[0:1], 0x0
	s_load_dword s3, s[0:1], 0x10
	s_load_dwordx4 s[44:47], s[0:1], 0x60
	s_mov_b64 s[12:13], -1
	s_waitcnt lgkmcnt(0)
	s_mul_i32 s8, s40, s39
	s_mul_hi_u32 s9, s40, s38
	s_add_i32 s8, s9, s8
	s_mul_i32 s9, s41, s38
	s_add_i32 s8, s8, s9
	s_add_u32 s4, s4, s6
	s_addc_u32 s5, s5, s7
	s_mul_i32 s6, s2, 0x1e00
	s_add_u32 s4, s4, s6
	s_mul_i32 s9, s40, s38
	s_addc_u32 s5, s5, 0
	s_add_u32 s6, s9, s2
	s_addc_u32 s7, s8, 0
	s_add_u32 s8, s42, -1
	s_addc_u32 s9, s43, -1
	s_cmp_eq_u64 s[6:7], s[8:9]
	s_cselect_b64 s[34:35], -1, 0
	s_cmp_lg_u64 s[6:7], s[8:9]
	s_cselect_b64 s[10:11], -1, 0
	s_mul_i32 s33, s8, 0xffffe200
	s_and_b64 vcc, exec, s[34:35]
	v_mad_u32_u24 v2, v0, 14, v0
	s_cbranch_vccnz .LBB185_2
; %bb.1:
	v_mov_b32_e32 v1, 0
	v_lshl_add_u64 v[4:5], s[4:5], 0, v[0:1]
	v_add_co_u32_e32 v4, vcc, 0x1000, v4
	global_load_ubyte v1, v0, s[4:5]
	global_load_ubyte v3, v0, s[4:5] offset:512
	global_load_ubyte v6, v0, s[4:5] offset:1024
	;; [unrolled: 1-line block ×7, first 2 shown]
	v_addc_co_u32_e32 v5, vcc, 0, v5, vcc
	global_load_ubyte v12, v[4:5], off
	global_load_ubyte v13, v[4:5], off offset:512
	global_load_ubyte v14, v[4:5], off offset:1024
	;; [unrolled: 1-line block ×6, first 2 shown]
	s_mov_b64 s[8:9], -1
	s_waitcnt vmcnt(14)
	ds_write_b8 v0, v1
	s_waitcnt vmcnt(13)
	ds_write_b8 v0, v3 offset:512
	s_waitcnt vmcnt(12)
	ds_write_b8 v0, v6 offset:1024
	;; [unrolled: 2-line block ×14, first 2 shown]
	s_waitcnt lgkmcnt(0)
	s_barrier
	ds_read_b96 v[8:10], v2
	ds_read_u8 v21, v2 offset:12
	ds_read_u8 v11, v2 offset:13
	;; [unrolled: 1-line block ×3, first 2 shown]
	s_waitcnt lgkmcnt(3)
	v_lshrrev_b32_e32 v66, 8, v8
	v_lshrrev_b32_e32 v64, 16, v8
	;; [unrolled: 1-line block ×9, first 2 shown]
	s_add_i32 s33, s33, s44
	s_cbranch_execz .LBB185_3
	s_branch .LBB185_34
.LBB185_2:
	s_mov_b64 s[8:9], 0
                                        ; implicit-def: $vgpr8
                                        ; implicit-def: $vgpr66
                                        ; implicit-def: $vgpr64
                                        ; implicit-def: $vgpr63
                                        ; implicit-def: $vgpr61
                                        ; implicit-def: $vgpr60
                                        ; implicit-def: $vgpr59
                                        ; implicit-def: $vgpr58
                                        ; implicit-def: $vgpr57
                                        ; implicit-def: $vgpr56
                                        ; implicit-def: $vgpr21
                                        ; implicit-def: $vgpr11
                                        ; implicit-def: $vgpr1
	s_add_i32 s33, s33, s44
	s_andn2_b64 vcc, exec, s[12:13]
	s_cbranch_vccnz .LBB185_34
.LBB185_3:
	v_cmp_gt_u32_e32 vcc, s33, v0
                                        ; implicit-def: $vgpr1
	s_and_saveexec_b64 s[8:9], vcc
	s_cbranch_execz .LBB185_5
; %bb.4:
	s_waitcnt lgkmcnt(0)
	global_load_ubyte v1, v0, s[4:5]
.LBB185_5:
	s_or_b64 exec, exec, s[8:9]
	v_or_b32_e32 v3, 0x200, v0
	v_cmp_gt_u32_e32 vcc, s33, v3
                                        ; implicit-def: $vgpr3
	s_and_saveexec_b64 s[8:9], vcc
	s_cbranch_execz .LBB185_7
; %bb.6:
	global_load_ubyte v3, v0, s[4:5] offset:512
.LBB185_7:
	s_or_b64 exec, exec, s[8:9]
	v_or_b32_e32 v4, 0x400, v0
	v_cmp_gt_u32_e32 vcc, s33, v4
                                        ; implicit-def: $vgpr4
	s_and_saveexec_b64 s[8:9], vcc
	s_cbranch_execz .LBB185_9
; %bb.8:
	global_load_ubyte v4, v0, s[4:5] offset:1024
.LBB185_9:
	s_or_b64 exec, exec, s[8:9]
	v_or_b32_e32 v5, 0x600, v0
	v_cmp_gt_u32_e32 vcc, s33, v5
                                        ; implicit-def: $vgpr5
	s_and_saveexec_b64 s[8:9], vcc
	s_cbranch_execz .LBB185_11
; %bb.10:
	global_load_ubyte v5, v0, s[4:5] offset:1536
.LBB185_11:
	s_or_b64 exec, exec, s[8:9]
	v_or_b32_e32 v6, 0x800, v0
	v_cmp_gt_u32_e32 vcc, s33, v6
                                        ; implicit-def: $vgpr6
	s_and_saveexec_b64 s[8:9], vcc
	s_cbranch_execz .LBB185_13
; %bb.12:
	global_load_ubyte v6, v0, s[4:5] offset:2048
.LBB185_13:
	s_or_b64 exec, exec, s[8:9]
	v_or_b32_e32 v7, 0xa00, v0
	v_cmp_gt_u32_e32 vcc, s33, v7
                                        ; implicit-def: $vgpr7
	s_and_saveexec_b64 s[8:9], vcc
	s_cbranch_execz .LBB185_15
; %bb.14:
	global_load_ubyte v7, v0, s[4:5] offset:2560
.LBB185_15:
	s_or_b64 exec, exec, s[8:9]
	v_or_b32_e32 v8, 0xc00, v0
	v_cmp_gt_u32_e32 vcc, s33, v8
                                        ; implicit-def: $vgpr8
	s_and_saveexec_b64 s[8:9], vcc
	s_cbranch_execz .LBB185_17
; %bb.16:
	global_load_ubyte v8, v0, s[4:5] offset:3072
.LBB185_17:
	s_or_b64 exec, exec, s[8:9]
	v_or_b32_e32 v9, 0xe00, v0
	v_cmp_gt_u32_e32 vcc, s33, v9
                                        ; implicit-def: $vgpr9
	s_and_saveexec_b64 s[8:9], vcc
	s_cbranch_execz .LBB185_19
; %bb.18:
	global_load_ubyte v9, v0, s[4:5] offset:3584
.LBB185_19:
	s_or_b64 exec, exec, s[8:9]
	s_waitcnt lgkmcnt(1)
	v_or_b32_e32 v11, 0x1000, v0
	v_cmp_gt_u32_e32 vcc, s33, v11
                                        ; implicit-def: $vgpr10
	s_and_saveexec_b64 s[8:9], vcc
	s_cbranch_execz .LBB185_21
; %bb.20:
	global_load_ubyte v10, v11, s[4:5]
.LBB185_21:
	s_or_b64 exec, exec, s[8:9]
	v_or_b32_e32 v12, 0x1200, v0
	v_cmp_gt_u32_e32 vcc, s33, v12
                                        ; implicit-def: $vgpr11
	s_and_saveexec_b64 s[8:9], vcc
	s_cbranch_execz .LBB185_23
; %bb.22:
	global_load_ubyte v11, v12, s[4:5]
.LBB185_23:
	s_or_b64 exec, exec, s[8:9]
	v_or_b32_e32 v13, 0x1400, v0
	v_cmp_gt_u32_e32 vcc, s33, v13
                                        ; implicit-def: $vgpr12
	s_and_saveexec_b64 s[8:9], vcc
	s_cbranch_execz .LBB185_25
; %bb.24:
	global_load_ubyte v12, v13, s[4:5]
.LBB185_25:
	s_or_b64 exec, exec, s[8:9]
	v_or_b32_e32 v14, 0x1600, v0
	v_cmp_gt_u32_e32 vcc, s33, v14
                                        ; implicit-def: $vgpr13
	s_and_saveexec_b64 s[8:9], vcc
	s_cbranch_execz .LBB185_27
; %bb.26:
	global_load_ubyte v13, v14, s[4:5]
.LBB185_27:
	s_or_b64 exec, exec, s[8:9]
	v_or_b32_e32 v15, 0x1800, v0
	v_cmp_gt_u32_e32 vcc, s33, v15
                                        ; implicit-def: $vgpr14
	s_and_saveexec_b64 s[8:9], vcc
	s_cbranch_execz .LBB185_29
; %bb.28:
	global_load_ubyte v14, v15, s[4:5]
.LBB185_29:
	s_or_b64 exec, exec, s[8:9]
	v_or_b32_e32 v16, 0x1a00, v0
	v_cmp_gt_u32_e32 vcc, s33, v16
                                        ; implicit-def: $vgpr15
	s_and_saveexec_b64 s[8:9], vcc
	s_cbranch_execz .LBB185_31
; %bb.30:
	global_load_ubyte v15, v16, s[4:5]
.LBB185_31:
	s_or_b64 exec, exec, s[8:9]
	v_or_b32_e32 v17, 0x1c00, v0
	v_cmp_gt_u32_e32 vcc, s33, v17
                                        ; implicit-def: $vgpr16
	s_and_saveexec_b64 s[8:9], vcc
	s_cbranch_execz .LBB185_33
; %bb.32:
	global_load_ubyte v16, v17, s[4:5]
.LBB185_33:
	s_or_b64 exec, exec, s[8:9]
	s_waitcnt vmcnt(0) lgkmcnt(0)
	ds_write_b8 v0, v1
	ds_write_b8 v0, v3 offset:512
	ds_write_b8 v0, v4 offset:1024
	;; [unrolled: 1-line block ×14, first 2 shown]
	s_waitcnt lgkmcnt(0)
	s_barrier
	ds_read_b96 v[8:10], v2
	ds_read_u8 v21, v2 offset:12
	ds_read_u8 v11, v2 offset:13
	;; [unrolled: 1-line block ×3, first 2 shown]
	v_mad_u32_u24 v2, v0, 15, 14
	s_waitcnt lgkmcnt(3)
	v_lshrrev_b32_e32 v66, 8, v8
	v_lshrrev_b32_e32 v64, 16, v8
	v_lshrrev_b32_e32 v63, 24, v8
	v_lshrrev_b32_e32 v61, 8, v9
	v_lshrrev_b32_e32 v60, 16, v9
	v_lshrrev_b32_e32 v59, 24, v9
	v_lshrrev_b32_e32 v58, 8, v10
	v_lshrrev_b32_e32 v57, 16, v10
	v_lshrrev_b32_e32 v56, 24, v10
	v_cmp_gt_u32_e64 s[8:9], s33, v2
.LBB185_34:
	v_mov_b32_e32 v52, s3
                                        ; implicit-def: $vgpr53
	s_and_saveexec_b64 s[12:13], s[8:9]
; %bb.35:
	v_mov_b32_e32 v53, s3
; %bb.36:
	s_or_b64 exec, exec, s[12:13]
	s_load_dwordx2 s[50:51], s[0:1], 0x70
	s_cmp_eq_u64 s[6:7], 0
	s_cselect_b64 s[48:49], -1, 0
	s_cmp_lg_u64 s[6:7], 0
	s_mov_b64 s[8:9], 0
	s_cselect_b64 s[12:13], -1, 0
	s_and_b64 vcc, exec, s[10:11]
	s_waitcnt lgkmcnt(0)
	s_barrier
	s_cbranch_vccz .LBB185_42
; %bb.37:
	s_and_b64 vcc, exec, s[12:13]
	s_cbranch_vccz .LBB185_43
; %bb.38:
	v_mov_b32_e32 v2, 0
	global_load_ubyte v2, v2, s[4:5] offset:-1
	v_cmp_ne_u16_sdwa s[8:9], v11, v1 src0_sel:BYTE_0 src1_sel:BYTE_0
	v_cmp_ne_u16_sdwa s[10:11], v21, v11 src0_sel:BYTE_0 src1_sel:BYTE_0
	;; [unrolled: 1-line block ×14, first 2 shown]
	v_cmp_ne_u32_e32 vcc, 0, v0
	ds_write_b8 v0, v1
	s_waitcnt lgkmcnt(0)
	s_barrier
	s_and_saveexec_b64 s[54:55], vcc
	s_cbranch_execz .LBB185_40
; %bb.39:
	s_waitcnt vmcnt(0)
	v_add_u32_e32 v2, -1, v0
	ds_read_u8 v2, v2
.LBB185_40:
	s_or_b64 exec, exec, s[54:55]
	s_waitcnt vmcnt(0) lgkmcnt(0)
	v_and_b32_e32 v2, 0xff, v2
	v_cndmask_b32_e64 v62, 0, 1, s[8:9]
	v_cndmask_b32_e64 v65, 0, 1, s[10:11]
	;; [unrolled: 1-line block ×14, first 2 shown]
	v_cmp_ne_u16_sdwa s[10:11], v2, v8 src0_sel:DWORD src1_sel:BYTE_0
	s_mov_b64 s[8:9], -1
.LBB185_41:
                                        ; implicit-def: $sgpr3
	s_branch .LBB185_55
.LBB185_42:
                                        ; implicit-def: $sgpr10_sgpr11
                                        ; implicit-def: $vgpr62
                                        ; implicit-def: $vgpr65
                                        ; implicit-def: $vgpr67
                                        ; implicit-def: $vgpr68
                                        ; implicit-def: $vgpr69
                                        ; implicit-def: $vgpr70
                                        ; implicit-def: $vgpr71
                                        ; implicit-def: $vgpr72
                                        ; implicit-def: $vgpr73
                                        ; implicit-def: $vgpr74
                                        ; implicit-def: $vgpr75
                                        ; implicit-def: $vgpr76
                                        ; implicit-def: $vgpr77
                                        ; implicit-def: $vgpr78
                                        ; implicit-def: $sgpr3
	s_cbranch_execnz .LBB185_47
	s_branch .LBB185_55
.LBB185_43:
                                        ; implicit-def: $sgpr10_sgpr11
                                        ; implicit-def: $vgpr62
                                        ; implicit-def: $vgpr65
                                        ; implicit-def: $vgpr67
                                        ; implicit-def: $vgpr68
                                        ; implicit-def: $vgpr69
                                        ; implicit-def: $vgpr70
                                        ; implicit-def: $vgpr71
                                        ; implicit-def: $vgpr72
                                        ; implicit-def: $vgpr73
                                        ; implicit-def: $vgpr74
                                        ; implicit-def: $vgpr75
                                        ; implicit-def: $vgpr76
                                        ; implicit-def: $vgpr77
                                        ; implicit-def: $vgpr78
	s_cbranch_execz .LBB185_41
; %bb.44:
	v_cmp_ne_u16_sdwa s[10:11], v11, v1 src0_sel:BYTE_0 src1_sel:BYTE_0
	v_cmp_ne_u32_e32 vcc, 0, v0
	ds_write_b8 v0, v1
	v_cndmask_b32_e64 v62, 0, 1, s[10:11]
	v_cmp_ne_u16_sdwa s[10:11], v21, v11 src0_sel:BYTE_0 src1_sel:BYTE_0
	s_waitcnt lgkmcnt(0)
	s_barrier
	v_cndmask_b32_e64 v65, 0, 1, s[10:11]
	v_cmp_ne_u16_sdwa s[10:11], v56, v21 src0_sel:BYTE_0 src1_sel:BYTE_0
	s_nop 1
	v_cndmask_b32_e64 v67, 0, 1, s[10:11]
	v_cmp_ne_u16_sdwa s[10:11], v57, v56 src0_sel:BYTE_0 src1_sel:BYTE_0
	s_nop 1
	;; [unrolled: 3-line block ×12, first 2 shown]
	v_cndmask_b32_e64 v78, 0, 1, s[10:11]
                                        ; implicit-def: $sgpr10_sgpr11
	s_and_saveexec_b64 s[14:15], vcc
	s_xor_b64 s[14:15], exec, s[14:15]
	s_cbranch_execz .LBB185_46
; %bb.45:
	v_add_u32_e32 v2, -1, v0
	ds_read_u8 v2, v2
	s_or_b64 s[8:9], s[8:9], exec
	s_waitcnt lgkmcnt(0)
	v_cmp_ne_u16_sdwa s[10:11], v2, v8 src0_sel:DWORD src1_sel:BYTE_0
	s_and_b64 s[10:11], s[10:11], exec
.LBB185_46:
	s_or_b64 exec, exec, s[14:15]
	s_mov_b32 s3, 1
	s_branch .LBB185_55
.LBB185_47:
	s_mul_i32 s3, s7, 0xffffe200
	s_mul_hi_u32 s7, s6, 0xffffe200
	s_sub_i32 s7, s7, s6
	s_add_i32 s7, s7, s3
	s_mul_i32 s3, s6, 0xffffe200
	s_add_u32 s6, s3, s44
	s_addc_u32 s7, s7, s45
	s_and_b64 vcc, exec, s[12:13]
	s_cbranch_vccz .LBB185_52
; %bb.48:
	v_mov_b32_e32 v3, 0
	global_load_ubyte v6, v3, s[4:5] offset:-1
	v_mad_u32_u24 v2, v0, 15, 14
	v_cmp_gt_u64_e32 vcc, s[6:7], v[2:3]
	v_cmp_ne_u16_sdwa s[4:5], v11, v1 src0_sel:BYTE_0 src1_sel:BYTE_0
	v_mad_u32_u24 v2, v0, 15, 13
	s_and_b64 s[4:5], vcc, s[4:5]
	v_cmp_gt_u64_e32 vcc, s[6:7], v[2:3]
	v_cmp_ne_u16_sdwa s[8:9], v21, v11 src0_sel:BYTE_0 src1_sel:BYTE_0
	v_mad_u32_u24 v2, v0, 15, 12
	s_and_b64 s[8:9], vcc, s[8:9]
	;; [unrolled: 4-line block ×13, first 2 shown]
	v_cmp_gt_u64_e32 vcc, s[6:7], v[2:3]
	v_cmp_ne_u16_sdwa s[40:41], v8, v66 src0_sel:BYTE_0 src1_sel:BYTE_0
	v_mul_u32_u24_e32 v4, 15, v0
	s_and_b64 s[40:41], vcc, s[40:41]
	v_cmp_ne_u32_e32 vcc, 0, v0
	ds_write_b8 v0, v1
	s_waitcnt lgkmcnt(0)
	s_barrier
	s_and_saveexec_b64 s[42:43], vcc
	s_cbranch_execz .LBB185_50
; %bb.49:
	v_add_u32_e32 v2, -1, v0
	s_waitcnt vmcnt(0)
	ds_read_u8 v6, v2
.LBB185_50:
	s_or_b64 exec, exec, s[42:43]
	v_mov_b32_e32 v5, v3
	s_waitcnt vmcnt(0) lgkmcnt(0)
	v_and_b32_e32 v2, 0xff, v6
	v_cndmask_b32_e64 v62, 0, 1, s[4:5]
	v_cmp_gt_u64_e32 vcc, s[6:7], v[4:5]
	v_cmp_ne_u16_sdwa s[4:5], v2, v8 src0_sel:DWORD src1_sel:BYTE_0
	v_cndmask_b32_e64 v65, 0, 1, s[8:9]
	v_cndmask_b32_e64 v67, 0, 1, s[10:11]
	;; [unrolled: 1-line block ×13, first 2 shown]
	s_and_b64 s[10:11], vcc, s[4:5]
	s_mov_b64 s[8:9], -1
.LBB185_51:
                                        ; implicit-def: $sgpr3
	v_mov_b32_e32 v79, s3
	s_and_saveexec_b64 s[4:5], s[8:9]
	s_cbranch_execnz .LBB185_56
	s_branch .LBB185_57
.LBB185_52:
                                        ; implicit-def: $sgpr10_sgpr11
                                        ; implicit-def: $vgpr62
                                        ; implicit-def: $vgpr65
                                        ; implicit-def: $vgpr67
                                        ; implicit-def: $vgpr68
                                        ; implicit-def: $vgpr69
                                        ; implicit-def: $vgpr70
                                        ; implicit-def: $vgpr71
                                        ; implicit-def: $vgpr72
                                        ; implicit-def: $vgpr73
                                        ; implicit-def: $vgpr74
                                        ; implicit-def: $vgpr75
                                        ; implicit-def: $vgpr76
                                        ; implicit-def: $vgpr77
                                        ; implicit-def: $vgpr78
	s_cbranch_execz .LBB185_51
; %bb.53:
	v_mad_u32_u24 v2, v0, 15, 14
	v_mov_b32_e32 v3, 0
	v_cmp_gt_u64_e32 vcc, s[6:7], v[2:3]
	v_cmp_ne_u16_sdwa s[4:5], v11, v1 src0_sel:BYTE_0 src1_sel:BYTE_0
	s_and_b64 s[4:5], vcc, s[4:5]
	v_mad_u32_u24 v2, v0, 15, 13
	v_cndmask_b32_e64 v62, 0, 1, s[4:5]
	v_cmp_gt_u64_e32 vcc, s[6:7], v[2:3]
	v_cmp_ne_u16_sdwa s[4:5], v21, v11 src0_sel:BYTE_0 src1_sel:BYTE_0
	s_and_b64 s[4:5], vcc, s[4:5]
	v_mad_u32_u24 v2, v0, 15, 12
	v_cndmask_b32_e64 v65, 0, 1, s[4:5]
	;; [unrolled: 5-line block ×13, first 2 shown]
	v_cmp_gt_u64_e32 vcc, s[6:7], v[2:3]
	v_cmp_ne_u16_sdwa s[4:5], v8, v66 src0_sel:BYTE_0 src1_sel:BYTE_0
	s_and_b64 s[4:5], vcc, s[4:5]
	s_mov_b32 s3, 1
	v_cndmask_b32_e64 v78, 0, 1, s[4:5]
	v_cmp_ne_u32_e32 vcc, 0, v0
	ds_write_b8 v0, v1
	s_waitcnt lgkmcnt(0)
	s_barrier
	s_waitcnt lgkmcnt(0)
                                        ; implicit-def: $sgpr10_sgpr11
	s_and_saveexec_b64 s[4:5], vcc
	s_cbranch_execz .LBB185_149
; %bb.54:
	v_add_u32_e32 v2, -1, v0
	ds_read_u8 v4, v2
	v_mul_u32_u24_e32 v2, 15, v0
	v_cmp_gt_u64_e32 vcc, s[6:7], v[2:3]
	s_or_b64 s[8:9], s[8:9], exec
	s_waitcnt lgkmcnt(0)
	v_and_b32_e32 v2, 0xff, v4
	v_cmp_ne_u16_sdwa s[6:7], v2, v8 src0_sel:DWORD src1_sel:BYTE_0
	s_and_b64 s[6:7], vcc, s[6:7]
	s_and_b64 s[10:11], s[6:7], exec
	s_or_b64 exec, exec, s[4:5]
.LBB185_55:
	v_mov_b32_e32 v79, s3
	s_and_saveexec_b64 s[4:5], s[8:9]
.LBB185_56:
	v_cndmask_b32_e64 v79, 0, 1, s[10:11]
.LBB185_57:
	s_or_b64 exec, exec, s[4:5]
	s_load_dwordx4 s[40:43], s[0:1], 0x20
	s_load_dwordx2 s[44:45], s[0:1], 0x30
	s_cmp_eq_u64 s[38:39], 0
	v_add3_u32 v2, v78, v79, v77
	s_cselect_b64 s[38:39], -1, 0
	s_cmp_lg_u32 s2, 0
	v_cmp_eq_u32_e64 s[24:25], 0, v78
	v_cmp_eq_u32_e64 s[22:23], 0, v77
	;; [unrolled: 1-line block ×3, first 2 shown]
	v_add3_u32 v81, v2, v76, v75
	v_cmp_eq_u32_e64 s[18:19], 0, v75
	v_cmp_eq_u32_e64 s[16:17], 0, v74
	;; [unrolled: 1-line block ×10, first 2 shown]
	v_cmp_eq_u32_e32 vcc, 0, v62
	v_mbcnt_lo_u32_b32 v80, -1, 0
	v_lshrrev_b32_e32 v54, 6, v0
	v_or_b32_e32 v55, 63, v0
	s_cbranch_scc0 .LBB185_88
; %bb.58:
	v_cndmask_b32_e64 v2, 0, v52, s[24:25]
	v_add_u32_e32 v2, v2, v52
	v_cndmask_b32_e64 v2, 0, v2, s[22:23]
	v_add_u32_e32 v2, v2, v52
	;; [unrolled: 2-line block ×11, first 2 shown]
	v_cndmask_b32_e64 v2, 0, v2, s[28:29]
	v_add3_u32 v3, v81, v74, v73
	v_add_u32_e32 v2, v2, v52
	v_add3_u32 v3, v3, v72, v71
	v_cndmask_b32_e64 v2, 0, v2, s[0:1]
	v_add3_u32 v3, v3, v70, v69
	v_add_u32_e32 v2, v2, v52
	v_add3_u32 v3, v3, v68, v67
	v_cndmask_b32_e32 v2, 0, v2, vcc
	v_add3_u32 v3, v3, v65, v62
	v_add_u32_e32 v2, v2, v53
	v_mbcnt_hi_u32_b32 v15, -1, v80
	v_and_b32_e32 v4, 15, v15
	v_mov_b32_dpp v6, v2 row_shr:1 row_mask:0xf bank_mask:0xf
	v_cmp_eq_u32_e32 vcc, 0, v3
	v_mov_b32_dpp v5, v3 row_shr:1 row_mask:0xf bank_mask:0xf
	v_cmp_lt_u32_e64 s[26:27], 1, v4
	v_cndmask_b32_e32 v6, 0, v6, vcc
	v_cmp_eq_u32_e32 vcc, 0, v4
	s_nop 1
	v_cndmask_b32_e64 v5, v5, 0, vcc
	v_add_u32_e32 v3, v5, v3
	v_cndmask_b32_e64 v5, v6, 0, vcc
	v_add_u32_e32 v2, v5, v2
	v_cmp_eq_u32_e32 vcc, 0, v3
	v_mov_b32_dpp v5, v3 row_shr:2 row_mask:0xf bank_mask:0xf
	v_mov_b32_dpp v6, v2 row_shr:2 row_mask:0xf bank_mask:0xf
	v_cndmask_b32_e64 v5, 0, v5, s[26:27]
	s_and_b64 vcc, s[26:27], vcc
	v_cndmask_b32_e32 v6, 0, v6, vcc
	v_add_u32_e32 v3, v3, v5
	v_add_u32_e32 v2, v6, v2
	v_cmp_eq_u32_e32 vcc, 0, v3
	v_mov_b32_dpp v5, v3 row_shr:4 row_mask:0xf bank_mask:0xf
	v_cmp_lt_u32_e64 s[26:27], 3, v4
	v_mov_b32_dpp v6, v2 row_shr:4 row_mask:0xf bank_mask:0xf
	s_and_b64 vcc, s[26:27], vcc
	v_cndmask_b32_e64 v5, 0, v5, s[26:27]
	v_cndmask_b32_e32 v6, 0, v6, vcc
	v_add_u32_e32 v3, v5, v3
	v_add_u32_e32 v2, v2, v6
	v_cmp_eq_u32_e32 vcc, 0, v3
	v_cmp_lt_u32_e64 s[26:27], 7, v4
	v_mov_b32_dpp v5, v3 row_shr:8 row_mask:0xf bank_mask:0xf
	v_mov_b32_dpp v6, v2 row_shr:8 row_mask:0xf bank_mask:0xf
	s_and_b64 vcc, s[26:27], vcc
	v_cndmask_b32_e64 v4, 0, v5, s[26:27]
	v_cndmask_b32_e32 v5, 0, v6, vcc
	v_add_u32_e32 v2, v5, v2
	v_add_u32_e32 v3, v4, v3
	v_bfe_i32 v6, v15, 4, 1
	v_mov_b32_dpp v5, v2 row_bcast:15 row_mask:0xf bank_mask:0xf
	v_mov_b32_dpp v4, v3 row_bcast:15 row_mask:0xf bank_mask:0xf
	v_cmp_eq_u32_e32 vcc, 0, v3
	v_and_b32_e32 v4, v6, v4
	v_add_u32_e32 v3, v4, v3
	v_cndmask_b32_e32 v5, 0, v5, vcc
	v_and_b32_e32 v4, v6, v5
	v_add_u32_e32 v4, v4, v2
	v_mov_b32_dpp v2, v3 row_bcast:31 row_mask:0xf bank_mask:0xf
	v_cmp_eq_u32_e32 vcc, 0, v3
	v_cmp_lt_u32_e64 s[26:27], 31, v15
	v_mov_b32_dpp v5, v4 row_bcast:31 row_mask:0xf bank_mask:0xf
	s_and_b64 vcc, s[26:27], vcc
	v_cndmask_b32_e64 v2, 0, v2, s[26:27]
	v_add_u32_e32 v2, v2, v3
	v_cndmask_b32_e32 v3, 0, v5, vcc
	v_add_u32_e32 v3, v3, v4
	v_cmp_eq_u32_e32 vcc, v55, v0
	v_lshlrev_b32_e32 v4, 3, v54
	s_and_saveexec_b64 s[26:27], vcc
	s_cbranch_execz .LBB185_60
; %bb.59:
	ds_write_b64 v4, v[2:3] offset:1040
.LBB185_60:
	s_or_b64 exec, exec, s[26:27]
	v_cmp_gt_u32_e32 vcc, 8, v0
	s_waitcnt lgkmcnt(0)
	s_barrier
	s_and_saveexec_b64 s[30:31], vcc
	s_cbranch_execz .LBB185_62
; %bb.61:
	v_lshlrev_b32_e32 v5, 3, v0
	ds_read_b64 v[6:7], v5 offset:1040
	v_and_b32_e32 v12, 7, v15
	v_cmp_lt_u32_e64 s[26:27], 1, v12
	s_waitcnt lgkmcnt(0)
	v_mov_b32_dpp v14, v7 row_shr:1 row_mask:0xf bank_mask:0xf
	v_cmp_eq_u32_e32 vcc, 0, v6
	v_mov_b32_dpp v13, v6 row_shr:1 row_mask:0xf bank_mask:0xf
	s_nop 0
	v_cndmask_b32_e32 v14, 0, v14, vcc
	v_cmp_eq_u32_e32 vcc, 0, v12
	s_nop 1
	v_cndmask_b32_e64 v13, v13, 0, vcc
	v_add_u32_e32 v6, v13, v6
	v_cndmask_b32_e64 v13, v14, 0, vcc
	v_add_u32_e32 v7, v13, v7
	v_cmp_eq_u32_e32 vcc, 0, v6
	v_mov_b32_dpp v13, v6 row_shr:2 row_mask:0xf bank_mask:0xf
	v_mov_b32_dpp v14, v7 row_shr:2 row_mask:0xf bank_mask:0xf
	v_cndmask_b32_e64 v13, 0, v13, s[26:27]
	s_and_b64 vcc, s[26:27], vcc
	v_cndmask_b32_e32 v14, 0, v14, vcc
	v_add_u32_e32 v6, v13, v6
	v_add_u32_e32 v7, v14, v7
	v_cmp_eq_u32_e32 vcc, 0, v6
	v_mov_b32_dpp v13, v6 row_shr:4 row_mask:0xf bank_mask:0xf
	v_cmp_lt_u32_e64 s[26:27], 3, v12
	v_mov_b32_dpp v14, v7 row_shr:4 row_mask:0xf bank_mask:0xf
	s_and_b64 vcc, s[26:27], vcc
	v_cndmask_b32_e64 v12, 0, v13, s[26:27]
	v_add_u32_e32 v6, v12, v6
	v_cndmask_b32_e32 v12, 0, v14, vcc
	v_add_u32_e32 v7, v12, v7
	ds_write_b64 v5, v[6:7] offset:1040
.LBB185_62:
	s_or_b64 exec, exec, s[30:31]
	v_cmp_gt_u32_e32 vcc, 64, v0
	v_cmp_lt_u32_e64 s[26:27], 63, v0
	v_mov_b32_e32 v12, 0
	v_mov_b32_e32 v13, 0
	s_waitcnt lgkmcnt(0)
	s_barrier
	s_and_saveexec_b64 s[30:31], s[26:27]
	s_cbranch_execz .LBB185_64
; %bb.63:
	ds_read_b64 v[12:13], v4 offset:1032
	v_cmp_eq_u32_e64 s[26:27], 0, v2
	s_waitcnt lgkmcnt(0)
	v_add_u32_e32 v4, v12, v2
	v_cndmask_b32_e64 v2, 0, v13, s[26:27]
	v_add_u32_e32 v3, v2, v3
	v_mov_b32_e32 v2, v4
.LBB185_64:
	s_or_b64 exec, exec, s[30:31]
	v_add_u32_e32 v4, -1, v15
	v_and_b32_e32 v5, 64, v15
	v_cmp_lt_i32_e64 s[26:27], v4, v5
	s_nop 1
	v_cndmask_b32_e64 v4, v4, v15, s[26:27]
	v_lshlrev_b32_e32 v4, 2, v4
	ds_bpermute_b32 v20, v4, v2
	ds_bpermute_b32 v22, v4, v3
	v_cmp_eq_u32_e64 s[26:27], 0, v15
	s_and_saveexec_b64 s[52:53], vcc
	s_cbranch_execz .LBB185_87
; %bb.65:
	v_mov_b32_e32 v7, 0
	ds_read_b64 v[2:3], v7 offset:1096
	s_waitcnt lgkmcnt(0)
	v_readfirstlane_b32 s3, v2
	v_readfirstlane_b32 s56, v3
	s_and_saveexec_b64 s[30:31], s[26:27]
	s_cbranch_execz .LBB185_67
; %bb.66:
	s_add_i32 s54, s2, 64
	s_mov_b32 s55, 0
	s_lshl_b64 s[58:59], s[54:55], 4
	s_add_u32 s58, s36, s58
	s_addc_u32 s59, s37, s59
	s_and_b32 s61, s56, 0xff000000
	s_mov_b32 s60, s55
	s_and_b32 s63, s56, 0xff0000
	s_mov_b32 s62, s55
	s_or_b64 s[60:61], s[62:63], s[60:61]
	s_and_b32 s63, s56, 0xff00
	s_or_b64 s[60:61], s[60:61], s[62:63]
	s_and_b32 s63, s56, 0xff
	s_or_b64 s[54:55], s[60:61], s[62:63]
	v_mov_b32_e32 v4, s3
	v_mov_b32_e32 v5, s55
	;; [unrolled: 1-line block ×3, first 2 shown]
	v_mov_b64_e32 v[2:3], s[58:59]
	;;#ASMSTART
	global_store_dwordx4 v[2:3], v[4:7] off sc1	
s_waitcnt vmcnt(0)
	;;#ASMEND
.LBB185_67:
	s_or_b64 exec, exec, s[30:31]
	v_xad_u32 v14, v15, -1, s2
	v_add_u32_e32 v6, 64, v14
	v_lshl_add_u64 v[16:17], v[6:7], 4, s[36:37]
	;;#ASMSTART
	global_load_dwordx4 v[2:5], v[16:17] off sc1	
s_waitcnt vmcnt(0)
	;;#ASMEND
	s_nop 0
	v_and_b32_e32 v5, 0xff, v3
	v_and_b32_e32 v6, 0xff00, v3
	v_or3_b32 v2, v2, 0, 0
	v_and_b32_e32 v18, 0xff000000, v3
	v_or3_b32 v5, 0, v5, v6
	;; [unrolled: 2-line block ×3, first 2 shown]
	v_or3_b32 v2, v2, 0, 0
	v_cmp_eq_u16_sdwa s[54:55], v4, v7 src0_sel:BYTE_0 src1_sel:DWORD
	s_and_saveexec_b64 s[30:31], s[54:55]
	s_cbranch_execz .LBB185_73
; %bb.68:
	s_mov_b32 s57, 1
	s_mov_b64 s[54:55], 0
	v_mov_b32_e32 v6, 0
.LBB185_69:                             ; =>This Loop Header: Depth=1
                                        ;     Child Loop BB185_70 Depth 2
	s_max_u32 s58, s57, 1
.LBB185_70:                             ;   Parent Loop BB185_69 Depth=1
                                        ; =>  This Inner Loop Header: Depth=2
	s_add_i32 s58, s58, -1
	s_cmp_eq_u32 s58, 0
	s_sleep 1
	s_cbranch_scc0 .LBB185_70
; %bb.71:                               ;   in Loop: Header=BB185_69 Depth=1
	s_cmp_lt_u32 s57, 32
	s_cselect_b64 s[58:59], -1, 0
	s_cmp_lg_u64 s[58:59], 0
	s_addc_u32 s57, s57, 0
	;;#ASMSTART
	global_load_dwordx4 v[2:5], v[16:17] off sc1	
s_waitcnt vmcnt(0)
	;;#ASMEND
	s_nop 0
	v_cmp_ne_u16_sdwa s[58:59], v4, v6 src0_sel:BYTE_0 src1_sel:DWORD
	s_or_b64 s[54:55], s[58:59], s[54:55]
	s_andn2_b64 exec, exec, s[54:55]
	s_cbranch_execnz .LBB185_69
; %bb.72:
	s_or_b64 exec, exec, s[54:55]
.LBB185_73:
	s_or_b64 exec, exec, s[30:31]
	v_mov_b32_e32 v23, 2
	v_cmp_eq_u16_sdwa s[30:31], v4, v23 src0_sel:BYTE_0 src1_sel:DWORD
	v_lshlrev_b64 v[16:17], v15, -1
	v_and_b32_e32 v24, 63, v15
	v_and_b32_e32 v5, s31, v17
	v_or_b32_e32 v5, 0x80000000, v5
	v_cmp_ne_u32_e32 vcc, 63, v24
	v_and_b32_e32 v6, s30, v16
	v_ffbl_b32_e32 v5, v5
	v_addc_co_u32_e32 v7, vcc, 0, v15, vcc
	v_add_u32_e32 v5, 32, v5
	v_ffbl_b32_e32 v6, v6
	v_lshlrev_b32_e32 v25, 2, v7
	v_min_u32_e32 v5, v6, v5
	ds_bpermute_b32 v6, v25, v3
	v_cmp_eq_u32_e32 vcc, 0, v2
	v_cmp_lt_u32_e64 s[30:31], v24, v5
	ds_bpermute_b32 v7, v25, v2
	s_and_b64 vcc, s[30:31], vcc
	s_waitcnt lgkmcnt(1)
	v_cndmask_b32_e32 v6, 0, v6, vcc
	v_cmp_gt_u32_e32 vcc, 62, v24
	v_add_u32_e32 v3, v6, v3
	s_waitcnt lgkmcnt(0)
	v_cndmask_b32_e64 v7, 0, v7, s[30:31]
	v_cndmask_b32_e64 v6, 0, 1, vcc
	v_lshlrev_b32_e32 v6, 1, v6
	v_add_lshl_u32 v26, v6, v15, 2
	ds_bpermute_b32 v6, v26, v3
	v_add_u32_e32 v2, v7, v2
	ds_bpermute_b32 v7, v26, v2
	v_add_u32_e32 v27, 2, v24
	v_cmp_eq_u32_e32 vcc, 0, v2
	v_add_u32_e32 v29, 4, v24
	v_add_u32_e32 v31, 8, v24
	s_waitcnt lgkmcnt(1)
	v_cndmask_b32_e32 v6, 0, v6, vcc
	v_cmp_gt_u32_e32 vcc, v27, v5
	v_add_u32_e32 v33, 16, v24
	v_add_u32_e32 v35, 32, v24
	v_cndmask_b32_e64 v6, v6, 0, vcc
	v_add_u32_e32 v3, v6, v3
	s_waitcnt lgkmcnt(0)
	v_cndmask_b32_e64 v6, v7, 0, vcc
	v_cmp_gt_u32_e32 vcc, 60, v24
	v_add_u32_e32 v2, v2, v6
	s_nop 0
	v_cndmask_b32_e64 v7, 0, 1, vcc
	v_lshlrev_b32_e32 v7, 2, v7
	v_add_lshl_u32 v28, v7, v15, 2
	ds_bpermute_b32 v7, v28, v3
	ds_bpermute_b32 v6, v28, v2
	v_cmp_eq_u32_e32 vcc, 0, v2
	s_waitcnt lgkmcnt(1)
	s_nop 0
	v_cndmask_b32_e32 v7, 0, v7, vcc
	v_cmp_gt_u32_e32 vcc, v29, v5
	s_nop 1
	v_cndmask_b32_e64 v7, v7, 0, vcc
	s_waitcnt lgkmcnt(0)
	v_cndmask_b32_e64 v6, v6, 0, vcc
	v_cmp_gt_u32_e32 vcc, 56, v24
	v_add_u32_e32 v3, v3, v7
	v_add_u32_e32 v2, v2, v6
	v_cndmask_b32_e64 v7, 0, 1, vcc
	v_lshlrev_b32_e32 v7, 3, v7
	v_add_lshl_u32 v30, v7, v15, 2
	ds_bpermute_b32 v7, v30, v3
	ds_bpermute_b32 v6, v30, v2
	v_cmp_eq_u32_e32 vcc, 0, v2
	s_waitcnt lgkmcnt(1)
	s_nop 0
	v_cndmask_b32_e32 v7, 0, v7, vcc
	v_cmp_gt_u32_e32 vcc, v31, v5
	s_nop 1
	v_cndmask_b32_e64 v7, v7, 0, vcc
	s_waitcnt lgkmcnt(0)
	v_cndmask_b32_e64 v6, v6, 0, vcc
	v_cmp_gt_u32_e32 vcc, 48, v24
	v_add_u32_e32 v3, v3, v7
	v_add_u32_e32 v2, v2, v6
	v_cndmask_b32_e64 v7, 0, 1, vcc
	v_lshlrev_b32_e32 v7, 4, v7
	v_add_lshl_u32 v32, v7, v15, 2
	ds_bpermute_b32 v7, v32, v3
	ds_bpermute_b32 v6, v32, v2
	v_cmp_eq_u32_e32 vcc, 0, v2
	s_waitcnt lgkmcnt(1)
	s_nop 0
	v_cndmask_b32_e32 v7, 0, v7, vcc
	v_cmp_gt_u32_e32 vcc, v33, v5
	s_nop 1
	v_cndmask_b32_e64 v7, v7, 0, vcc
	s_waitcnt lgkmcnt(0)
	v_cndmask_b32_e64 v6, v6, 0, vcc
	v_cmp_gt_u32_e32 vcc, 32, v24
	v_add_u32_e32 v3, v3, v7
	v_add_u32_e32 v2, v2, v6
	v_cndmask_b32_e64 v7, 0, 1, vcc
	v_lshlrev_b32_e32 v7, 5, v7
	v_add_lshl_u32 v34, v7, v15, 2
	ds_bpermute_b32 v7, v34, v3
	ds_bpermute_b32 v6, v34, v2
	v_cmp_eq_u32_e32 vcc, 0, v2
	v_mov_b32_e32 v15, 0
	s_waitcnt lgkmcnt(1)
	v_cndmask_b32_e32 v7, 0, v7, vcc
	v_cmp_gt_u32_e32 vcc, v35, v5
	s_nop 1
	v_cndmask_b32_e64 v5, v7, 0, vcc
	v_add_u32_e32 v3, v5, v3
	s_waitcnt lgkmcnt(0)
	v_cndmask_b32_e64 v5, v6, 0, vcc
	v_add_u32_e32 v2, v5, v2
	s_branch .LBB185_75
.LBB185_74:                             ;   in Loop: Header=BB185_75 Depth=1
	s_or_b64 exec, exec, s[30:31]
	v_cmp_eq_u16_sdwa s[30:31], v4, v23 src0_sel:BYTE_0 src1_sel:DWORD
	v_cmp_eq_u32_e32 vcc, 0, v2
	ds_bpermute_b32 v19, v25, v2
	v_and_b32_e32 v5, s31, v17
	v_or_b32_e32 v5, 0x80000000, v5
	v_and_b32_e32 v18, s30, v16
	v_ffbl_b32_e32 v5, v5
	v_add_u32_e32 v5, 32, v5
	v_ffbl_b32_e32 v18, v18
	v_min_u32_e32 v5, v18, v5
	ds_bpermute_b32 v18, v25, v3
	v_cmp_lt_u32_e64 s[30:31], v24, v5
	s_and_b64 vcc, s[30:31], vcc
	v_subrev_u32_e32 v14, 64, v14
	s_waitcnt lgkmcnt(1)
	v_cndmask_b32_e64 v19, 0, v19, s[30:31]
	s_waitcnt lgkmcnt(0)
	v_cndmask_b32_e32 v18, 0, v18, vcc
	v_add_u32_e32 v3, v18, v3
	ds_bpermute_b32 v18, v26, v3
	v_add_u32_e32 v2, v19, v2
	v_cmp_eq_u32_e32 vcc, 0, v2
	ds_bpermute_b32 v19, v26, v2
	s_waitcnt lgkmcnt(1)
	v_cndmask_b32_e32 v18, 0, v18, vcc
	v_cmp_gt_u32_e32 vcc, v27, v5
	s_nop 1
	v_cndmask_b32_e64 v18, v18, 0, vcc
	v_add_u32_e32 v3, v18, v3
	ds_bpermute_b32 v18, v28, v3
	s_waitcnt lgkmcnt(1)
	v_cndmask_b32_e64 v19, v19, 0, vcc
	v_add_u32_e32 v2, v2, v19
	v_cmp_eq_u32_e32 vcc, 0, v2
	ds_bpermute_b32 v19, v28, v2
	s_waitcnt lgkmcnt(1)
	v_cndmask_b32_e32 v18, 0, v18, vcc
	v_cmp_gt_u32_e32 vcc, v29, v5
	s_nop 1
	v_cndmask_b32_e64 v18, v18, 0, vcc
	v_add_u32_e32 v3, v3, v18
	ds_bpermute_b32 v18, v30, v3
	s_waitcnt lgkmcnt(1)
	v_cndmask_b32_e64 v19, v19, 0, vcc
	v_add_u32_e32 v2, v2, v19
	ds_bpermute_b32 v19, v30, v2
	v_cmp_eq_u32_e32 vcc, 0, v2
	s_waitcnt lgkmcnt(1)
	s_nop 0
	v_cndmask_b32_e32 v18, 0, v18, vcc
	v_cmp_gt_u32_e32 vcc, v31, v5
	s_nop 1
	v_cndmask_b32_e64 v18, v18, 0, vcc
	v_add_u32_e32 v3, v3, v18
	ds_bpermute_b32 v18, v32, v3
	s_waitcnt lgkmcnt(1)
	v_cndmask_b32_e64 v19, v19, 0, vcc
	v_add_u32_e32 v2, v2, v19
	ds_bpermute_b32 v19, v32, v2
	v_cmp_eq_u32_e32 vcc, 0, v2
	s_waitcnt lgkmcnt(1)
	s_nop 0
	;; [unrolled: 13-line block ×3, first 2 shown]
	v_cndmask_b32_e32 v18, 0, v18, vcc
	v_cmp_gt_u32_e32 vcc, v35, v5
	s_nop 1
	v_cndmask_b32_e64 v5, v18, 0, vcc
	v_add_u32_e32 v3, v5, v3
	s_waitcnt lgkmcnt(0)
	v_cndmask_b32_e64 v5, v19, 0, vcc
	v_cmp_eq_u32_e32 vcc, 0, v6
	v_add3_u32 v2, v2, v6, v5
	s_nop 0
	v_cndmask_b32_e32 v3, 0, v3, vcc
	v_add_u32_e32 v3, v3, v7
.LBB185_75:                             ; =>This Loop Header: Depth=1
                                        ;     Child Loop BB185_78 Depth 2
                                        ;       Child Loop BB185_79 Depth 3
	v_cmp_ne_u16_sdwa s[30:31], v4, v23 src0_sel:BYTE_0 src1_sel:DWORD
	v_mov_b32_e32 v7, v3
	v_mov_b32_e32 v6, v2
	v_cndmask_b32_e64 v3, 0, 1, s[30:31]
	;;#ASMSTART
	;;#ASMEND
	s_nop 0
	v_cmp_ne_u32_e32 vcc, 0, v3
	s_cmp_lg_u64 vcc, exec
	s_cbranch_scc1 .LBB185_82
; %bb.76:                               ;   in Loop: Header=BB185_75 Depth=1
	v_lshl_add_u64 v[18:19], v[14:15], 4, s[36:37]
	;;#ASMSTART
	global_load_dwordx4 v[2:5], v[18:19] off sc1	
s_waitcnt vmcnt(0)
	;;#ASMEND
	s_nop 0
	v_and_b32_e32 v5, 0xff, v3
	v_and_b32_e32 v36, 0xff00, v3
	v_or3_b32 v2, v2, 0, 0
	v_and_b32_e32 v37, 0xff000000, v3
	v_or3_b32 v5, 0, v5, v36
	;; [unrolled: 2-line block ×3, first 2 shown]
	v_or3_b32 v2, v2, 0, 0
	v_cmp_eq_u16_sdwa s[54:55], v4, v15 src0_sel:BYTE_0 src1_sel:DWORD
	s_and_saveexec_b64 s[30:31], s[54:55]
	s_cbranch_execz .LBB185_74
; %bb.77:                               ;   in Loop: Header=BB185_75 Depth=1
	s_mov_b32 s57, 1
	s_mov_b64 s[54:55], 0
.LBB185_78:                             ;   Parent Loop BB185_75 Depth=1
                                        ; =>  This Loop Header: Depth=2
                                        ;       Child Loop BB185_79 Depth 3
	s_max_u32 s58, s57, 1
.LBB185_79:                             ;   Parent Loop BB185_75 Depth=1
                                        ;     Parent Loop BB185_78 Depth=2
                                        ; =>    This Inner Loop Header: Depth=3
	s_add_i32 s58, s58, -1
	s_cmp_eq_u32 s58, 0
	s_sleep 1
	s_cbranch_scc0 .LBB185_79
; %bb.80:                               ;   in Loop: Header=BB185_78 Depth=2
	s_cmp_lt_u32 s57, 32
	s_cselect_b64 s[58:59], -1, 0
	s_cmp_lg_u64 s[58:59], 0
	s_addc_u32 s57, s57, 0
	;;#ASMSTART
	global_load_dwordx4 v[2:5], v[18:19] off sc1	
s_waitcnt vmcnt(0)
	;;#ASMEND
	s_nop 0
	v_cmp_ne_u16_sdwa s[58:59], v4, v15 src0_sel:BYTE_0 src1_sel:DWORD
	s_or_b64 s[54:55], s[58:59], s[54:55]
	s_andn2_b64 exec, exec, s[54:55]
	s_cbranch_execnz .LBB185_78
; %bb.81:                               ;   in Loop: Header=BB185_75 Depth=1
	s_or_b64 exec, exec, s[54:55]
	s_branch .LBB185_74
.LBB185_82:                             ;   in Loop: Header=BB185_75 Depth=1
                                        ; implicit-def: $vgpr3
                                        ; implicit-def: $vgpr2
                                        ; implicit-def: $vgpr4
	s_cbranch_execz .LBB185_75
; %bb.83:
	s_and_saveexec_b64 s[30:31], s[26:27]
	s_cbranch_execz .LBB185_85
; %bb.84:
	s_cmp_eq_u32 s3, 0
	s_cselect_b64 vcc, -1, 0
	s_mov_b32 s55, 0
	v_cndmask_b32_e32 v2, 0, v7, vcc
	s_add_i32 s54, s2, 64
	v_add_u32_e32 v2, s56, v2
	s_lshl_b64 s[54:55], s[54:55], 4
	s_add_u32 s54, s36, s54
	v_and_b32_e32 v3, 0xff000000, v2
	v_and_b32_e32 v4, 0xff0000, v2
	s_addc_u32 s55, s37, s55
	v_or_b32_e32 v3, v4, v3
	v_and_b32_e32 v4, 0xff00, v2
	v_and_b32_e32 v2, 0xff, v2
	v_add_u32_e32 v14, s3, v6
	v_mov_b32_e32 v17, 0
	v_or3_b32 v15, v3, v4, v2
	v_mov_b32_e32 v16, 2
	v_mov_b64_e32 v[2:3], s[54:55]
	;;#ASMSTART
	global_store_dwordx4 v[2:3], v[14:17] off sc1	
s_waitcnt vmcnt(0)
	;;#ASMEND
	v_mov_b32_e32 v4, s3
	v_mov_b32_e32 v5, s56
	ds_write_b128 v17, v[4:7] offset:1024
.LBB185_85:
	s_or_b64 exec, exec, s[30:31]
	v_cmp_eq_u32_e32 vcc, 0, v0
	s_and_b64 exec, exec, vcc
	s_cbranch_execz .LBB185_87
; %bb.86:
	v_mov_b32_e32 v2, 0
	ds_write_b64 v2, v[6:7] offset:1096
.LBB185_87:
	s_or_b64 exec, exec, s[52:53]
	v_mov_b32_e32 v4, 0
	s_waitcnt lgkmcnt(0)
	s_barrier
	ds_read_b64 v[2:3], v4 offset:1096
	v_cndmask_b32_e64 v6, v20, v12, s[26:27]
	v_cmp_eq_u32_e32 vcc, 0, v6
	v_cndmask_b32_e64 v5, v22, v13, s[26:27]
	s_waitcnt lgkmcnt(0)
	v_cndmask_b32_e32 v7, 0, v3, vcc
	v_add_u32_e32 v5, v7, v5
	v_cmp_eq_u32_e32 vcc, 0, v0
	s_barrier
	s_nop 0
	v_cndmask_b32_e32 v51, v5, v3, vcc
	v_cndmask_b32_e64 v3, v6, 0, vcc
	v_cmp_eq_u32_e32 vcc, 0, v79
	v_add_u32_e32 v50, v2, v3
	v_add_u32_e32 v48, v50, v79
	v_cndmask_b32_e32 v2, 0, v51, vcc
	v_add_u32_e32 v49, v2, v52
	v_cndmask_b32_e64 v2, 0, v49, s[24:25]
	v_add_u32_e32 v47, v2, v52
	v_cndmask_b32_e64 v2, 0, v47, s[22:23]
	;; [unrolled: 2-line block ×7, first 2 shown]
	v_add_u32_e32 v35, v2, v52
	v_add_u32_e32 v46, v48, v78
	v_cndmask_b32_e64 v2, 0, v35, s[10:11]
	v_add_u32_e32 v44, v46, v77
	v_add_u32_e32 v33, v2, v52
	v_add_u32_e32 v42, v44, v76
	v_cndmask_b32_e64 v2, 0, v33, s[8:9]
	v_add_u32_e32 v40, v42, v75
	;; [unrolled: 4-line block ×3, first 2 shown]
	v_add_u32_e32 v29, v2, v52
	ds_read_b128 v[16:19], v4 offset:1024
	v_add_u32_e32 v34, v36, v72
	v_cndmask_b32_e64 v2, 0, v29, s[4:5]
	v_add_u32_e32 v32, v34, v71
	v_add_u32_e32 v27, v2, v52
	;; [unrolled: 1-line block ×3, first 2 shown]
	v_cndmask_b32_e64 v2, 0, v27, s[28:29]
	v_add_u32_e32 v28, v30, v69
	v_add_u32_e32 v23, v2, v52
	;; [unrolled: 1-line block ×3, first 2 shown]
	v_cndmask_b32_e64 v2, 0, v23, s[0:1]
	s_waitcnt lgkmcnt(0)
	v_cmp_eq_u32_e32 vcc, 0, v16
	v_add_u32_e32 v22, v26, v67
	v_add_u32_e32 v25, v2, v52
	v_cndmask_b32_e32 v2, 0, v19, vcc
	v_add_u32_e32 v24, v22, v65
	v_add_u32_e32 v20, v2, v17
	s_branch .LBB185_100
.LBB185_88:
                                        ; implicit-def: $vgpr16
                                        ; implicit-def: $vgpr20
                                        ; implicit-def: $vgpr24_vgpr25
                                        ; implicit-def: $vgpr22_vgpr23
                                        ; implicit-def: $vgpr26_vgpr27
                                        ; implicit-def: $vgpr28_vgpr29
                                        ; implicit-def: $vgpr50_vgpr51
                                        ; implicit-def: $vgpr48_vgpr49
                                        ; implicit-def: $vgpr46_vgpr47
                                        ; implicit-def: $vgpr44_vgpr45
                                        ; implicit-def: $vgpr42_vgpr43
                                        ; implicit-def: $vgpr40_vgpr41
                                        ; implicit-def: $vgpr38_vgpr39
                                        ; implicit-def: $vgpr36_vgpr37
                                        ; implicit-def: $vgpr34_vgpr35
                                        ; implicit-def: $vgpr32_vgpr33
                                        ; implicit-def: $vgpr30_vgpr31
	s_cbranch_execz .LBB185_100
; %bb.89:
	s_and_b64 s[0:1], s[38:39], exec
	s_cselect_b32 s1, 0, s51
	s_cselect_b32 s0, 0, s50
	s_cmp_eq_u64 s[0:1], 0
	v_mov_b32_e32 v6, v52
	s_cbranch_scc1 .LBB185_91
; %bb.90:
	v_mov_b32_e32 v2, 0
	global_load_dword v6, v2, s[0:1]
.LBB185_91:
	v_cmp_eq_u32_e64 s[0:1], 0, v78
	v_cmp_eq_u32_e64 s[2:3], 0, v77
	v_cmp_eq_u32_e64 s[4:5], 0, v76
	v_cndmask_b32_e64 v2, 0, v52, s[0:1]
	v_add_u32_e32 v2, v2, v52
	v_cndmask_b32_e64 v2, 0, v2, s[2:3]
	v_add_u32_e32 v2, v2, v52
	v_cndmask_b32_e64 v2, 0, v2, s[4:5]
	v_add_u32_e32 v2, v2, v52
	v_cmp_eq_u32_e64 s[6:7], 0, v75
	v_cmp_eq_u32_e64 s[8:9], 0, v74
	v_cmp_eq_u32_e64 s[10:11], 0, v73
	v_cndmask_b32_e64 v2, 0, v2, s[6:7]
	v_add_u32_e32 v2, v2, v52
	v_cndmask_b32_e64 v2, 0, v2, s[8:9]
	v_add_u32_e32 v2, v2, v52
	v_cndmask_b32_e64 v2, 0, v2, s[10:11]
	v_add_u32_e32 v2, v2, v52
	;; [unrolled: 9-line block ×3, first 2 shown]
	v_cmp_eq_u32_e64 s[18:19], 0, v69
	v_cmp_eq_u32_e64 s[20:21], 0, v68
	;; [unrolled: 1-line block ×3, first 2 shown]
	v_cndmask_b32_e64 v2, 0, v2, s[18:19]
	v_add_u32_e32 v2, v2, v52
	v_cndmask_b32_e64 v2, 0, v2, s[20:21]
	v_add_u32_e32 v2, v2, v52
	v_cndmask_b32_e64 v2, 0, v2, s[22:23]
	v_add3_u32 v3, v81, v74, v73
	v_add_u32_e32 v2, v2, v52
	v_cmp_eq_u32_e32 vcc, 0, v65
	v_add3_u32 v3, v3, v72, v71
	v_add3_u32 v3, v3, v70, v69
	v_cndmask_b32_e32 v2, 0, v2, vcc
	v_add_u32_e32 v2, v2, v52
	v_cmp_eq_u32_e64 s[24:25], 0, v62
	v_add3_u32 v3, v3, v68, v67
	v_add3_u32 v3, v3, v65, v62
	v_cndmask_b32_e64 v2, 0, v2, s[24:25]
	v_add_u32_e32 v2, v2, v53
	v_mbcnt_hi_u32_b32 v7, -1, v80
	v_and_b32_e32 v4, 15, v7
	v_mov_b32_dpp v12, v2 row_shr:1 row_mask:0xf bank_mask:0xf
	v_cmp_eq_u32_e64 s[24:25], 0, v3
	v_mov_b32_dpp v5, v3 row_shr:1 row_mask:0xf bank_mask:0xf
	v_cmp_lt_u32_e64 s[26:27], 1, v4
	v_cndmask_b32_e64 v12, 0, v12, s[24:25]
	v_cmp_eq_u32_e64 s[24:25], 0, v4
	s_nop 1
	v_cndmask_b32_e64 v5, v5, 0, s[24:25]
	v_add_u32_e32 v3, v5, v3
	v_cndmask_b32_e64 v5, v12, 0, s[24:25]
	v_add_u32_e32 v2, v5, v2
	v_cmp_eq_u32_e64 s[24:25], 0, v3
	v_mov_b32_dpp v5, v3 row_shr:2 row_mask:0xf bank_mask:0xf
	v_mov_b32_dpp v12, v2 row_shr:2 row_mask:0xf bank_mask:0xf
	v_cndmask_b32_e64 v5, 0, v5, s[26:27]
	s_and_b64 s[24:25], s[26:27], s[24:25]
	v_cndmask_b32_e64 v12, 0, v12, s[24:25]
	v_add_u32_e32 v3, v3, v5
	v_add_u32_e32 v2, v12, v2
	v_cmp_eq_u32_e64 s[24:25], 0, v3
	v_mov_b32_dpp v5, v3 row_shr:4 row_mask:0xf bank_mask:0xf
	v_cmp_lt_u32_e64 s[26:27], 3, v4
	v_mov_b32_dpp v12, v2 row_shr:4 row_mask:0xf bank_mask:0xf
	s_and_b64 s[24:25], s[26:27], s[24:25]
	v_cndmask_b32_e64 v5, 0, v5, s[26:27]
	v_cndmask_b32_e64 v12, 0, v12, s[24:25]
	v_add_u32_e32 v3, v5, v3
	v_add_u32_e32 v2, v2, v12
	v_cmp_eq_u32_e64 s[24:25], 0, v3
	v_cmp_lt_u32_e64 s[26:27], 7, v4
	v_mov_b32_dpp v5, v3 row_shr:8 row_mask:0xf bank_mask:0xf
	v_mov_b32_dpp v12, v2 row_shr:8 row_mask:0xf bank_mask:0xf
	s_and_b64 s[24:25], s[26:27], s[24:25]
	v_cndmask_b32_e64 v4, 0, v5, s[26:27]
	v_cndmask_b32_e64 v5, 0, v12, s[24:25]
	v_add_u32_e32 v2, v5, v2
	v_add_u32_e32 v3, v4, v3
	v_bfe_i32 v12, v7, 4, 1
	v_mov_b32_dpp v5, v2 row_bcast:15 row_mask:0xf bank_mask:0xf
	v_mov_b32_dpp v4, v3 row_bcast:15 row_mask:0xf bank_mask:0xf
	v_cmp_eq_u32_e64 s[24:25], 0, v3
	v_and_b32_e32 v4, v12, v4
	v_add_u32_e32 v3, v4, v3
	v_cndmask_b32_e64 v5, 0, v5, s[24:25]
	v_and_b32_e32 v4, v12, v5
	v_add_u32_e32 v4, v4, v2
	v_mov_b32_dpp v2, v3 row_bcast:31 row_mask:0xf bank_mask:0xf
	v_cmp_eq_u32_e64 s[24:25], 0, v3
	v_cmp_lt_u32_e64 s[26:27], 31, v7
	v_mov_b32_dpp v5, v4 row_bcast:31 row_mask:0xf bank_mask:0xf
	s_and_b64 s[24:25], s[26:27], s[24:25]
	v_cndmask_b32_e64 v2, 0, v2, s[26:27]
	v_add_u32_e32 v2, v2, v3
	v_cndmask_b32_e64 v3, 0, v5, s[24:25]
	v_add_u32_e32 v3, v3, v4
	v_cmp_eq_u32_e64 s[24:25], v55, v0
	s_and_saveexec_b64 s[26:27], s[24:25]
	s_cbranch_execz .LBB185_93
; %bb.92:
	v_lshlrev_b32_e32 v4, 3, v54
	ds_write_b64 v4, v[2:3] offset:1040
.LBB185_93:
	s_or_b64 exec, exec, s[26:27]
	v_cmp_gt_u32_e64 s[24:25], 8, v0
	s_waitcnt lgkmcnt(0)
	s_barrier
	s_and_saveexec_b64 s[28:29], s[24:25]
	s_cbranch_execz .LBB185_95
; %bb.94:
	v_lshlrev_b32_e32 v12, 3, v0
	ds_read_b64 v[4:5], v12 offset:1040
	v_and_b32_e32 v13, 7, v7
	v_cmp_lt_u32_e64 s[26:27], 1, v13
	s_waitcnt lgkmcnt(0)
	v_mov_b32_dpp v15, v5 row_shr:1 row_mask:0xf bank_mask:0xf
	v_cmp_eq_u32_e64 s[24:25], 0, v4
	v_mov_b32_dpp v14, v4 row_shr:1 row_mask:0xf bank_mask:0xf
	s_nop 0
	v_cndmask_b32_e64 v15, 0, v15, s[24:25]
	v_cmp_eq_u32_e64 s[24:25], 0, v13
	s_nop 1
	v_cndmask_b32_e64 v14, v14, 0, s[24:25]
	v_add_u32_e32 v4, v14, v4
	v_cndmask_b32_e64 v14, v15, 0, s[24:25]
	v_add_u32_e32 v5, v14, v5
	v_cmp_eq_u32_e64 s[24:25], 0, v4
	v_mov_b32_dpp v14, v4 row_shr:2 row_mask:0xf bank_mask:0xf
	v_mov_b32_dpp v15, v5 row_shr:2 row_mask:0xf bank_mask:0xf
	v_cndmask_b32_e64 v14, 0, v14, s[26:27]
	s_and_b64 s[24:25], s[26:27], s[24:25]
	v_cndmask_b32_e64 v15, 0, v15, s[24:25]
	v_add_u32_e32 v4, v14, v4
	v_add_u32_e32 v5, v15, v5
	v_cmp_eq_u32_e64 s[24:25], 0, v4
	v_mov_b32_dpp v14, v4 row_shr:4 row_mask:0xf bank_mask:0xf
	v_cmp_lt_u32_e64 s[26:27], 3, v13
	v_mov_b32_dpp v15, v5 row_shr:4 row_mask:0xf bank_mask:0xf
	s_and_b64 s[24:25], s[26:27], s[24:25]
	v_cndmask_b32_e64 v13, 0, v14, s[26:27]
	v_add_u32_e32 v4, v13, v4
	v_cndmask_b32_e64 v13, 0, v15, s[24:25]
	v_add_u32_e32 v5, v13, v5
	ds_write_b64 v12, v[4:5] offset:1040
.LBB185_95:
	s_or_b64 exec, exec, s[28:29]
	v_cmp_lt_u32_e64 s[24:25], 63, v0
	v_mov_b32_e32 v12, 0
	v_mov_b32_e32 v4, 0
	s_waitcnt vmcnt(0)
	v_mov_b32_e32 v5, v6
	s_waitcnt lgkmcnt(0)
	s_barrier
	s_and_saveexec_b64 s[26:27], s[24:25]
	s_cbranch_execz .LBB185_97
; %bb.96:
	v_lshlrev_b32_e32 v4, 3, v54
	ds_read_b64 v[4:5], v4 offset:1032
	s_waitcnt lgkmcnt(0)
	v_cmp_eq_u32_e64 s[24:25], 0, v4
	s_nop 1
	v_cndmask_b32_e64 v13, 0, v6, s[24:25]
	v_add_u32_e32 v5, v13, v5
.LBB185_97:
	s_or_b64 exec, exec, s[26:27]
	v_cmp_eq_u32_e64 s[24:25], 0, v2
	v_add_u32_e32 v13, v4, v2
	v_and_b32_e32 v14, 64, v7
	v_cndmask_b32_e64 v2, 0, v5, s[24:25]
	v_add_u32_e32 v2, v2, v3
	v_add_u32_e32 v3, -1, v7
	v_cmp_lt_i32_e64 s[24:25], v3, v14
	v_cmp_eq_u32_e64 s[26:27], 0, v79
	ds_read_b64 v[16:17], v12 offset:1096
	v_cndmask_b32_e64 v3, v3, v7, s[24:25]
	v_lshlrev_b32_e32 v3, 2, v3
	ds_bpermute_b32 v13, v3, v13
	ds_bpermute_b32 v2, v3, v2
	v_cmp_eq_u32_e64 s[24:25], 0, v7
	s_waitcnt lgkmcnt(1)
	s_nop 0
	v_cndmask_b32_e64 v3, v13, v4, s[24:25]
	s_waitcnt lgkmcnt(0)
	v_cndmask_b32_e64 v2, v2, v5, s[24:25]
	v_cmp_eq_u32_e64 s[24:25], 0, v0
	s_nop 1
	v_cndmask_b32_e64 v51, v2, v6, s[24:25]
	v_cndmask_b32_e64 v2, 0, v51, s[26:27]
	v_add_u32_e32 v49, v2, v52
	v_cndmask_b32_e64 v2, 0, v49, s[0:1]
	v_add_u32_e32 v47, v2, v52
	;; [unrolled: 2-line block ×7, first 2 shown]
	v_cndmask_b32_e64 v50, v3, 0, s[24:25]
	v_cndmask_b32_e64 v2, 0, v37, s[12:13]
	v_add_u32_e32 v48, v50, v79
	v_add_u32_e32 v35, v2, v52
	v_add_u32_e32 v46, v48, v78
	v_cndmask_b32_e64 v2, 0, v35, s[14:15]
	v_add_u32_e32 v44, v46, v77
	v_add_u32_e32 v33, v2, v52
	v_add_u32_e32 v42, v44, v76
	;; [unrolled: 4-line block ×6, first 2 shown]
	v_cndmask_b32_e32 v2, 0, v23, vcc
	v_cmp_eq_u32_e32 vcc, 0, v16
	v_add_u32_e32 v22, v26, v67
	v_add_u32_e32 v25, v2, v52
	v_cndmask_b32_e32 v2, 0, v6, vcc
	v_add_u32_e32 v24, v22, v65
	v_add_u32_e32 v20, v2, v17
	s_and_saveexec_b64 s[0:1], s[24:25]
	s_cbranch_execz .LBB185_99
; %bb.98:
	s_add_u32 s2, s36, 0x400
	v_and_b32_e32 v2, 0xff000000, v20
	v_and_b32_e32 v3, 0xff0000, v20
	s_addc_u32 s3, s37, 0
	v_or_b32_e32 v2, v3, v2
	v_and_b32_e32 v3, 0xff00, v20
	v_and_b32_e32 v4, 0xff, v20
	v_mov_b32_e32 v19, 0
	v_or3_b32 v17, v2, v3, v4
	v_mov_b32_e32 v18, 2
	v_mov_b64_e32 v[2:3], s[2:3]
	;;#ASMSTART
	global_store_dwordx4 v[2:3], v[16:19] off sc1	
s_waitcnt vmcnt(0)
	;;#ASMEND
.LBB185_99:
	s_or_b64 exec, exec, s[0:1]
	v_mov_b32_e32 v18, 0
.LBB185_100:
	s_and_b64 s[0:1], s[38:39], exec
	s_cselect_b32 s1, 0, s47
	s_cselect_b32 s0, 0, s46
	s_cmp_eq_u64 s[0:1], 0
	v_mov_b64_e32 v[52:53], 0
	s_waitcnt lgkmcnt(0)
	s_barrier
	s_cbranch_scc1 .LBB185_102
; %bb.101:
	v_mov_b32_e32 v2, 0
	global_load_dwordx2 v[52:53], v2, s[0:1]
.LBB185_102:
	s_waitcnt vmcnt(0)
	v_lshl_add_u64 v[2:3], s[40:41], 0, v[52:53]
	v_mov_b32_e32 v19, 0
	v_cmp_eq_u32_e32 vcc, 0, v79
	v_lshl_add_u64 v[54:55], v[2:3], 0, v[18:19]
	s_movk_i32 s30, 0x200
	v_cndmask_b32_e64 v2, 1, 2, vcc
	v_cmp_eq_u32_e32 vcc, 0, v78
	v_cmp_ne_u32_e64 s[28:29], 0, v79
	v_cmp_ne_u32_e64 s[26:27], 0, v78
	v_cndmask_b32_e64 v3, 1, 2, vcc
	v_cmp_eq_u32_e32 vcc, 0, v77
	v_and_b32_e32 v2, v3, v2
	v_cmp_ne_u32_e64 s[24:25], 0, v77
	v_cndmask_b32_e64 v3, 1, 2, vcc
	v_cmp_eq_u32_e32 vcc, 0, v76
	v_and_b32_e32 v2, v2, v3
	;; [unrolled: 4-line block ×13, first 2 shown]
	v_cmp_ne_u32_e64 s[0:1], 0, v62
	v_cndmask_b32_e64 v3, 1, 2, vcc
	v_and_b32_e32 v2, v2, v3
	v_cmp_gt_u32_e32 vcc, s30, v16
	s_mov_b64 s[36:37], -1
	v_cmp_gt_i16_e64 s[30:31], 2, v2
	s_cbranch_vccz .LBB185_109
; %bb.103:
	s_and_saveexec_b64 s[36:37], s[30:31]
	s_cbranch_execz .LBB185_108
; %bb.104:
	v_cmp_ne_u16_e32 vcc, 1, v2
	s_mov_b64 s[38:39], 0
	s_and_saveexec_b64 s[30:31], vcc
	s_xor_b64 s[30:31], exec, s[30:31]
	s_cbranch_execnz .LBB185_150
; %bb.105:
	s_andn2_saveexec_b64 s[30:31], s[30:31]
	s_cbranch_execnz .LBB185_166
.LBB185_106:
	s_or_b64 exec, exec, s[30:31]
	s_and_b64 exec, exec, s[38:39]
	s_cbranch_execz .LBB185_108
.LBB185_107:
	v_sub_u32_e32 v3, v24, v18
	v_readfirstlane_b32 s30, v54
	v_readfirstlane_b32 s31, v55
	s_nop 4
	global_store_byte v3, v1, s[30:31]
.LBB185_108:
	s_or_b64 exec, exec, s[36:37]
	s_mov_b64 s[36:37], 0
.LBB185_109:
	s_and_b64 vcc, exec, s[36:37]
	s_cbranch_vccz .LBB185_128
; %bb.110:
	v_cmp_gt_i16_e32 vcc, 2, v2
	s_and_saveexec_b64 s[30:31], vcc
	s_cbranch_execz .LBB185_115
; %bb.111:
	v_cmp_ne_u16_e32 vcc, 1, v2
	s_mov_b64 s[38:39], 0
	s_and_saveexec_b64 s[36:37], vcc
	s_xor_b64 s[36:37], exec, s[36:37]
	s_cbranch_execnz .LBB185_167
; %bb.112:
	s_andn2_saveexec_b64 s[0:1], s[36:37]
	s_cbranch_execnz .LBB185_183
.LBB185_113:
	s_or_b64 exec, exec, s[0:1]
	s_and_b64 exec, exec, s[38:39]
	s_cbranch_execz .LBB185_115
.LBB185_114:
	v_sub_u32_e32 v2, v24, v18
	ds_write_b8 v2, v1
.LBB185_115:
	s_or_b64 exec, exec, s[30:31]
	v_cmp_lt_u32_e32 vcc, v0, v16
	s_waitcnt lgkmcnt(0)
	s_barrier
	s_and_saveexec_b64 s[0:1], vcc
	s_cbranch_execz .LBB185_127
; %bb.116:
	v_xad_u32 v2, v0, -1, v16
	s_movk_i32 s2, 0xdff
	v_cmp_lt_u32_e32 vcc, s2, v2
	s_mov_b64 s[4:5], -1
	v_mov_b32_e32 v1, v0
	s_and_saveexec_b64 s[2:3], vcc
	s_cbranch_execz .LBB185_124
; %bb.117:
	v_lshrrev_b32_e32 v17, 9, v2
	v_or_b32_e32 v7, 0xe00, v0
	v_or_b32_e32 v6, 0xc00, v0
	;; [unrolled: 1-line block ×7, first 2 shown]
	v_add_u32_e32 v21, -7, v17
	v_mov_b64_e32 v[14:15], v[6:7]
	v_cmp_lt_u32_e32 vcc, 7, v21
	v_mov_b32_e32 v60, 0
	v_mov_b64_e32 v[12:13], v[4:5]
	v_mov_b64_e32 v[10:11], v[2:3]
	;; [unrolled: 1-line block ×3, first 2 shown]
	s_and_saveexec_b64 s[4:5], vcc
	s_cbranch_execz .LBB185_121
; %bb.118:
	v_lshrrev_b32_e32 v8, 3, v21
	v_add_u32_e32 v8, 1, v8
	v_and_b32_e32 v58, 0x3ffffffe, v8
	v_mov_b64_e32 v[14:15], v[6:7]
	s_mov_b32 s8, 0
	s_mov_b64 s[6:7], 0
	v_mov_b32_e32 v57, 0
	v_mov_b32_e32 v59, v0
	v_mov_b64_e32 v[12:13], v[4:5]
	v_mov_b64_e32 v[10:11], v[2:3]
	;; [unrolled: 1-line block ×3, first 2 shown]
.LBB185_119:                            ; =>This Inner Loop Header: Depth=1
	v_mov_b32_e32 v56, v8
	v_lshl_add_u64 v[86:87], v[54:55], 0, v[56:57]
	v_mov_b32_e32 v56, v9
	v_lshl_add_u64 v[90:91], v[54:55], 0, v[56:57]
	;; [unrolled: 2-line block ×3, first 2 shown]
	v_mov_b32_e32 v56, v11
	ds_read_u8 v1, v59
	ds_read_u8 v63, v59 offset:512
	ds_read_u8 v64, v59 offset:1024
	;; [unrolled: 1-line block ×7, first 2 shown]
	v_lshl_add_u64 v[94:95], v[54:55], 0, v[56:57]
	v_mov_b32_e32 v56, v12
	ds_read_u8 v102, v59 offset:4096
	ds_read_u8 v103, v59 offset:4608
	;; [unrolled: 1-line block ×8, first 2 shown]
	v_lshl_add_u64 v[96:97], v[54:55], 0, v[56:57]
	v_mov_b32_e32 v56, v13
	s_waitcnt lgkmcnt(14)
	global_store_byte v[86:87], v1, off
	global_store_byte v[90:91], v63, off
	s_waitcnt lgkmcnt(13)
	global_store_byte v[92:93], v64, off
	s_waitcnt lgkmcnt(12)
	global_store_byte v[94:95], v66, off
	v_lshl_add_u64 v[86:87], v[54:55], 0, v[56:57]
	v_mov_b32_e32 v56, v14
	v_add_u32_e32 v58, -2, v58
	v_lshl_add_u64 v[90:91], v[54:55], 0, v[56:57]
	v_mov_b32_e32 v56, v15
	v_add_u32_e32 v60, 0x1000, v12
	v_mov_b32_e32 v61, v57
	s_add_i32 s8, s8, 16
	v_cmp_eq_u32_e32 vcc, 0, v58
	s_waitcnt lgkmcnt(11)
	global_store_byte v[96:97], v98, off
	s_waitcnt lgkmcnt(10)
	global_store_byte v[86:87], v99, off
	v_lshl_add_u64 v[86:87], v[54:55], 0, v[56:57]
	v_add_u32_e32 v56, 0x1000, v8
	v_add_u32_e32 v2, 0x1000, v15
	;; [unrolled: 1-line block ×7, first 2 shown]
	v_mov_b32_e32 v85, v57
	v_mov_b32_e32 v83, v57
	;; [unrolled: 1-line block ×6, first 2 shown]
	v_add_u32_e32 v59, 0x2000, v59
	v_lshl_add_u64 v[88:89], v[54:55], 0, v[60:61]
	v_add_u32_e32 v9, 0x2000, v9
	v_mov_b32_e32 v60, s8
	v_add_u32_e32 v10, 0x2000, v10
	s_or_b64 s[6:7], vcc, s[6:7]
	v_add_u32_e32 v11, 0x2000, v11
	v_add_u32_e32 v12, 0x2000, v12
	;; [unrolled: 1-line block ×5, first 2 shown]
	s_waitcnt lgkmcnt(9)
	global_store_byte v[90:91], v100, off
	v_add_u32_e32 v8, 0x2000, v8
	s_waitcnt lgkmcnt(8)
	global_store_byte v[86:87], v101, off
	v_lshl_add_u64 v[86:87], v[54:55], 0, v[56:57]
	v_lshl_add_u64 v[84:85], v[54:55], 0, v[84:85]
	;; [unrolled: 1-line block ×7, first 2 shown]
	s_waitcnt lgkmcnt(7)
	global_store_byte v[86:87], v102, off
	s_waitcnt lgkmcnt(6)
	global_store_byte v[84:85], v103, off
	;; [unrolled: 2-line block ×8, first 2 shown]
	s_andn2_b64 exec, exec, s[6:7]
	s_cbranch_execnz .LBB185_119
; %bb.120:
	s_or_b64 exec, exec, s[6:7]
.LBB185_121:
	s_or_b64 exec, exec, s[4:5]
	v_and_b32_e32 v1, 8, v21
	v_cmp_eq_u32_e32 vcc, 0, v1
	s_and_saveexec_b64 s[4:5], vcc
	s_cbranch_execz .LBB185_123
; %bb.122:
	v_mov_b32_e32 v3, 0
	v_mov_b32_e32 v2, v8
	v_lshl_add_u64 v[4:5], v[54:55], 0, v[2:3]
	v_mov_b32_e32 v2, v9
	v_lshl_or_b32 v1, v60, 9, v0
	v_lshl_add_u64 v[6:7], v[54:55], 0, v[2:3]
	v_mov_b32_e32 v2, v10
	ds_read_u8 v21, v1
	ds_read_u8 v60, v1 offset:512
	ds_read_u8 v61, v1 offset:1024
	;; [unrolled: 1-line block ×7, first 2 shown]
	v_lshl_add_u64 v[8:9], v[54:55], 0, v[2:3]
	v_mov_b32_e32 v2, v11
	v_lshl_add_u64 v[10:11], v[54:55], 0, v[2:3]
	v_mov_b32_e32 v2, v12
	;; [unrolled: 2-line block ×5, first 2 shown]
	v_lshl_add_u64 v[2:3], v[54:55], 0, v[2:3]
	s_waitcnt lgkmcnt(7)
	global_store_byte v[4:5], v21, off
	s_waitcnt lgkmcnt(6)
	global_store_byte v[6:7], v60, off
	;; [unrolled: 2-line block ×8, first 2 shown]
.LBB185_123:
	s_or_b64 exec, exec, s[4:5]
	v_add_u32_e32 v2, 1, v17
	v_and_b32_e32 v3, 0xfffff8, v2
	v_cmp_ne_u32_e32 vcc, v2, v3
	v_lshl_or_b32 v1, v3, 9, v0
	s_orn2_b64 s[4:5], vcc, exec
.LBB185_124:
	s_or_b64 exec, exec, s[2:3]
	s_and_b64 exec, exec, s[4:5]
	s_cbranch_execz .LBB185_127
; %bb.125:
	s_mov_b64 s[2:3], 0
.LBB185_126:                            ; =>This Inner Loop Header: Depth=1
	ds_read_u8 v2, v1
	v_readfirstlane_b32 s4, v54
	v_readfirstlane_b32 s5, v55
	s_waitcnt lgkmcnt(0)
	s_nop 3
	global_store_byte v1, v2, s[4:5]
	v_add_u32_e32 v1, 0x200, v1
	v_cmp_ge_u32_e32 vcc, v1, v16
	s_or_b64 s[2:3], vcc, s[2:3]
	s_andn2_b64 exec, exec, s[2:3]
	s_cbranch_execnz .LBB185_126
.LBB185_127:
	s_or_b64 exec, exec, s[0:1]
.LBB185_128:
	s_cmpk_lg_i32 s33, 0x1e00
	s_cselect_b64 s[0:1], -1, 0
	v_cndmask_b32_e64 v10, 0, 1, s[48:49]
	s_and_b64 s[0:1], s[34:35], s[0:1]
	v_cmp_eq_u32_e32 vcc, 0, v0
	v_sub_u32_e32 v1, v16, v10
	v_cndmask_b32_e64 v2, 0, 1, s[0:1]
	s_and_b64 s[0:1], vcc, s[48:49]
	v_add_u32_e32 v1, v1, v2
	v_cndmask_b32_e64 v2, v79, 0, s[0:1]
	s_mul_hi_u32 s0, s33, 0x88888889
	s_lshr_b32 s0, s0, 3
	v_mad_i32_i24 v3, v0, -15, s33
	v_cmp_eq_u32_e32 vcc, s0, v0
	v_cmp_ne_u32_e64 s[0:1], 0, v3
	s_and_b64 vcc, s[34:35], vcc
	s_mov_b32 s2, 0
	v_cndmask_b32_e64 v4, 1, v2, s[0:1]
	v_cmp_ne_u32_e64 s[0:1], 1, v3
	v_cndmask_b32_e32 v63, v2, v4, vcc
	s_movk_i32 s30, 0x200
	v_cndmask_b32_e64 v5, 1, v78, s[0:1]
	v_cmp_ne_u32_e64 s[0:1], 2, v3
	s_mov_b64 s[36:37], -1
	v_cmp_ne_u32_e64 s[28:29], 0, v63
	v_cndmask_b32_e64 v6, 1, v77, s[0:1]
	v_cmp_ne_u32_e64 s[0:1], 3, v3
	v_cndmask_b32_e32 v61, v77, v6, vcc
	v_cmp_ne_u32_e64 s[24:25], 0, v61
	v_cndmask_b32_e64 v7, 1, v76, s[0:1]
	v_cmp_ne_u32_e64 s[0:1], 4, v3
	v_cndmask_b32_e32 v60, v76, v7, vcc
	v_lshlrev_b64 v[6:7], 3, v[18:19]
	v_cndmask_b32_e64 v8, 1, v75, s[0:1]
	v_cmp_ne_u32_e64 s[0:1], 5, v3
	v_cndmask_b32_e32 v59, v75, v8, vcc
	v_cmp_ne_u32_e64 s[22:23], 0, v60
	v_cndmask_b32_e64 v9, 1, v74, s[0:1]
	v_cmp_ne_u32_e64 s[0:1], 6, v3
	v_cndmask_b32_e32 v58, v74, v9, vcc
	v_cmp_ne_u32_e64 s[20:21], 0, v59
	v_cndmask_b32_e64 v11, 1, v73, s[0:1]
	v_cmp_ne_u32_e64 s[0:1], 7, v3
	v_cndmask_b32_e32 v57, v73, v11, vcc
	v_mov_b32_e32 v11, s2
	v_cndmask_b32_e64 v12, 1, v72, s[0:1]
	v_cmp_ne_u32_e64 s[0:1], 8, v3
	v_cndmask_b32_e32 v56, v72, v12, vcc
	v_lshl_add_u64 v[8:9], v[10:11], 0, -1
	v_cndmask_b32_e64 v13, 1, v71, s[0:1]
	v_cmp_ne_u32_e64 s[0:1], 9, v3
	v_cndmask_b32_e32 v13, v71, v13, vcc
	v_add_u32_e32 v12, v18, v10
	v_cndmask_b32_e64 v14, 1, v70, s[0:1]
	v_cmp_ne_u32_e64 s[0:1], 10, v3
	v_cndmask_b32_e32 v14, v70, v14, vcc
	v_cmp_ne_u32_e64 s[12:13], 0, v13
	v_cndmask_b32_e64 v15, 1, v69, s[0:1]
	v_cmp_ne_u32_e64 s[0:1], 11, v3
	v_cndmask_b32_e32 v15, v69, v15, vcc
	v_cmp_ne_u32_e64 s[18:19], 0, v58
	;; [unrolled: 4-line block ×5, first 2 shown]
	v_cndmask_b32_e64 v3, 1, v62, s[0:1]
	v_cndmask_b32_e32 v55, v62, v3, vcc
	v_cndmask_b32_e32 v62, v78, v5, vcc
	v_cmp_eq_u32_e32 vcc, 0, v63
	v_lshlrev_b64 v[4:5], 3, v[52:53]
	v_lshl_add_u64 v[2:3], s[42:43], 0, v[4:5]
	v_cndmask_b32_e64 v10, 1, 2, vcc
	v_cmp_eq_u32_e32 vcc, 0, v62
	v_lshl_add_u64 v[2:3], v[2:3], 0, v[6:7]
	v_cmp_ne_u32_e64 s[26:27], 0, v62
	v_cndmask_b32_e64 v11, 1, 2, vcc
	v_cmp_eq_u32_e32 vcc, 0, v61
	v_and_b32_e32 v10, v11, v10
	v_cmp_ne_u32_e64 s[8:9], 0, v15
	v_cndmask_b32_e64 v11, 1, 2, vcc
	v_cmp_eq_u32_e32 vcc, 0, v60
	v_and_b32_e32 v10, v10, v11
	;; [unrolled: 4-line block ×6, first 2 shown]
	s_nop 0
	v_cndmask_b32_e64 v11, 1, 2, vcc
	v_cmp_eq_u32_e32 vcc, 0, v13
	v_and_b32_e32 v10, v10, v11
	s_barrier
	v_cndmask_b32_e64 v11, 1, 2, vcc
	v_cmp_eq_u32_e32 vcc, 0, v14
	v_and_b32_e32 v10, v10, v11
	s_nop 0
	v_cndmask_b32_e64 v11, 1, 2, vcc
	v_cmp_eq_u32_e32 vcc, 0, v15
	v_and_b32_e32 v10, v10, v11
	s_nop 0
	;; [unrolled: 4-line block ×6, first 2 shown]
	v_cndmask_b32_e64 v11, 1, 2, vcc
	v_and_b32_e32 v13, v10, v11
	v_cmp_gt_u32_e32 vcc, s30, v1
	v_cmp_gt_i16_e64 s[30:31], 2, v13
	s_cbranch_vccz .LBB185_135
; %bb.129:
	s_and_saveexec_b64 s[36:37], s[30:31]
	s_cbranch_execz .LBB185_134
; %bb.130:
	v_lshlrev_b64 v[10:11], 3, v[8:9]
	v_lshl_add_u64 v[10:11], v[2:3], 0, v[10:11]
	v_cmp_ne_u16_e32 vcc, 1, v13
	s_mov_b64 s[38:39], 0
	s_and_saveexec_b64 s[30:31], vcc
	s_xor_b64 s[30:31], exec, s[30:31]
	s_cbranch_execnz .LBB185_184
; %bb.131:
	s_andn2_saveexec_b64 s[30:31], s[30:31]
	s_cbranch_execnz .LBB185_200
.LBB185_132:
	s_or_b64 exec, exec, s[30:31]
	s_and_b64 exec, exec, s[38:39]
	s_cbranch_execz .LBB185_134
.LBB185_133:
	v_mov_b32_e32 v15, 0
	v_sub_u32_e32 v54, v24, v12
	v_mov_b32_e32 v55, v15
	v_mov_b32_e32 v14, v25
	v_lshl_add_u64 v[10:11], v[54:55], 3, v[10:11]
	global_store_dwordx2 v[10:11], v[14:15], off
.LBB185_134:
	s_or_b64 exec, exec, s[36:37]
	s_mov_b64 s[36:37], 0
.LBB185_135:
	s_and_b64 vcc, exec, s[36:37]
	s_cbranch_vccz .LBB185_145
; %bb.136:
	v_cmp_gt_i16_e32 vcc, 2, v13
	s_and_saveexec_b64 s[30:31], vcc
	s_cbranch_execz .LBB185_141
; %bb.137:
	v_cmp_ne_u16_e32 vcc, 1, v13
	s_mov_b64 s[38:39], 0
	s_and_saveexec_b64 s[36:37], vcc
	s_xor_b64 s[36:37], exec, s[36:37]
	s_cbranch_execnz .LBB185_201
; %bb.138:
	s_andn2_saveexec_b64 s[0:1], s[36:37]
	s_cbranch_execnz .LBB185_217
.LBB185_139:
	s_or_b64 exec, exec, s[0:1]
	s_and_b64 exec, exec, s[38:39]
	s_cbranch_execz .LBB185_141
.LBB185_140:
	v_sub_u32_e32 v10, v24, v12
	v_lshlrev_b32_e32 v10, 2, v10
	ds_write_b32 v10, v25
.LBB185_141:
	s_or_b64 exec, exec, s[30:31]
	v_cmp_lt_u32_e32 vcc, v0, v1
	s_waitcnt lgkmcnt(0)
	s_barrier
	s_and_saveexec_b64 s[0:1], vcc
	s_cbranch_execz .LBB185_144
; %bb.142:
	v_lshlrev_b64 v[8:9], 3, v[8:9]
	v_lshl_add_u64 v[4:5], v[4:5], 0, v[8:9]
	v_lshl_add_u64 v[6:7], v[4:5], 0, v[6:7]
	v_lshlrev_b32_e32 v4, 3, v0
	v_mov_b32_e32 v5, 0
	v_lshl_add_u64 v[6:7], s[42:43], 0, v[6:7]
	v_lshlrev_b32_e32 v10, 2, v0
	v_lshl_add_u64 v[6:7], v[6:7], 0, v[4:5]
	s_mov_b64 s[2:3], 0
	s_mov_b64 s[4:5], 0x1000
	v_mov_b32_e32 v8, v0
.LBB185_143:                            ; =>This Inner Loop Header: Depth=1
	ds_read_b32 v4, v10
	v_add_u32_e32 v8, 0x200, v8
	v_cmp_ge_u32_e32 vcc, v8, v1
	v_add_u32_e32 v10, 0x800, v10
	s_or_b64 s[2:3], vcc, s[2:3]
	s_waitcnt lgkmcnt(0)
	global_store_dwordx2 v[6:7], v[4:5], off
	v_lshl_add_u64 v[6:7], v[6:7], 0, s[4:5]
	s_andn2_b64 exec, exec, s[2:3]
	s_cbranch_execnz .LBB185_143
.LBB185_144:
	s_or_b64 exec, exec, s[0:1]
.LBB185_145:
	s_movk_i32 s0, 0x1ff
	v_cmp_eq_u32_e32 vcc, s0, v0
	s_and_b64 s[0:1], vcc, s[34:35]
	s_and_saveexec_b64 s[2:3], s[0:1]
	s_cbranch_execz .LBB185_148
; %bb.146:
	v_mov_b32_e32 v17, 0
	v_lshl_add_u64 v[0:1], v[16:17], 0, v[18:19]
	v_lshl_add_u64 v[0:1], v[0:1], 0, v[52:53]
	s_cmpk_lg_i32 s33, 0x1e00
	global_store_dwordx2 v17, v[0:1], s[44:45]
	s_cbranch_scc1 .LBB185_148
; %bb.147:
	v_lshlrev_b64 v[0:1], 3, v[16:17]
	v_mov_b32_e32 v21, v17
	v_lshl_add_u64 v[0:1], v[2:3], 0, v[0:1]
	global_store_dwordx2 v[0:1], v[20:21], off offset:-8
.LBB185_148:
	s_endpgm
.LBB185_149:
	s_or_b64 exec, exec, s[4:5]
	v_mov_b32_e32 v79, s3
	s_and_saveexec_b64 s[4:5], s[8:9]
	s_cbranch_execnz .LBB185_56
	s_branch .LBB185_57
.LBB185_150:
	s_and_saveexec_b64 s[38:39], s[28:29]
	s_cbranch_execnz .LBB185_218
; %bb.151:
	s_or_b64 exec, exec, s[38:39]
	s_and_saveexec_b64 s[38:39], s[26:27]
	s_cbranch_execnz .LBB185_219
.LBB185_152:
	s_or_b64 exec, exec, s[38:39]
	s_and_saveexec_b64 s[38:39], s[24:25]
	s_cbranch_execnz .LBB185_220
.LBB185_153:
	s_or_b64 exec, exec, s[38:39]
	s_and_saveexec_b64 s[38:39], s[22:23]
	s_cbranch_execnz .LBB185_221
.LBB185_154:
	s_or_b64 exec, exec, s[38:39]
	s_and_saveexec_b64 s[38:39], s[20:21]
	s_cbranch_execnz .LBB185_222
.LBB185_155:
	s_or_b64 exec, exec, s[38:39]
	s_and_saveexec_b64 s[38:39], s[18:19]
	s_cbranch_execnz .LBB185_223
.LBB185_156:
	s_or_b64 exec, exec, s[38:39]
	s_and_saveexec_b64 s[38:39], s[16:17]
	s_cbranch_execnz .LBB185_224
.LBB185_157:
	s_or_b64 exec, exec, s[38:39]
	s_and_saveexec_b64 s[38:39], s[14:15]
	s_cbranch_execnz .LBB185_225
.LBB185_158:
	s_or_b64 exec, exec, s[38:39]
	s_and_saveexec_b64 s[38:39], s[12:13]
	s_cbranch_execnz .LBB185_226
.LBB185_159:
	s_or_b64 exec, exec, s[38:39]
	s_and_saveexec_b64 s[38:39], s[10:11]
	s_cbranch_execnz .LBB185_227
.LBB185_160:
	s_or_b64 exec, exec, s[38:39]
	s_and_saveexec_b64 s[38:39], s[8:9]
	s_cbranch_execnz .LBB185_228
.LBB185_161:
	s_or_b64 exec, exec, s[38:39]
	s_and_saveexec_b64 s[38:39], s[6:7]
	s_cbranch_execnz .LBB185_229
.LBB185_162:
	s_or_b64 exec, exec, s[38:39]
	s_and_saveexec_b64 s[38:39], s[4:5]
	s_cbranch_execnz .LBB185_230
.LBB185_163:
	s_or_b64 exec, exec, s[38:39]
	s_and_saveexec_b64 s[38:39], s[2:3]
	s_cbranch_execz .LBB185_165
.LBB185_164:
	v_sub_u32_e32 v3, v22, v18
	v_readfirstlane_b32 s40, v54
	v_readfirstlane_b32 s41, v55
	s_nop 4
	global_store_byte v3, v11, s[40:41]
.LBB185_165:
	s_or_b64 exec, exec, s[38:39]
	s_and_b64 s[38:39], s[0:1], exec
	s_andn2_saveexec_b64 s[30:31], s[30:31]
	s_cbranch_execz .LBB185_106
.LBB185_166:
	v_sub_u32_e32 v3, v50, v18
	v_readfirstlane_b32 s40, v54
	v_readfirstlane_b32 s41, v55
	s_or_b64 s[38:39], s[38:39], exec
	s_nop 3
	global_store_byte v3, v8, s[40:41]
	v_sub_u32_e32 v3, v48, v18
	global_store_byte v3, v66, s[40:41]
	v_sub_u32_e32 v3, v46, v18
	;; [unrolled: 2-line block ×13, first 2 shown]
	global_store_byte v3, v11, s[40:41]
	s_or_b64 exec, exec, s[30:31]
	s_and_b64 exec, exec, s[38:39]
	s_cbranch_execnz .LBB185_107
	s_branch .LBB185_108
.LBB185_167:
	s_and_saveexec_b64 s[38:39], s[28:29]
	s_cbranch_execnz .LBB185_231
; %bb.168:
	s_or_b64 exec, exec, s[38:39]
	s_and_saveexec_b64 s[28:29], s[26:27]
	s_cbranch_execnz .LBB185_232
.LBB185_169:
	s_or_b64 exec, exec, s[28:29]
	s_and_saveexec_b64 s[26:27], s[24:25]
	s_cbranch_execnz .LBB185_233
.LBB185_170:
	s_or_b64 exec, exec, s[26:27]
	s_and_saveexec_b64 s[24:25], s[22:23]
	s_cbranch_execnz .LBB185_234
.LBB185_171:
	s_or_b64 exec, exec, s[24:25]
	s_and_saveexec_b64 s[22:23], s[20:21]
	s_cbranch_execnz .LBB185_235
.LBB185_172:
	s_or_b64 exec, exec, s[22:23]
	s_and_saveexec_b64 s[20:21], s[18:19]
	s_cbranch_execnz .LBB185_236
.LBB185_173:
	s_or_b64 exec, exec, s[20:21]
	s_and_saveexec_b64 s[18:19], s[16:17]
	s_cbranch_execnz .LBB185_237
.LBB185_174:
	s_or_b64 exec, exec, s[18:19]
	s_and_saveexec_b64 s[16:17], s[14:15]
	s_cbranch_execnz .LBB185_238
.LBB185_175:
	s_or_b64 exec, exec, s[16:17]
	s_and_saveexec_b64 s[14:15], s[12:13]
	s_cbranch_execnz .LBB185_239
.LBB185_176:
	s_or_b64 exec, exec, s[14:15]
	s_and_saveexec_b64 s[12:13], s[10:11]
	s_cbranch_execnz .LBB185_240
.LBB185_177:
	s_or_b64 exec, exec, s[12:13]
	s_and_saveexec_b64 s[10:11], s[8:9]
	s_cbranch_execnz .LBB185_241
.LBB185_178:
	s_or_b64 exec, exec, s[10:11]
	s_and_saveexec_b64 s[8:9], s[6:7]
	s_cbranch_execnz .LBB185_242
.LBB185_179:
	s_or_b64 exec, exec, s[8:9]
	s_and_saveexec_b64 s[6:7], s[4:5]
	s_cbranch_execnz .LBB185_243
.LBB185_180:
	s_or_b64 exec, exec, s[6:7]
	s_and_saveexec_b64 s[4:5], s[2:3]
	s_cbranch_execz .LBB185_182
.LBB185_181:
	v_sub_u32_e32 v2, v22, v18
	ds_write_b8 v2, v11
.LBB185_182:
	s_or_b64 exec, exec, s[4:5]
	s_and_b64 s[38:39], s[0:1], exec
                                        ; implicit-def: $vgpr11
                                        ; implicit-def: $vgpr21
                                        ; implicit-def: $vgpr56
                                        ; implicit-def: $vgpr57
                                        ; implicit-def: $vgpr58
                                        ; implicit-def: $vgpr10
                                        ; implicit-def: $vgpr59
                                        ; implicit-def: $vgpr60
                                        ; implicit-def: $vgpr61
                                        ; implicit-def: $vgpr63
                                        ; implicit-def: $vgpr64
                                        ; implicit-def: $vgpr66
	s_andn2_saveexec_b64 s[0:1], s[36:37]
	s_cbranch_execz .LBB185_113
.LBB185_183:
	v_sub_u32_e32 v2, v50, v18
	ds_write_b8 v2, v8
	v_sub_u32_e32 v2, v48, v18
	ds_write_b8 v2, v66
	;; [unrolled: 2-line block ×13, first 2 shown]
	v_sub_u32_e32 v2, v22, v18
	s_or_b64 s[38:39], s[38:39], exec
	ds_write_b8 v2, v11
	s_or_b64 exec, exec, s[0:1]
	s_and_b64 exec, exec, s[38:39]
	s_cbranch_execnz .LBB185_114
	s_branch .LBB185_115
.LBB185_184:
	s_and_saveexec_b64 s[38:39], s[28:29]
	s_cbranch_execnz .LBB185_244
; %bb.185:
	s_or_b64 exec, exec, s[38:39]
	s_and_saveexec_b64 s[38:39], s[26:27]
	s_cbranch_execnz .LBB185_245
.LBB185_186:
	s_or_b64 exec, exec, s[38:39]
	s_and_saveexec_b64 s[38:39], s[24:25]
	s_cbranch_execnz .LBB185_246
.LBB185_187:
	s_or_b64 exec, exec, s[38:39]
	s_and_saveexec_b64 s[38:39], s[22:23]
	s_cbranch_execnz .LBB185_247
.LBB185_188:
	s_or_b64 exec, exec, s[38:39]
	s_and_saveexec_b64 s[38:39], s[20:21]
	s_cbranch_execnz .LBB185_248
.LBB185_189:
	s_or_b64 exec, exec, s[38:39]
	s_and_saveexec_b64 s[38:39], s[18:19]
	s_cbranch_execnz .LBB185_249
.LBB185_190:
	s_or_b64 exec, exec, s[38:39]
	s_and_saveexec_b64 s[38:39], s[16:17]
	s_cbranch_execnz .LBB185_250
.LBB185_191:
	s_or_b64 exec, exec, s[38:39]
	s_and_saveexec_b64 s[38:39], s[14:15]
	s_cbranch_execnz .LBB185_251
.LBB185_192:
	s_or_b64 exec, exec, s[38:39]
	s_and_saveexec_b64 s[38:39], s[12:13]
	s_cbranch_execnz .LBB185_252
.LBB185_193:
	s_or_b64 exec, exec, s[38:39]
	s_and_saveexec_b64 s[38:39], s[10:11]
	s_cbranch_execnz .LBB185_253
.LBB185_194:
	s_or_b64 exec, exec, s[38:39]
	s_and_saveexec_b64 s[38:39], s[8:9]
	s_cbranch_execnz .LBB185_254
.LBB185_195:
	s_or_b64 exec, exec, s[38:39]
	s_and_saveexec_b64 s[38:39], s[6:7]
	s_cbranch_execnz .LBB185_255
.LBB185_196:
	s_or_b64 exec, exec, s[38:39]
	s_and_saveexec_b64 s[38:39], s[4:5]
	s_cbranch_execnz .LBB185_256
.LBB185_197:
	s_or_b64 exec, exec, s[38:39]
	s_and_saveexec_b64 s[38:39], s[2:3]
	s_cbranch_execz .LBB185_199
.LBB185_198:
	v_sub_u32_e32 v14, v22, v12
	v_mov_b32_e32 v15, 0
	v_lshl_add_u64 v[54:55], v[14:15], 3, v[10:11]
	v_mov_b32_e32 v14, v23
	global_store_dwordx2 v[54:55], v[14:15], off
.LBB185_199:
	s_or_b64 exec, exec, s[38:39]
	s_and_b64 s[38:39], s[0:1], exec
	s_andn2_saveexec_b64 s[30:31], s[30:31]
	s_cbranch_execz .LBB185_132
.LBB185_200:
	v_mov_b32_e32 v15, 0
	v_sub_u32_e32 v54, v50, v12
	v_mov_b32_e32 v55, v15
	v_mov_b32_e32 v14, v51
	v_lshl_add_u64 v[54:55], v[54:55], 3, v[10:11]
	global_store_dwordx2 v[54:55], v[14:15], off
	v_sub_u32_e32 v54, v48, v12
	v_mov_b32_e32 v55, v15
	v_mov_b32_e32 v14, v49
	v_lshl_add_u64 v[54:55], v[54:55], 3, v[10:11]
	global_store_dwordx2 v[54:55], v[14:15], off
	v_sub_u32_e32 v54, v46, v12
	v_mov_b32_e32 v55, v15
	v_mov_b32_e32 v14, v47
	v_lshl_add_u64 v[54:55], v[54:55], 3, v[10:11]
	global_store_dwordx2 v[54:55], v[14:15], off
	v_sub_u32_e32 v54, v44, v12
	v_mov_b32_e32 v55, v15
	v_mov_b32_e32 v14, v45
	v_lshl_add_u64 v[54:55], v[54:55], 3, v[10:11]
	global_store_dwordx2 v[54:55], v[14:15], off
	v_sub_u32_e32 v54, v42, v12
	v_mov_b32_e32 v55, v15
	v_mov_b32_e32 v14, v43
	v_lshl_add_u64 v[54:55], v[54:55], 3, v[10:11]
	global_store_dwordx2 v[54:55], v[14:15], off
	v_sub_u32_e32 v54, v40, v12
	v_mov_b32_e32 v55, v15
	v_mov_b32_e32 v14, v41
	v_lshl_add_u64 v[54:55], v[54:55], 3, v[10:11]
	global_store_dwordx2 v[54:55], v[14:15], off
	v_sub_u32_e32 v54, v38, v12
	v_mov_b32_e32 v55, v15
	v_mov_b32_e32 v14, v39
	v_lshl_add_u64 v[54:55], v[54:55], 3, v[10:11]
	global_store_dwordx2 v[54:55], v[14:15], off
	v_sub_u32_e32 v54, v36, v12
	v_mov_b32_e32 v55, v15
	v_mov_b32_e32 v14, v37
	v_lshl_add_u64 v[54:55], v[54:55], 3, v[10:11]
	global_store_dwordx2 v[54:55], v[14:15], off
	v_sub_u32_e32 v54, v34, v12
	v_mov_b32_e32 v55, v15
	v_mov_b32_e32 v14, v35
	v_lshl_add_u64 v[54:55], v[54:55], 3, v[10:11]
	global_store_dwordx2 v[54:55], v[14:15], off
	v_sub_u32_e32 v54, v32, v12
	v_mov_b32_e32 v55, v15
	v_mov_b32_e32 v14, v33
	v_lshl_add_u64 v[54:55], v[54:55], 3, v[10:11]
	global_store_dwordx2 v[54:55], v[14:15], off
	v_sub_u32_e32 v54, v30, v12
	v_mov_b32_e32 v55, v15
	v_mov_b32_e32 v14, v31
	v_lshl_add_u64 v[54:55], v[54:55], 3, v[10:11]
	global_store_dwordx2 v[54:55], v[14:15], off
	v_sub_u32_e32 v54, v28, v12
	v_mov_b32_e32 v55, v15
	v_mov_b32_e32 v14, v29
	v_lshl_add_u64 v[54:55], v[54:55], 3, v[10:11]
	global_store_dwordx2 v[54:55], v[14:15], off
	v_sub_u32_e32 v54, v26, v12
	v_mov_b32_e32 v55, v15
	v_mov_b32_e32 v14, v27
	v_lshl_add_u64 v[54:55], v[54:55], 3, v[10:11]
	global_store_dwordx2 v[54:55], v[14:15], off
	v_sub_u32_e32 v54, v22, v12
	v_mov_b32_e32 v55, v15
	v_mov_b32_e32 v14, v23
	v_lshl_add_u64 v[54:55], v[54:55], 3, v[10:11]
	s_or_b64 s[38:39], s[38:39], exec
	global_store_dwordx2 v[54:55], v[14:15], off
	s_or_b64 exec, exec, s[30:31]
	s_and_b64 exec, exec, s[38:39]
	s_cbranch_execnz .LBB185_133
	s_branch .LBB185_134
.LBB185_201:
	s_and_saveexec_b64 s[38:39], s[28:29]
	s_cbranch_execnz .LBB185_257
; %bb.202:
	s_or_b64 exec, exec, s[38:39]
	s_and_saveexec_b64 s[28:29], s[26:27]
	s_cbranch_execnz .LBB185_258
.LBB185_203:
	s_or_b64 exec, exec, s[28:29]
	s_and_saveexec_b64 s[26:27], s[24:25]
	s_cbranch_execnz .LBB185_259
.LBB185_204:
	s_or_b64 exec, exec, s[26:27]
	s_and_saveexec_b64 s[24:25], s[22:23]
	s_cbranch_execnz .LBB185_260
.LBB185_205:
	s_or_b64 exec, exec, s[24:25]
	s_and_saveexec_b64 s[22:23], s[20:21]
	s_cbranch_execnz .LBB185_261
.LBB185_206:
	s_or_b64 exec, exec, s[22:23]
	s_and_saveexec_b64 s[20:21], s[18:19]
	s_cbranch_execnz .LBB185_262
.LBB185_207:
	s_or_b64 exec, exec, s[20:21]
	s_and_saveexec_b64 s[18:19], s[16:17]
	s_cbranch_execnz .LBB185_263
.LBB185_208:
	s_or_b64 exec, exec, s[18:19]
	s_and_saveexec_b64 s[16:17], s[14:15]
	s_cbranch_execnz .LBB185_264
.LBB185_209:
	s_or_b64 exec, exec, s[16:17]
	s_and_saveexec_b64 s[14:15], s[12:13]
	s_cbranch_execnz .LBB185_265
.LBB185_210:
	s_or_b64 exec, exec, s[14:15]
	s_and_saveexec_b64 s[12:13], s[10:11]
	s_cbranch_execnz .LBB185_266
.LBB185_211:
	s_or_b64 exec, exec, s[12:13]
	s_and_saveexec_b64 s[10:11], s[8:9]
	s_cbranch_execnz .LBB185_267
.LBB185_212:
	s_or_b64 exec, exec, s[10:11]
	s_and_saveexec_b64 s[8:9], s[6:7]
	s_cbranch_execnz .LBB185_268
.LBB185_213:
	s_or_b64 exec, exec, s[8:9]
	s_and_saveexec_b64 s[6:7], s[4:5]
	s_cbranch_execnz .LBB185_269
.LBB185_214:
	s_or_b64 exec, exec, s[6:7]
	s_and_saveexec_b64 s[4:5], s[2:3]
	s_cbranch_execz .LBB185_216
.LBB185_215:
	v_sub_u32_e32 v10, v22, v12
	v_lshlrev_b32_e32 v10, 2, v10
	ds_write_b32 v10, v23
.LBB185_216:
	s_or_b64 exec, exec, s[4:5]
	s_and_b64 s[38:39], s[0:1], exec
                                        ; implicit-def: $vgpr22_vgpr23
                                        ; implicit-def: $vgpr26_vgpr27
                                        ; implicit-def: $vgpr28_vgpr29
                                        ; implicit-def: $vgpr50_vgpr51
                                        ; implicit-def: $vgpr48_vgpr49
                                        ; implicit-def: $vgpr46_vgpr47
                                        ; implicit-def: $vgpr44_vgpr45
                                        ; implicit-def: $vgpr42_vgpr43
                                        ; implicit-def: $vgpr40_vgpr41
                                        ; implicit-def: $vgpr38_vgpr39
                                        ; implicit-def: $vgpr36_vgpr37
                                        ; implicit-def: $vgpr34_vgpr35
                                        ; implicit-def: $vgpr32_vgpr33
                                        ; implicit-def: $vgpr30_vgpr31
	s_andn2_saveexec_b64 s[0:1], s[36:37]
	s_cbranch_execz .LBB185_139
.LBB185_217:
	v_sub_u32_e32 v10, v50, v12
	v_lshlrev_b32_e32 v10, 2, v10
	ds_write_b32 v10, v51
	v_sub_u32_e32 v10, v48, v12
	v_lshlrev_b32_e32 v10, 2, v10
	ds_write_b32 v10, v49
	;; [unrolled: 3-line block ×13, first 2 shown]
	v_sub_u32_e32 v10, v22, v12
	v_lshlrev_b32_e32 v10, 2, v10
	s_or_b64 s[38:39], s[38:39], exec
	ds_write_b32 v10, v23
	s_or_b64 exec, exec, s[0:1]
	s_and_b64 exec, exec, s[38:39]
	s_cbranch_execnz .LBB185_140
	s_branch .LBB185_141
.LBB185_218:
	v_sub_u32_e32 v3, v50, v18
	v_readfirstlane_b32 s40, v54
	v_readfirstlane_b32 s41, v55
	s_nop 4
	global_store_byte v3, v8, s[40:41]
	s_or_b64 exec, exec, s[38:39]
	s_and_saveexec_b64 s[38:39], s[26:27]
	s_cbranch_execz .LBB185_152
.LBB185_219:
	v_sub_u32_e32 v3, v48, v18
	v_readfirstlane_b32 s40, v54
	v_readfirstlane_b32 s41, v55
	s_nop 4
	global_store_byte v3, v66, s[40:41]
	s_or_b64 exec, exec, s[38:39]
	s_and_saveexec_b64 s[38:39], s[24:25]
	s_cbranch_execz .LBB185_153
.LBB185_220:
	v_sub_u32_e32 v3, v46, v18
	v_readfirstlane_b32 s40, v54
	v_readfirstlane_b32 s41, v55
	s_nop 4
	global_store_byte v3, v64, s[40:41]
	s_or_b64 exec, exec, s[38:39]
	s_and_saveexec_b64 s[38:39], s[22:23]
	s_cbranch_execz .LBB185_154
.LBB185_221:
	v_sub_u32_e32 v3, v44, v18
	v_readfirstlane_b32 s40, v54
	v_readfirstlane_b32 s41, v55
	s_nop 4
	global_store_byte v3, v63, s[40:41]
	s_or_b64 exec, exec, s[38:39]
	s_and_saveexec_b64 s[38:39], s[20:21]
	s_cbranch_execz .LBB185_155
.LBB185_222:
	v_sub_u32_e32 v3, v42, v18
	v_readfirstlane_b32 s40, v54
	v_readfirstlane_b32 s41, v55
	s_nop 4
	global_store_byte v3, v9, s[40:41]
	s_or_b64 exec, exec, s[38:39]
	s_and_saveexec_b64 s[38:39], s[18:19]
	s_cbranch_execz .LBB185_156
.LBB185_223:
	v_sub_u32_e32 v3, v40, v18
	v_readfirstlane_b32 s40, v54
	v_readfirstlane_b32 s41, v55
	s_nop 4
	global_store_byte v3, v61, s[40:41]
	s_or_b64 exec, exec, s[38:39]
	s_and_saveexec_b64 s[38:39], s[16:17]
	s_cbranch_execz .LBB185_157
.LBB185_224:
	v_sub_u32_e32 v3, v38, v18
	v_readfirstlane_b32 s40, v54
	v_readfirstlane_b32 s41, v55
	s_nop 4
	global_store_byte v3, v60, s[40:41]
	s_or_b64 exec, exec, s[38:39]
	s_and_saveexec_b64 s[38:39], s[14:15]
	s_cbranch_execz .LBB185_158
.LBB185_225:
	v_sub_u32_e32 v3, v36, v18
	v_readfirstlane_b32 s40, v54
	v_readfirstlane_b32 s41, v55
	s_nop 4
	global_store_byte v3, v59, s[40:41]
	s_or_b64 exec, exec, s[38:39]
	s_and_saveexec_b64 s[38:39], s[12:13]
	s_cbranch_execz .LBB185_159
.LBB185_226:
	v_sub_u32_e32 v3, v34, v18
	v_readfirstlane_b32 s40, v54
	v_readfirstlane_b32 s41, v55
	s_nop 4
	global_store_byte v3, v10, s[40:41]
	s_or_b64 exec, exec, s[38:39]
	s_and_saveexec_b64 s[38:39], s[10:11]
	s_cbranch_execz .LBB185_160
.LBB185_227:
	v_sub_u32_e32 v3, v32, v18
	v_readfirstlane_b32 s40, v54
	v_readfirstlane_b32 s41, v55
	s_nop 4
	global_store_byte v3, v58, s[40:41]
	s_or_b64 exec, exec, s[38:39]
	s_and_saveexec_b64 s[38:39], s[8:9]
	s_cbranch_execz .LBB185_161
.LBB185_228:
	v_sub_u32_e32 v3, v30, v18
	v_readfirstlane_b32 s40, v54
	v_readfirstlane_b32 s41, v55
	s_nop 4
	global_store_byte v3, v57, s[40:41]
	s_or_b64 exec, exec, s[38:39]
	s_and_saveexec_b64 s[38:39], s[6:7]
	s_cbranch_execz .LBB185_162
.LBB185_229:
	v_sub_u32_e32 v3, v28, v18
	v_readfirstlane_b32 s40, v54
	v_readfirstlane_b32 s41, v55
	s_nop 4
	global_store_byte v3, v56, s[40:41]
	s_or_b64 exec, exec, s[38:39]
	s_and_saveexec_b64 s[38:39], s[4:5]
	s_cbranch_execz .LBB185_163
.LBB185_230:
	v_sub_u32_e32 v3, v26, v18
	v_readfirstlane_b32 s40, v54
	v_readfirstlane_b32 s41, v55
	s_nop 4
	global_store_byte v3, v21, s[40:41]
	s_or_b64 exec, exec, s[38:39]
	s_and_saveexec_b64 s[38:39], s[2:3]
	s_cbranch_execnz .LBB185_164
	s_branch .LBB185_165
.LBB185_231:
	v_sub_u32_e32 v2, v50, v18
	ds_write_b8 v2, v8
	s_or_b64 exec, exec, s[38:39]
	s_and_saveexec_b64 s[28:29], s[26:27]
	s_cbranch_execz .LBB185_169
.LBB185_232:
	v_sub_u32_e32 v2, v48, v18
	ds_write_b8 v2, v66
	s_or_b64 exec, exec, s[28:29]
	s_and_saveexec_b64 s[26:27], s[24:25]
	s_cbranch_execz .LBB185_170
.LBB185_233:
	v_sub_u32_e32 v2, v46, v18
	ds_write_b8 v2, v64
	s_or_b64 exec, exec, s[26:27]
	s_and_saveexec_b64 s[24:25], s[22:23]
	s_cbranch_execz .LBB185_171
.LBB185_234:
	v_sub_u32_e32 v2, v44, v18
	ds_write_b8 v2, v63
	s_or_b64 exec, exec, s[24:25]
	s_and_saveexec_b64 s[22:23], s[20:21]
	s_cbranch_execz .LBB185_172
.LBB185_235:
	v_sub_u32_e32 v2, v42, v18
	ds_write_b8 v2, v9
	s_or_b64 exec, exec, s[22:23]
	s_and_saveexec_b64 s[20:21], s[18:19]
	s_cbranch_execz .LBB185_173
.LBB185_236:
	v_sub_u32_e32 v2, v40, v18
	ds_write_b8 v2, v61
	s_or_b64 exec, exec, s[20:21]
	s_and_saveexec_b64 s[18:19], s[16:17]
	s_cbranch_execz .LBB185_174
.LBB185_237:
	v_sub_u32_e32 v2, v38, v18
	ds_write_b8 v2, v60
	s_or_b64 exec, exec, s[18:19]
	s_and_saveexec_b64 s[16:17], s[14:15]
	s_cbranch_execz .LBB185_175
.LBB185_238:
	v_sub_u32_e32 v2, v36, v18
	ds_write_b8 v2, v59
	s_or_b64 exec, exec, s[16:17]
	s_and_saveexec_b64 s[14:15], s[12:13]
	s_cbranch_execz .LBB185_176
.LBB185_239:
	v_sub_u32_e32 v2, v34, v18
	ds_write_b8 v2, v10
	s_or_b64 exec, exec, s[14:15]
	s_and_saveexec_b64 s[12:13], s[10:11]
	s_cbranch_execz .LBB185_177
.LBB185_240:
	v_sub_u32_e32 v2, v32, v18
	ds_write_b8 v2, v58
	s_or_b64 exec, exec, s[12:13]
	s_and_saveexec_b64 s[10:11], s[8:9]
	s_cbranch_execz .LBB185_178
.LBB185_241:
	v_sub_u32_e32 v2, v30, v18
	ds_write_b8 v2, v57
	s_or_b64 exec, exec, s[10:11]
	s_and_saveexec_b64 s[8:9], s[6:7]
	s_cbranch_execz .LBB185_179
.LBB185_242:
	v_sub_u32_e32 v2, v28, v18
	ds_write_b8 v2, v56
	s_or_b64 exec, exec, s[8:9]
	s_and_saveexec_b64 s[6:7], s[4:5]
	s_cbranch_execz .LBB185_180
.LBB185_243:
	v_sub_u32_e32 v2, v26, v18
	ds_write_b8 v2, v21
	s_or_b64 exec, exec, s[6:7]
	s_and_saveexec_b64 s[4:5], s[2:3]
	s_cbranch_execnz .LBB185_181
	s_branch .LBB185_182
.LBB185_244:
	v_sub_u32_e32 v14, v50, v12
	v_mov_b32_e32 v15, 0
	v_lshl_add_u64 v[54:55], v[14:15], 3, v[10:11]
	v_mov_b32_e32 v14, v51
	global_store_dwordx2 v[54:55], v[14:15], off
	s_or_b64 exec, exec, s[38:39]
	s_and_saveexec_b64 s[38:39], s[26:27]
	s_cbranch_execz .LBB185_186
.LBB185_245:
	v_sub_u32_e32 v14, v48, v12
	v_mov_b32_e32 v15, 0
	v_lshl_add_u64 v[54:55], v[14:15], 3, v[10:11]
	v_mov_b32_e32 v14, v49
	global_store_dwordx2 v[54:55], v[14:15], off
	s_or_b64 exec, exec, s[38:39]
	s_and_saveexec_b64 s[38:39], s[24:25]
	s_cbranch_execz .LBB185_187
.LBB185_246:
	v_sub_u32_e32 v14, v46, v12
	v_mov_b32_e32 v15, 0
	v_lshl_add_u64 v[54:55], v[14:15], 3, v[10:11]
	v_mov_b32_e32 v14, v47
	global_store_dwordx2 v[54:55], v[14:15], off
	s_or_b64 exec, exec, s[38:39]
	s_and_saveexec_b64 s[38:39], s[22:23]
	s_cbranch_execz .LBB185_188
.LBB185_247:
	v_sub_u32_e32 v14, v44, v12
	v_mov_b32_e32 v15, 0
	v_lshl_add_u64 v[54:55], v[14:15], 3, v[10:11]
	v_mov_b32_e32 v14, v45
	global_store_dwordx2 v[54:55], v[14:15], off
	s_or_b64 exec, exec, s[38:39]
	s_and_saveexec_b64 s[38:39], s[20:21]
	s_cbranch_execz .LBB185_189
.LBB185_248:
	v_sub_u32_e32 v14, v42, v12
	v_mov_b32_e32 v15, 0
	v_lshl_add_u64 v[54:55], v[14:15], 3, v[10:11]
	v_mov_b32_e32 v14, v43
	global_store_dwordx2 v[54:55], v[14:15], off
	s_or_b64 exec, exec, s[38:39]
	s_and_saveexec_b64 s[38:39], s[18:19]
	s_cbranch_execz .LBB185_190
.LBB185_249:
	v_sub_u32_e32 v14, v40, v12
	v_mov_b32_e32 v15, 0
	v_lshl_add_u64 v[54:55], v[14:15], 3, v[10:11]
	v_mov_b32_e32 v14, v41
	global_store_dwordx2 v[54:55], v[14:15], off
	s_or_b64 exec, exec, s[38:39]
	s_and_saveexec_b64 s[38:39], s[16:17]
	s_cbranch_execz .LBB185_191
.LBB185_250:
	v_sub_u32_e32 v14, v38, v12
	v_mov_b32_e32 v15, 0
	v_lshl_add_u64 v[54:55], v[14:15], 3, v[10:11]
	v_mov_b32_e32 v14, v39
	global_store_dwordx2 v[54:55], v[14:15], off
	s_or_b64 exec, exec, s[38:39]
	s_and_saveexec_b64 s[38:39], s[14:15]
	s_cbranch_execz .LBB185_192
.LBB185_251:
	v_sub_u32_e32 v14, v36, v12
	v_mov_b32_e32 v15, 0
	v_lshl_add_u64 v[54:55], v[14:15], 3, v[10:11]
	v_mov_b32_e32 v14, v37
	global_store_dwordx2 v[54:55], v[14:15], off
	s_or_b64 exec, exec, s[38:39]
	s_and_saveexec_b64 s[38:39], s[12:13]
	s_cbranch_execz .LBB185_193
.LBB185_252:
	v_sub_u32_e32 v14, v34, v12
	v_mov_b32_e32 v15, 0
	v_lshl_add_u64 v[54:55], v[14:15], 3, v[10:11]
	v_mov_b32_e32 v14, v35
	global_store_dwordx2 v[54:55], v[14:15], off
	s_or_b64 exec, exec, s[38:39]
	s_and_saveexec_b64 s[38:39], s[10:11]
	s_cbranch_execz .LBB185_194
.LBB185_253:
	v_sub_u32_e32 v14, v32, v12
	v_mov_b32_e32 v15, 0
	v_lshl_add_u64 v[54:55], v[14:15], 3, v[10:11]
	v_mov_b32_e32 v14, v33
	global_store_dwordx2 v[54:55], v[14:15], off
	s_or_b64 exec, exec, s[38:39]
	s_and_saveexec_b64 s[38:39], s[8:9]
	s_cbranch_execz .LBB185_195
.LBB185_254:
	v_sub_u32_e32 v14, v30, v12
	v_mov_b32_e32 v15, 0
	v_lshl_add_u64 v[54:55], v[14:15], 3, v[10:11]
	v_mov_b32_e32 v14, v31
	global_store_dwordx2 v[54:55], v[14:15], off
	s_or_b64 exec, exec, s[38:39]
	s_and_saveexec_b64 s[38:39], s[6:7]
	s_cbranch_execz .LBB185_196
.LBB185_255:
	v_sub_u32_e32 v14, v28, v12
	v_mov_b32_e32 v15, 0
	v_lshl_add_u64 v[54:55], v[14:15], 3, v[10:11]
	v_mov_b32_e32 v14, v29
	global_store_dwordx2 v[54:55], v[14:15], off
	s_or_b64 exec, exec, s[38:39]
	s_and_saveexec_b64 s[38:39], s[4:5]
	s_cbranch_execz .LBB185_197
.LBB185_256:
	v_sub_u32_e32 v14, v26, v12
	v_mov_b32_e32 v15, 0
	v_lshl_add_u64 v[54:55], v[14:15], 3, v[10:11]
	v_mov_b32_e32 v14, v27
	global_store_dwordx2 v[54:55], v[14:15], off
	s_or_b64 exec, exec, s[38:39]
	s_and_saveexec_b64 s[38:39], s[2:3]
	s_cbranch_execnz .LBB185_198
	s_branch .LBB185_199
.LBB185_257:
	v_sub_u32_e32 v10, v50, v12
	v_lshlrev_b32_e32 v10, 2, v10
	ds_write_b32 v10, v51
	s_or_b64 exec, exec, s[38:39]
	s_and_saveexec_b64 s[28:29], s[26:27]
	s_cbranch_execz .LBB185_203
.LBB185_258:
	v_sub_u32_e32 v10, v48, v12
	v_lshlrev_b32_e32 v10, 2, v10
	ds_write_b32 v10, v49
	s_or_b64 exec, exec, s[28:29]
	s_and_saveexec_b64 s[26:27], s[24:25]
	s_cbranch_execz .LBB185_204
.LBB185_259:
	v_sub_u32_e32 v10, v46, v12
	v_lshlrev_b32_e32 v10, 2, v10
	ds_write_b32 v10, v47
	s_or_b64 exec, exec, s[26:27]
	s_and_saveexec_b64 s[24:25], s[22:23]
	s_cbranch_execz .LBB185_205
.LBB185_260:
	v_sub_u32_e32 v10, v44, v12
	v_lshlrev_b32_e32 v10, 2, v10
	ds_write_b32 v10, v45
	s_or_b64 exec, exec, s[24:25]
	s_and_saveexec_b64 s[22:23], s[20:21]
	s_cbranch_execz .LBB185_206
.LBB185_261:
	v_sub_u32_e32 v10, v42, v12
	v_lshlrev_b32_e32 v10, 2, v10
	ds_write_b32 v10, v43
	s_or_b64 exec, exec, s[22:23]
	s_and_saveexec_b64 s[20:21], s[18:19]
	s_cbranch_execz .LBB185_207
.LBB185_262:
	v_sub_u32_e32 v10, v40, v12
	v_lshlrev_b32_e32 v10, 2, v10
	ds_write_b32 v10, v41
	s_or_b64 exec, exec, s[20:21]
	s_and_saveexec_b64 s[18:19], s[16:17]
	s_cbranch_execz .LBB185_208
.LBB185_263:
	v_sub_u32_e32 v10, v38, v12
	v_lshlrev_b32_e32 v10, 2, v10
	ds_write_b32 v10, v39
	s_or_b64 exec, exec, s[18:19]
	s_and_saveexec_b64 s[16:17], s[14:15]
	s_cbranch_execz .LBB185_209
.LBB185_264:
	v_sub_u32_e32 v10, v36, v12
	v_lshlrev_b32_e32 v10, 2, v10
	ds_write_b32 v10, v37
	s_or_b64 exec, exec, s[16:17]
	s_and_saveexec_b64 s[14:15], s[12:13]
	s_cbranch_execz .LBB185_210
.LBB185_265:
	v_sub_u32_e32 v10, v34, v12
	v_lshlrev_b32_e32 v10, 2, v10
	ds_write_b32 v10, v35
	s_or_b64 exec, exec, s[14:15]
	s_and_saveexec_b64 s[12:13], s[10:11]
	s_cbranch_execz .LBB185_211
.LBB185_266:
	v_sub_u32_e32 v10, v32, v12
	v_lshlrev_b32_e32 v10, 2, v10
	ds_write_b32 v10, v33
	s_or_b64 exec, exec, s[12:13]
	s_and_saveexec_b64 s[10:11], s[8:9]
	s_cbranch_execz .LBB185_212
.LBB185_267:
	v_sub_u32_e32 v10, v30, v12
	v_lshlrev_b32_e32 v10, 2, v10
	ds_write_b32 v10, v31
	s_or_b64 exec, exec, s[10:11]
	s_and_saveexec_b64 s[8:9], s[6:7]
	s_cbranch_execz .LBB185_213
.LBB185_268:
	v_sub_u32_e32 v10, v28, v12
	v_lshlrev_b32_e32 v10, 2, v10
	ds_write_b32 v10, v29
	s_or_b64 exec, exec, s[8:9]
	s_and_saveexec_b64 s[6:7], s[4:5]
	s_cbranch_execz .LBB185_214
.LBB185_269:
	v_sub_u32_e32 v10, v26, v12
	v_lshlrev_b32_e32 v10, 2, v10
	ds_write_b32 v10, v27
	s_or_b64 exec, exec, s[6:7]
	s_and_saveexec_b64 s[4:5], s[2:3]
	s_cbranch_execnz .LBB185_215
	s_branch .LBB185_216
	.section	.rodata,"a",@progbits
	.p2align	6, 0x0
	.amdhsa_kernel _ZN7rocprim17ROCPRIM_400000_NS6detail17trampoline_kernelINS0_14default_configENS1_33run_length_encode_config_selectorIhjNS0_4plusIjEEEEZZNS1_33reduce_by_key_impl_wrapped_configILNS1_25lookback_scan_determinismE0ES3_S7_PKhNS0_17constant_iteratorIjlEEPhPlSF_S6_NS0_8equal_toIhEEEE10hipError_tPvRmT2_T3_mT4_T5_T6_T7_T8_P12ihipStream_tbENKUlT_T0_E_clISt17integral_constantIbLb1EESY_IbLb0EEEEDaSU_SV_EUlSU_E_NS1_11comp_targetILNS1_3genE5ELNS1_11target_archE942ELNS1_3gpuE9ELNS1_3repE0EEENS1_30default_config_static_selectorELNS0_4arch9wavefront6targetE1EEEvT1_
		.amdhsa_group_segment_fixed_size 30720
		.amdhsa_private_segment_fixed_size 0
		.amdhsa_kernarg_size 128
		.amdhsa_user_sgpr_count 2
		.amdhsa_user_sgpr_dispatch_ptr 0
		.amdhsa_user_sgpr_queue_ptr 0
		.amdhsa_user_sgpr_kernarg_segment_ptr 1
		.amdhsa_user_sgpr_dispatch_id 0
		.amdhsa_user_sgpr_kernarg_preload_length 0
		.amdhsa_user_sgpr_kernarg_preload_offset 0
		.amdhsa_user_sgpr_private_segment_size 0
		.amdhsa_uses_dynamic_stack 0
		.amdhsa_enable_private_segment 0
		.amdhsa_system_sgpr_workgroup_id_x 1
		.amdhsa_system_sgpr_workgroup_id_y 0
		.amdhsa_system_sgpr_workgroup_id_z 0
		.amdhsa_system_sgpr_workgroup_info 0
		.amdhsa_system_vgpr_workitem_id 0
		.amdhsa_next_free_vgpr 110
		.amdhsa_next_free_sgpr 64
		.amdhsa_accum_offset 112
		.amdhsa_reserve_vcc 1
		.amdhsa_float_round_mode_32 0
		.amdhsa_float_round_mode_16_64 0
		.amdhsa_float_denorm_mode_32 3
		.amdhsa_float_denorm_mode_16_64 3
		.amdhsa_dx10_clamp 1
		.amdhsa_ieee_mode 1
		.amdhsa_fp16_overflow 0
		.amdhsa_tg_split 0
		.amdhsa_exception_fp_ieee_invalid_op 0
		.amdhsa_exception_fp_denorm_src 0
		.amdhsa_exception_fp_ieee_div_zero 0
		.amdhsa_exception_fp_ieee_overflow 0
		.amdhsa_exception_fp_ieee_underflow 0
		.amdhsa_exception_fp_ieee_inexact 0
		.amdhsa_exception_int_div_zero 0
	.end_amdhsa_kernel
	.section	.text._ZN7rocprim17ROCPRIM_400000_NS6detail17trampoline_kernelINS0_14default_configENS1_33run_length_encode_config_selectorIhjNS0_4plusIjEEEEZZNS1_33reduce_by_key_impl_wrapped_configILNS1_25lookback_scan_determinismE0ES3_S7_PKhNS0_17constant_iteratorIjlEEPhPlSF_S6_NS0_8equal_toIhEEEE10hipError_tPvRmT2_T3_mT4_T5_T6_T7_T8_P12ihipStream_tbENKUlT_T0_E_clISt17integral_constantIbLb1EESY_IbLb0EEEEDaSU_SV_EUlSU_E_NS1_11comp_targetILNS1_3genE5ELNS1_11target_archE942ELNS1_3gpuE9ELNS1_3repE0EEENS1_30default_config_static_selectorELNS0_4arch9wavefront6targetE1EEEvT1_,"axG",@progbits,_ZN7rocprim17ROCPRIM_400000_NS6detail17trampoline_kernelINS0_14default_configENS1_33run_length_encode_config_selectorIhjNS0_4plusIjEEEEZZNS1_33reduce_by_key_impl_wrapped_configILNS1_25lookback_scan_determinismE0ES3_S7_PKhNS0_17constant_iteratorIjlEEPhPlSF_S6_NS0_8equal_toIhEEEE10hipError_tPvRmT2_T3_mT4_T5_T6_T7_T8_P12ihipStream_tbENKUlT_T0_E_clISt17integral_constantIbLb1EESY_IbLb0EEEEDaSU_SV_EUlSU_E_NS1_11comp_targetILNS1_3genE5ELNS1_11target_archE942ELNS1_3gpuE9ELNS1_3repE0EEENS1_30default_config_static_selectorELNS0_4arch9wavefront6targetE1EEEvT1_,comdat
.Lfunc_end185:
	.size	_ZN7rocprim17ROCPRIM_400000_NS6detail17trampoline_kernelINS0_14default_configENS1_33run_length_encode_config_selectorIhjNS0_4plusIjEEEEZZNS1_33reduce_by_key_impl_wrapped_configILNS1_25lookback_scan_determinismE0ES3_S7_PKhNS0_17constant_iteratorIjlEEPhPlSF_S6_NS0_8equal_toIhEEEE10hipError_tPvRmT2_T3_mT4_T5_T6_T7_T8_P12ihipStream_tbENKUlT_T0_E_clISt17integral_constantIbLb1EESY_IbLb0EEEEDaSU_SV_EUlSU_E_NS1_11comp_targetILNS1_3genE5ELNS1_11target_archE942ELNS1_3gpuE9ELNS1_3repE0EEENS1_30default_config_static_selectorELNS0_4arch9wavefront6targetE1EEEvT1_, .Lfunc_end185-_ZN7rocprim17ROCPRIM_400000_NS6detail17trampoline_kernelINS0_14default_configENS1_33run_length_encode_config_selectorIhjNS0_4plusIjEEEEZZNS1_33reduce_by_key_impl_wrapped_configILNS1_25lookback_scan_determinismE0ES3_S7_PKhNS0_17constant_iteratorIjlEEPhPlSF_S6_NS0_8equal_toIhEEEE10hipError_tPvRmT2_T3_mT4_T5_T6_T7_T8_P12ihipStream_tbENKUlT_T0_E_clISt17integral_constantIbLb1EESY_IbLb0EEEEDaSU_SV_EUlSU_E_NS1_11comp_targetILNS1_3genE5ELNS1_11target_archE942ELNS1_3gpuE9ELNS1_3repE0EEENS1_30default_config_static_selectorELNS0_4arch9wavefront6targetE1EEEvT1_
                                        ; -- End function
	.section	.AMDGPU.csdata,"",@progbits
; Kernel info:
; codeLenInByte = 14712
; NumSgprs: 70
; NumVgprs: 110
; NumAgprs: 0
; TotalNumVgprs: 110
; ScratchSize: 0
; MemoryBound: 0
; FloatMode: 240
; IeeeMode: 1
; LDSByteSize: 30720 bytes/workgroup (compile time only)
; SGPRBlocks: 8
; VGPRBlocks: 13
; NumSGPRsForWavesPerEU: 70
; NumVGPRsForWavesPerEU: 110
; AccumOffset: 112
; Occupancy: 4
; WaveLimiterHint : 1
; COMPUTE_PGM_RSRC2:SCRATCH_EN: 0
; COMPUTE_PGM_RSRC2:USER_SGPR: 2
; COMPUTE_PGM_RSRC2:TRAP_HANDLER: 0
; COMPUTE_PGM_RSRC2:TGID_X_EN: 1
; COMPUTE_PGM_RSRC2:TGID_Y_EN: 0
; COMPUTE_PGM_RSRC2:TGID_Z_EN: 0
; COMPUTE_PGM_RSRC2:TIDIG_COMP_CNT: 0
; COMPUTE_PGM_RSRC3_GFX90A:ACCUM_OFFSET: 27
; COMPUTE_PGM_RSRC3_GFX90A:TG_SPLIT: 0
	.section	.text._ZN7rocprim17ROCPRIM_400000_NS6detail17trampoline_kernelINS0_14default_configENS1_33run_length_encode_config_selectorIhjNS0_4plusIjEEEEZZNS1_33reduce_by_key_impl_wrapped_configILNS1_25lookback_scan_determinismE0ES3_S7_PKhNS0_17constant_iteratorIjlEEPhPlSF_S6_NS0_8equal_toIhEEEE10hipError_tPvRmT2_T3_mT4_T5_T6_T7_T8_P12ihipStream_tbENKUlT_T0_E_clISt17integral_constantIbLb1EESY_IbLb0EEEEDaSU_SV_EUlSU_E_NS1_11comp_targetILNS1_3genE4ELNS1_11target_archE910ELNS1_3gpuE8ELNS1_3repE0EEENS1_30default_config_static_selectorELNS0_4arch9wavefront6targetE1EEEvT1_,"axG",@progbits,_ZN7rocprim17ROCPRIM_400000_NS6detail17trampoline_kernelINS0_14default_configENS1_33run_length_encode_config_selectorIhjNS0_4plusIjEEEEZZNS1_33reduce_by_key_impl_wrapped_configILNS1_25lookback_scan_determinismE0ES3_S7_PKhNS0_17constant_iteratorIjlEEPhPlSF_S6_NS0_8equal_toIhEEEE10hipError_tPvRmT2_T3_mT4_T5_T6_T7_T8_P12ihipStream_tbENKUlT_T0_E_clISt17integral_constantIbLb1EESY_IbLb0EEEEDaSU_SV_EUlSU_E_NS1_11comp_targetILNS1_3genE4ELNS1_11target_archE910ELNS1_3gpuE8ELNS1_3repE0EEENS1_30default_config_static_selectorELNS0_4arch9wavefront6targetE1EEEvT1_,comdat
	.protected	_ZN7rocprim17ROCPRIM_400000_NS6detail17trampoline_kernelINS0_14default_configENS1_33run_length_encode_config_selectorIhjNS0_4plusIjEEEEZZNS1_33reduce_by_key_impl_wrapped_configILNS1_25lookback_scan_determinismE0ES3_S7_PKhNS0_17constant_iteratorIjlEEPhPlSF_S6_NS0_8equal_toIhEEEE10hipError_tPvRmT2_T3_mT4_T5_T6_T7_T8_P12ihipStream_tbENKUlT_T0_E_clISt17integral_constantIbLb1EESY_IbLb0EEEEDaSU_SV_EUlSU_E_NS1_11comp_targetILNS1_3genE4ELNS1_11target_archE910ELNS1_3gpuE8ELNS1_3repE0EEENS1_30default_config_static_selectorELNS0_4arch9wavefront6targetE1EEEvT1_ ; -- Begin function _ZN7rocprim17ROCPRIM_400000_NS6detail17trampoline_kernelINS0_14default_configENS1_33run_length_encode_config_selectorIhjNS0_4plusIjEEEEZZNS1_33reduce_by_key_impl_wrapped_configILNS1_25lookback_scan_determinismE0ES3_S7_PKhNS0_17constant_iteratorIjlEEPhPlSF_S6_NS0_8equal_toIhEEEE10hipError_tPvRmT2_T3_mT4_T5_T6_T7_T8_P12ihipStream_tbENKUlT_T0_E_clISt17integral_constantIbLb1EESY_IbLb0EEEEDaSU_SV_EUlSU_E_NS1_11comp_targetILNS1_3genE4ELNS1_11target_archE910ELNS1_3gpuE8ELNS1_3repE0EEENS1_30default_config_static_selectorELNS0_4arch9wavefront6targetE1EEEvT1_
	.globl	_ZN7rocprim17ROCPRIM_400000_NS6detail17trampoline_kernelINS0_14default_configENS1_33run_length_encode_config_selectorIhjNS0_4plusIjEEEEZZNS1_33reduce_by_key_impl_wrapped_configILNS1_25lookback_scan_determinismE0ES3_S7_PKhNS0_17constant_iteratorIjlEEPhPlSF_S6_NS0_8equal_toIhEEEE10hipError_tPvRmT2_T3_mT4_T5_T6_T7_T8_P12ihipStream_tbENKUlT_T0_E_clISt17integral_constantIbLb1EESY_IbLb0EEEEDaSU_SV_EUlSU_E_NS1_11comp_targetILNS1_3genE4ELNS1_11target_archE910ELNS1_3gpuE8ELNS1_3repE0EEENS1_30default_config_static_selectorELNS0_4arch9wavefront6targetE1EEEvT1_
	.p2align	8
	.type	_ZN7rocprim17ROCPRIM_400000_NS6detail17trampoline_kernelINS0_14default_configENS1_33run_length_encode_config_selectorIhjNS0_4plusIjEEEEZZNS1_33reduce_by_key_impl_wrapped_configILNS1_25lookback_scan_determinismE0ES3_S7_PKhNS0_17constant_iteratorIjlEEPhPlSF_S6_NS0_8equal_toIhEEEE10hipError_tPvRmT2_T3_mT4_T5_T6_T7_T8_P12ihipStream_tbENKUlT_T0_E_clISt17integral_constantIbLb1EESY_IbLb0EEEEDaSU_SV_EUlSU_E_NS1_11comp_targetILNS1_3genE4ELNS1_11target_archE910ELNS1_3gpuE8ELNS1_3repE0EEENS1_30default_config_static_selectorELNS0_4arch9wavefront6targetE1EEEvT1_,@function
_ZN7rocprim17ROCPRIM_400000_NS6detail17trampoline_kernelINS0_14default_configENS1_33run_length_encode_config_selectorIhjNS0_4plusIjEEEEZZNS1_33reduce_by_key_impl_wrapped_configILNS1_25lookback_scan_determinismE0ES3_S7_PKhNS0_17constant_iteratorIjlEEPhPlSF_S6_NS0_8equal_toIhEEEE10hipError_tPvRmT2_T3_mT4_T5_T6_T7_T8_P12ihipStream_tbENKUlT_T0_E_clISt17integral_constantIbLb1EESY_IbLb0EEEEDaSU_SV_EUlSU_E_NS1_11comp_targetILNS1_3genE4ELNS1_11target_archE910ELNS1_3gpuE8ELNS1_3repE0EEENS1_30default_config_static_selectorELNS0_4arch9wavefront6targetE1EEEvT1_: ; @_ZN7rocprim17ROCPRIM_400000_NS6detail17trampoline_kernelINS0_14default_configENS1_33run_length_encode_config_selectorIhjNS0_4plusIjEEEEZZNS1_33reduce_by_key_impl_wrapped_configILNS1_25lookback_scan_determinismE0ES3_S7_PKhNS0_17constant_iteratorIjlEEPhPlSF_S6_NS0_8equal_toIhEEEE10hipError_tPvRmT2_T3_mT4_T5_T6_T7_T8_P12ihipStream_tbENKUlT_T0_E_clISt17integral_constantIbLb1EESY_IbLb0EEEEDaSU_SV_EUlSU_E_NS1_11comp_targetILNS1_3genE4ELNS1_11target_archE910ELNS1_3gpuE8ELNS1_3repE0EEENS1_30default_config_static_selectorELNS0_4arch9wavefront6targetE1EEEvT1_
; %bb.0:
	.section	.rodata,"a",@progbits
	.p2align	6, 0x0
	.amdhsa_kernel _ZN7rocprim17ROCPRIM_400000_NS6detail17trampoline_kernelINS0_14default_configENS1_33run_length_encode_config_selectorIhjNS0_4plusIjEEEEZZNS1_33reduce_by_key_impl_wrapped_configILNS1_25lookback_scan_determinismE0ES3_S7_PKhNS0_17constant_iteratorIjlEEPhPlSF_S6_NS0_8equal_toIhEEEE10hipError_tPvRmT2_T3_mT4_T5_T6_T7_T8_P12ihipStream_tbENKUlT_T0_E_clISt17integral_constantIbLb1EESY_IbLb0EEEEDaSU_SV_EUlSU_E_NS1_11comp_targetILNS1_3genE4ELNS1_11target_archE910ELNS1_3gpuE8ELNS1_3repE0EEENS1_30default_config_static_selectorELNS0_4arch9wavefront6targetE1EEEvT1_
		.amdhsa_group_segment_fixed_size 0
		.amdhsa_private_segment_fixed_size 0
		.amdhsa_kernarg_size 128
		.amdhsa_user_sgpr_count 2
		.amdhsa_user_sgpr_dispatch_ptr 0
		.amdhsa_user_sgpr_queue_ptr 0
		.amdhsa_user_sgpr_kernarg_segment_ptr 1
		.amdhsa_user_sgpr_dispatch_id 0
		.amdhsa_user_sgpr_kernarg_preload_length 0
		.amdhsa_user_sgpr_kernarg_preload_offset 0
		.amdhsa_user_sgpr_private_segment_size 0
		.amdhsa_uses_dynamic_stack 0
		.amdhsa_enable_private_segment 0
		.amdhsa_system_sgpr_workgroup_id_x 1
		.amdhsa_system_sgpr_workgroup_id_y 0
		.amdhsa_system_sgpr_workgroup_id_z 0
		.amdhsa_system_sgpr_workgroup_info 0
		.amdhsa_system_vgpr_workitem_id 0
		.amdhsa_next_free_vgpr 1
		.amdhsa_next_free_sgpr 0
		.amdhsa_accum_offset 4
		.amdhsa_reserve_vcc 0
		.amdhsa_float_round_mode_32 0
		.amdhsa_float_round_mode_16_64 0
		.amdhsa_float_denorm_mode_32 3
		.amdhsa_float_denorm_mode_16_64 3
		.amdhsa_dx10_clamp 1
		.amdhsa_ieee_mode 1
		.amdhsa_fp16_overflow 0
		.amdhsa_tg_split 0
		.amdhsa_exception_fp_ieee_invalid_op 0
		.amdhsa_exception_fp_denorm_src 0
		.amdhsa_exception_fp_ieee_div_zero 0
		.amdhsa_exception_fp_ieee_overflow 0
		.amdhsa_exception_fp_ieee_underflow 0
		.amdhsa_exception_fp_ieee_inexact 0
		.amdhsa_exception_int_div_zero 0
	.end_amdhsa_kernel
	.section	.text._ZN7rocprim17ROCPRIM_400000_NS6detail17trampoline_kernelINS0_14default_configENS1_33run_length_encode_config_selectorIhjNS0_4plusIjEEEEZZNS1_33reduce_by_key_impl_wrapped_configILNS1_25lookback_scan_determinismE0ES3_S7_PKhNS0_17constant_iteratorIjlEEPhPlSF_S6_NS0_8equal_toIhEEEE10hipError_tPvRmT2_T3_mT4_T5_T6_T7_T8_P12ihipStream_tbENKUlT_T0_E_clISt17integral_constantIbLb1EESY_IbLb0EEEEDaSU_SV_EUlSU_E_NS1_11comp_targetILNS1_3genE4ELNS1_11target_archE910ELNS1_3gpuE8ELNS1_3repE0EEENS1_30default_config_static_selectorELNS0_4arch9wavefront6targetE1EEEvT1_,"axG",@progbits,_ZN7rocprim17ROCPRIM_400000_NS6detail17trampoline_kernelINS0_14default_configENS1_33run_length_encode_config_selectorIhjNS0_4plusIjEEEEZZNS1_33reduce_by_key_impl_wrapped_configILNS1_25lookback_scan_determinismE0ES3_S7_PKhNS0_17constant_iteratorIjlEEPhPlSF_S6_NS0_8equal_toIhEEEE10hipError_tPvRmT2_T3_mT4_T5_T6_T7_T8_P12ihipStream_tbENKUlT_T0_E_clISt17integral_constantIbLb1EESY_IbLb0EEEEDaSU_SV_EUlSU_E_NS1_11comp_targetILNS1_3genE4ELNS1_11target_archE910ELNS1_3gpuE8ELNS1_3repE0EEENS1_30default_config_static_selectorELNS0_4arch9wavefront6targetE1EEEvT1_,comdat
.Lfunc_end186:
	.size	_ZN7rocprim17ROCPRIM_400000_NS6detail17trampoline_kernelINS0_14default_configENS1_33run_length_encode_config_selectorIhjNS0_4plusIjEEEEZZNS1_33reduce_by_key_impl_wrapped_configILNS1_25lookback_scan_determinismE0ES3_S7_PKhNS0_17constant_iteratorIjlEEPhPlSF_S6_NS0_8equal_toIhEEEE10hipError_tPvRmT2_T3_mT4_T5_T6_T7_T8_P12ihipStream_tbENKUlT_T0_E_clISt17integral_constantIbLb1EESY_IbLb0EEEEDaSU_SV_EUlSU_E_NS1_11comp_targetILNS1_3genE4ELNS1_11target_archE910ELNS1_3gpuE8ELNS1_3repE0EEENS1_30default_config_static_selectorELNS0_4arch9wavefront6targetE1EEEvT1_, .Lfunc_end186-_ZN7rocprim17ROCPRIM_400000_NS6detail17trampoline_kernelINS0_14default_configENS1_33run_length_encode_config_selectorIhjNS0_4plusIjEEEEZZNS1_33reduce_by_key_impl_wrapped_configILNS1_25lookback_scan_determinismE0ES3_S7_PKhNS0_17constant_iteratorIjlEEPhPlSF_S6_NS0_8equal_toIhEEEE10hipError_tPvRmT2_T3_mT4_T5_T6_T7_T8_P12ihipStream_tbENKUlT_T0_E_clISt17integral_constantIbLb1EESY_IbLb0EEEEDaSU_SV_EUlSU_E_NS1_11comp_targetILNS1_3genE4ELNS1_11target_archE910ELNS1_3gpuE8ELNS1_3repE0EEENS1_30default_config_static_selectorELNS0_4arch9wavefront6targetE1EEEvT1_
                                        ; -- End function
	.section	.AMDGPU.csdata,"",@progbits
; Kernel info:
; codeLenInByte = 0
; NumSgprs: 6
; NumVgprs: 0
; NumAgprs: 0
; TotalNumVgprs: 0
; ScratchSize: 0
; MemoryBound: 0
; FloatMode: 240
; IeeeMode: 1
; LDSByteSize: 0 bytes/workgroup (compile time only)
; SGPRBlocks: 0
; VGPRBlocks: 0
; NumSGPRsForWavesPerEU: 6
; NumVGPRsForWavesPerEU: 1
; AccumOffset: 4
; Occupancy: 8
; WaveLimiterHint : 0
; COMPUTE_PGM_RSRC2:SCRATCH_EN: 0
; COMPUTE_PGM_RSRC2:USER_SGPR: 2
; COMPUTE_PGM_RSRC2:TRAP_HANDLER: 0
; COMPUTE_PGM_RSRC2:TGID_X_EN: 1
; COMPUTE_PGM_RSRC2:TGID_Y_EN: 0
; COMPUTE_PGM_RSRC2:TGID_Z_EN: 0
; COMPUTE_PGM_RSRC2:TIDIG_COMP_CNT: 0
; COMPUTE_PGM_RSRC3_GFX90A:ACCUM_OFFSET: 0
; COMPUTE_PGM_RSRC3_GFX90A:TG_SPLIT: 0
	.section	.text._ZN7rocprim17ROCPRIM_400000_NS6detail17trampoline_kernelINS0_14default_configENS1_33run_length_encode_config_selectorIhjNS0_4plusIjEEEEZZNS1_33reduce_by_key_impl_wrapped_configILNS1_25lookback_scan_determinismE0ES3_S7_PKhNS0_17constant_iteratorIjlEEPhPlSF_S6_NS0_8equal_toIhEEEE10hipError_tPvRmT2_T3_mT4_T5_T6_T7_T8_P12ihipStream_tbENKUlT_T0_E_clISt17integral_constantIbLb1EESY_IbLb0EEEEDaSU_SV_EUlSU_E_NS1_11comp_targetILNS1_3genE3ELNS1_11target_archE908ELNS1_3gpuE7ELNS1_3repE0EEENS1_30default_config_static_selectorELNS0_4arch9wavefront6targetE1EEEvT1_,"axG",@progbits,_ZN7rocprim17ROCPRIM_400000_NS6detail17trampoline_kernelINS0_14default_configENS1_33run_length_encode_config_selectorIhjNS0_4plusIjEEEEZZNS1_33reduce_by_key_impl_wrapped_configILNS1_25lookback_scan_determinismE0ES3_S7_PKhNS0_17constant_iteratorIjlEEPhPlSF_S6_NS0_8equal_toIhEEEE10hipError_tPvRmT2_T3_mT4_T5_T6_T7_T8_P12ihipStream_tbENKUlT_T0_E_clISt17integral_constantIbLb1EESY_IbLb0EEEEDaSU_SV_EUlSU_E_NS1_11comp_targetILNS1_3genE3ELNS1_11target_archE908ELNS1_3gpuE7ELNS1_3repE0EEENS1_30default_config_static_selectorELNS0_4arch9wavefront6targetE1EEEvT1_,comdat
	.protected	_ZN7rocprim17ROCPRIM_400000_NS6detail17trampoline_kernelINS0_14default_configENS1_33run_length_encode_config_selectorIhjNS0_4plusIjEEEEZZNS1_33reduce_by_key_impl_wrapped_configILNS1_25lookback_scan_determinismE0ES3_S7_PKhNS0_17constant_iteratorIjlEEPhPlSF_S6_NS0_8equal_toIhEEEE10hipError_tPvRmT2_T3_mT4_T5_T6_T7_T8_P12ihipStream_tbENKUlT_T0_E_clISt17integral_constantIbLb1EESY_IbLb0EEEEDaSU_SV_EUlSU_E_NS1_11comp_targetILNS1_3genE3ELNS1_11target_archE908ELNS1_3gpuE7ELNS1_3repE0EEENS1_30default_config_static_selectorELNS0_4arch9wavefront6targetE1EEEvT1_ ; -- Begin function _ZN7rocprim17ROCPRIM_400000_NS6detail17trampoline_kernelINS0_14default_configENS1_33run_length_encode_config_selectorIhjNS0_4plusIjEEEEZZNS1_33reduce_by_key_impl_wrapped_configILNS1_25lookback_scan_determinismE0ES3_S7_PKhNS0_17constant_iteratorIjlEEPhPlSF_S6_NS0_8equal_toIhEEEE10hipError_tPvRmT2_T3_mT4_T5_T6_T7_T8_P12ihipStream_tbENKUlT_T0_E_clISt17integral_constantIbLb1EESY_IbLb0EEEEDaSU_SV_EUlSU_E_NS1_11comp_targetILNS1_3genE3ELNS1_11target_archE908ELNS1_3gpuE7ELNS1_3repE0EEENS1_30default_config_static_selectorELNS0_4arch9wavefront6targetE1EEEvT1_
	.globl	_ZN7rocprim17ROCPRIM_400000_NS6detail17trampoline_kernelINS0_14default_configENS1_33run_length_encode_config_selectorIhjNS0_4plusIjEEEEZZNS1_33reduce_by_key_impl_wrapped_configILNS1_25lookback_scan_determinismE0ES3_S7_PKhNS0_17constant_iteratorIjlEEPhPlSF_S6_NS0_8equal_toIhEEEE10hipError_tPvRmT2_T3_mT4_T5_T6_T7_T8_P12ihipStream_tbENKUlT_T0_E_clISt17integral_constantIbLb1EESY_IbLb0EEEEDaSU_SV_EUlSU_E_NS1_11comp_targetILNS1_3genE3ELNS1_11target_archE908ELNS1_3gpuE7ELNS1_3repE0EEENS1_30default_config_static_selectorELNS0_4arch9wavefront6targetE1EEEvT1_
	.p2align	8
	.type	_ZN7rocprim17ROCPRIM_400000_NS6detail17trampoline_kernelINS0_14default_configENS1_33run_length_encode_config_selectorIhjNS0_4plusIjEEEEZZNS1_33reduce_by_key_impl_wrapped_configILNS1_25lookback_scan_determinismE0ES3_S7_PKhNS0_17constant_iteratorIjlEEPhPlSF_S6_NS0_8equal_toIhEEEE10hipError_tPvRmT2_T3_mT4_T5_T6_T7_T8_P12ihipStream_tbENKUlT_T0_E_clISt17integral_constantIbLb1EESY_IbLb0EEEEDaSU_SV_EUlSU_E_NS1_11comp_targetILNS1_3genE3ELNS1_11target_archE908ELNS1_3gpuE7ELNS1_3repE0EEENS1_30default_config_static_selectorELNS0_4arch9wavefront6targetE1EEEvT1_,@function
_ZN7rocprim17ROCPRIM_400000_NS6detail17trampoline_kernelINS0_14default_configENS1_33run_length_encode_config_selectorIhjNS0_4plusIjEEEEZZNS1_33reduce_by_key_impl_wrapped_configILNS1_25lookback_scan_determinismE0ES3_S7_PKhNS0_17constant_iteratorIjlEEPhPlSF_S6_NS0_8equal_toIhEEEE10hipError_tPvRmT2_T3_mT4_T5_T6_T7_T8_P12ihipStream_tbENKUlT_T0_E_clISt17integral_constantIbLb1EESY_IbLb0EEEEDaSU_SV_EUlSU_E_NS1_11comp_targetILNS1_3genE3ELNS1_11target_archE908ELNS1_3gpuE7ELNS1_3repE0EEENS1_30default_config_static_selectorELNS0_4arch9wavefront6targetE1EEEvT1_: ; @_ZN7rocprim17ROCPRIM_400000_NS6detail17trampoline_kernelINS0_14default_configENS1_33run_length_encode_config_selectorIhjNS0_4plusIjEEEEZZNS1_33reduce_by_key_impl_wrapped_configILNS1_25lookback_scan_determinismE0ES3_S7_PKhNS0_17constant_iteratorIjlEEPhPlSF_S6_NS0_8equal_toIhEEEE10hipError_tPvRmT2_T3_mT4_T5_T6_T7_T8_P12ihipStream_tbENKUlT_T0_E_clISt17integral_constantIbLb1EESY_IbLb0EEEEDaSU_SV_EUlSU_E_NS1_11comp_targetILNS1_3genE3ELNS1_11target_archE908ELNS1_3gpuE7ELNS1_3repE0EEENS1_30default_config_static_selectorELNS0_4arch9wavefront6targetE1EEEvT1_
; %bb.0:
	.section	.rodata,"a",@progbits
	.p2align	6, 0x0
	.amdhsa_kernel _ZN7rocprim17ROCPRIM_400000_NS6detail17trampoline_kernelINS0_14default_configENS1_33run_length_encode_config_selectorIhjNS0_4plusIjEEEEZZNS1_33reduce_by_key_impl_wrapped_configILNS1_25lookback_scan_determinismE0ES3_S7_PKhNS0_17constant_iteratorIjlEEPhPlSF_S6_NS0_8equal_toIhEEEE10hipError_tPvRmT2_T3_mT4_T5_T6_T7_T8_P12ihipStream_tbENKUlT_T0_E_clISt17integral_constantIbLb1EESY_IbLb0EEEEDaSU_SV_EUlSU_E_NS1_11comp_targetILNS1_3genE3ELNS1_11target_archE908ELNS1_3gpuE7ELNS1_3repE0EEENS1_30default_config_static_selectorELNS0_4arch9wavefront6targetE1EEEvT1_
		.amdhsa_group_segment_fixed_size 0
		.amdhsa_private_segment_fixed_size 0
		.amdhsa_kernarg_size 128
		.amdhsa_user_sgpr_count 2
		.amdhsa_user_sgpr_dispatch_ptr 0
		.amdhsa_user_sgpr_queue_ptr 0
		.amdhsa_user_sgpr_kernarg_segment_ptr 1
		.amdhsa_user_sgpr_dispatch_id 0
		.amdhsa_user_sgpr_kernarg_preload_length 0
		.amdhsa_user_sgpr_kernarg_preload_offset 0
		.amdhsa_user_sgpr_private_segment_size 0
		.amdhsa_uses_dynamic_stack 0
		.amdhsa_enable_private_segment 0
		.amdhsa_system_sgpr_workgroup_id_x 1
		.amdhsa_system_sgpr_workgroup_id_y 0
		.amdhsa_system_sgpr_workgroup_id_z 0
		.amdhsa_system_sgpr_workgroup_info 0
		.amdhsa_system_vgpr_workitem_id 0
		.amdhsa_next_free_vgpr 1
		.amdhsa_next_free_sgpr 0
		.amdhsa_accum_offset 4
		.amdhsa_reserve_vcc 0
		.amdhsa_float_round_mode_32 0
		.amdhsa_float_round_mode_16_64 0
		.amdhsa_float_denorm_mode_32 3
		.amdhsa_float_denorm_mode_16_64 3
		.amdhsa_dx10_clamp 1
		.amdhsa_ieee_mode 1
		.amdhsa_fp16_overflow 0
		.amdhsa_tg_split 0
		.amdhsa_exception_fp_ieee_invalid_op 0
		.amdhsa_exception_fp_denorm_src 0
		.amdhsa_exception_fp_ieee_div_zero 0
		.amdhsa_exception_fp_ieee_overflow 0
		.amdhsa_exception_fp_ieee_underflow 0
		.amdhsa_exception_fp_ieee_inexact 0
		.amdhsa_exception_int_div_zero 0
	.end_amdhsa_kernel
	.section	.text._ZN7rocprim17ROCPRIM_400000_NS6detail17trampoline_kernelINS0_14default_configENS1_33run_length_encode_config_selectorIhjNS0_4plusIjEEEEZZNS1_33reduce_by_key_impl_wrapped_configILNS1_25lookback_scan_determinismE0ES3_S7_PKhNS0_17constant_iteratorIjlEEPhPlSF_S6_NS0_8equal_toIhEEEE10hipError_tPvRmT2_T3_mT4_T5_T6_T7_T8_P12ihipStream_tbENKUlT_T0_E_clISt17integral_constantIbLb1EESY_IbLb0EEEEDaSU_SV_EUlSU_E_NS1_11comp_targetILNS1_3genE3ELNS1_11target_archE908ELNS1_3gpuE7ELNS1_3repE0EEENS1_30default_config_static_selectorELNS0_4arch9wavefront6targetE1EEEvT1_,"axG",@progbits,_ZN7rocprim17ROCPRIM_400000_NS6detail17trampoline_kernelINS0_14default_configENS1_33run_length_encode_config_selectorIhjNS0_4plusIjEEEEZZNS1_33reduce_by_key_impl_wrapped_configILNS1_25lookback_scan_determinismE0ES3_S7_PKhNS0_17constant_iteratorIjlEEPhPlSF_S6_NS0_8equal_toIhEEEE10hipError_tPvRmT2_T3_mT4_T5_T6_T7_T8_P12ihipStream_tbENKUlT_T0_E_clISt17integral_constantIbLb1EESY_IbLb0EEEEDaSU_SV_EUlSU_E_NS1_11comp_targetILNS1_3genE3ELNS1_11target_archE908ELNS1_3gpuE7ELNS1_3repE0EEENS1_30default_config_static_selectorELNS0_4arch9wavefront6targetE1EEEvT1_,comdat
.Lfunc_end187:
	.size	_ZN7rocprim17ROCPRIM_400000_NS6detail17trampoline_kernelINS0_14default_configENS1_33run_length_encode_config_selectorIhjNS0_4plusIjEEEEZZNS1_33reduce_by_key_impl_wrapped_configILNS1_25lookback_scan_determinismE0ES3_S7_PKhNS0_17constant_iteratorIjlEEPhPlSF_S6_NS0_8equal_toIhEEEE10hipError_tPvRmT2_T3_mT4_T5_T6_T7_T8_P12ihipStream_tbENKUlT_T0_E_clISt17integral_constantIbLb1EESY_IbLb0EEEEDaSU_SV_EUlSU_E_NS1_11comp_targetILNS1_3genE3ELNS1_11target_archE908ELNS1_3gpuE7ELNS1_3repE0EEENS1_30default_config_static_selectorELNS0_4arch9wavefront6targetE1EEEvT1_, .Lfunc_end187-_ZN7rocprim17ROCPRIM_400000_NS6detail17trampoline_kernelINS0_14default_configENS1_33run_length_encode_config_selectorIhjNS0_4plusIjEEEEZZNS1_33reduce_by_key_impl_wrapped_configILNS1_25lookback_scan_determinismE0ES3_S7_PKhNS0_17constant_iteratorIjlEEPhPlSF_S6_NS0_8equal_toIhEEEE10hipError_tPvRmT2_T3_mT4_T5_T6_T7_T8_P12ihipStream_tbENKUlT_T0_E_clISt17integral_constantIbLb1EESY_IbLb0EEEEDaSU_SV_EUlSU_E_NS1_11comp_targetILNS1_3genE3ELNS1_11target_archE908ELNS1_3gpuE7ELNS1_3repE0EEENS1_30default_config_static_selectorELNS0_4arch9wavefront6targetE1EEEvT1_
                                        ; -- End function
	.section	.AMDGPU.csdata,"",@progbits
; Kernel info:
; codeLenInByte = 0
; NumSgprs: 6
; NumVgprs: 0
; NumAgprs: 0
; TotalNumVgprs: 0
; ScratchSize: 0
; MemoryBound: 0
; FloatMode: 240
; IeeeMode: 1
; LDSByteSize: 0 bytes/workgroup (compile time only)
; SGPRBlocks: 0
; VGPRBlocks: 0
; NumSGPRsForWavesPerEU: 6
; NumVGPRsForWavesPerEU: 1
; AccumOffset: 4
; Occupancy: 8
; WaveLimiterHint : 0
; COMPUTE_PGM_RSRC2:SCRATCH_EN: 0
; COMPUTE_PGM_RSRC2:USER_SGPR: 2
; COMPUTE_PGM_RSRC2:TRAP_HANDLER: 0
; COMPUTE_PGM_RSRC2:TGID_X_EN: 1
; COMPUTE_PGM_RSRC2:TGID_Y_EN: 0
; COMPUTE_PGM_RSRC2:TGID_Z_EN: 0
; COMPUTE_PGM_RSRC2:TIDIG_COMP_CNT: 0
; COMPUTE_PGM_RSRC3_GFX90A:ACCUM_OFFSET: 0
; COMPUTE_PGM_RSRC3_GFX90A:TG_SPLIT: 0
	.section	.text._ZN7rocprim17ROCPRIM_400000_NS6detail17trampoline_kernelINS0_14default_configENS1_33run_length_encode_config_selectorIhjNS0_4plusIjEEEEZZNS1_33reduce_by_key_impl_wrapped_configILNS1_25lookback_scan_determinismE0ES3_S7_PKhNS0_17constant_iteratorIjlEEPhPlSF_S6_NS0_8equal_toIhEEEE10hipError_tPvRmT2_T3_mT4_T5_T6_T7_T8_P12ihipStream_tbENKUlT_T0_E_clISt17integral_constantIbLb1EESY_IbLb0EEEEDaSU_SV_EUlSU_E_NS1_11comp_targetILNS1_3genE2ELNS1_11target_archE906ELNS1_3gpuE6ELNS1_3repE0EEENS1_30default_config_static_selectorELNS0_4arch9wavefront6targetE1EEEvT1_,"axG",@progbits,_ZN7rocprim17ROCPRIM_400000_NS6detail17trampoline_kernelINS0_14default_configENS1_33run_length_encode_config_selectorIhjNS0_4plusIjEEEEZZNS1_33reduce_by_key_impl_wrapped_configILNS1_25lookback_scan_determinismE0ES3_S7_PKhNS0_17constant_iteratorIjlEEPhPlSF_S6_NS0_8equal_toIhEEEE10hipError_tPvRmT2_T3_mT4_T5_T6_T7_T8_P12ihipStream_tbENKUlT_T0_E_clISt17integral_constantIbLb1EESY_IbLb0EEEEDaSU_SV_EUlSU_E_NS1_11comp_targetILNS1_3genE2ELNS1_11target_archE906ELNS1_3gpuE6ELNS1_3repE0EEENS1_30default_config_static_selectorELNS0_4arch9wavefront6targetE1EEEvT1_,comdat
	.protected	_ZN7rocprim17ROCPRIM_400000_NS6detail17trampoline_kernelINS0_14default_configENS1_33run_length_encode_config_selectorIhjNS0_4plusIjEEEEZZNS1_33reduce_by_key_impl_wrapped_configILNS1_25lookback_scan_determinismE0ES3_S7_PKhNS0_17constant_iteratorIjlEEPhPlSF_S6_NS0_8equal_toIhEEEE10hipError_tPvRmT2_T3_mT4_T5_T6_T7_T8_P12ihipStream_tbENKUlT_T0_E_clISt17integral_constantIbLb1EESY_IbLb0EEEEDaSU_SV_EUlSU_E_NS1_11comp_targetILNS1_3genE2ELNS1_11target_archE906ELNS1_3gpuE6ELNS1_3repE0EEENS1_30default_config_static_selectorELNS0_4arch9wavefront6targetE1EEEvT1_ ; -- Begin function _ZN7rocprim17ROCPRIM_400000_NS6detail17trampoline_kernelINS0_14default_configENS1_33run_length_encode_config_selectorIhjNS0_4plusIjEEEEZZNS1_33reduce_by_key_impl_wrapped_configILNS1_25lookback_scan_determinismE0ES3_S7_PKhNS0_17constant_iteratorIjlEEPhPlSF_S6_NS0_8equal_toIhEEEE10hipError_tPvRmT2_T3_mT4_T5_T6_T7_T8_P12ihipStream_tbENKUlT_T0_E_clISt17integral_constantIbLb1EESY_IbLb0EEEEDaSU_SV_EUlSU_E_NS1_11comp_targetILNS1_3genE2ELNS1_11target_archE906ELNS1_3gpuE6ELNS1_3repE0EEENS1_30default_config_static_selectorELNS0_4arch9wavefront6targetE1EEEvT1_
	.globl	_ZN7rocprim17ROCPRIM_400000_NS6detail17trampoline_kernelINS0_14default_configENS1_33run_length_encode_config_selectorIhjNS0_4plusIjEEEEZZNS1_33reduce_by_key_impl_wrapped_configILNS1_25lookback_scan_determinismE0ES3_S7_PKhNS0_17constant_iteratorIjlEEPhPlSF_S6_NS0_8equal_toIhEEEE10hipError_tPvRmT2_T3_mT4_T5_T6_T7_T8_P12ihipStream_tbENKUlT_T0_E_clISt17integral_constantIbLb1EESY_IbLb0EEEEDaSU_SV_EUlSU_E_NS1_11comp_targetILNS1_3genE2ELNS1_11target_archE906ELNS1_3gpuE6ELNS1_3repE0EEENS1_30default_config_static_selectorELNS0_4arch9wavefront6targetE1EEEvT1_
	.p2align	8
	.type	_ZN7rocprim17ROCPRIM_400000_NS6detail17trampoline_kernelINS0_14default_configENS1_33run_length_encode_config_selectorIhjNS0_4plusIjEEEEZZNS1_33reduce_by_key_impl_wrapped_configILNS1_25lookback_scan_determinismE0ES3_S7_PKhNS0_17constant_iteratorIjlEEPhPlSF_S6_NS0_8equal_toIhEEEE10hipError_tPvRmT2_T3_mT4_T5_T6_T7_T8_P12ihipStream_tbENKUlT_T0_E_clISt17integral_constantIbLb1EESY_IbLb0EEEEDaSU_SV_EUlSU_E_NS1_11comp_targetILNS1_3genE2ELNS1_11target_archE906ELNS1_3gpuE6ELNS1_3repE0EEENS1_30default_config_static_selectorELNS0_4arch9wavefront6targetE1EEEvT1_,@function
_ZN7rocprim17ROCPRIM_400000_NS6detail17trampoline_kernelINS0_14default_configENS1_33run_length_encode_config_selectorIhjNS0_4plusIjEEEEZZNS1_33reduce_by_key_impl_wrapped_configILNS1_25lookback_scan_determinismE0ES3_S7_PKhNS0_17constant_iteratorIjlEEPhPlSF_S6_NS0_8equal_toIhEEEE10hipError_tPvRmT2_T3_mT4_T5_T6_T7_T8_P12ihipStream_tbENKUlT_T0_E_clISt17integral_constantIbLb1EESY_IbLb0EEEEDaSU_SV_EUlSU_E_NS1_11comp_targetILNS1_3genE2ELNS1_11target_archE906ELNS1_3gpuE6ELNS1_3repE0EEENS1_30default_config_static_selectorELNS0_4arch9wavefront6targetE1EEEvT1_: ; @_ZN7rocprim17ROCPRIM_400000_NS6detail17trampoline_kernelINS0_14default_configENS1_33run_length_encode_config_selectorIhjNS0_4plusIjEEEEZZNS1_33reduce_by_key_impl_wrapped_configILNS1_25lookback_scan_determinismE0ES3_S7_PKhNS0_17constant_iteratorIjlEEPhPlSF_S6_NS0_8equal_toIhEEEE10hipError_tPvRmT2_T3_mT4_T5_T6_T7_T8_P12ihipStream_tbENKUlT_T0_E_clISt17integral_constantIbLb1EESY_IbLb0EEEEDaSU_SV_EUlSU_E_NS1_11comp_targetILNS1_3genE2ELNS1_11target_archE906ELNS1_3gpuE6ELNS1_3repE0EEENS1_30default_config_static_selectorELNS0_4arch9wavefront6targetE1EEEvT1_
; %bb.0:
	.section	.rodata,"a",@progbits
	.p2align	6, 0x0
	.amdhsa_kernel _ZN7rocprim17ROCPRIM_400000_NS6detail17trampoline_kernelINS0_14default_configENS1_33run_length_encode_config_selectorIhjNS0_4plusIjEEEEZZNS1_33reduce_by_key_impl_wrapped_configILNS1_25lookback_scan_determinismE0ES3_S7_PKhNS0_17constant_iteratorIjlEEPhPlSF_S6_NS0_8equal_toIhEEEE10hipError_tPvRmT2_T3_mT4_T5_T6_T7_T8_P12ihipStream_tbENKUlT_T0_E_clISt17integral_constantIbLb1EESY_IbLb0EEEEDaSU_SV_EUlSU_E_NS1_11comp_targetILNS1_3genE2ELNS1_11target_archE906ELNS1_3gpuE6ELNS1_3repE0EEENS1_30default_config_static_selectorELNS0_4arch9wavefront6targetE1EEEvT1_
		.amdhsa_group_segment_fixed_size 0
		.amdhsa_private_segment_fixed_size 0
		.amdhsa_kernarg_size 128
		.amdhsa_user_sgpr_count 2
		.amdhsa_user_sgpr_dispatch_ptr 0
		.amdhsa_user_sgpr_queue_ptr 0
		.amdhsa_user_sgpr_kernarg_segment_ptr 1
		.amdhsa_user_sgpr_dispatch_id 0
		.amdhsa_user_sgpr_kernarg_preload_length 0
		.amdhsa_user_sgpr_kernarg_preload_offset 0
		.amdhsa_user_sgpr_private_segment_size 0
		.amdhsa_uses_dynamic_stack 0
		.amdhsa_enable_private_segment 0
		.amdhsa_system_sgpr_workgroup_id_x 1
		.amdhsa_system_sgpr_workgroup_id_y 0
		.amdhsa_system_sgpr_workgroup_id_z 0
		.amdhsa_system_sgpr_workgroup_info 0
		.amdhsa_system_vgpr_workitem_id 0
		.amdhsa_next_free_vgpr 1
		.amdhsa_next_free_sgpr 0
		.amdhsa_accum_offset 4
		.amdhsa_reserve_vcc 0
		.amdhsa_float_round_mode_32 0
		.amdhsa_float_round_mode_16_64 0
		.amdhsa_float_denorm_mode_32 3
		.amdhsa_float_denorm_mode_16_64 3
		.amdhsa_dx10_clamp 1
		.amdhsa_ieee_mode 1
		.amdhsa_fp16_overflow 0
		.amdhsa_tg_split 0
		.amdhsa_exception_fp_ieee_invalid_op 0
		.amdhsa_exception_fp_denorm_src 0
		.amdhsa_exception_fp_ieee_div_zero 0
		.amdhsa_exception_fp_ieee_overflow 0
		.amdhsa_exception_fp_ieee_underflow 0
		.amdhsa_exception_fp_ieee_inexact 0
		.amdhsa_exception_int_div_zero 0
	.end_amdhsa_kernel
	.section	.text._ZN7rocprim17ROCPRIM_400000_NS6detail17trampoline_kernelINS0_14default_configENS1_33run_length_encode_config_selectorIhjNS0_4plusIjEEEEZZNS1_33reduce_by_key_impl_wrapped_configILNS1_25lookback_scan_determinismE0ES3_S7_PKhNS0_17constant_iteratorIjlEEPhPlSF_S6_NS0_8equal_toIhEEEE10hipError_tPvRmT2_T3_mT4_T5_T6_T7_T8_P12ihipStream_tbENKUlT_T0_E_clISt17integral_constantIbLb1EESY_IbLb0EEEEDaSU_SV_EUlSU_E_NS1_11comp_targetILNS1_3genE2ELNS1_11target_archE906ELNS1_3gpuE6ELNS1_3repE0EEENS1_30default_config_static_selectorELNS0_4arch9wavefront6targetE1EEEvT1_,"axG",@progbits,_ZN7rocprim17ROCPRIM_400000_NS6detail17trampoline_kernelINS0_14default_configENS1_33run_length_encode_config_selectorIhjNS0_4plusIjEEEEZZNS1_33reduce_by_key_impl_wrapped_configILNS1_25lookback_scan_determinismE0ES3_S7_PKhNS0_17constant_iteratorIjlEEPhPlSF_S6_NS0_8equal_toIhEEEE10hipError_tPvRmT2_T3_mT4_T5_T6_T7_T8_P12ihipStream_tbENKUlT_T0_E_clISt17integral_constantIbLb1EESY_IbLb0EEEEDaSU_SV_EUlSU_E_NS1_11comp_targetILNS1_3genE2ELNS1_11target_archE906ELNS1_3gpuE6ELNS1_3repE0EEENS1_30default_config_static_selectorELNS0_4arch9wavefront6targetE1EEEvT1_,comdat
.Lfunc_end188:
	.size	_ZN7rocprim17ROCPRIM_400000_NS6detail17trampoline_kernelINS0_14default_configENS1_33run_length_encode_config_selectorIhjNS0_4plusIjEEEEZZNS1_33reduce_by_key_impl_wrapped_configILNS1_25lookback_scan_determinismE0ES3_S7_PKhNS0_17constant_iteratorIjlEEPhPlSF_S6_NS0_8equal_toIhEEEE10hipError_tPvRmT2_T3_mT4_T5_T6_T7_T8_P12ihipStream_tbENKUlT_T0_E_clISt17integral_constantIbLb1EESY_IbLb0EEEEDaSU_SV_EUlSU_E_NS1_11comp_targetILNS1_3genE2ELNS1_11target_archE906ELNS1_3gpuE6ELNS1_3repE0EEENS1_30default_config_static_selectorELNS0_4arch9wavefront6targetE1EEEvT1_, .Lfunc_end188-_ZN7rocprim17ROCPRIM_400000_NS6detail17trampoline_kernelINS0_14default_configENS1_33run_length_encode_config_selectorIhjNS0_4plusIjEEEEZZNS1_33reduce_by_key_impl_wrapped_configILNS1_25lookback_scan_determinismE0ES3_S7_PKhNS0_17constant_iteratorIjlEEPhPlSF_S6_NS0_8equal_toIhEEEE10hipError_tPvRmT2_T3_mT4_T5_T6_T7_T8_P12ihipStream_tbENKUlT_T0_E_clISt17integral_constantIbLb1EESY_IbLb0EEEEDaSU_SV_EUlSU_E_NS1_11comp_targetILNS1_3genE2ELNS1_11target_archE906ELNS1_3gpuE6ELNS1_3repE0EEENS1_30default_config_static_selectorELNS0_4arch9wavefront6targetE1EEEvT1_
                                        ; -- End function
	.section	.AMDGPU.csdata,"",@progbits
; Kernel info:
; codeLenInByte = 0
; NumSgprs: 6
; NumVgprs: 0
; NumAgprs: 0
; TotalNumVgprs: 0
; ScratchSize: 0
; MemoryBound: 0
; FloatMode: 240
; IeeeMode: 1
; LDSByteSize: 0 bytes/workgroup (compile time only)
; SGPRBlocks: 0
; VGPRBlocks: 0
; NumSGPRsForWavesPerEU: 6
; NumVGPRsForWavesPerEU: 1
; AccumOffset: 4
; Occupancy: 8
; WaveLimiterHint : 0
; COMPUTE_PGM_RSRC2:SCRATCH_EN: 0
; COMPUTE_PGM_RSRC2:USER_SGPR: 2
; COMPUTE_PGM_RSRC2:TRAP_HANDLER: 0
; COMPUTE_PGM_RSRC2:TGID_X_EN: 1
; COMPUTE_PGM_RSRC2:TGID_Y_EN: 0
; COMPUTE_PGM_RSRC2:TGID_Z_EN: 0
; COMPUTE_PGM_RSRC2:TIDIG_COMP_CNT: 0
; COMPUTE_PGM_RSRC3_GFX90A:ACCUM_OFFSET: 0
; COMPUTE_PGM_RSRC3_GFX90A:TG_SPLIT: 0
	.section	.text._ZN7rocprim17ROCPRIM_400000_NS6detail17trampoline_kernelINS0_14default_configENS1_33run_length_encode_config_selectorIhjNS0_4plusIjEEEEZZNS1_33reduce_by_key_impl_wrapped_configILNS1_25lookback_scan_determinismE0ES3_S7_PKhNS0_17constant_iteratorIjlEEPhPlSF_S6_NS0_8equal_toIhEEEE10hipError_tPvRmT2_T3_mT4_T5_T6_T7_T8_P12ihipStream_tbENKUlT_T0_E_clISt17integral_constantIbLb1EESY_IbLb0EEEEDaSU_SV_EUlSU_E_NS1_11comp_targetILNS1_3genE10ELNS1_11target_archE1201ELNS1_3gpuE5ELNS1_3repE0EEENS1_30default_config_static_selectorELNS0_4arch9wavefront6targetE1EEEvT1_,"axG",@progbits,_ZN7rocprim17ROCPRIM_400000_NS6detail17trampoline_kernelINS0_14default_configENS1_33run_length_encode_config_selectorIhjNS0_4plusIjEEEEZZNS1_33reduce_by_key_impl_wrapped_configILNS1_25lookback_scan_determinismE0ES3_S7_PKhNS0_17constant_iteratorIjlEEPhPlSF_S6_NS0_8equal_toIhEEEE10hipError_tPvRmT2_T3_mT4_T5_T6_T7_T8_P12ihipStream_tbENKUlT_T0_E_clISt17integral_constantIbLb1EESY_IbLb0EEEEDaSU_SV_EUlSU_E_NS1_11comp_targetILNS1_3genE10ELNS1_11target_archE1201ELNS1_3gpuE5ELNS1_3repE0EEENS1_30default_config_static_selectorELNS0_4arch9wavefront6targetE1EEEvT1_,comdat
	.protected	_ZN7rocprim17ROCPRIM_400000_NS6detail17trampoline_kernelINS0_14default_configENS1_33run_length_encode_config_selectorIhjNS0_4plusIjEEEEZZNS1_33reduce_by_key_impl_wrapped_configILNS1_25lookback_scan_determinismE0ES3_S7_PKhNS0_17constant_iteratorIjlEEPhPlSF_S6_NS0_8equal_toIhEEEE10hipError_tPvRmT2_T3_mT4_T5_T6_T7_T8_P12ihipStream_tbENKUlT_T0_E_clISt17integral_constantIbLb1EESY_IbLb0EEEEDaSU_SV_EUlSU_E_NS1_11comp_targetILNS1_3genE10ELNS1_11target_archE1201ELNS1_3gpuE5ELNS1_3repE0EEENS1_30default_config_static_selectorELNS0_4arch9wavefront6targetE1EEEvT1_ ; -- Begin function _ZN7rocprim17ROCPRIM_400000_NS6detail17trampoline_kernelINS0_14default_configENS1_33run_length_encode_config_selectorIhjNS0_4plusIjEEEEZZNS1_33reduce_by_key_impl_wrapped_configILNS1_25lookback_scan_determinismE0ES3_S7_PKhNS0_17constant_iteratorIjlEEPhPlSF_S6_NS0_8equal_toIhEEEE10hipError_tPvRmT2_T3_mT4_T5_T6_T7_T8_P12ihipStream_tbENKUlT_T0_E_clISt17integral_constantIbLb1EESY_IbLb0EEEEDaSU_SV_EUlSU_E_NS1_11comp_targetILNS1_3genE10ELNS1_11target_archE1201ELNS1_3gpuE5ELNS1_3repE0EEENS1_30default_config_static_selectorELNS0_4arch9wavefront6targetE1EEEvT1_
	.globl	_ZN7rocprim17ROCPRIM_400000_NS6detail17trampoline_kernelINS0_14default_configENS1_33run_length_encode_config_selectorIhjNS0_4plusIjEEEEZZNS1_33reduce_by_key_impl_wrapped_configILNS1_25lookback_scan_determinismE0ES3_S7_PKhNS0_17constant_iteratorIjlEEPhPlSF_S6_NS0_8equal_toIhEEEE10hipError_tPvRmT2_T3_mT4_T5_T6_T7_T8_P12ihipStream_tbENKUlT_T0_E_clISt17integral_constantIbLb1EESY_IbLb0EEEEDaSU_SV_EUlSU_E_NS1_11comp_targetILNS1_3genE10ELNS1_11target_archE1201ELNS1_3gpuE5ELNS1_3repE0EEENS1_30default_config_static_selectorELNS0_4arch9wavefront6targetE1EEEvT1_
	.p2align	8
	.type	_ZN7rocprim17ROCPRIM_400000_NS6detail17trampoline_kernelINS0_14default_configENS1_33run_length_encode_config_selectorIhjNS0_4plusIjEEEEZZNS1_33reduce_by_key_impl_wrapped_configILNS1_25lookback_scan_determinismE0ES3_S7_PKhNS0_17constant_iteratorIjlEEPhPlSF_S6_NS0_8equal_toIhEEEE10hipError_tPvRmT2_T3_mT4_T5_T6_T7_T8_P12ihipStream_tbENKUlT_T0_E_clISt17integral_constantIbLb1EESY_IbLb0EEEEDaSU_SV_EUlSU_E_NS1_11comp_targetILNS1_3genE10ELNS1_11target_archE1201ELNS1_3gpuE5ELNS1_3repE0EEENS1_30default_config_static_selectorELNS0_4arch9wavefront6targetE1EEEvT1_,@function
_ZN7rocprim17ROCPRIM_400000_NS6detail17trampoline_kernelINS0_14default_configENS1_33run_length_encode_config_selectorIhjNS0_4plusIjEEEEZZNS1_33reduce_by_key_impl_wrapped_configILNS1_25lookback_scan_determinismE0ES3_S7_PKhNS0_17constant_iteratorIjlEEPhPlSF_S6_NS0_8equal_toIhEEEE10hipError_tPvRmT2_T3_mT4_T5_T6_T7_T8_P12ihipStream_tbENKUlT_T0_E_clISt17integral_constantIbLb1EESY_IbLb0EEEEDaSU_SV_EUlSU_E_NS1_11comp_targetILNS1_3genE10ELNS1_11target_archE1201ELNS1_3gpuE5ELNS1_3repE0EEENS1_30default_config_static_selectorELNS0_4arch9wavefront6targetE1EEEvT1_: ; @_ZN7rocprim17ROCPRIM_400000_NS6detail17trampoline_kernelINS0_14default_configENS1_33run_length_encode_config_selectorIhjNS0_4plusIjEEEEZZNS1_33reduce_by_key_impl_wrapped_configILNS1_25lookback_scan_determinismE0ES3_S7_PKhNS0_17constant_iteratorIjlEEPhPlSF_S6_NS0_8equal_toIhEEEE10hipError_tPvRmT2_T3_mT4_T5_T6_T7_T8_P12ihipStream_tbENKUlT_T0_E_clISt17integral_constantIbLb1EESY_IbLb0EEEEDaSU_SV_EUlSU_E_NS1_11comp_targetILNS1_3genE10ELNS1_11target_archE1201ELNS1_3gpuE5ELNS1_3repE0EEENS1_30default_config_static_selectorELNS0_4arch9wavefront6targetE1EEEvT1_
; %bb.0:
	.section	.rodata,"a",@progbits
	.p2align	6, 0x0
	.amdhsa_kernel _ZN7rocprim17ROCPRIM_400000_NS6detail17trampoline_kernelINS0_14default_configENS1_33run_length_encode_config_selectorIhjNS0_4plusIjEEEEZZNS1_33reduce_by_key_impl_wrapped_configILNS1_25lookback_scan_determinismE0ES3_S7_PKhNS0_17constant_iteratorIjlEEPhPlSF_S6_NS0_8equal_toIhEEEE10hipError_tPvRmT2_T3_mT4_T5_T6_T7_T8_P12ihipStream_tbENKUlT_T0_E_clISt17integral_constantIbLb1EESY_IbLb0EEEEDaSU_SV_EUlSU_E_NS1_11comp_targetILNS1_3genE10ELNS1_11target_archE1201ELNS1_3gpuE5ELNS1_3repE0EEENS1_30default_config_static_selectorELNS0_4arch9wavefront6targetE1EEEvT1_
		.amdhsa_group_segment_fixed_size 0
		.amdhsa_private_segment_fixed_size 0
		.amdhsa_kernarg_size 128
		.amdhsa_user_sgpr_count 2
		.amdhsa_user_sgpr_dispatch_ptr 0
		.amdhsa_user_sgpr_queue_ptr 0
		.amdhsa_user_sgpr_kernarg_segment_ptr 1
		.amdhsa_user_sgpr_dispatch_id 0
		.amdhsa_user_sgpr_kernarg_preload_length 0
		.amdhsa_user_sgpr_kernarg_preload_offset 0
		.amdhsa_user_sgpr_private_segment_size 0
		.amdhsa_uses_dynamic_stack 0
		.amdhsa_enable_private_segment 0
		.amdhsa_system_sgpr_workgroup_id_x 1
		.amdhsa_system_sgpr_workgroup_id_y 0
		.amdhsa_system_sgpr_workgroup_id_z 0
		.amdhsa_system_sgpr_workgroup_info 0
		.amdhsa_system_vgpr_workitem_id 0
		.amdhsa_next_free_vgpr 1
		.amdhsa_next_free_sgpr 0
		.amdhsa_accum_offset 4
		.amdhsa_reserve_vcc 0
		.amdhsa_float_round_mode_32 0
		.amdhsa_float_round_mode_16_64 0
		.amdhsa_float_denorm_mode_32 3
		.amdhsa_float_denorm_mode_16_64 3
		.amdhsa_dx10_clamp 1
		.amdhsa_ieee_mode 1
		.amdhsa_fp16_overflow 0
		.amdhsa_tg_split 0
		.amdhsa_exception_fp_ieee_invalid_op 0
		.amdhsa_exception_fp_denorm_src 0
		.amdhsa_exception_fp_ieee_div_zero 0
		.amdhsa_exception_fp_ieee_overflow 0
		.amdhsa_exception_fp_ieee_underflow 0
		.amdhsa_exception_fp_ieee_inexact 0
		.amdhsa_exception_int_div_zero 0
	.end_amdhsa_kernel
	.section	.text._ZN7rocprim17ROCPRIM_400000_NS6detail17trampoline_kernelINS0_14default_configENS1_33run_length_encode_config_selectorIhjNS0_4plusIjEEEEZZNS1_33reduce_by_key_impl_wrapped_configILNS1_25lookback_scan_determinismE0ES3_S7_PKhNS0_17constant_iteratorIjlEEPhPlSF_S6_NS0_8equal_toIhEEEE10hipError_tPvRmT2_T3_mT4_T5_T6_T7_T8_P12ihipStream_tbENKUlT_T0_E_clISt17integral_constantIbLb1EESY_IbLb0EEEEDaSU_SV_EUlSU_E_NS1_11comp_targetILNS1_3genE10ELNS1_11target_archE1201ELNS1_3gpuE5ELNS1_3repE0EEENS1_30default_config_static_selectorELNS0_4arch9wavefront6targetE1EEEvT1_,"axG",@progbits,_ZN7rocprim17ROCPRIM_400000_NS6detail17trampoline_kernelINS0_14default_configENS1_33run_length_encode_config_selectorIhjNS0_4plusIjEEEEZZNS1_33reduce_by_key_impl_wrapped_configILNS1_25lookback_scan_determinismE0ES3_S7_PKhNS0_17constant_iteratorIjlEEPhPlSF_S6_NS0_8equal_toIhEEEE10hipError_tPvRmT2_T3_mT4_T5_T6_T7_T8_P12ihipStream_tbENKUlT_T0_E_clISt17integral_constantIbLb1EESY_IbLb0EEEEDaSU_SV_EUlSU_E_NS1_11comp_targetILNS1_3genE10ELNS1_11target_archE1201ELNS1_3gpuE5ELNS1_3repE0EEENS1_30default_config_static_selectorELNS0_4arch9wavefront6targetE1EEEvT1_,comdat
.Lfunc_end189:
	.size	_ZN7rocprim17ROCPRIM_400000_NS6detail17trampoline_kernelINS0_14default_configENS1_33run_length_encode_config_selectorIhjNS0_4plusIjEEEEZZNS1_33reduce_by_key_impl_wrapped_configILNS1_25lookback_scan_determinismE0ES3_S7_PKhNS0_17constant_iteratorIjlEEPhPlSF_S6_NS0_8equal_toIhEEEE10hipError_tPvRmT2_T3_mT4_T5_T6_T7_T8_P12ihipStream_tbENKUlT_T0_E_clISt17integral_constantIbLb1EESY_IbLb0EEEEDaSU_SV_EUlSU_E_NS1_11comp_targetILNS1_3genE10ELNS1_11target_archE1201ELNS1_3gpuE5ELNS1_3repE0EEENS1_30default_config_static_selectorELNS0_4arch9wavefront6targetE1EEEvT1_, .Lfunc_end189-_ZN7rocprim17ROCPRIM_400000_NS6detail17trampoline_kernelINS0_14default_configENS1_33run_length_encode_config_selectorIhjNS0_4plusIjEEEEZZNS1_33reduce_by_key_impl_wrapped_configILNS1_25lookback_scan_determinismE0ES3_S7_PKhNS0_17constant_iteratorIjlEEPhPlSF_S6_NS0_8equal_toIhEEEE10hipError_tPvRmT2_T3_mT4_T5_T6_T7_T8_P12ihipStream_tbENKUlT_T0_E_clISt17integral_constantIbLb1EESY_IbLb0EEEEDaSU_SV_EUlSU_E_NS1_11comp_targetILNS1_3genE10ELNS1_11target_archE1201ELNS1_3gpuE5ELNS1_3repE0EEENS1_30default_config_static_selectorELNS0_4arch9wavefront6targetE1EEEvT1_
                                        ; -- End function
	.section	.AMDGPU.csdata,"",@progbits
; Kernel info:
; codeLenInByte = 0
; NumSgprs: 6
; NumVgprs: 0
; NumAgprs: 0
; TotalNumVgprs: 0
; ScratchSize: 0
; MemoryBound: 0
; FloatMode: 240
; IeeeMode: 1
; LDSByteSize: 0 bytes/workgroup (compile time only)
; SGPRBlocks: 0
; VGPRBlocks: 0
; NumSGPRsForWavesPerEU: 6
; NumVGPRsForWavesPerEU: 1
; AccumOffset: 4
; Occupancy: 8
; WaveLimiterHint : 0
; COMPUTE_PGM_RSRC2:SCRATCH_EN: 0
; COMPUTE_PGM_RSRC2:USER_SGPR: 2
; COMPUTE_PGM_RSRC2:TRAP_HANDLER: 0
; COMPUTE_PGM_RSRC2:TGID_X_EN: 1
; COMPUTE_PGM_RSRC2:TGID_Y_EN: 0
; COMPUTE_PGM_RSRC2:TGID_Z_EN: 0
; COMPUTE_PGM_RSRC2:TIDIG_COMP_CNT: 0
; COMPUTE_PGM_RSRC3_GFX90A:ACCUM_OFFSET: 0
; COMPUTE_PGM_RSRC3_GFX90A:TG_SPLIT: 0
	.section	.text._ZN7rocprim17ROCPRIM_400000_NS6detail17trampoline_kernelINS0_14default_configENS1_33run_length_encode_config_selectorIhjNS0_4plusIjEEEEZZNS1_33reduce_by_key_impl_wrapped_configILNS1_25lookback_scan_determinismE0ES3_S7_PKhNS0_17constant_iteratorIjlEEPhPlSF_S6_NS0_8equal_toIhEEEE10hipError_tPvRmT2_T3_mT4_T5_T6_T7_T8_P12ihipStream_tbENKUlT_T0_E_clISt17integral_constantIbLb1EESY_IbLb0EEEEDaSU_SV_EUlSU_E_NS1_11comp_targetILNS1_3genE10ELNS1_11target_archE1200ELNS1_3gpuE4ELNS1_3repE0EEENS1_30default_config_static_selectorELNS0_4arch9wavefront6targetE1EEEvT1_,"axG",@progbits,_ZN7rocprim17ROCPRIM_400000_NS6detail17trampoline_kernelINS0_14default_configENS1_33run_length_encode_config_selectorIhjNS0_4plusIjEEEEZZNS1_33reduce_by_key_impl_wrapped_configILNS1_25lookback_scan_determinismE0ES3_S7_PKhNS0_17constant_iteratorIjlEEPhPlSF_S6_NS0_8equal_toIhEEEE10hipError_tPvRmT2_T3_mT4_T5_T6_T7_T8_P12ihipStream_tbENKUlT_T0_E_clISt17integral_constantIbLb1EESY_IbLb0EEEEDaSU_SV_EUlSU_E_NS1_11comp_targetILNS1_3genE10ELNS1_11target_archE1200ELNS1_3gpuE4ELNS1_3repE0EEENS1_30default_config_static_selectorELNS0_4arch9wavefront6targetE1EEEvT1_,comdat
	.protected	_ZN7rocprim17ROCPRIM_400000_NS6detail17trampoline_kernelINS0_14default_configENS1_33run_length_encode_config_selectorIhjNS0_4plusIjEEEEZZNS1_33reduce_by_key_impl_wrapped_configILNS1_25lookback_scan_determinismE0ES3_S7_PKhNS0_17constant_iteratorIjlEEPhPlSF_S6_NS0_8equal_toIhEEEE10hipError_tPvRmT2_T3_mT4_T5_T6_T7_T8_P12ihipStream_tbENKUlT_T0_E_clISt17integral_constantIbLb1EESY_IbLb0EEEEDaSU_SV_EUlSU_E_NS1_11comp_targetILNS1_3genE10ELNS1_11target_archE1200ELNS1_3gpuE4ELNS1_3repE0EEENS1_30default_config_static_selectorELNS0_4arch9wavefront6targetE1EEEvT1_ ; -- Begin function _ZN7rocprim17ROCPRIM_400000_NS6detail17trampoline_kernelINS0_14default_configENS1_33run_length_encode_config_selectorIhjNS0_4plusIjEEEEZZNS1_33reduce_by_key_impl_wrapped_configILNS1_25lookback_scan_determinismE0ES3_S7_PKhNS0_17constant_iteratorIjlEEPhPlSF_S6_NS0_8equal_toIhEEEE10hipError_tPvRmT2_T3_mT4_T5_T6_T7_T8_P12ihipStream_tbENKUlT_T0_E_clISt17integral_constantIbLb1EESY_IbLb0EEEEDaSU_SV_EUlSU_E_NS1_11comp_targetILNS1_3genE10ELNS1_11target_archE1200ELNS1_3gpuE4ELNS1_3repE0EEENS1_30default_config_static_selectorELNS0_4arch9wavefront6targetE1EEEvT1_
	.globl	_ZN7rocprim17ROCPRIM_400000_NS6detail17trampoline_kernelINS0_14default_configENS1_33run_length_encode_config_selectorIhjNS0_4plusIjEEEEZZNS1_33reduce_by_key_impl_wrapped_configILNS1_25lookback_scan_determinismE0ES3_S7_PKhNS0_17constant_iteratorIjlEEPhPlSF_S6_NS0_8equal_toIhEEEE10hipError_tPvRmT2_T3_mT4_T5_T6_T7_T8_P12ihipStream_tbENKUlT_T0_E_clISt17integral_constantIbLb1EESY_IbLb0EEEEDaSU_SV_EUlSU_E_NS1_11comp_targetILNS1_3genE10ELNS1_11target_archE1200ELNS1_3gpuE4ELNS1_3repE0EEENS1_30default_config_static_selectorELNS0_4arch9wavefront6targetE1EEEvT1_
	.p2align	8
	.type	_ZN7rocprim17ROCPRIM_400000_NS6detail17trampoline_kernelINS0_14default_configENS1_33run_length_encode_config_selectorIhjNS0_4plusIjEEEEZZNS1_33reduce_by_key_impl_wrapped_configILNS1_25lookback_scan_determinismE0ES3_S7_PKhNS0_17constant_iteratorIjlEEPhPlSF_S6_NS0_8equal_toIhEEEE10hipError_tPvRmT2_T3_mT4_T5_T6_T7_T8_P12ihipStream_tbENKUlT_T0_E_clISt17integral_constantIbLb1EESY_IbLb0EEEEDaSU_SV_EUlSU_E_NS1_11comp_targetILNS1_3genE10ELNS1_11target_archE1200ELNS1_3gpuE4ELNS1_3repE0EEENS1_30default_config_static_selectorELNS0_4arch9wavefront6targetE1EEEvT1_,@function
_ZN7rocprim17ROCPRIM_400000_NS6detail17trampoline_kernelINS0_14default_configENS1_33run_length_encode_config_selectorIhjNS0_4plusIjEEEEZZNS1_33reduce_by_key_impl_wrapped_configILNS1_25lookback_scan_determinismE0ES3_S7_PKhNS0_17constant_iteratorIjlEEPhPlSF_S6_NS0_8equal_toIhEEEE10hipError_tPvRmT2_T3_mT4_T5_T6_T7_T8_P12ihipStream_tbENKUlT_T0_E_clISt17integral_constantIbLb1EESY_IbLb0EEEEDaSU_SV_EUlSU_E_NS1_11comp_targetILNS1_3genE10ELNS1_11target_archE1200ELNS1_3gpuE4ELNS1_3repE0EEENS1_30default_config_static_selectorELNS0_4arch9wavefront6targetE1EEEvT1_: ; @_ZN7rocprim17ROCPRIM_400000_NS6detail17trampoline_kernelINS0_14default_configENS1_33run_length_encode_config_selectorIhjNS0_4plusIjEEEEZZNS1_33reduce_by_key_impl_wrapped_configILNS1_25lookback_scan_determinismE0ES3_S7_PKhNS0_17constant_iteratorIjlEEPhPlSF_S6_NS0_8equal_toIhEEEE10hipError_tPvRmT2_T3_mT4_T5_T6_T7_T8_P12ihipStream_tbENKUlT_T0_E_clISt17integral_constantIbLb1EESY_IbLb0EEEEDaSU_SV_EUlSU_E_NS1_11comp_targetILNS1_3genE10ELNS1_11target_archE1200ELNS1_3gpuE4ELNS1_3repE0EEENS1_30default_config_static_selectorELNS0_4arch9wavefront6targetE1EEEvT1_
; %bb.0:
	.section	.rodata,"a",@progbits
	.p2align	6, 0x0
	.amdhsa_kernel _ZN7rocprim17ROCPRIM_400000_NS6detail17trampoline_kernelINS0_14default_configENS1_33run_length_encode_config_selectorIhjNS0_4plusIjEEEEZZNS1_33reduce_by_key_impl_wrapped_configILNS1_25lookback_scan_determinismE0ES3_S7_PKhNS0_17constant_iteratorIjlEEPhPlSF_S6_NS0_8equal_toIhEEEE10hipError_tPvRmT2_T3_mT4_T5_T6_T7_T8_P12ihipStream_tbENKUlT_T0_E_clISt17integral_constantIbLb1EESY_IbLb0EEEEDaSU_SV_EUlSU_E_NS1_11comp_targetILNS1_3genE10ELNS1_11target_archE1200ELNS1_3gpuE4ELNS1_3repE0EEENS1_30default_config_static_selectorELNS0_4arch9wavefront6targetE1EEEvT1_
		.amdhsa_group_segment_fixed_size 0
		.amdhsa_private_segment_fixed_size 0
		.amdhsa_kernarg_size 128
		.amdhsa_user_sgpr_count 2
		.amdhsa_user_sgpr_dispatch_ptr 0
		.amdhsa_user_sgpr_queue_ptr 0
		.amdhsa_user_sgpr_kernarg_segment_ptr 1
		.amdhsa_user_sgpr_dispatch_id 0
		.amdhsa_user_sgpr_kernarg_preload_length 0
		.amdhsa_user_sgpr_kernarg_preload_offset 0
		.amdhsa_user_sgpr_private_segment_size 0
		.amdhsa_uses_dynamic_stack 0
		.amdhsa_enable_private_segment 0
		.amdhsa_system_sgpr_workgroup_id_x 1
		.amdhsa_system_sgpr_workgroup_id_y 0
		.amdhsa_system_sgpr_workgroup_id_z 0
		.amdhsa_system_sgpr_workgroup_info 0
		.amdhsa_system_vgpr_workitem_id 0
		.amdhsa_next_free_vgpr 1
		.amdhsa_next_free_sgpr 0
		.amdhsa_accum_offset 4
		.amdhsa_reserve_vcc 0
		.amdhsa_float_round_mode_32 0
		.amdhsa_float_round_mode_16_64 0
		.amdhsa_float_denorm_mode_32 3
		.amdhsa_float_denorm_mode_16_64 3
		.amdhsa_dx10_clamp 1
		.amdhsa_ieee_mode 1
		.amdhsa_fp16_overflow 0
		.amdhsa_tg_split 0
		.amdhsa_exception_fp_ieee_invalid_op 0
		.amdhsa_exception_fp_denorm_src 0
		.amdhsa_exception_fp_ieee_div_zero 0
		.amdhsa_exception_fp_ieee_overflow 0
		.amdhsa_exception_fp_ieee_underflow 0
		.amdhsa_exception_fp_ieee_inexact 0
		.amdhsa_exception_int_div_zero 0
	.end_amdhsa_kernel
	.section	.text._ZN7rocprim17ROCPRIM_400000_NS6detail17trampoline_kernelINS0_14default_configENS1_33run_length_encode_config_selectorIhjNS0_4plusIjEEEEZZNS1_33reduce_by_key_impl_wrapped_configILNS1_25lookback_scan_determinismE0ES3_S7_PKhNS0_17constant_iteratorIjlEEPhPlSF_S6_NS0_8equal_toIhEEEE10hipError_tPvRmT2_T3_mT4_T5_T6_T7_T8_P12ihipStream_tbENKUlT_T0_E_clISt17integral_constantIbLb1EESY_IbLb0EEEEDaSU_SV_EUlSU_E_NS1_11comp_targetILNS1_3genE10ELNS1_11target_archE1200ELNS1_3gpuE4ELNS1_3repE0EEENS1_30default_config_static_selectorELNS0_4arch9wavefront6targetE1EEEvT1_,"axG",@progbits,_ZN7rocprim17ROCPRIM_400000_NS6detail17trampoline_kernelINS0_14default_configENS1_33run_length_encode_config_selectorIhjNS0_4plusIjEEEEZZNS1_33reduce_by_key_impl_wrapped_configILNS1_25lookback_scan_determinismE0ES3_S7_PKhNS0_17constant_iteratorIjlEEPhPlSF_S6_NS0_8equal_toIhEEEE10hipError_tPvRmT2_T3_mT4_T5_T6_T7_T8_P12ihipStream_tbENKUlT_T0_E_clISt17integral_constantIbLb1EESY_IbLb0EEEEDaSU_SV_EUlSU_E_NS1_11comp_targetILNS1_3genE10ELNS1_11target_archE1200ELNS1_3gpuE4ELNS1_3repE0EEENS1_30default_config_static_selectorELNS0_4arch9wavefront6targetE1EEEvT1_,comdat
.Lfunc_end190:
	.size	_ZN7rocprim17ROCPRIM_400000_NS6detail17trampoline_kernelINS0_14default_configENS1_33run_length_encode_config_selectorIhjNS0_4plusIjEEEEZZNS1_33reduce_by_key_impl_wrapped_configILNS1_25lookback_scan_determinismE0ES3_S7_PKhNS0_17constant_iteratorIjlEEPhPlSF_S6_NS0_8equal_toIhEEEE10hipError_tPvRmT2_T3_mT4_T5_T6_T7_T8_P12ihipStream_tbENKUlT_T0_E_clISt17integral_constantIbLb1EESY_IbLb0EEEEDaSU_SV_EUlSU_E_NS1_11comp_targetILNS1_3genE10ELNS1_11target_archE1200ELNS1_3gpuE4ELNS1_3repE0EEENS1_30default_config_static_selectorELNS0_4arch9wavefront6targetE1EEEvT1_, .Lfunc_end190-_ZN7rocprim17ROCPRIM_400000_NS6detail17trampoline_kernelINS0_14default_configENS1_33run_length_encode_config_selectorIhjNS0_4plusIjEEEEZZNS1_33reduce_by_key_impl_wrapped_configILNS1_25lookback_scan_determinismE0ES3_S7_PKhNS0_17constant_iteratorIjlEEPhPlSF_S6_NS0_8equal_toIhEEEE10hipError_tPvRmT2_T3_mT4_T5_T6_T7_T8_P12ihipStream_tbENKUlT_T0_E_clISt17integral_constantIbLb1EESY_IbLb0EEEEDaSU_SV_EUlSU_E_NS1_11comp_targetILNS1_3genE10ELNS1_11target_archE1200ELNS1_3gpuE4ELNS1_3repE0EEENS1_30default_config_static_selectorELNS0_4arch9wavefront6targetE1EEEvT1_
                                        ; -- End function
	.section	.AMDGPU.csdata,"",@progbits
; Kernel info:
; codeLenInByte = 0
; NumSgprs: 6
; NumVgprs: 0
; NumAgprs: 0
; TotalNumVgprs: 0
; ScratchSize: 0
; MemoryBound: 0
; FloatMode: 240
; IeeeMode: 1
; LDSByteSize: 0 bytes/workgroup (compile time only)
; SGPRBlocks: 0
; VGPRBlocks: 0
; NumSGPRsForWavesPerEU: 6
; NumVGPRsForWavesPerEU: 1
; AccumOffset: 4
; Occupancy: 8
; WaveLimiterHint : 0
; COMPUTE_PGM_RSRC2:SCRATCH_EN: 0
; COMPUTE_PGM_RSRC2:USER_SGPR: 2
; COMPUTE_PGM_RSRC2:TRAP_HANDLER: 0
; COMPUTE_PGM_RSRC2:TGID_X_EN: 1
; COMPUTE_PGM_RSRC2:TGID_Y_EN: 0
; COMPUTE_PGM_RSRC2:TGID_Z_EN: 0
; COMPUTE_PGM_RSRC2:TIDIG_COMP_CNT: 0
; COMPUTE_PGM_RSRC3_GFX90A:ACCUM_OFFSET: 0
; COMPUTE_PGM_RSRC3_GFX90A:TG_SPLIT: 0
	.section	.text._ZN7rocprim17ROCPRIM_400000_NS6detail17trampoline_kernelINS0_14default_configENS1_33run_length_encode_config_selectorIhjNS0_4plusIjEEEEZZNS1_33reduce_by_key_impl_wrapped_configILNS1_25lookback_scan_determinismE0ES3_S7_PKhNS0_17constant_iteratorIjlEEPhPlSF_S6_NS0_8equal_toIhEEEE10hipError_tPvRmT2_T3_mT4_T5_T6_T7_T8_P12ihipStream_tbENKUlT_T0_E_clISt17integral_constantIbLb1EESY_IbLb0EEEEDaSU_SV_EUlSU_E_NS1_11comp_targetILNS1_3genE9ELNS1_11target_archE1100ELNS1_3gpuE3ELNS1_3repE0EEENS1_30default_config_static_selectorELNS0_4arch9wavefront6targetE1EEEvT1_,"axG",@progbits,_ZN7rocprim17ROCPRIM_400000_NS6detail17trampoline_kernelINS0_14default_configENS1_33run_length_encode_config_selectorIhjNS0_4plusIjEEEEZZNS1_33reduce_by_key_impl_wrapped_configILNS1_25lookback_scan_determinismE0ES3_S7_PKhNS0_17constant_iteratorIjlEEPhPlSF_S6_NS0_8equal_toIhEEEE10hipError_tPvRmT2_T3_mT4_T5_T6_T7_T8_P12ihipStream_tbENKUlT_T0_E_clISt17integral_constantIbLb1EESY_IbLb0EEEEDaSU_SV_EUlSU_E_NS1_11comp_targetILNS1_3genE9ELNS1_11target_archE1100ELNS1_3gpuE3ELNS1_3repE0EEENS1_30default_config_static_selectorELNS0_4arch9wavefront6targetE1EEEvT1_,comdat
	.protected	_ZN7rocprim17ROCPRIM_400000_NS6detail17trampoline_kernelINS0_14default_configENS1_33run_length_encode_config_selectorIhjNS0_4plusIjEEEEZZNS1_33reduce_by_key_impl_wrapped_configILNS1_25lookback_scan_determinismE0ES3_S7_PKhNS0_17constant_iteratorIjlEEPhPlSF_S6_NS0_8equal_toIhEEEE10hipError_tPvRmT2_T3_mT4_T5_T6_T7_T8_P12ihipStream_tbENKUlT_T0_E_clISt17integral_constantIbLb1EESY_IbLb0EEEEDaSU_SV_EUlSU_E_NS1_11comp_targetILNS1_3genE9ELNS1_11target_archE1100ELNS1_3gpuE3ELNS1_3repE0EEENS1_30default_config_static_selectorELNS0_4arch9wavefront6targetE1EEEvT1_ ; -- Begin function _ZN7rocprim17ROCPRIM_400000_NS6detail17trampoline_kernelINS0_14default_configENS1_33run_length_encode_config_selectorIhjNS0_4plusIjEEEEZZNS1_33reduce_by_key_impl_wrapped_configILNS1_25lookback_scan_determinismE0ES3_S7_PKhNS0_17constant_iteratorIjlEEPhPlSF_S6_NS0_8equal_toIhEEEE10hipError_tPvRmT2_T3_mT4_T5_T6_T7_T8_P12ihipStream_tbENKUlT_T0_E_clISt17integral_constantIbLb1EESY_IbLb0EEEEDaSU_SV_EUlSU_E_NS1_11comp_targetILNS1_3genE9ELNS1_11target_archE1100ELNS1_3gpuE3ELNS1_3repE0EEENS1_30default_config_static_selectorELNS0_4arch9wavefront6targetE1EEEvT1_
	.globl	_ZN7rocprim17ROCPRIM_400000_NS6detail17trampoline_kernelINS0_14default_configENS1_33run_length_encode_config_selectorIhjNS0_4plusIjEEEEZZNS1_33reduce_by_key_impl_wrapped_configILNS1_25lookback_scan_determinismE0ES3_S7_PKhNS0_17constant_iteratorIjlEEPhPlSF_S6_NS0_8equal_toIhEEEE10hipError_tPvRmT2_T3_mT4_T5_T6_T7_T8_P12ihipStream_tbENKUlT_T0_E_clISt17integral_constantIbLb1EESY_IbLb0EEEEDaSU_SV_EUlSU_E_NS1_11comp_targetILNS1_3genE9ELNS1_11target_archE1100ELNS1_3gpuE3ELNS1_3repE0EEENS1_30default_config_static_selectorELNS0_4arch9wavefront6targetE1EEEvT1_
	.p2align	8
	.type	_ZN7rocprim17ROCPRIM_400000_NS6detail17trampoline_kernelINS0_14default_configENS1_33run_length_encode_config_selectorIhjNS0_4plusIjEEEEZZNS1_33reduce_by_key_impl_wrapped_configILNS1_25lookback_scan_determinismE0ES3_S7_PKhNS0_17constant_iteratorIjlEEPhPlSF_S6_NS0_8equal_toIhEEEE10hipError_tPvRmT2_T3_mT4_T5_T6_T7_T8_P12ihipStream_tbENKUlT_T0_E_clISt17integral_constantIbLb1EESY_IbLb0EEEEDaSU_SV_EUlSU_E_NS1_11comp_targetILNS1_3genE9ELNS1_11target_archE1100ELNS1_3gpuE3ELNS1_3repE0EEENS1_30default_config_static_selectorELNS0_4arch9wavefront6targetE1EEEvT1_,@function
_ZN7rocprim17ROCPRIM_400000_NS6detail17trampoline_kernelINS0_14default_configENS1_33run_length_encode_config_selectorIhjNS0_4plusIjEEEEZZNS1_33reduce_by_key_impl_wrapped_configILNS1_25lookback_scan_determinismE0ES3_S7_PKhNS0_17constant_iteratorIjlEEPhPlSF_S6_NS0_8equal_toIhEEEE10hipError_tPvRmT2_T3_mT4_T5_T6_T7_T8_P12ihipStream_tbENKUlT_T0_E_clISt17integral_constantIbLb1EESY_IbLb0EEEEDaSU_SV_EUlSU_E_NS1_11comp_targetILNS1_3genE9ELNS1_11target_archE1100ELNS1_3gpuE3ELNS1_3repE0EEENS1_30default_config_static_selectorELNS0_4arch9wavefront6targetE1EEEvT1_: ; @_ZN7rocprim17ROCPRIM_400000_NS6detail17trampoline_kernelINS0_14default_configENS1_33run_length_encode_config_selectorIhjNS0_4plusIjEEEEZZNS1_33reduce_by_key_impl_wrapped_configILNS1_25lookback_scan_determinismE0ES3_S7_PKhNS0_17constant_iteratorIjlEEPhPlSF_S6_NS0_8equal_toIhEEEE10hipError_tPvRmT2_T3_mT4_T5_T6_T7_T8_P12ihipStream_tbENKUlT_T0_E_clISt17integral_constantIbLb1EESY_IbLb0EEEEDaSU_SV_EUlSU_E_NS1_11comp_targetILNS1_3genE9ELNS1_11target_archE1100ELNS1_3gpuE3ELNS1_3repE0EEENS1_30default_config_static_selectorELNS0_4arch9wavefront6targetE1EEEvT1_
; %bb.0:
	.section	.rodata,"a",@progbits
	.p2align	6, 0x0
	.amdhsa_kernel _ZN7rocprim17ROCPRIM_400000_NS6detail17trampoline_kernelINS0_14default_configENS1_33run_length_encode_config_selectorIhjNS0_4plusIjEEEEZZNS1_33reduce_by_key_impl_wrapped_configILNS1_25lookback_scan_determinismE0ES3_S7_PKhNS0_17constant_iteratorIjlEEPhPlSF_S6_NS0_8equal_toIhEEEE10hipError_tPvRmT2_T3_mT4_T5_T6_T7_T8_P12ihipStream_tbENKUlT_T0_E_clISt17integral_constantIbLb1EESY_IbLb0EEEEDaSU_SV_EUlSU_E_NS1_11comp_targetILNS1_3genE9ELNS1_11target_archE1100ELNS1_3gpuE3ELNS1_3repE0EEENS1_30default_config_static_selectorELNS0_4arch9wavefront6targetE1EEEvT1_
		.amdhsa_group_segment_fixed_size 0
		.amdhsa_private_segment_fixed_size 0
		.amdhsa_kernarg_size 128
		.amdhsa_user_sgpr_count 2
		.amdhsa_user_sgpr_dispatch_ptr 0
		.amdhsa_user_sgpr_queue_ptr 0
		.amdhsa_user_sgpr_kernarg_segment_ptr 1
		.amdhsa_user_sgpr_dispatch_id 0
		.amdhsa_user_sgpr_kernarg_preload_length 0
		.amdhsa_user_sgpr_kernarg_preload_offset 0
		.amdhsa_user_sgpr_private_segment_size 0
		.amdhsa_uses_dynamic_stack 0
		.amdhsa_enable_private_segment 0
		.amdhsa_system_sgpr_workgroup_id_x 1
		.amdhsa_system_sgpr_workgroup_id_y 0
		.amdhsa_system_sgpr_workgroup_id_z 0
		.amdhsa_system_sgpr_workgroup_info 0
		.amdhsa_system_vgpr_workitem_id 0
		.amdhsa_next_free_vgpr 1
		.amdhsa_next_free_sgpr 0
		.amdhsa_accum_offset 4
		.amdhsa_reserve_vcc 0
		.amdhsa_float_round_mode_32 0
		.amdhsa_float_round_mode_16_64 0
		.amdhsa_float_denorm_mode_32 3
		.amdhsa_float_denorm_mode_16_64 3
		.amdhsa_dx10_clamp 1
		.amdhsa_ieee_mode 1
		.amdhsa_fp16_overflow 0
		.amdhsa_tg_split 0
		.amdhsa_exception_fp_ieee_invalid_op 0
		.amdhsa_exception_fp_denorm_src 0
		.amdhsa_exception_fp_ieee_div_zero 0
		.amdhsa_exception_fp_ieee_overflow 0
		.amdhsa_exception_fp_ieee_underflow 0
		.amdhsa_exception_fp_ieee_inexact 0
		.amdhsa_exception_int_div_zero 0
	.end_amdhsa_kernel
	.section	.text._ZN7rocprim17ROCPRIM_400000_NS6detail17trampoline_kernelINS0_14default_configENS1_33run_length_encode_config_selectorIhjNS0_4plusIjEEEEZZNS1_33reduce_by_key_impl_wrapped_configILNS1_25lookback_scan_determinismE0ES3_S7_PKhNS0_17constant_iteratorIjlEEPhPlSF_S6_NS0_8equal_toIhEEEE10hipError_tPvRmT2_T3_mT4_T5_T6_T7_T8_P12ihipStream_tbENKUlT_T0_E_clISt17integral_constantIbLb1EESY_IbLb0EEEEDaSU_SV_EUlSU_E_NS1_11comp_targetILNS1_3genE9ELNS1_11target_archE1100ELNS1_3gpuE3ELNS1_3repE0EEENS1_30default_config_static_selectorELNS0_4arch9wavefront6targetE1EEEvT1_,"axG",@progbits,_ZN7rocprim17ROCPRIM_400000_NS6detail17trampoline_kernelINS0_14default_configENS1_33run_length_encode_config_selectorIhjNS0_4plusIjEEEEZZNS1_33reduce_by_key_impl_wrapped_configILNS1_25lookback_scan_determinismE0ES3_S7_PKhNS0_17constant_iteratorIjlEEPhPlSF_S6_NS0_8equal_toIhEEEE10hipError_tPvRmT2_T3_mT4_T5_T6_T7_T8_P12ihipStream_tbENKUlT_T0_E_clISt17integral_constantIbLb1EESY_IbLb0EEEEDaSU_SV_EUlSU_E_NS1_11comp_targetILNS1_3genE9ELNS1_11target_archE1100ELNS1_3gpuE3ELNS1_3repE0EEENS1_30default_config_static_selectorELNS0_4arch9wavefront6targetE1EEEvT1_,comdat
.Lfunc_end191:
	.size	_ZN7rocprim17ROCPRIM_400000_NS6detail17trampoline_kernelINS0_14default_configENS1_33run_length_encode_config_selectorIhjNS0_4plusIjEEEEZZNS1_33reduce_by_key_impl_wrapped_configILNS1_25lookback_scan_determinismE0ES3_S7_PKhNS0_17constant_iteratorIjlEEPhPlSF_S6_NS0_8equal_toIhEEEE10hipError_tPvRmT2_T3_mT4_T5_T6_T7_T8_P12ihipStream_tbENKUlT_T0_E_clISt17integral_constantIbLb1EESY_IbLb0EEEEDaSU_SV_EUlSU_E_NS1_11comp_targetILNS1_3genE9ELNS1_11target_archE1100ELNS1_3gpuE3ELNS1_3repE0EEENS1_30default_config_static_selectorELNS0_4arch9wavefront6targetE1EEEvT1_, .Lfunc_end191-_ZN7rocprim17ROCPRIM_400000_NS6detail17trampoline_kernelINS0_14default_configENS1_33run_length_encode_config_selectorIhjNS0_4plusIjEEEEZZNS1_33reduce_by_key_impl_wrapped_configILNS1_25lookback_scan_determinismE0ES3_S7_PKhNS0_17constant_iteratorIjlEEPhPlSF_S6_NS0_8equal_toIhEEEE10hipError_tPvRmT2_T3_mT4_T5_T6_T7_T8_P12ihipStream_tbENKUlT_T0_E_clISt17integral_constantIbLb1EESY_IbLb0EEEEDaSU_SV_EUlSU_E_NS1_11comp_targetILNS1_3genE9ELNS1_11target_archE1100ELNS1_3gpuE3ELNS1_3repE0EEENS1_30default_config_static_selectorELNS0_4arch9wavefront6targetE1EEEvT1_
                                        ; -- End function
	.section	.AMDGPU.csdata,"",@progbits
; Kernel info:
; codeLenInByte = 0
; NumSgprs: 6
; NumVgprs: 0
; NumAgprs: 0
; TotalNumVgprs: 0
; ScratchSize: 0
; MemoryBound: 0
; FloatMode: 240
; IeeeMode: 1
; LDSByteSize: 0 bytes/workgroup (compile time only)
; SGPRBlocks: 0
; VGPRBlocks: 0
; NumSGPRsForWavesPerEU: 6
; NumVGPRsForWavesPerEU: 1
; AccumOffset: 4
; Occupancy: 8
; WaveLimiterHint : 0
; COMPUTE_PGM_RSRC2:SCRATCH_EN: 0
; COMPUTE_PGM_RSRC2:USER_SGPR: 2
; COMPUTE_PGM_RSRC2:TRAP_HANDLER: 0
; COMPUTE_PGM_RSRC2:TGID_X_EN: 1
; COMPUTE_PGM_RSRC2:TGID_Y_EN: 0
; COMPUTE_PGM_RSRC2:TGID_Z_EN: 0
; COMPUTE_PGM_RSRC2:TIDIG_COMP_CNT: 0
; COMPUTE_PGM_RSRC3_GFX90A:ACCUM_OFFSET: 0
; COMPUTE_PGM_RSRC3_GFX90A:TG_SPLIT: 0
	.section	.text._ZN7rocprim17ROCPRIM_400000_NS6detail17trampoline_kernelINS0_14default_configENS1_33run_length_encode_config_selectorIhjNS0_4plusIjEEEEZZNS1_33reduce_by_key_impl_wrapped_configILNS1_25lookback_scan_determinismE0ES3_S7_PKhNS0_17constant_iteratorIjlEEPhPlSF_S6_NS0_8equal_toIhEEEE10hipError_tPvRmT2_T3_mT4_T5_T6_T7_T8_P12ihipStream_tbENKUlT_T0_E_clISt17integral_constantIbLb1EESY_IbLb0EEEEDaSU_SV_EUlSU_E_NS1_11comp_targetILNS1_3genE8ELNS1_11target_archE1030ELNS1_3gpuE2ELNS1_3repE0EEENS1_30default_config_static_selectorELNS0_4arch9wavefront6targetE1EEEvT1_,"axG",@progbits,_ZN7rocprim17ROCPRIM_400000_NS6detail17trampoline_kernelINS0_14default_configENS1_33run_length_encode_config_selectorIhjNS0_4plusIjEEEEZZNS1_33reduce_by_key_impl_wrapped_configILNS1_25lookback_scan_determinismE0ES3_S7_PKhNS0_17constant_iteratorIjlEEPhPlSF_S6_NS0_8equal_toIhEEEE10hipError_tPvRmT2_T3_mT4_T5_T6_T7_T8_P12ihipStream_tbENKUlT_T0_E_clISt17integral_constantIbLb1EESY_IbLb0EEEEDaSU_SV_EUlSU_E_NS1_11comp_targetILNS1_3genE8ELNS1_11target_archE1030ELNS1_3gpuE2ELNS1_3repE0EEENS1_30default_config_static_selectorELNS0_4arch9wavefront6targetE1EEEvT1_,comdat
	.protected	_ZN7rocprim17ROCPRIM_400000_NS6detail17trampoline_kernelINS0_14default_configENS1_33run_length_encode_config_selectorIhjNS0_4plusIjEEEEZZNS1_33reduce_by_key_impl_wrapped_configILNS1_25lookback_scan_determinismE0ES3_S7_PKhNS0_17constant_iteratorIjlEEPhPlSF_S6_NS0_8equal_toIhEEEE10hipError_tPvRmT2_T3_mT4_T5_T6_T7_T8_P12ihipStream_tbENKUlT_T0_E_clISt17integral_constantIbLb1EESY_IbLb0EEEEDaSU_SV_EUlSU_E_NS1_11comp_targetILNS1_3genE8ELNS1_11target_archE1030ELNS1_3gpuE2ELNS1_3repE0EEENS1_30default_config_static_selectorELNS0_4arch9wavefront6targetE1EEEvT1_ ; -- Begin function _ZN7rocprim17ROCPRIM_400000_NS6detail17trampoline_kernelINS0_14default_configENS1_33run_length_encode_config_selectorIhjNS0_4plusIjEEEEZZNS1_33reduce_by_key_impl_wrapped_configILNS1_25lookback_scan_determinismE0ES3_S7_PKhNS0_17constant_iteratorIjlEEPhPlSF_S6_NS0_8equal_toIhEEEE10hipError_tPvRmT2_T3_mT4_T5_T6_T7_T8_P12ihipStream_tbENKUlT_T0_E_clISt17integral_constantIbLb1EESY_IbLb0EEEEDaSU_SV_EUlSU_E_NS1_11comp_targetILNS1_3genE8ELNS1_11target_archE1030ELNS1_3gpuE2ELNS1_3repE0EEENS1_30default_config_static_selectorELNS0_4arch9wavefront6targetE1EEEvT1_
	.globl	_ZN7rocprim17ROCPRIM_400000_NS6detail17trampoline_kernelINS0_14default_configENS1_33run_length_encode_config_selectorIhjNS0_4plusIjEEEEZZNS1_33reduce_by_key_impl_wrapped_configILNS1_25lookback_scan_determinismE0ES3_S7_PKhNS0_17constant_iteratorIjlEEPhPlSF_S6_NS0_8equal_toIhEEEE10hipError_tPvRmT2_T3_mT4_T5_T6_T7_T8_P12ihipStream_tbENKUlT_T0_E_clISt17integral_constantIbLb1EESY_IbLb0EEEEDaSU_SV_EUlSU_E_NS1_11comp_targetILNS1_3genE8ELNS1_11target_archE1030ELNS1_3gpuE2ELNS1_3repE0EEENS1_30default_config_static_selectorELNS0_4arch9wavefront6targetE1EEEvT1_
	.p2align	8
	.type	_ZN7rocprim17ROCPRIM_400000_NS6detail17trampoline_kernelINS0_14default_configENS1_33run_length_encode_config_selectorIhjNS0_4plusIjEEEEZZNS1_33reduce_by_key_impl_wrapped_configILNS1_25lookback_scan_determinismE0ES3_S7_PKhNS0_17constant_iteratorIjlEEPhPlSF_S6_NS0_8equal_toIhEEEE10hipError_tPvRmT2_T3_mT4_T5_T6_T7_T8_P12ihipStream_tbENKUlT_T0_E_clISt17integral_constantIbLb1EESY_IbLb0EEEEDaSU_SV_EUlSU_E_NS1_11comp_targetILNS1_3genE8ELNS1_11target_archE1030ELNS1_3gpuE2ELNS1_3repE0EEENS1_30default_config_static_selectorELNS0_4arch9wavefront6targetE1EEEvT1_,@function
_ZN7rocprim17ROCPRIM_400000_NS6detail17trampoline_kernelINS0_14default_configENS1_33run_length_encode_config_selectorIhjNS0_4plusIjEEEEZZNS1_33reduce_by_key_impl_wrapped_configILNS1_25lookback_scan_determinismE0ES3_S7_PKhNS0_17constant_iteratorIjlEEPhPlSF_S6_NS0_8equal_toIhEEEE10hipError_tPvRmT2_T3_mT4_T5_T6_T7_T8_P12ihipStream_tbENKUlT_T0_E_clISt17integral_constantIbLb1EESY_IbLb0EEEEDaSU_SV_EUlSU_E_NS1_11comp_targetILNS1_3genE8ELNS1_11target_archE1030ELNS1_3gpuE2ELNS1_3repE0EEENS1_30default_config_static_selectorELNS0_4arch9wavefront6targetE1EEEvT1_: ; @_ZN7rocprim17ROCPRIM_400000_NS6detail17trampoline_kernelINS0_14default_configENS1_33run_length_encode_config_selectorIhjNS0_4plusIjEEEEZZNS1_33reduce_by_key_impl_wrapped_configILNS1_25lookback_scan_determinismE0ES3_S7_PKhNS0_17constant_iteratorIjlEEPhPlSF_S6_NS0_8equal_toIhEEEE10hipError_tPvRmT2_T3_mT4_T5_T6_T7_T8_P12ihipStream_tbENKUlT_T0_E_clISt17integral_constantIbLb1EESY_IbLb0EEEEDaSU_SV_EUlSU_E_NS1_11comp_targetILNS1_3genE8ELNS1_11target_archE1030ELNS1_3gpuE2ELNS1_3repE0EEENS1_30default_config_static_selectorELNS0_4arch9wavefront6targetE1EEEvT1_
; %bb.0:
	.section	.rodata,"a",@progbits
	.p2align	6, 0x0
	.amdhsa_kernel _ZN7rocprim17ROCPRIM_400000_NS6detail17trampoline_kernelINS0_14default_configENS1_33run_length_encode_config_selectorIhjNS0_4plusIjEEEEZZNS1_33reduce_by_key_impl_wrapped_configILNS1_25lookback_scan_determinismE0ES3_S7_PKhNS0_17constant_iteratorIjlEEPhPlSF_S6_NS0_8equal_toIhEEEE10hipError_tPvRmT2_T3_mT4_T5_T6_T7_T8_P12ihipStream_tbENKUlT_T0_E_clISt17integral_constantIbLb1EESY_IbLb0EEEEDaSU_SV_EUlSU_E_NS1_11comp_targetILNS1_3genE8ELNS1_11target_archE1030ELNS1_3gpuE2ELNS1_3repE0EEENS1_30default_config_static_selectorELNS0_4arch9wavefront6targetE1EEEvT1_
		.amdhsa_group_segment_fixed_size 0
		.amdhsa_private_segment_fixed_size 0
		.amdhsa_kernarg_size 128
		.amdhsa_user_sgpr_count 2
		.amdhsa_user_sgpr_dispatch_ptr 0
		.amdhsa_user_sgpr_queue_ptr 0
		.amdhsa_user_sgpr_kernarg_segment_ptr 1
		.amdhsa_user_sgpr_dispatch_id 0
		.amdhsa_user_sgpr_kernarg_preload_length 0
		.amdhsa_user_sgpr_kernarg_preload_offset 0
		.amdhsa_user_sgpr_private_segment_size 0
		.amdhsa_uses_dynamic_stack 0
		.amdhsa_enable_private_segment 0
		.amdhsa_system_sgpr_workgroup_id_x 1
		.amdhsa_system_sgpr_workgroup_id_y 0
		.amdhsa_system_sgpr_workgroup_id_z 0
		.amdhsa_system_sgpr_workgroup_info 0
		.amdhsa_system_vgpr_workitem_id 0
		.amdhsa_next_free_vgpr 1
		.amdhsa_next_free_sgpr 0
		.amdhsa_accum_offset 4
		.amdhsa_reserve_vcc 0
		.amdhsa_float_round_mode_32 0
		.amdhsa_float_round_mode_16_64 0
		.amdhsa_float_denorm_mode_32 3
		.amdhsa_float_denorm_mode_16_64 3
		.amdhsa_dx10_clamp 1
		.amdhsa_ieee_mode 1
		.amdhsa_fp16_overflow 0
		.amdhsa_tg_split 0
		.amdhsa_exception_fp_ieee_invalid_op 0
		.amdhsa_exception_fp_denorm_src 0
		.amdhsa_exception_fp_ieee_div_zero 0
		.amdhsa_exception_fp_ieee_overflow 0
		.amdhsa_exception_fp_ieee_underflow 0
		.amdhsa_exception_fp_ieee_inexact 0
		.amdhsa_exception_int_div_zero 0
	.end_amdhsa_kernel
	.section	.text._ZN7rocprim17ROCPRIM_400000_NS6detail17trampoline_kernelINS0_14default_configENS1_33run_length_encode_config_selectorIhjNS0_4plusIjEEEEZZNS1_33reduce_by_key_impl_wrapped_configILNS1_25lookback_scan_determinismE0ES3_S7_PKhNS0_17constant_iteratorIjlEEPhPlSF_S6_NS0_8equal_toIhEEEE10hipError_tPvRmT2_T3_mT4_T5_T6_T7_T8_P12ihipStream_tbENKUlT_T0_E_clISt17integral_constantIbLb1EESY_IbLb0EEEEDaSU_SV_EUlSU_E_NS1_11comp_targetILNS1_3genE8ELNS1_11target_archE1030ELNS1_3gpuE2ELNS1_3repE0EEENS1_30default_config_static_selectorELNS0_4arch9wavefront6targetE1EEEvT1_,"axG",@progbits,_ZN7rocprim17ROCPRIM_400000_NS6detail17trampoline_kernelINS0_14default_configENS1_33run_length_encode_config_selectorIhjNS0_4plusIjEEEEZZNS1_33reduce_by_key_impl_wrapped_configILNS1_25lookback_scan_determinismE0ES3_S7_PKhNS0_17constant_iteratorIjlEEPhPlSF_S6_NS0_8equal_toIhEEEE10hipError_tPvRmT2_T3_mT4_T5_T6_T7_T8_P12ihipStream_tbENKUlT_T0_E_clISt17integral_constantIbLb1EESY_IbLb0EEEEDaSU_SV_EUlSU_E_NS1_11comp_targetILNS1_3genE8ELNS1_11target_archE1030ELNS1_3gpuE2ELNS1_3repE0EEENS1_30default_config_static_selectorELNS0_4arch9wavefront6targetE1EEEvT1_,comdat
.Lfunc_end192:
	.size	_ZN7rocprim17ROCPRIM_400000_NS6detail17trampoline_kernelINS0_14default_configENS1_33run_length_encode_config_selectorIhjNS0_4plusIjEEEEZZNS1_33reduce_by_key_impl_wrapped_configILNS1_25lookback_scan_determinismE0ES3_S7_PKhNS0_17constant_iteratorIjlEEPhPlSF_S6_NS0_8equal_toIhEEEE10hipError_tPvRmT2_T3_mT4_T5_T6_T7_T8_P12ihipStream_tbENKUlT_T0_E_clISt17integral_constantIbLb1EESY_IbLb0EEEEDaSU_SV_EUlSU_E_NS1_11comp_targetILNS1_3genE8ELNS1_11target_archE1030ELNS1_3gpuE2ELNS1_3repE0EEENS1_30default_config_static_selectorELNS0_4arch9wavefront6targetE1EEEvT1_, .Lfunc_end192-_ZN7rocprim17ROCPRIM_400000_NS6detail17trampoline_kernelINS0_14default_configENS1_33run_length_encode_config_selectorIhjNS0_4plusIjEEEEZZNS1_33reduce_by_key_impl_wrapped_configILNS1_25lookback_scan_determinismE0ES3_S7_PKhNS0_17constant_iteratorIjlEEPhPlSF_S6_NS0_8equal_toIhEEEE10hipError_tPvRmT2_T3_mT4_T5_T6_T7_T8_P12ihipStream_tbENKUlT_T0_E_clISt17integral_constantIbLb1EESY_IbLb0EEEEDaSU_SV_EUlSU_E_NS1_11comp_targetILNS1_3genE8ELNS1_11target_archE1030ELNS1_3gpuE2ELNS1_3repE0EEENS1_30default_config_static_selectorELNS0_4arch9wavefront6targetE1EEEvT1_
                                        ; -- End function
	.section	.AMDGPU.csdata,"",@progbits
; Kernel info:
; codeLenInByte = 0
; NumSgprs: 6
; NumVgprs: 0
; NumAgprs: 0
; TotalNumVgprs: 0
; ScratchSize: 0
; MemoryBound: 0
; FloatMode: 240
; IeeeMode: 1
; LDSByteSize: 0 bytes/workgroup (compile time only)
; SGPRBlocks: 0
; VGPRBlocks: 0
; NumSGPRsForWavesPerEU: 6
; NumVGPRsForWavesPerEU: 1
; AccumOffset: 4
; Occupancy: 8
; WaveLimiterHint : 0
; COMPUTE_PGM_RSRC2:SCRATCH_EN: 0
; COMPUTE_PGM_RSRC2:USER_SGPR: 2
; COMPUTE_PGM_RSRC2:TRAP_HANDLER: 0
; COMPUTE_PGM_RSRC2:TGID_X_EN: 1
; COMPUTE_PGM_RSRC2:TGID_Y_EN: 0
; COMPUTE_PGM_RSRC2:TGID_Z_EN: 0
; COMPUTE_PGM_RSRC2:TIDIG_COMP_CNT: 0
; COMPUTE_PGM_RSRC3_GFX90A:ACCUM_OFFSET: 0
; COMPUTE_PGM_RSRC3_GFX90A:TG_SPLIT: 0
	.section	.text._ZN7rocprim17ROCPRIM_400000_NS6detail17trampoline_kernelINS0_14default_configENS1_33run_length_encode_config_selectorIhjNS0_4plusIjEEEEZZNS1_33reduce_by_key_impl_wrapped_configILNS1_25lookback_scan_determinismE0ES3_S7_PKhNS0_17constant_iteratorIjlEEPhPlSF_S6_NS0_8equal_toIhEEEE10hipError_tPvRmT2_T3_mT4_T5_T6_T7_T8_P12ihipStream_tbENKUlT_T0_E_clISt17integral_constantIbLb0EESY_IbLb1EEEEDaSU_SV_EUlSU_E_NS1_11comp_targetILNS1_3genE0ELNS1_11target_archE4294967295ELNS1_3gpuE0ELNS1_3repE0EEENS1_30default_config_static_selectorELNS0_4arch9wavefront6targetE1EEEvT1_,"axG",@progbits,_ZN7rocprim17ROCPRIM_400000_NS6detail17trampoline_kernelINS0_14default_configENS1_33run_length_encode_config_selectorIhjNS0_4plusIjEEEEZZNS1_33reduce_by_key_impl_wrapped_configILNS1_25lookback_scan_determinismE0ES3_S7_PKhNS0_17constant_iteratorIjlEEPhPlSF_S6_NS0_8equal_toIhEEEE10hipError_tPvRmT2_T3_mT4_T5_T6_T7_T8_P12ihipStream_tbENKUlT_T0_E_clISt17integral_constantIbLb0EESY_IbLb1EEEEDaSU_SV_EUlSU_E_NS1_11comp_targetILNS1_3genE0ELNS1_11target_archE4294967295ELNS1_3gpuE0ELNS1_3repE0EEENS1_30default_config_static_selectorELNS0_4arch9wavefront6targetE1EEEvT1_,comdat
	.protected	_ZN7rocprim17ROCPRIM_400000_NS6detail17trampoline_kernelINS0_14default_configENS1_33run_length_encode_config_selectorIhjNS0_4plusIjEEEEZZNS1_33reduce_by_key_impl_wrapped_configILNS1_25lookback_scan_determinismE0ES3_S7_PKhNS0_17constant_iteratorIjlEEPhPlSF_S6_NS0_8equal_toIhEEEE10hipError_tPvRmT2_T3_mT4_T5_T6_T7_T8_P12ihipStream_tbENKUlT_T0_E_clISt17integral_constantIbLb0EESY_IbLb1EEEEDaSU_SV_EUlSU_E_NS1_11comp_targetILNS1_3genE0ELNS1_11target_archE4294967295ELNS1_3gpuE0ELNS1_3repE0EEENS1_30default_config_static_selectorELNS0_4arch9wavefront6targetE1EEEvT1_ ; -- Begin function _ZN7rocprim17ROCPRIM_400000_NS6detail17trampoline_kernelINS0_14default_configENS1_33run_length_encode_config_selectorIhjNS0_4plusIjEEEEZZNS1_33reduce_by_key_impl_wrapped_configILNS1_25lookback_scan_determinismE0ES3_S7_PKhNS0_17constant_iteratorIjlEEPhPlSF_S6_NS0_8equal_toIhEEEE10hipError_tPvRmT2_T3_mT4_T5_T6_T7_T8_P12ihipStream_tbENKUlT_T0_E_clISt17integral_constantIbLb0EESY_IbLb1EEEEDaSU_SV_EUlSU_E_NS1_11comp_targetILNS1_3genE0ELNS1_11target_archE4294967295ELNS1_3gpuE0ELNS1_3repE0EEENS1_30default_config_static_selectorELNS0_4arch9wavefront6targetE1EEEvT1_
	.globl	_ZN7rocprim17ROCPRIM_400000_NS6detail17trampoline_kernelINS0_14default_configENS1_33run_length_encode_config_selectorIhjNS0_4plusIjEEEEZZNS1_33reduce_by_key_impl_wrapped_configILNS1_25lookback_scan_determinismE0ES3_S7_PKhNS0_17constant_iteratorIjlEEPhPlSF_S6_NS0_8equal_toIhEEEE10hipError_tPvRmT2_T3_mT4_T5_T6_T7_T8_P12ihipStream_tbENKUlT_T0_E_clISt17integral_constantIbLb0EESY_IbLb1EEEEDaSU_SV_EUlSU_E_NS1_11comp_targetILNS1_3genE0ELNS1_11target_archE4294967295ELNS1_3gpuE0ELNS1_3repE0EEENS1_30default_config_static_selectorELNS0_4arch9wavefront6targetE1EEEvT1_
	.p2align	8
	.type	_ZN7rocprim17ROCPRIM_400000_NS6detail17trampoline_kernelINS0_14default_configENS1_33run_length_encode_config_selectorIhjNS0_4plusIjEEEEZZNS1_33reduce_by_key_impl_wrapped_configILNS1_25lookback_scan_determinismE0ES3_S7_PKhNS0_17constant_iteratorIjlEEPhPlSF_S6_NS0_8equal_toIhEEEE10hipError_tPvRmT2_T3_mT4_T5_T6_T7_T8_P12ihipStream_tbENKUlT_T0_E_clISt17integral_constantIbLb0EESY_IbLb1EEEEDaSU_SV_EUlSU_E_NS1_11comp_targetILNS1_3genE0ELNS1_11target_archE4294967295ELNS1_3gpuE0ELNS1_3repE0EEENS1_30default_config_static_selectorELNS0_4arch9wavefront6targetE1EEEvT1_,@function
_ZN7rocprim17ROCPRIM_400000_NS6detail17trampoline_kernelINS0_14default_configENS1_33run_length_encode_config_selectorIhjNS0_4plusIjEEEEZZNS1_33reduce_by_key_impl_wrapped_configILNS1_25lookback_scan_determinismE0ES3_S7_PKhNS0_17constant_iteratorIjlEEPhPlSF_S6_NS0_8equal_toIhEEEE10hipError_tPvRmT2_T3_mT4_T5_T6_T7_T8_P12ihipStream_tbENKUlT_T0_E_clISt17integral_constantIbLb0EESY_IbLb1EEEEDaSU_SV_EUlSU_E_NS1_11comp_targetILNS1_3genE0ELNS1_11target_archE4294967295ELNS1_3gpuE0ELNS1_3repE0EEENS1_30default_config_static_selectorELNS0_4arch9wavefront6targetE1EEEvT1_: ; @_ZN7rocprim17ROCPRIM_400000_NS6detail17trampoline_kernelINS0_14default_configENS1_33run_length_encode_config_selectorIhjNS0_4plusIjEEEEZZNS1_33reduce_by_key_impl_wrapped_configILNS1_25lookback_scan_determinismE0ES3_S7_PKhNS0_17constant_iteratorIjlEEPhPlSF_S6_NS0_8equal_toIhEEEE10hipError_tPvRmT2_T3_mT4_T5_T6_T7_T8_P12ihipStream_tbENKUlT_T0_E_clISt17integral_constantIbLb0EESY_IbLb1EEEEDaSU_SV_EUlSU_E_NS1_11comp_targetILNS1_3genE0ELNS1_11target_archE4294967295ELNS1_3gpuE0ELNS1_3repE0EEENS1_30default_config_static_selectorELNS0_4arch9wavefront6targetE1EEEvT1_
; %bb.0:
	.section	.rodata,"a",@progbits
	.p2align	6, 0x0
	.amdhsa_kernel _ZN7rocprim17ROCPRIM_400000_NS6detail17trampoline_kernelINS0_14default_configENS1_33run_length_encode_config_selectorIhjNS0_4plusIjEEEEZZNS1_33reduce_by_key_impl_wrapped_configILNS1_25lookback_scan_determinismE0ES3_S7_PKhNS0_17constant_iteratorIjlEEPhPlSF_S6_NS0_8equal_toIhEEEE10hipError_tPvRmT2_T3_mT4_T5_T6_T7_T8_P12ihipStream_tbENKUlT_T0_E_clISt17integral_constantIbLb0EESY_IbLb1EEEEDaSU_SV_EUlSU_E_NS1_11comp_targetILNS1_3genE0ELNS1_11target_archE4294967295ELNS1_3gpuE0ELNS1_3repE0EEENS1_30default_config_static_selectorELNS0_4arch9wavefront6targetE1EEEvT1_
		.amdhsa_group_segment_fixed_size 0
		.amdhsa_private_segment_fixed_size 0
		.amdhsa_kernarg_size 128
		.amdhsa_user_sgpr_count 2
		.amdhsa_user_sgpr_dispatch_ptr 0
		.amdhsa_user_sgpr_queue_ptr 0
		.amdhsa_user_sgpr_kernarg_segment_ptr 1
		.amdhsa_user_sgpr_dispatch_id 0
		.amdhsa_user_sgpr_kernarg_preload_length 0
		.amdhsa_user_sgpr_kernarg_preload_offset 0
		.amdhsa_user_sgpr_private_segment_size 0
		.amdhsa_uses_dynamic_stack 0
		.amdhsa_enable_private_segment 0
		.amdhsa_system_sgpr_workgroup_id_x 1
		.amdhsa_system_sgpr_workgroup_id_y 0
		.amdhsa_system_sgpr_workgroup_id_z 0
		.amdhsa_system_sgpr_workgroup_info 0
		.amdhsa_system_vgpr_workitem_id 0
		.amdhsa_next_free_vgpr 1
		.amdhsa_next_free_sgpr 0
		.amdhsa_accum_offset 4
		.amdhsa_reserve_vcc 0
		.amdhsa_float_round_mode_32 0
		.amdhsa_float_round_mode_16_64 0
		.amdhsa_float_denorm_mode_32 3
		.amdhsa_float_denorm_mode_16_64 3
		.amdhsa_dx10_clamp 1
		.amdhsa_ieee_mode 1
		.amdhsa_fp16_overflow 0
		.amdhsa_tg_split 0
		.amdhsa_exception_fp_ieee_invalid_op 0
		.amdhsa_exception_fp_denorm_src 0
		.amdhsa_exception_fp_ieee_div_zero 0
		.amdhsa_exception_fp_ieee_overflow 0
		.amdhsa_exception_fp_ieee_underflow 0
		.amdhsa_exception_fp_ieee_inexact 0
		.amdhsa_exception_int_div_zero 0
	.end_amdhsa_kernel
	.section	.text._ZN7rocprim17ROCPRIM_400000_NS6detail17trampoline_kernelINS0_14default_configENS1_33run_length_encode_config_selectorIhjNS0_4plusIjEEEEZZNS1_33reduce_by_key_impl_wrapped_configILNS1_25lookback_scan_determinismE0ES3_S7_PKhNS0_17constant_iteratorIjlEEPhPlSF_S6_NS0_8equal_toIhEEEE10hipError_tPvRmT2_T3_mT4_T5_T6_T7_T8_P12ihipStream_tbENKUlT_T0_E_clISt17integral_constantIbLb0EESY_IbLb1EEEEDaSU_SV_EUlSU_E_NS1_11comp_targetILNS1_3genE0ELNS1_11target_archE4294967295ELNS1_3gpuE0ELNS1_3repE0EEENS1_30default_config_static_selectorELNS0_4arch9wavefront6targetE1EEEvT1_,"axG",@progbits,_ZN7rocprim17ROCPRIM_400000_NS6detail17trampoline_kernelINS0_14default_configENS1_33run_length_encode_config_selectorIhjNS0_4plusIjEEEEZZNS1_33reduce_by_key_impl_wrapped_configILNS1_25lookback_scan_determinismE0ES3_S7_PKhNS0_17constant_iteratorIjlEEPhPlSF_S6_NS0_8equal_toIhEEEE10hipError_tPvRmT2_T3_mT4_T5_T6_T7_T8_P12ihipStream_tbENKUlT_T0_E_clISt17integral_constantIbLb0EESY_IbLb1EEEEDaSU_SV_EUlSU_E_NS1_11comp_targetILNS1_3genE0ELNS1_11target_archE4294967295ELNS1_3gpuE0ELNS1_3repE0EEENS1_30default_config_static_selectorELNS0_4arch9wavefront6targetE1EEEvT1_,comdat
.Lfunc_end193:
	.size	_ZN7rocprim17ROCPRIM_400000_NS6detail17trampoline_kernelINS0_14default_configENS1_33run_length_encode_config_selectorIhjNS0_4plusIjEEEEZZNS1_33reduce_by_key_impl_wrapped_configILNS1_25lookback_scan_determinismE0ES3_S7_PKhNS0_17constant_iteratorIjlEEPhPlSF_S6_NS0_8equal_toIhEEEE10hipError_tPvRmT2_T3_mT4_T5_T6_T7_T8_P12ihipStream_tbENKUlT_T0_E_clISt17integral_constantIbLb0EESY_IbLb1EEEEDaSU_SV_EUlSU_E_NS1_11comp_targetILNS1_3genE0ELNS1_11target_archE4294967295ELNS1_3gpuE0ELNS1_3repE0EEENS1_30default_config_static_selectorELNS0_4arch9wavefront6targetE1EEEvT1_, .Lfunc_end193-_ZN7rocprim17ROCPRIM_400000_NS6detail17trampoline_kernelINS0_14default_configENS1_33run_length_encode_config_selectorIhjNS0_4plusIjEEEEZZNS1_33reduce_by_key_impl_wrapped_configILNS1_25lookback_scan_determinismE0ES3_S7_PKhNS0_17constant_iteratorIjlEEPhPlSF_S6_NS0_8equal_toIhEEEE10hipError_tPvRmT2_T3_mT4_T5_T6_T7_T8_P12ihipStream_tbENKUlT_T0_E_clISt17integral_constantIbLb0EESY_IbLb1EEEEDaSU_SV_EUlSU_E_NS1_11comp_targetILNS1_3genE0ELNS1_11target_archE4294967295ELNS1_3gpuE0ELNS1_3repE0EEENS1_30default_config_static_selectorELNS0_4arch9wavefront6targetE1EEEvT1_
                                        ; -- End function
	.section	.AMDGPU.csdata,"",@progbits
; Kernel info:
; codeLenInByte = 0
; NumSgprs: 6
; NumVgprs: 0
; NumAgprs: 0
; TotalNumVgprs: 0
; ScratchSize: 0
; MemoryBound: 0
; FloatMode: 240
; IeeeMode: 1
; LDSByteSize: 0 bytes/workgroup (compile time only)
; SGPRBlocks: 0
; VGPRBlocks: 0
; NumSGPRsForWavesPerEU: 6
; NumVGPRsForWavesPerEU: 1
; AccumOffset: 4
; Occupancy: 8
; WaveLimiterHint : 0
; COMPUTE_PGM_RSRC2:SCRATCH_EN: 0
; COMPUTE_PGM_RSRC2:USER_SGPR: 2
; COMPUTE_PGM_RSRC2:TRAP_HANDLER: 0
; COMPUTE_PGM_RSRC2:TGID_X_EN: 1
; COMPUTE_PGM_RSRC2:TGID_Y_EN: 0
; COMPUTE_PGM_RSRC2:TGID_Z_EN: 0
; COMPUTE_PGM_RSRC2:TIDIG_COMP_CNT: 0
; COMPUTE_PGM_RSRC3_GFX90A:ACCUM_OFFSET: 0
; COMPUTE_PGM_RSRC3_GFX90A:TG_SPLIT: 0
	.section	.text._ZN7rocprim17ROCPRIM_400000_NS6detail17trampoline_kernelINS0_14default_configENS1_33run_length_encode_config_selectorIhjNS0_4plusIjEEEEZZNS1_33reduce_by_key_impl_wrapped_configILNS1_25lookback_scan_determinismE0ES3_S7_PKhNS0_17constant_iteratorIjlEEPhPlSF_S6_NS0_8equal_toIhEEEE10hipError_tPvRmT2_T3_mT4_T5_T6_T7_T8_P12ihipStream_tbENKUlT_T0_E_clISt17integral_constantIbLb0EESY_IbLb1EEEEDaSU_SV_EUlSU_E_NS1_11comp_targetILNS1_3genE5ELNS1_11target_archE942ELNS1_3gpuE9ELNS1_3repE0EEENS1_30default_config_static_selectorELNS0_4arch9wavefront6targetE1EEEvT1_,"axG",@progbits,_ZN7rocprim17ROCPRIM_400000_NS6detail17trampoline_kernelINS0_14default_configENS1_33run_length_encode_config_selectorIhjNS0_4plusIjEEEEZZNS1_33reduce_by_key_impl_wrapped_configILNS1_25lookback_scan_determinismE0ES3_S7_PKhNS0_17constant_iteratorIjlEEPhPlSF_S6_NS0_8equal_toIhEEEE10hipError_tPvRmT2_T3_mT4_T5_T6_T7_T8_P12ihipStream_tbENKUlT_T0_E_clISt17integral_constantIbLb0EESY_IbLb1EEEEDaSU_SV_EUlSU_E_NS1_11comp_targetILNS1_3genE5ELNS1_11target_archE942ELNS1_3gpuE9ELNS1_3repE0EEENS1_30default_config_static_selectorELNS0_4arch9wavefront6targetE1EEEvT1_,comdat
	.protected	_ZN7rocprim17ROCPRIM_400000_NS6detail17trampoline_kernelINS0_14default_configENS1_33run_length_encode_config_selectorIhjNS0_4plusIjEEEEZZNS1_33reduce_by_key_impl_wrapped_configILNS1_25lookback_scan_determinismE0ES3_S7_PKhNS0_17constant_iteratorIjlEEPhPlSF_S6_NS0_8equal_toIhEEEE10hipError_tPvRmT2_T3_mT4_T5_T6_T7_T8_P12ihipStream_tbENKUlT_T0_E_clISt17integral_constantIbLb0EESY_IbLb1EEEEDaSU_SV_EUlSU_E_NS1_11comp_targetILNS1_3genE5ELNS1_11target_archE942ELNS1_3gpuE9ELNS1_3repE0EEENS1_30default_config_static_selectorELNS0_4arch9wavefront6targetE1EEEvT1_ ; -- Begin function _ZN7rocprim17ROCPRIM_400000_NS6detail17trampoline_kernelINS0_14default_configENS1_33run_length_encode_config_selectorIhjNS0_4plusIjEEEEZZNS1_33reduce_by_key_impl_wrapped_configILNS1_25lookback_scan_determinismE0ES3_S7_PKhNS0_17constant_iteratorIjlEEPhPlSF_S6_NS0_8equal_toIhEEEE10hipError_tPvRmT2_T3_mT4_T5_T6_T7_T8_P12ihipStream_tbENKUlT_T0_E_clISt17integral_constantIbLb0EESY_IbLb1EEEEDaSU_SV_EUlSU_E_NS1_11comp_targetILNS1_3genE5ELNS1_11target_archE942ELNS1_3gpuE9ELNS1_3repE0EEENS1_30default_config_static_selectorELNS0_4arch9wavefront6targetE1EEEvT1_
	.globl	_ZN7rocprim17ROCPRIM_400000_NS6detail17trampoline_kernelINS0_14default_configENS1_33run_length_encode_config_selectorIhjNS0_4plusIjEEEEZZNS1_33reduce_by_key_impl_wrapped_configILNS1_25lookback_scan_determinismE0ES3_S7_PKhNS0_17constant_iteratorIjlEEPhPlSF_S6_NS0_8equal_toIhEEEE10hipError_tPvRmT2_T3_mT4_T5_T6_T7_T8_P12ihipStream_tbENKUlT_T0_E_clISt17integral_constantIbLb0EESY_IbLb1EEEEDaSU_SV_EUlSU_E_NS1_11comp_targetILNS1_3genE5ELNS1_11target_archE942ELNS1_3gpuE9ELNS1_3repE0EEENS1_30default_config_static_selectorELNS0_4arch9wavefront6targetE1EEEvT1_
	.p2align	8
	.type	_ZN7rocprim17ROCPRIM_400000_NS6detail17trampoline_kernelINS0_14default_configENS1_33run_length_encode_config_selectorIhjNS0_4plusIjEEEEZZNS1_33reduce_by_key_impl_wrapped_configILNS1_25lookback_scan_determinismE0ES3_S7_PKhNS0_17constant_iteratorIjlEEPhPlSF_S6_NS0_8equal_toIhEEEE10hipError_tPvRmT2_T3_mT4_T5_T6_T7_T8_P12ihipStream_tbENKUlT_T0_E_clISt17integral_constantIbLb0EESY_IbLb1EEEEDaSU_SV_EUlSU_E_NS1_11comp_targetILNS1_3genE5ELNS1_11target_archE942ELNS1_3gpuE9ELNS1_3repE0EEENS1_30default_config_static_selectorELNS0_4arch9wavefront6targetE1EEEvT1_,@function
_ZN7rocprim17ROCPRIM_400000_NS6detail17trampoline_kernelINS0_14default_configENS1_33run_length_encode_config_selectorIhjNS0_4plusIjEEEEZZNS1_33reduce_by_key_impl_wrapped_configILNS1_25lookback_scan_determinismE0ES3_S7_PKhNS0_17constant_iteratorIjlEEPhPlSF_S6_NS0_8equal_toIhEEEE10hipError_tPvRmT2_T3_mT4_T5_T6_T7_T8_P12ihipStream_tbENKUlT_T0_E_clISt17integral_constantIbLb0EESY_IbLb1EEEEDaSU_SV_EUlSU_E_NS1_11comp_targetILNS1_3genE5ELNS1_11target_archE942ELNS1_3gpuE9ELNS1_3repE0EEENS1_30default_config_static_selectorELNS0_4arch9wavefront6targetE1EEEvT1_: ; @_ZN7rocprim17ROCPRIM_400000_NS6detail17trampoline_kernelINS0_14default_configENS1_33run_length_encode_config_selectorIhjNS0_4plusIjEEEEZZNS1_33reduce_by_key_impl_wrapped_configILNS1_25lookback_scan_determinismE0ES3_S7_PKhNS0_17constant_iteratorIjlEEPhPlSF_S6_NS0_8equal_toIhEEEE10hipError_tPvRmT2_T3_mT4_T5_T6_T7_T8_P12ihipStream_tbENKUlT_T0_E_clISt17integral_constantIbLb0EESY_IbLb1EEEEDaSU_SV_EUlSU_E_NS1_11comp_targetILNS1_3genE5ELNS1_11target_archE942ELNS1_3gpuE9ELNS1_3repE0EEENS1_30default_config_static_selectorELNS0_4arch9wavefront6targetE1EEEvT1_
; %bb.0:
	s_load_dword s10, s[0:1], 0x10
	s_load_dwordx4 s[44:47], s[0:1], 0x20
	s_load_dwordx2 s[48:49], s[0:1], 0x30
	s_load_dwordx2 s[50:51], s[0:1], 0x70
	s_load_dwordx4 s[28:31], s[0:1], 0x60
	s_load_dwordx8 s[36:43], s[0:1], 0x40
	v_cmp_ne_u32_e64 s[2:3], 0, v0
	v_cmp_eq_u32_e64 s[34:35], 0, v0
	s_and_saveexec_b64 s[4:5], s[34:35]
	s_cbranch_execz .LBB194_4
; %bb.1:
	s_mov_b64 s[8:9], exec
	v_mbcnt_lo_u32_b32 v1, s8, 0
	v_mbcnt_hi_u32_b32 v1, s9, v1
	v_cmp_eq_u32_e32 vcc, 0, v1
                                        ; implicit-def: $vgpr2
	s_and_saveexec_b64 s[6:7], vcc
	s_cbranch_execz .LBB194_3
; %bb.2:
	s_load_dwordx2 s[12:13], s[0:1], 0x78
	s_bcnt1_i32_b64 s8, s[8:9]
	v_mov_b32_e32 v2, 0
	v_mov_b32_e32 v3, s8
	s_waitcnt lgkmcnt(0)
	global_atomic_add v2, v2, v3, s[12:13] sc0
.LBB194_3:
	s_or_b64 exec, exec, s[6:7]
	s_waitcnt vmcnt(0)
	v_readfirstlane_b32 s6, v2
	v_mov_b32_e32 v2, 0
	s_nop 0
	v_add_u32_e32 v1, s6, v1
	ds_write_b32 v2, v1
.LBB194_4:
	s_or_b64 exec, exec, s[4:5]
	s_load_dwordx4 s[4:7], s[0:1], 0x0
	v_mov_b32_e32 v5, 0
	s_waitcnt lgkmcnt(0)
	s_barrier
	ds_read_b32 v1, v5
	s_mul_i32 s0, s40, s39
	s_mul_hi_u32 s1, s40, s38
	s_add_i32 s0, s1, s0
	s_mul_i32 s1, s41, s38
	s_add_i32 s8, s0, s1
	s_add_u32 s0, s4, s6
	s_movk_i32 s4, 0x1e00
	s_mul_i32 s9, s40, s38
	s_addc_u32 s1, s5, s7
	s_waitcnt lgkmcnt(0)
	v_readfirstlane_b32 s60, v1
	v_mul_lo_u32 v4, v1, s4
	v_lshl_add_u64 v[2:3], s[0:1], 0, v[4:5]
	s_add_u32 s0, s9, s60
	s_addc_u32 s1, s8, 0
	s_add_u32 s4, s42, -1
	s_addc_u32 s5, s43, -1
	s_cmp_eq_u64 s[0:1], s[4:5]
	s_cselect_b64 s[40:41], -1, 0
	s_cmp_lg_u64 s[0:1], s[4:5]
	s_mov_b64 s[8:9], -1
	s_cselect_b64 s[6:7], -1, 0
	s_mul_i32 s33, s4, 0xffffe200
	s_and_b64 vcc, exec, s[40:41]
	v_mad_u32_u24 v4, v0, 14, v0
	s_barrier
	s_cbranch_vccnz .LBB194_6
; %bb.5:
	v_mov_b32_e32 v1, v5
	v_lshl_add_u64 v[6:7], v[2:3], 0, v[0:1]
	v_add_co_u32_e32 v6, vcc, 0x1000, v6
	v_readfirstlane_b32 s4, v2
	v_readfirstlane_b32 s5, v3
	v_addc_co_u32_e32 v7, vcc, 0, v7, vcc
	s_nop 3
	global_load_ubyte v1, v0, s[4:5]
	global_load_ubyte v5, v0, s[4:5] offset:512
	global_load_ubyte v8, v0, s[4:5] offset:1024
	;; [unrolled: 1-line block ×7, first 2 shown]
	global_load_ubyte v14, v[6:7], off
	global_load_ubyte v15, v[6:7], off offset:512
	global_load_ubyte v16, v[6:7], off offset:1024
	;; [unrolled: 1-line block ×6, first 2 shown]
	s_mov_b64 s[4:5], -1
	s_waitcnt vmcnt(14)
	ds_write_b8 v0, v1
	s_waitcnt vmcnt(13)
	ds_write_b8 v0, v5 offset:512
	s_waitcnt vmcnt(12)
	ds_write_b8 v0, v8 offset:1024
	;; [unrolled: 2-line block ×14, first 2 shown]
	s_waitcnt lgkmcnt(0)
	s_barrier
	ds_read_b96 v[8:10], v4
	ds_read_u8 v56, v4 offset:12
	ds_read_u8 v11, v4 offset:13
	;; [unrolled: 1-line block ×3, first 2 shown]
	s_waitcnt lgkmcnt(3)
	v_lshrrev_b32_e32 v68, 8, v8
	v_lshrrev_b32_e32 v66, 16, v8
	v_lshrrev_b32_e32 v64, 24, v8
	v_lshrrev_b32_e32 v62, 8, v9
	v_lshrrev_b32_e32 v61, 16, v9
	v_lshrrev_b32_e32 v60, 24, v9
	v_lshrrev_b32_e32 v59, 8, v10
	v_lshrrev_b32_e32 v58, 16, v10
	v_lshrrev_b32_e32 v57, 24, v10
	s_add_i32 s33, s33, s28
	s_cbranch_execz .LBB194_7
	s_branch .LBB194_38
.LBB194_6:
	s_mov_b64 s[4:5], 0
                                        ; implicit-def: $vgpr8
                                        ; implicit-def: $vgpr68
                                        ; implicit-def: $vgpr66
                                        ; implicit-def: $vgpr64
                                        ; implicit-def: $vgpr62
                                        ; implicit-def: $vgpr61
                                        ; implicit-def: $vgpr60
                                        ; implicit-def: $vgpr59
                                        ; implicit-def: $vgpr58
                                        ; implicit-def: $vgpr57
                                        ; implicit-def: $vgpr56
                                        ; implicit-def: $vgpr11
                                        ; implicit-def: $vgpr1
	s_add_i32 s33, s33, s28
	s_andn2_b64 vcc, exec, s[8:9]
	s_cbranch_vccnz .LBB194_38
.LBB194_7:
	v_cmp_gt_u32_e32 vcc, s33, v0
                                        ; implicit-def: $vgpr1
	s_and_saveexec_b64 s[4:5], vcc
	s_cbranch_execz .LBB194_9
; %bb.8:
	v_readfirstlane_b32 s8, v2
	v_readfirstlane_b32 s9, v3
	s_waitcnt lgkmcnt(0)
	s_nop 3
	global_load_ubyte v1, v0, s[8:9]
.LBB194_9:
	s_or_b64 exec, exec, s[4:5]
	v_or_b32_e32 v5, 0x200, v0
	v_cmp_gt_u32_e32 vcc, s33, v5
                                        ; implicit-def: $vgpr5
	s_and_saveexec_b64 s[4:5], vcc
	s_cbranch_execz .LBB194_11
; %bb.10:
	v_readfirstlane_b32 s8, v2
	v_readfirstlane_b32 s9, v3
	s_nop 4
	global_load_ubyte v5, v0, s[8:9] offset:512
.LBB194_11:
	s_or_b64 exec, exec, s[4:5]
	v_or_b32_e32 v6, 0x400, v0
	v_cmp_gt_u32_e32 vcc, s33, v6
                                        ; implicit-def: $vgpr6
	s_and_saveexec_b64 s[4:5], vcc
	s_cbranch_execz .LBB194_13
; %bb.12:
	v_readfirstlane_b32 s8, v2
	v_readfirstlane_b32 s9, v3
	s_nop 4
	global_load_ubyte v6, v0, s[8:9] offset:1024
.LBB194_13:
	s_or_b64 exec, exec, s[4:5]
	v_or_b32_e32 v7, 0x600, v0
	v_cmp_gt_u32_e32 vcc, s33, v7
                                        ; implicit-def: $vgpr7
	s_and_saveexec_b64 s[4:5], vcc
	s_cbranch_execz .LBB194_15
; %bb.14:
	v_readfirstlane_b32 s8, v2
	v_readfirstlane_b32 s9, v3
	s_nop 4
	global_load_ubyte v7, v0, s[8:9] offset:1536
.LBB194_15:
	s_or_b64 exec, exec, s[4:5]
	v_or_b32_e32 v8, 0x800, v0
	v_cmp_gt_u32_e32 vcc, s33, v8
                                        ; implicit-def: $vgpr8
	s_and_saveexec_b64 s[4:5], vcc
	s_cbranch_execz .LBB194_17
; %bb.16:
	v_readfirstlane_b32 s8, v2
	v_readfirstlane_b32 s9, v3
	s_nop 4
	global_load_ubyte v8, v0, s[8:9] offset:2048
.LBB194_17:
	s_or_b64 exec, exec, s[4:5]
	v_or_b32_e32 v9, 0xa00, v0
	v_cmp_gt_u32_e32 vcc, s33, v9
                                        ; implicit-def: $vgpr9
	s_and_saveexec_b64 s[4:5], vcc
	s_cbranch_execz .LBB194_19
; %bb.18:
	v_readfirstlane_b32 s8, v2
	v_readfirstlane_b32 s9, v3
	s_nop 4
	global_load_ubyte v9, v0, s[8:9] offset:2560
.LBB194_19:
	s_or_b64 exec, exec, s[4:5]
	v_or_b32_e32 v10, 0xc00, v0
	v_cmp_gt_u32_e32 vcc, s33, v10
                                        ; implicit-def: $vgpr10
	s_and_saveexec_b64 s[4:5], vcc
	s_cbranch_execz .LBB194_21
; %bb.20:
	v_readfirstlane_b32 s8, v2
	v_readfirstlane_b32 s9, v3
	s_nop 4
	global_load_ubyte v10, v0, s[8:9] offset:3072
.LBB194_21:
	s_or_b64 exec, exec, s[4:5]
	s_waitcnt lgkmcnt(1)
	v_or_b32_e32 v11, 0xe00, v0
	v_cmp_gt_u32_e32 vcc, s33, v11
                                        ; implicit-def: $vgpr11
	s_and_saveexec_b64 s[4:5], vcc
	s_cbranch_execz .LBB194_23
; %bb.22:
	v_readfirstlane_b32 s8, v2
	v_readfirstlane_b32 s9, v3
	s_nop 4
	global_load_ubyte v11, v0, s[8:9] offset:3584
.LBB194_23:
	s_or_b64 exec, exec, s[4:5]
	v_or_b32_e32 v13, 0x1000, v0
	v_cmp_gt_u32_e32 vcc, s33, v13
                                        ; implicit-def: $vgpr12
	s_and_saveexec_b64 s[4:5], vcc
	s_cbranch_execz .LBB194_25
; %bb.24:
	v_readfirstlane_b32 s8, v2
	v_readfirstlane_b32 s9, v3
	s_nop 4
	global_load_ubyte v12, v13, s[8:9]
.LBB194_25:
	s_or_b64 exec, exec, s[4:5]
	v_or_b32_e32 v14, 0x1200, v0
	v_cmp_gt_u32_e32 vcc, s33, v14
                                        ; implicit-def: $vgpr13
	s_and_saveexec_b64 s[4:5], vcc
	s_cbranch_execz .LBB194_27
; %bb.26:
	v_readfirstlane_b32 s8, v2
	v_readfirstlane_b32 s9, v3
	s_nop 4
	global_load_ubyte v13, v14, s[8:9]
.LBB194_27:
	s_or_b64 exec, exec, s[4:5]
	v_or_b32_e32 v15, 0x1400, v0
	v_cmp_gt_u32_e32 vcc, s33, v15
                                        ; implicit-def: $vgpr14
	s_and_saveexec_b64 s[4:5], vcc
	s_cbranch_execz .LBB194_29
; %bb.28:
	v_readfirstlane_b32 s8, v2
	v_readfirstlane_b32 s9, v3
	s_nop 4
	global_load_ubyte v14, v15, s[8:9]
.LBB194_29:
	s_or_b64 exec, exec, s[4:5]
	v_or_b32_e32 v16, 0x1600, v0
	v_cmp_gt_u32_e32 vcc, s33, v16
                                        ; implicit-def: $vgpr15
	s_and_saveexec_b64 s[4:5], vcc
	s_cbranch_execz .LBB194_31
; %bb.30:
	v_readfirstlane_b32 s8, v2
	v_readfirstlane_b32 s9, v3
	s_nop 4
	global_load_ubyte v15, v16, s[8:9]
.LBB194_31:
	s_or_b64 exec, exec, s[4:5]
	v_or_b32_e32 v17, 0x1800, v0
	v_cmp_gt_u32_e32 vcc, s33, v17
                                        ; implicit-def: $vgpr16
	s_and_saveexec_b64 s[4:5], vcc
	s_cbranch_execz .LBB194_33
; %bb.32:
	v_readfirstlane_b32 s8, v2
	v_readfirstlane_b32 s9, v3
	s_nop 4
	global_load_ubyte v16, v17, s[8:9]
.LBB194_33:
	s_or_b64 exec, exec, s[4:5]
	v_or_b32_e32 v18, 0x1a00, v0
	v_cmp_gt_u32_e32 vcc, s33, v18
                                        ; implicit-def: $vgpr17
	s_and_saveexec_b64 s[4:5], vcc
	s_cbranch_execz .LBB194_35
; %bb.34:
	v_readfirstlane_b32 s8, v2
	v_readfirstlane_b32 s9, v3
	s_nop 4
	global_load_ubyte v17, v18, s[8:9]
.LBB194_35:
	s_or_b64 exec, exec, s[4:5]
	v_or_b32_e32 v19, 0x1c00, v0
	v_cmp_gt_u32_e32 vcc, s33, v19
                                        ; implicit-def: $vgpr18
	s_and_saveexec_b64 s[4:5], vcc
	s_cbranch_execz .LBB194_37
; %bb.36:
	v_readfirstlane_b32 s8, v2
	v_readfirstlane_b32 s9, v3
	s_nop 4
	global_load_ubyte v18, v19, s[8:9]
.LBB194_37:
	s_or_b64 exec, exec, s[4:5]
	s_waitcnt vmcnt(0) lgkmcnt(0)
	ds_write_b8 v0, v1
	ds_write_b8 v0, v5 offset:512
	ds_write_b8 v0, v6 offset:1024
	;; [unrolled: 1-line block ×14, first 2 shown]
	s_waitcnt lgkmcnt(0)
	s_barrier
	ds_read_b96 v[8:10], v4
	ds_read_u8 v56, v4 offset:12
	ds_read_u8 v11, v4 offset:13
	;; [unrolled: 1-line block ×3, first 2 shown]
	v_mad_u32_u24 v4, v0, 15, 14
	s_waitcnt lgkmcnt(3)
	v_lshrrev_b32_e32 v68, 8, v8
	v_lshrrev_b32_e32 v66, 16, v8
	;; [unrolled: 1-line block ×9, first 2 shown]
	v_cmp_gt_u32_e64 s[4:5], s33, v4
.LBB194_38:
	v_mov_b32_e32 v52, s10
                                        ; implicit-def: $vgpr53
	s_and_saveexec_b64 s[8:9], s[4:5]
; %bb.39:
	v_mov_b32_e32 v53, s10
; %bb.40:
	s_or_b64 exec, exec, s[8:9]
	s_cmp_eq_u64 s[0:1], 0
	s_cselect_b64 s[42:43], -1, 0
	s_cmp_lg_u64 s[0:1], 0
	s_mov_b64 s[4:5], 0
	s_cselect_b64 s[8:9], -1, 0
	s_and_b64 vcc, exec, s[6:7]
	s_waitcnt lgkmcnt(0)
	s_barrier
	s_cbranch_vccz .LBB194_46
; %bb.41:
	s_and_b64 vcc, exec, s[8:9]
	s_cbranch_vccz .LBB194_47
; %bb.42:
	global_load_ubyte v4, v[2:3], off offset:-1
	v_cmp_ne_u16_sdwa s[4:5], v11, v1 src0_sel:BYTE_0 src1_sel:BYTE_0
	v_cmp_ne_u16_sdwa s[6:7], v56, v11 src0_sel:BYTE_0 src1_sel:BYTE_0
	v_cmp_ne_u16_sdwa s[10:11], v57, v56 src0_sel:BYTE_0 src1_sel:BYTE_0
	v_cmp_ne_u16_sdwa s[12:13], v58, v57 src0_sel:BYTE_0 src1_sel:BYTE_0
	v_cmp_ne_u16_sdwa s[14:15], v59, v58 src0_sel:BYTE_0 src1_sel:BYTE_0
	v_cmp_ne_u16_sdwa s[16:17], v10, v59 src0_sel:BYTE_0 src1_sel:BYTE_0
	v_cmp_ne_u16_sdwa s[18:19], v60, v10 src0_sel:BYTE_0 src1_sel:BYTE_0
	v_cmp_ne_u16_sdwa s[20:21], v61, v60 src0_sel:BYTE_0 src1_sel:BYTE_0
	v_cmp_ne_u16_sdwa s[22:23], v62, v61 src0_sel:BYTE_0 src1_sel:BYTE_0
	v_cmp_ne_u16_sdwa s[24:25], v9, v62 src0_sel:BYTE_0 src1_sel:BYTE_0
	v_cmp_ne_u16_sdwa s[26:27], v64, v9 src0_sel:BYTE_0 src1_sel:BYTE_0
	v_cmp_ne_u16_sdwa s[52:53], v66, v64 src0_sel:BYTE_0 src1_sel:BYTE_0
	v_cmp_ne_u16_sdwa s[54:55], v68, v66 src0_sel:BYTE_0 src1_sel:BYTE_0
	v_cmp_ne_u16_sdwa s[56:57], v8, v68 src0_sel:BYTE_0 src1_sel:BYTE_0
	ds_write_b8 v0, v1
	s_waitcnt lgkmcnt(0)
	s_barrier
	s_and_saveexec_b64 s[58:59], s[2:3]
	s_cbranch_execz .LBB194_44
; %bb.43:
	s_waitcnt vmcnt(0)
	v_add_u32_e32 v4, -1, v0
	ds_read_u8 v4, v4
.LBB194_44:
	s_or_b64 exec, exec, s[58:59]
	s_waitcnt vmcnt(0) lgkmcnt(0)
	v_and_b32_e32 v4, 0xff, v4
	v_cndmask_b32_e64 v63, 0, 1, s[4:5]
	v_cndmask_b32_e64 v65, 0, 1, s[6:7]
	;; [unrolled: 1-line block ×14, first 2 shown]
	v_cmp_ne_u16_sdwa s[6:7], v4, v8 src0_sel:DWORD src1_sel:BYTE_0
	s_mov_b64 s[4:5], -1
.LBB194_45:
                                        ; implicit-def: $sgpr12
	s_branch .LBB194_59
.LBB194_46:
                                        ; implicit-def: $sgpr6_sgpr7
                                        ; implicit-def: $vgpr63
                                        ; implicit-def: $vgpr65
                                        ; implicit-def: $vgpr67
                                        ; implicit-def: $vgpr69
                                        ; implicit-def: $vgpr70
                                        ; implicit-def: $vgpr71
                                        ; implicit-def: $vgpr72
                                        ; implicit-def: $vgpr73
                                        ; implicit-def: $vgpr21
                                        ; implicit-def: $vgpr74
                                        ; implicit-def: $vgpr75
                                        ; implicit-def: $vgpr76
                                        ; implicit-def: $vgpr77
                                        ; implicit-def: $vgpr78
                                        ; implicit-def: $sgpr12
	s_cbranch_execnz .LBB194_51
	s_branch .LBB194_59
.LBB194_47:
                                        ; implicit-def: $sgpr6_sgpr7
                                        ; implicit-def: $vgpr63
                                        ; implicit-def: $vgpr65
                                        ; implicit-def: $vgpr67
                                        ; implicit-def: $vgpr69
                                        ; implicit-def: $vgpr70
                                        ; implicit-def: $vgpr71
                                        ; implicit-def: $vgpr72
                                        ; implicit-def: $vgpr73
                                        ; implicit-def: $vgpr21
                                        ; implicit-def: $vgpr74
                                        ; implicit-def: $vgpr75
                                        ; implicit-def: $vgpr76
                                        ; implicit-def: $vgpr77
                                        ; implicit-def: $vgpr78
	s_cbranch_execz .LBB194_45
; %bb.48:
	v_cmp_ne_u16_sdwa s[6:7], v11, v1 src0_sel:BYTE_0 src1_sel:BYTE_0
	ds_write_b8 v0, v1
	s_waitcnt lgkmcnt(0)
	v_cndmask_b32_e64 v63, 0, 1, s[6:7]
	v_cmp_ne_u16_sdwa s[6:7], v56, v11 src0_sel:BYTE_0 src1_sel:BYTE_0
	s_barrier
	s_nop 0
	v_cndmask_b32_e64 v65, 0, 1, s[6:7]
	v_cmp_ne_u16_sdwa s[6:7], v57, v56 src0_sel:BYTE_0 src1_sel:BYTE_0
	s_nop 1
	v_cndmask_b32_e64 v67, 0, 1, s[6:7]
	v_cmp_ne_u16_sdwa s[6:7], v58, v57 src0_sel:BYTE_0 src1_sel:BYTE_0
	;; [unrolled: 3-line block ×12, first 2 shown]
	s_nop 1
	v_cndmask_b32_e64 v78, 0, 1, s[6:7]
                                        ; implicit-def: $sgpr6_sgpr7
	s_and_saveexec_b64 s[10:11], s[2:3]
	s_xor_b64 s[10:11], exec, s[10:11]
	s_cbranch_execz .LBB194_50
; %bb.49:
	v_add_u32_e32 v4, -1, v0
	ds_read_u8 v4, v4
	s_or_b64 s[4:5], s[4:5], exec
	s_waitcnt lgkmcnt(0)
	v_cmp_ne_u16_sdwa s[6:7], v4, v8 src0_sel:DWORD src1_sel:BYTE_0
	s_and_b64 s[6:7], s[6:7], exec
.LBB194_50:
	s_or_b64 exec, exec, s[10:11]
	s_mov_b32 s12, 1
	s_branch .LBB194_59
.LBB194_51:
	s_mul_hi_u32 s6, s0, 0xffffe200
	s_mulk_i32 s1, 0xe200
	s_sub_i32 s6, s6, s0
	s_add_i32 s6, s6, s1
	s_mulk_i32 s0, 0xe200
	s_add_u32 s0, s0, s28
	s_addc_u32 s1, s6, s29
	s_and_b64 vcc, exec, s[8:9]
	v_mad_u32_u24 v4, v0, 15, 14
	v_cmp_ne_u16_sdwa s[54:55], v11, v1 src0_sel:BYTE_0 src1_sel:BYTE_0
	v_mad_u32_u24 v34, v0, 15, 13
	v_cmp_ne_u16_sdwa s[6:7], v56, v11 src0_sel:BYTE_0 src1_sel:BYTE_0
	;; [unrolled: 2-line block ×14, first 2 shown]
	s_cbranch_vccz .LBB194_56
; %bb.52:
	global_load_ubyte v36, v[2:3], off offset:-1
	v_mov_b32_e32 v5, 0
	v_cmp_gt_u64_e32 vcc, s[0:1], v[4:5]
	v_mov_b32_e32 v35, v5
	s_and_b64 s[4:5], vcc, s[54:55]
	v_cmp_gt_u64_e32 vcc, s[0:1], v[34:35]
	v_mov_b32_e32 v33, v5
	s_and_b64 s[6:7], vcc, s[6:7]
	;; [unrolled: 3-line block ×13, first 2 shown]
	v_cmp_gt_u64_e32 vcc, s[0:1], v[6:7]
	v_mul_u32_u24_e32 v2, 15, v0
	s_and_b64 s[10:11], vcc, s[10:11]
	ds_write_b8 v0, v1
	s_waitcnt lgkmcnt(0)
	s_barrier
	s_and_saveexec_b64 s[54:55], s[2:3]
	s_cbranch_execz .LBB194_54
; %bb.53:
	v_add_u32_e32 v3, -1, v0
	s_waitcnt vmcnt(0)
	ds_read_u8 v36, v3
.LBB194_54:
	s_or_b64 exec, exec, s[54:55]
	v_mov_b32_e32 v3, v5
	v_cmp_gt_u64_e32 vcc, s[0:1], v[2:3]
	s_waitcnt vmcnt(0) lgkmcnt(0)
	v_and_b32_e32 v2, 0xff, v36
	v_cndmask_b32_e64 v63, 0, 1, s[4:5]
	v_cmp_ne_u16_sdwa s[4:5], v2, v8 src0_sel:DWORD src1_sel:BYTE_0
	v_cndmask_b32_e64 v65, 0, 1, s[6:7]
	v_cndmask_b32_e64 v67, 0, 1, s[8:9]
	;; [unrolled: 1-line block ×13, first 2 shown]
	s_and_b64 s[6:7], vcc, s[4:5]
	s_mov_b64 s[4:5], -1
.LBB194_55:
                                        ; implicit-def: $sgpr12
	v_mov_b32_e32 v79, s12
	s_and_saveexec_b64 s[0:1], s[4:5]
	s_cbranch_execnz .LBB194_60
	s_branch .LBB194_61
.LBB194_56:
                                        ; implicit-def: $sgpr6_sgpr7
                                        ; implicit-def: $vgpr63
                                        ; implicit-def: $vgpr65
                                        ; implicit-def: $vgpr67
                                        ; implicit-def: $vgpr69
                                        ; implicit-def: $vgpr70
                                        ; implicit-def: $vgpr71
                                        ; implicit-def: $vgpr72
                                        ; implicit-def: $vgpr73
                                        ; implicit-def: $vgpr21
                                        ; implicit-def: $vgpr74
                                        ; implicit-def: $vgpr75
                                        ; implicit-def: $vgpr76
                                        ; implicit-def: $vgpr77
                                        ; implicit-def: $vgpr78
	s_cbranch_execz .LBB194_55
; %bb.57:
	v_mov_b32_e32 v5, 0
	v_cmp_gt_u64_e32 vcc, s[0:1], v[4:5]
	v_cmp_ne_u16_sdwa s[6:7], v11, v1 src0_sel:BYTE_0 src1_sel:BYTE_0
	s_and_b64 s[6:7], vcc, s[6:7]
	v_mov_b32_e32 v35, v5
	v_cndmask_b32_e64 v63, 0, 1, s[6:7]
	v_cmp_gt_u64_e32 vcc, s[0:1], v[34:35]
	v_cmp_ne_u16_sdwa s[6:7], v56, v11 src0_sel:BYTE_0 src1_sel:BYTE_0
	s_and_b64 s[6:7], vcc, s[6:7]
	v_mov_b32_e32 v33, v5
	v_cndmask_b32_e64 v65, 0, 1, s[6:7]
	;; [unrolled: 5-line block ×13, first 2 shown]
	v_cmp_gt_u64_e32 vcc, s[0:1], v[6:7]
	v_cmp_ne_u16_sdwa s[6:7], v8, v68 src0_sel:BYTE_0 src1_sel:BYTE_0
	s_and_b64 s[6:7], vcc, s[6:7]
	s_mov_b32 s12, 1
	v_cndmask_b32_e64 v78, 0, 1, s[6:7]
	ds_write_b8 v0, v1
	s_waitcnt lgkmcnt(0)
	s_barrier
	s_waitcnt lgkmcnt(0)
                                        ; implicit-def: $sgpr6_sgpr7
	s_and_saveexec_b64 s[8:9], s[2:3]
	s_cbranch_execz .LBB194_149
; %bb.58:
	v_add_u32_e32 v2, -1, v0
	ds_read_u8 v2, v2
	v_mul_u32_u24_e32 v4, 15, v0
	v_cmp_gt_u64_e32 vcc, s[0:1], v[4:5]
	s_or_b64 s[4:5], s[4:5], exec
	s_waitcnt lgkmcnt(0)
	v_and_b32_e32 v2, 0xff, v2
	v_cmp_ne_u16_sdwa s[0:1], v2, v8 src0_sel:DWORD src1_sel:BYTE_0
	s_and_b64 s[0:1], vcc, s[0:1]
	s_and_b64 s[6:7], s[0:1], exec
	s_or_b64 exec, exec, s[8:9]
.LBB194_59:
	v_mov_b32_e32 v79, s12
	s_and_saveexec_b64 s[0:1], s[4:5]
.LBB194_60:
	v_cndmask_b32_e64 v79, 0, 1, s[6:7]
.LBB194_61:
	s_or_b64 exec, exec, s[0:1]
	s_cmp_eq_u64 s[38:39], 0
	v_add3_u32 v2, v78, v79, v77
	s_cselect_b64 s[38:39], -1, 0
	s_cmp_lg_u32 s60, 0
	v_cmp_eq_u32_e64 s[26:27], 0, v78
	v_cmp_eq_u32_e64 s[24:25], 0, v77
	v_cmp_eq_u32_e64 s[22:23], 0, v76
	v_add3_u32 v81, v2, v76, v75
	v_cmp_eq_u32_e64 s[20:21], 0, v75
	v_cmp_eq_u32_e64 s[18:19], 0, v74
	;; [unrolled: 1-line block ×10, first 2 shown]
	v_cmp_eq_u32_e32 vcc, 0, v63
	v_mbcnt_lo_u32_b32 v80, -1, 0
	v_lshrrev_b32_e32 v54, 6, v0
	v_or_b32_e32 v55, 63, v0
	s_cbranch_scc0 .LBB194_88
; %bb.62:
	v_cndmask_b32_e64 v2, 0, v52, s[26:27]
	v_add_u32_e32 v2, v2, v52
	v_cndmask_b32_e64 v2, 0, v2, s[24:25]
	v_add_u32_e32 v2, v2, v52
	;; [unrolled: 2-line block ×11, first 2 shown]
	v_cndmask_b32_e64 v2, 0, v2, s[4:5]
	v_add3_u32 v3, v81, v74, v21
	v_add_u32_e32 v2, v2, v52
	v_add3_u32 v3, v3, v73, v72
	v_cndmask_b32_e64 v2, 0, v2, s[2:3]
	v_add3_u32 v3, v3, v71, v70
	v_add_u32_e32 v2, v2, v52
	v_add3_u32 v3, v3, v69, v67
	v_cndmask_b32_e32 v2, 0, v2, vcc
	v_add3_u32 v3, v3, v65, v63
	v_add_u32_e32 v2, v2, v53
	v_mbcnt_hi_u32_b32 v15, -1, v80
	v_and_b32_e32 v4, 15, v15
	v_mov_b32_dpp v6, v2 row_shr:1 row_mask:0xf bank_mask:0xf
	v_cmp_eq_u32_e32 vcc, 0, v3
	v_mov_b32_dpp v5, v3 row_shr:1 row_mask:0xf bank_mask:0xf
	v_cmp_lt_u32_e64 s[0:1], 1, v4
	v_cndmask_b32_e32 v6, 0, v6, vcc
	v_cmp_eq_u32_e32 vcc, 0, v4
	s_nop 1
	v_cndmask_b32_e64 v5, v5, 0, vcc
	v_add_u32_e32 v3, v5, v3
	v_cndmask_b32_e64 v5, v6, 0, vcc
	v_add_u32_e32 v2, v5, v2
	v_cmp_eq_u32_e32 vcc, 0, v3
	v_mov_b32_dpp v5, v3 row_shr:2 row_mask:0xf bank_mask:0xf
	v_mov_b32_dpp v6, v2 row_shr:2 row_mask:0xf bank_mask:0xf
	v_cndmask_b32_e64 v5, 0, v5, s[0:1]
	s_and_b64 vcc, s[0:1], vcc
	v_cndmask_b32_e32 v6, 0, v6, vcc
	v_add_u32_e32 v3, v3, v5
	v_add_u32_e32 v2, v6, v2
	v_cmp_eq_u32_e32 vcc, 0, v3
	v_mov_b32_dpp v5, v3 row_shr:4 row_mask:0xf bank_mask:0xf
	v_cmp_lt_u32_e64 s[0:1], 3, v4
	v_mov_b32_dpp v6, v2 row_shr:4 row_mask:0xf bank_mask:0xf
	s_and_b64 vcc, s[0:1], vcc
	v_cndmask_b32_e64 v5, 0, v5, s[0:1]
	v_cndmask_b32_e32 v6, 0, v6, vcc
	v_add_u32_e32 v3, v5, v3
	v_add_u32_e32 v2, v2, v6
	v_cmp_eq_u32_e32 vcc, 0, v3
	v_cmp_lt_u32_e64 s[0:1], 7, v4
	v_mov_b32_dpp v5, v3 row_shr:8 row_mask:0xf bank_mask:0xf
	v_mov_b32_dpp v6, v2 row_shr:8 row_mask:0xf bank_mask:0xf
	s_and_b64 vcc, s[0:1], vcc
	v_cndmask_b32_e64 v4, 0, v5, s[0:1]
	v_cndmask_b32_e32 v5, 0, v6, vcc
	v_add_u32_e32 v2, v5, v2
	v_add_u32_e32 v3, v4, v3
	v_bfe_i32 v6, v15, 4, 1
	v_mov_b32_dpp v5, v2 row_bcast:15 row_mask:0xf bank_mask:0xf
	v_mov_b32_dpp v4, v3 row_bcast:15 row_mask:0xf bank_mask:0xf
	v_cmp_eq_u32_e32 vcc, 0, v3
	v_and_b32_e32 v4, v6, v4
	v_add_u32_e32 v3, v4, v3
	v_cndmask_b32_e32 v5, 0, v5, vcc
	v_and_b32_e32 v4, v6, v5
	v_add_u32_e32 v4, v4, v2
	v_mov_b32_dpp v2, v3 row_bcast:31 row_mask:0xf bank_mask:0xf
	v_cmp_eq_u32_e32 vcc, 0, v3
	v_cmp_lt_u32_e64 s[0:1], 31, v15
	v_mov_b32_dpp v5, v4 row_bcast:31 row_mask:0xf bank_mask:0xf
	s_and_b64 vcc, s[0:1], vcc
	v_cndmask_b32_e64 v2, 0, v2, s[0:1]
	v_add_u32_e32 v2, v2, v3
	v_cndmask_b32_e32 v3, 0, v5, vcc
	v_add_u32_e32 v3, v3, v4
	v_cmp_eq_u32_e32 vcc, v55, v0
	v_lshlrev_b32_e32 v4, 3, v54
	s_and_saveexec_b64 s[0:1], vcc
	s_cbranch_execz .LBB194_64
; %bb.63:
	ds_write_b64 v4, v[2:3] offset:1040
.LBB194_64:
	s_or_b64 exec, exec, s[0:1]
	v_cmp_gt_u32_e32 vcc, 8, v0
	s_waitcnt lgkmcnt(0)
	s_barrier
	s_and_saveexec_b64 s[28:29], vcc
	s_cbranch_execz .LBB194_66
; %bb.65:
	v_lshlrev_b32_e32 v5, 3, v0
	ds_read_b64 v[6:7], v5 offset:1040
	v_and_b32_e32 v12, 7, v15
	v_cmp_lt_u32_e64 s[0:1], 1, v12
	s_waitcnt lgkmcnt(0)
	v_mov_b32_dpp v14, v7 row_shr:1 row_mask:0xf bank_mask:0xf
	v_cmp_eq_u32_e32 vcc, 0, v6
	v_mov_b32_dpp v13, v6 row_shr:1 row_mask:0xf bank_mask:0xf
	s_nop 0
	v_cndmask_b32_e32 v14, 0, v14, vcc
	v_cmp_eq_u32_e32 vcc, 0, v12
	s_nop 1
	v_cndmask_b32_e64 v13, v13, 0, vcc
	v_add_u32_e32 v6, v13, v6
	v_cndmask_b32_e64 v13, v14, 0, vcc
	v_add_u32_e32 v7, v13, v7
	v_cmp_eq_u32_e32 vcc, 0, v6
	v_mov_b32_dpp v13, v6 row_shr:2 row_mask:0xf bank_mask:0xf
	v_mov_b32_dpp v14, v7 row_shr:2 row_mask:0xf bank_mask:0xf
	v_cndmask_b32_e64 v13, 0, v13, s[0:1]
	s_and_b64 vcc, s[0:1], vcc
	v_cndmask_b32_e32 v14, 0, v14, vcc
	v_add_u32_e32 v6, v13, v6
	v_add_u32_e32 v7, v14, v7
	v_cmp_eq_u32_e32 vcc, 0, v6
	v_mov_b32_dpp v13, v6 row_shr:4 row_mask:0xf bank_mask:0xf
	v_cmp_lt_u32_e64 s[0:1], 3, v12
	v_mov_b32_dpp v14, v7 row_shr:4 row_mask:0xf bank_mask:0xf
	s_and_b64 vcc, s[0:1], vcc
	v_cndmask_b32_e64 v12, 0, v13, s[0:1]
	v_add_u32_e32 v6, v12, v6
	v_cndmask_b32_e32 v12, 0, v14, vcc
	v_add_u32_e32 v7, v12, v7
	ds_write_b64 v5, v[6:7] offset:1040
.LBB194_66:
	s_or_b64 exec, exec, s[28:29]
	v_cmp_gt_u32_e32 vcc, 64, v0
	v_cmp_lt_u32_e64 s[0:1], 63, v0
	v_mov_b32_e32 v12, 0
	v_mov_b32_e32 v13, 0
	s_waitcnt lgkmcnt(0)
	s_barrier
	s_and_saveexec_b64 s[28:29], s[0:1]
	s_cbranch_execz .LBB194_68
; %bb.67:
	ds_read_b64 v[12:13], v4 offset:1032
	v_cmp_eq_u32_e64 s[0:1], 0, v2
	s_waitcnt lgkmcnt(0)
	v_add_u32_e32 v4, v12, v2
	v_cndmask_b32_e64 v2, 0, v13, s[0:1]
	v_add_u32_e32 v3, v2, v3
	v_mov_b32_e32 v2, v4
.LBB194_68:
	s_or_b64 exec, exec, s[28:29]
	v_add_u32_e32 v4, -1, v15
	v_and_b32_e32 v5, 64, v15
	v_cmp_lt_i32_e64 s[0:1], v4, v5
	v_cmp_eq_u32_e64 s[28:29], 0, v15
	s_nop 0
	v_cndmask_b32_e64 v4, v4, v15, s[0:1]
	v_lshlrev_b32_e32 v4, 2, v4
	ds_bpermute_b32 v20, v4, v2
	ds_bpermute_b32 v22, v4, v3
	s_and_saveexec_b64 s[52:53], vcc
	s_cbranch_execz .LBB194_87
; %bb.69:
	v_mov_b32_e32 v7, 0
	ds_read_b64 v[2:3], v7 offset:1096
	s_waitcnt lgkmcnt(0)
	v_readfirstlane_b32 s56, v2
	v_readfirstlane_b32 s57, v3
	s_and_saveexec_b64 s[0:1], s[28:29]
	s_cbranch_execz .LBB194_71
; %bb.70:
	s_add_i32 s54, s60, 64
	s_mov_b32 s55, 0
	s_lshl_b64 s[58:59], s[54:55], 4
	s_add_u32 s58, s36, s58
	s_addc_u32 s59, s37, s59
	s_and_b32 s63, s57, 0xff000000
	s_mov_b32 s62, s55
	s_and_b32 s65, s57, 0xff0000
	s_mov_b32 s64, s55
	s_or_b64 s[62:63], s[64:65], s[62:63]
	s_and_b32 s65, s57, 0xff00
	s_or_b64 s[62:63], s[62:63], s[64:65]
	s_and_b32 s65, s57, 0xff
	s_or_b64 s[54:55], s[62:63], s[64:65]
	v_mov_b32_e32 v4, s56
	v_mov_b32_e32 v5, s55
	v_mov_b32_e32 v6, 1
	v_mov_b64_e32 v[2:3], s[58:59]
	;;#ASMSTART
	global_store_dwordx4 v[2:3], v[4:7] off sc1	
s_waitcnt vmcnt(0)
	;;#ASMEND
.LBB194_71:
	s_or_b64 exec, exec, s[0:1]
	v_xad_u32 v14, v15, -1, s60
	v_add_u32_e32 v6, 64, v14
	v_lshl_add_u64 v[16:17], v[6:7], 4, s[36:37]
	;;#ASMSTART
	global_load_dwordx4 v[2:5], v[16:17] off sc1	
s_waitcnt vmcnt(0)
	;;#ASMEND
	s_nop 0
	v_and_b32_e32 v5, 0xff, v3
	v_and_b32_e32 v6, 0xff00, v3
	v_or3_b32 v2, v2, 0, 0
	v_and_b32_e32 v18, 0xff000000, v3
	v_or3_b32 v5, 0, v5, v6
	;; [unrolled: 2-line block ×3, first 2 shown]
	v_or3_b32 v2, v2, 0, 0
	v_cmp_eq_u16_sdwa s[54:55], v4, v7 src0_sel:BYTE_0 src1_sel:DWORD
	s_and_saveexec_b64 s[0:1], s[54:55]
	s_cbranch_execz .LBB194_75
; %bb.72:
	s_mov_b64 s[54:55], 0
	v_mov_b32_e32 v6, 0
.LBB194_73:                             ; =>This Inner Loop Header: Depth=1
	;;#ASMSTART
	global_load_dwordx4 v[2:5], v[16:17] off sc1	
s_waitcnt vmcnt(0)
	;;#ASMEND
	s_nop 0
	v_cmp_ne_u16_sdwa s[58:59], v4, v6 src0_sel:BYTE_0 src1_sel:DWORD
	s_or_b64 s[54:55], s[58:59], s[54:55]
	s_andn2_b64 exec, exec, s[54:55]
	s_cbranch_execnz .LBB194_73
; %bb.74:
	s_or_b64 exec, exec, s[54:55]
.LBB194_75:
	s_or_b64 exec, exec, s[0:1]
	v_mov_b32_e32 v23, 2
	v_cmp_eq_u16_sdwa s[0:1], v4, v23 src0_sel:BYTE_0 src1_sel:DWORD
	v_lshlrev_b64 v[16:17], v15, -1
	v_and_b32_e32 v24, 63, v15
	v_and_b32_e32 v5, s1, v17
	v_or_b32_e32 v5, 0x80000000, v5
	v_cmp_ne_u32_e32 vcc, 63, v24
	v_and_b32_e32 v6, s0, v16
	v_ffbl_b32_e32 v5, v5
	v_addc_co_u32_e32 v7, vcc, 0, v15, vcc
	v_add_u32_e32 v5, 32, v5
	v_ffbl_b32_e32 v6, v6
	v_lshlrev_b32_e32 v25, 2, v7
	v_min_u32_e32 v5, v6, v5
	ds_bpermute_b32 v6, v25, v3
	v_cmp_eq_u32_e32 vcc, 0, v2
	v_cmp_lt_u32_e64 s[0:1], v24, v5
	ds_bpermute_b32 v7, v25, v2
	s_and_b64 vcc, s[0:1], vcc
	s_waitcnt lgkmcnt(1)
	v_cndmask_b32_e32 v6, 0, v6, vcc
	v_cmp_gt_u32_e32 vcc, 62, v24
	v_add_u32_e32 v3, v6, v3
	s_waitcnt lgkmcnt(0)
	v_cndmask_b32_e64 v7, 0, v7, s[0:1]
	v_cndmask_b32_e64 v6, 0, 1, vcc
	v_lshlrev_b32_e32 v6, 1, v6
	v_add_lshl_u32 v26, v6, v15, 2
	ds_bpermute_b32 v6, v26, v3
	v_add_u32_e32 v2, v7, v2
	ds_bpermute_b32 v7, v26, v2
	v_add_u32_e32 v27, 2, v24
	v_cmp_eq_u32_e32 vcc, 0, v2
	v_add_u32_e32 v29, 4, v24
	v_add_u32_e32 v31, 8, v24
	s_waitcnt lgkmcnt(1)
	v_cndmask_b32_e32 v6, 0, v6, vcc
	v_cmp_gt_u32_e32 vcc, v27, v5
	v_add_u32_e32 v33, 16, v24
	v_add_u32_e32 v35, 32, v24
	v_cndmask_b32_e64 v6, v6, 0, vcc
	v_add_u32_e32 v3, v6, v3
	s_waitcnt lgkmcnt(0)
	v_cndmask_b32_e64 v6, v7, 0, vcc
	v_cmp_gt_u32_e32 vcc, 60, v24
	v_add_u32_e32 v2, v2, v6
	s_nop 0
	v_cndmask_b32_e64 v7, 0, 1, vcc
	v_lshlrev_b32_e32 v7, 2, v7
	v_add_lshl_u32 v28, v7, v15, 2
	ds_bpermute_b32 v7, v28, v3
	ds_bpermute_b32 v6, v28, v2
	v_cmp_eq_u32_e32 vcc, 0, v2
	s_waitcnt lgkmcnt(1)
	s_nop 0
	v_cndmask_b32_e32 v7, 0, v7, vcc
	v_cmp_gt_u32_e32 vcc, v29, v5
	s_nop 1
	v_cndmask_b32_e64 v7, v7, 0, vcc
	s_waitcnt lgkmcnt(0)
	v_cndmask_b32_e64 v6, v6, 0, vcc
	v_cmp_gt_u32_e32 vcc, 56, v24
	v_add_u32_e32 v3, v3, v7
	v_add_u32_e32 v2, v2, v6
	v_cndmask_b32_e64 v7, 0, 1, vcc
	v_lshlrev_b32_e32 v7, 3, v7
	v_add_lshl_u32 v30, v7, v15, 2
	ds_bpermute_b32 v7, v30, v3
	ds_bpermute_b32 v6, v30, v2
	v_cmp_eq_u32_e32 vcc, 0, v2
	s_waitcnt lgkmcnt(1)
	s_nop 0
	v_cndmask_b32_e32 v7, 0, v7, vcc
	v_cmp_gt_u32_e32 vcc, v31, v5
	s_nop 1
	v_cndmask_b32_e64 v7, v7, 0, vcc
	s_waitcnt lgkmcnt(0)
	v_cndmask_b32_e64 v6, v6, 0, vcc
	v_cmp_gt_u32_e32 vcc, 48, v24
	v_add_u32_e32 v3, v3, v7
	v_add_u32_e32 v2, v2, v6
	;; [unrolled: 17-line block ×3, first 2 shown]
	v_cndmask_b32_e64 v7, 0, 1, vcc
	v_lshlrev_b32_e32 v7, 5, v7
	v_add_lshl_u32 v34, v7, v15, 2
	ds_bpermute_b32 v7, v34, v3
	ds_bpermute_b32 v6, v34, v2
	v_cmp_eq_u32_e32 vcc, 0, v2
	v_mov_b32_e32 v15, 0
	s_waitcnt lgkmcnt(1)
	v_cndmask_b32_e32 v7, 0, v7, vcc
	v_cmp_gt_u32_e32 vcc, v35, v5
	s_nop 1
	v_cndmask_b32_e64 v5, v7, 0, vcc
	v_add_u32_e32 v3, v5, v3
	s_waitcnt lgkmcnt(0)
	v_cndmask_b32_e64 v5, v6, 0, vcc
	v_add_u32_e32 v2, v5, v2
	s_branch .LBB194_77
.LBB194_76:                             ;   in Loop: Header=BB194_77 Depth=1
	s_or_b64 exec, exec, s[0:1]
	v_cmp_eq_u16_sdwa s[0:1], v4, v23 src0_sel:BYTE_0 src1_sel:DWORD
	v_cmp_eq_u32_e32 vcc, 0, v2
	ds_bpermute_b32 v19, v25, v2
	v_and_b32_e32 v5, s1, v17
	v_or_b32_e32 v5, 0x80000000, v5
	v_and_b32_e32 v18, s0, v16
	v_ffbl_b32_e32 v5, v5
	v_add_u32_e32 v5, 32, v5
	v_ffbl_b32_e32 v18, v18
	v_min_u32_e32 v5, v18, v5
	ds_bpermute_b32 v18, v25, v3
	v_cmp_lt_u32_e64 s[0:1], v24, v5
	s_and_b64 vcc, s[0:1], vcc
	v_subrev_u32_e32 v14, 64, v14
	s_waitcnt lgkmcnt(1)
	v_cndmask_b32_e64 v19, 0, v19, s[0:1]
	s_waitcnt lgkmcnt(0)
	v_cndmask_b32_e32 v18, 0, v18, vcc
	v_add_u32_e32 v3, v18, v3
	ds_bpermute_b32 v18, v26, v3
	v_add_u32_e32 v2, v19, v2
	v_cmp_eq_u32_e32 vcc, 0, v2
	ds_bpermute_b32 v19, v26, v2
	s_waitcnt lgkmcnt(1)
	v_cndmask_b32_e32 v18, 0, v18, vcc
	v_cmp_gt_u32_e32 vcc, v27, v5
	s_nop 1
	v_cndmask_b32_e64 v18, v18, 0, vcc
	v_add_u32_e32 v3, v18, v3
	ds_bpermute_b32 v18, v28, v3
	s_waitcnt lgkmcnt(1)
	v_cndmask_b32_e64 v19, v19, 0, vcc
	v_add_u32_e32 v2, v2, v19
	v_cmp_eq_u32_e32 vcc, 0, v2
	ds_bpermute_b32 v19, v28, v2
	s_waitcnt lgkmcnt(1)
	v_cndmask_b32_e32 v18, 0, v18, vcc
	v_cmp_gt_u32_e32 vcc, v29, v5
	s_nop 1
	v_cndmask_b32_e64 v18, v18, 0, vcc
	v_add_u32_e32 v3, v3, v18
	ds_bpermute_b32 v18, v30, v3
	s_waitcnt lgkmcnt(1)
	v_cndmask_b32_e64 v19, v19, 0, vcc
	v_add_u32_e32 v2, v2, v19
	ds_bpermute_b32 v19, v30, v2
	v_cmp_eq_u32_e32 vcc, 0, v2
	s_waitcnt lgkmcnt(1)
	s_nop 0
	v_cndmask_b32_e32 v18, 0, v18, vcc
	v_cmp_gt_u32_e32 vcc, v31, v5
	s_nop 1
	v_cndmask_b32_e64 v18, v18, 0, vcc
	v_add_u32_e32 v3, v3, v18
	ds_bpermute_b32 v18, v32, v3
	s_waitcnt lgkmcnt(1)
	v_cndmask_b32_e64 v19, v19, 0, vcc
	v_add_u32_e32 v2, v2, v19
	ds_bpermute_b32 v19, v32, v2
	v_cmp_eq_u32_e32 vcc, 0, v2
	s_waitcnt lgkmcnt(1)
	s_nop 0
	;; [unrolled: 13-line block ×3, first 2 shown]
	v_cndmask_b32_e32 v18, 0, v18, vcc
	v_cmp_gt_u32_e32 vcc, v35, v5
	s_nop 1
	v_cndmask_b32_e64 v5, v18, 0, vcc
	v_add_u32_e32 v3, v5, v3
	s_waitcnt lgkmcnt(0)
	v_cndmask_b32_e64 v5, v19, 0, vcc
	v_cmp_eq_u32_e32 vcc, 0, v6
	v_add3_u32 v2, v2, v6, v5
	s_nop 0
	v_cndmask_b32_e32 v3, 0, v3, vcc
	v_add_u32_e32 v3, v3, v7
.LBB194_77:                             ; =>This Loop Header: Depth=1
                                        ;     Child Loop BB194_80 Depth 2
	v_cmp_ne_u16_sdwa s[0:1], v4, v23 src0_sel:BYTE_0 src1_sel:DWORD
	v_mov_b32_e32 v7, v3
	v_mov_b32_e32 v6, v2
	v_cndmask_b32_e64 v3, 0, 1, s[0:1]
	;;#ASMSTART
	;;#ASMEND
	s_nop 0
	v_cmp_ne_u32_e32 vcc, 0, v3
	s_cmp_lg_u64 vcc, exec
	s_cbranch_scc1 .LBB194_82
; %bb.78:                               ;   in Loop: Header=BB194_77 Depth=1
	v_lshl_add_u64 v[18:19], v[14:15], 4, s[36:37]
	;;#ASMSTART
	global_load_dwordx4 v[2:5], v[18:19] off sc1	
s_waitcnt vmcnt(0)
	;;#ASMEND
	s_nop 0
	v_and_b32_e32 v5, 0xff, v3
	v_and_b32_e32 v36, 0xff00, v3
	v_or3_b32 v2, v2, 0, 0
	v_and_b32_e32 v37, 0xff000000, v3
	v_or3_b32 v5, 0, v5, v36
	;; [unrolled: 2-line block ×3, first 2 shown]
	v_or3_b32 v2, v2, 0, 0
	v_cmp_eq_u16_sdwa s[54:55], v4, v15 src0_sel:BYTE_0 src1_sel:DWORD
	s_and_saveexec_b64 s[0:1], s[54:55]
	s_cbranch_execz .LBB194_76
; %bb.79:                               ;   in Loop: Header=BB194_77 Depth=1
	s_mov_b64 s[54:55], 0
.LBB194_80:                             ;   Parent Loop BB194_77 Depth=1
                                        ; =>  This Inner Loop Header: Depth=2
	;;#ASMSTART
	global_load_dwordx4 v[2:5], v[18:19] off sc1	
s_waitcnt vmcnt(0)
	;;#ASMEND
	s_nop 0
	v_cmp_ne_u16_sdwa s[58:59], v4, v15 src0_sel:BYTE_0 src1_sel:DWORD
	s_or_b64 s[54:55], s[58:59], s[54:55]
	s_andn2_b64 exec, exec, s[54:55]
	s_cbranch_execnz .LBB194_80
; %bb.81:                               ;   in Loop: Header=BB194_77 Depth=1
	s_or_b64 exec, exec, s[54:55]
	s_branch .LBB194_76
.LBB194_82:                             ;   in Loop: Header=BB194_77 Depth=1
                                        ; implicit-def: $vgpr3
                                        ; implicit-def: $vgpr2
                                        ; implicit-def: $vgpr4
	s_cbranch_execz .LBB194_77
; %bb.83:
	s_and_saveexec_b64 s[0:1], s[28:29]
	s_cbranch_execz .LBB194_85
; %bb.84:
	s_cmp_eq_u32 s56, 0
	s_cselect_b64 vcc, -1, 0
	s_mov_b32 s55, 0
	v_cndmask_b32_e32 v2, 0, v7, vcc
	s_add_i32 s54, s60, 64
	v_add_u32_e32 v2, s57, v2
	s_lshl_b64 s[54:55], s[54:55], 4
	s_add_u32 s54, s36, s54
	v_and_b32_e32 v3, 0xff000000, v2
	v_and_b32_e32 v4, 0xff0000, v2
	s_addc_u32 s55, s37, s55
	v_or_b32_e32 v3, v4, v3
	v_and_b32_e32 v4, 0xff00, v2
	v_and_b32_e32 v2, 0xff, v2
	v_add_u32_e32 v14, s56, v6
	v_mov_b32_e32 v17, 0
	v_or3_b32 v15, v3, v4, v2
	v_mov_b32_e32 v16, 2
	v_mov_b64_e32 v[2:3], s[54:55]
	;;#ASMSTART
	global_store_dwordx4 v[2:3], v[14:17] off sc1	
s_waitcnt vmcnt(0)
	;;#ASMEND
	v_mov_b32_e32 v4, s56
	v_mov_b32_e32 v5, s57
	ds_write_b128 v17, v[4:7] offset:1024
.LBB194_85:
	s_or_b64 exec, exec, s[0:1]
	s_and_b64 exec, exec, s[34:35]
	s_cbranch_execz .LBB194_87
; %bb.86:
	v_mov_b32_e32 v2, 0
	ds_write_b64 v2, v[6:7] offset:1096
.LBB194_87:
	s_or_b64 exec, exec, s[52:53]
	v_mov_b32_e32 v4, 0
	s_waitcnt lgkmcnt(0)
	s_barrier
	ds_read_b64 v[2:3], v4 offset:1096
	v_cndmask_b32_e64 v6, v20, v12, s[28:29]
	v_cmp_eq_u32_e32 vcc, 0, v6
	v_cndmask_b32_e64 v5, v22, v13, s[28:29]
	s_waitcnt lgkmcnt(0)
	v_cndmask_b32_e32 v7, 0, v3, vcc
	v_add_u32_e32 v5, v7, v5
	v_cndmask_b32_e64 v51, v5, v3, s[34:35]
	v_cndmask_b32_e64 v3, v6, 0, s[34:35]
	v_cmp_eq_u32_e32 vcc, 0, v79
	v_add_u32_e32 v50, v2, v3
	v_add_u32_e32 v48, v50, v79
	v_cndmask_b32_e32 v2, 0, v51, vcc
	v_add_u32_e32 v49, v2, v52
	v_cndmask_b32_e64 v2, 0, v49, s[26:27]
	v_add_u32_e32 v47, v2, v52
	v_cndmask_b32_e64 v2, 0, v47, s[24:25]
	;; [unrolled: 2-line block ×7, first 2 shown]
	v_add_u32_e32 v35, v2, v52
	v_add_u32_e32 v46, v48, v78
	v_cndmask_b32_e64 v2, 0, v35, s[12:13]
	v_add_u32_e32 v44, v46, v77
	v_add_u32_e32 v33, v2, v52
	v_add_u32_e32 v42, v44, v76
	v_cndmask_b32_e64 v2, 0, v33, s[10:11]
	v_add_u32_e32 v40, v42, v75
	;; [unrolled: 4-line block ×3, first 2 shown]
	v_add_u32_e32 v29, v2, v52
	s_barrier
	ds_read_b128 v[16:19], v4 offset:1024
	v_add_u32_e32 v34, v36, v73
	v_cndmask_b32_e64 v2, 0, v29, s[6:7]
	v_add_u32_e32 v32, v34, v72
	v_add_u32_e32 v27, v2, v52
	;; [unrolled: 1-line block ×3, first 2 shown]
	v_cndmask_b32_e64 v2, 0, v27, s[4:5]
	v_add_u32_e32 v28, v30, v70
	v_add_u32_e32 v23, v2, v52
	v_add_u32_e32 v26, v28, v69
	v_cndmask_b32_e64 v2, 0, v23, s[2:3]
	s_waitcnt lgkmcnt(0)
	v_cmp_eq_u32_e32 vcc, 0, v16
	v_add_u32_e32 v22, v26, v67
	v_add_u32_e32 v25, v2, v52
	v_cndmask_b32_e32 v2, 0, v19, vcc
	v_add_u32_e32 v24, v22, v65
	v_add_u32_e32 v20, v2, v17
	s_branch .LBB194_100
.LBB194_88:
                                        ; implicit-def: $vgpr16
                                        ; implicit-def: $vgpr20
                                        ; implicit-def: $vgpr24_vgpr25
                                        ; implicit-def: $vgpr22_vgpr23
                                        ; implicit-def: $vgpr26_vgpr27
                                        ; implicit-def: $vgpr28_vgpr29
                                        ; implicit-def: $vgpr50_vgpr51
                                        ; implicit-def: $vgpr48_vgpr49
                                        ; implicit-def: $vgpr46_vgpr47
                                        ; implicit-def: $vgpr44_vgpr45
                                        ; implicit-def: $vgpr42_vgpr43
                                        ; implicit-def: $vgpr40_vgpr41
                                        ; implicit-def: $vgpr38_vgpr39
                                        ; implicit-def: $vgpr36_vgpr37
                                        ; implicit-def: $vgpr34_vgpr35
                                        ; implicit-def: $vgpr32_vgpr33
                                        ; implicit-def: $vgpr30_vgpr31
	s_cbranch_execz .LBB194_100
; %bb.89:
	s_and_b64 s[0:1], s[38:39], exec
	s_cselect_b32 s1, 0, s51
	s_cselect_b32 s0, 0, s50
	s_cmp_eq_u64 s[0:1], 0
	v_mov_b32_e32 v6, v52
	s_cbranch_scc1 .LBB194_91
; %bb.90:
	v_mov_b32_e32 v2, 0
	global_load_dword v6, v2, s[0:1]
.LBB194_91:
	v_cmp_eq_u32_e64 s[2:3], 0, v78
	v_cmp_eq_u32_e64 s[4:5], 0, v77
	v_cmp_eq_u32_e64 s[6:7], 0, v76
	v_cndmask_b32_e64 v2, 0, v52, s[2:3]
	v_add_u32_e32 v2, v2, v52
	v_cndmask_b32_e64 v2, 0, v2, s[4:5]
	v_add_u32_e32 v2, v2, v52
	v_cndmask_b32_e64 v2, 0, v2, s[6:7]
	v_add_u32_e32 v2, v2, v52
	v_cmp_eq_u32_e64 s[8:9], 0, v75
	v_cmp_eq_u32_e64 s[10:11], 0, v74
	v_cmp_eq_u32_e64 s[12:13], 0, v21
	v_cndmask_b32_e64 v2, 0, v2, s[8:9]
	v_add_u32_e32 v2, v2, v52
	v_cndmask_b32_e64 v2, 0, v2, s[10:11]
	v_add_u32_e32 v2, v2, v52
	v_cndmask_b32_e64 v2, 0, v2, s[12:13]
	v_add_u32_e32 v2, v2, v52
	;; [unrolled: 9-line block ×3, first 2 shown]
	v_cmp_eq_u32_e64 s[20:21], 0, v70
	v_cmp_eq_u32_e64 s[22:23], 0, v69
	;; [unrolled: 1-line block ×3, first 2 shown]
	v_cndmask_b32_e64 v2, 0, v2, s[20:21]
	v_add_u32_e32 v2, v2, v52
	v_cndmask_b32_e64 v2, 0, v2, s[22:23]
	v_add_u32_e32 v2, v2, v52
	v_cndmask_b32_e64 v2, 0, v2, s[24:25]
	v_add3_u32 v3, v81, v74, v21
	v_add_u32_e32 v2, v2, v52
	v_cmp_eq_u32_e32 vcc, 0, v65
	v_add3_u32 v3, v3, v73, v72
	v_add3_u32 v3, v3, v71, v70
	v_cndmask_b32_e32 v2, 0, v2, vcc
	v_add_u32_e32 v2, v2, v52
	v_cmp_eq_u32_e64 s[0:1], 0, v63
	v_add3_u32 v3, v3, v69, v67
	v_add3_u32 v3, v3, v65, v63
	v_cndmask_b32_e64 v2, 0, v2, s[0:1]
	v_add_u32_e32 v2, v2, v53
	v_mbcnt_hi_u32_b32 v7, -1, v80
	v_and_b32_e32 v4, 15, v7
	v_mov_b32_dpp v12, v2 row_shr:1 row_mask:0xf bank_mask:0xf
	v_cmp_eq_u32_e64 s[0:1], 0, v3
	v_mov_b32_dpp v5, v3 row_shr:1 row_mask:0xf bank_mask:0xf
	v_cmp_lt_u32_e64 s[26:27], 1, v4
	v_cndmask_b32_e64 v12, 0, v12, s[0:1]
	v_cmp_eq_u32_e64 s[0:1], 0, v4
	s_nop 1
	v_cndmask_b32_e64 v5, v5, 0, s[0:1]
	v_add_u32_e32 v3, v5, v3
	v_cndmask_b32_e64 v5, v12, 0, s[0:1]
	v_add_u32_e32 v2, v5, v2
	v_cmp_eq_u32_e64 s[0:1], 0, v3
	v_mov_b32_dpp v5, v3 row_shr:2 row_mask:0xf bank_mask:0xf
	v_mov_b32_dpp v12, v2 row_shr:2 row_mask:0xf bank_mask:0xf
	v_cndmask_b32_e64 v5, 0, v5, s[26:27]
	s_and_b64 s[0:1], s[26:27], s[0:1]
	v_cndmask_b32_e64 v12, 0, v12, s[0:1]
	v_add_u32_e32 v3, v3, v5
	v_add_u32_e32 v2, v12, v2
	v_cmp_eq_u32_e64 s[0:1], 0, v3
	v_mov_b32_dpp v5, v3 row_shr:4 row_mask:0xf bank_mask:0xf
	v_cmp_lt_u32_e64 s[26:27], 3, v4
	v_mov_b32_dpp v12, v2 row_shr:4 row_mask:0xf bank_mask:0xf
	s_and_b64 s[0:1], s[26:27], s[0:1]
	v_cndmask_b32_e64 v5, 0, v5, s[26:27]
	v_cndmask_b32_e64 v12, 0, v12, s[0:1]
	v_add_u32_e32 v3, v5, v3
	v_add_u32_e32 v2, v2, v12
	v_cmp_eq_u32_e64 s[0:1], 0, v3
	v_cmp_lt_u32_e64 s[26:27], 7, v4
	v_mov_b32_dpp v5, v3 row_shr:8 row_mask:0xf bank_mask:0xf
	v_mov_b32_dpp v12, v2 row_shr:8 row_mask:0xf bank_mask:0xf
	s_and_b64 s[0:1], s[26:27], s[0:1]
	v_cndmask_b32_e64 v4, 0, v5, s[26:27]
	v_cndmask_b32_e64 v5, 0, v12, s[0:1]
	v_add_u32_e32 v2, v5, v2
	v_add_u32_e32 v3, v4, v3
	v_bfe_i32 v12, v7, 4, 1
	v_mov_b32_dpp v5, v2 row_bcast:15 row_mask:0xf bank_mask:0xf
	v_mov_b32_dpp v4, v3 row_bcast:15 row_mask:0xf bank_mask:0xf
	v_cmp_eq_u32_e64 s[0:1], 0, v3
	v_and_b32_e32 v4, v12, v4
	v_add_u32_e32 v3, v4, v3
	v_cndmask_b32_e64 v5, 0, v5, s[0:1]
	v_and_b32_e32 v4, v12, v5
	v_add_u32_e32 v4, v4, v2
	v_mov_b32_dpp v2, v3 row_bcast:31 row_mask:0xf bank_mask:0xf
	v_cmp_eq_u32_e64 s[0:1], 0, v3
	v_cmp_lt_u32_e64 s[26:27], 31, v7
	v_mov_b32_dpp v5, v4 row_bcast:31 row_mask:0xf bank_mask:0xf
	s_and_b64 s[0:1], s[26:27], s[0:1]
	v_cndmask_b32_e64 v2, 0, v2, s[26:27]
	v_add_u32_e32 v2, v2, v3
	v_cndmask_b32_e64 v3, 0, v5, s[0:1]
	v_add_u32_e32 v3, v3, v4
	v_cmp_eq_u32_e64 s[0:1], v55, v0
	v_lshlrev_b32_e32 v5, 3, v54
	s_and_saveexec_b64 s[26:27], s[0:1]
	s_cbranch_execz .LBB194_93
; %bb.92:
	ds_write_b64 v5, v[2:3] offset:1040
.LBB194_93:
	s_or_b64 exec, exec, s[26:27]
	v_cmp_gt_u32_e64 s[0:1], 8, v0
	s_waitcnt lgkmcnt(0)
	s_barrier
	s_and_saveexec_b64 s[28:29], s[0:1]
	s_cbranch_execz .LBB194_95
; %bb.94:
	v_lshlrev_b32_e32 v4, 3, v0
	ds_read_b64 v[12:13], v4 offset:1040
	v_and_b32_e32 v14, 7, v7
	v_cmp_lt_u32_e64 s[26:27], 1, v14
	s_waitcnt lgkmcnt(0)
	v_mov_b32_dpp v16, v13 row_shr:1 row_mask:0xf bank_mask:0xf
	v_cmp_eq_u32_e64 s[0:1], 0, v12
	v_mov_b32_dpp v15, v12 row_shr:1 row_mask:0xf bank_mask:0xf
	s_nop 0
	v_cndmask_b32_e64 v16, 0, v16, s[0:1]
	v_cmp_eq_u32_e64 s[0:1], 0, v14
	s_nop 1
	v_cndmask_b32_e64 v15, v15, 0, s[0:1]
	v_add_u32_e32 v12, v15, v12
	v_cndmask_b32_e64 v15, v16, 0, s[0:1]
	v_add_u32_e32 v13, v15, v13
	v_cmp_eq_u32_e64 s[0:1], 0, v12
	v_mov_b32_dpp v15, v12 row_shr:2 row_mask:0xf bank_mask:0xf
	v_mov_b32_dpp v16, v13 row_shr:2 row_mask:0xf bank_mask:0xf
	v_cndmask_b32_e64 v15, 0, v15, s[26:27]
	s_and_b64 s[0:1], s[26:27], s[0:1]
	v_cndmask_b32_e64 v16, 0, v16, s[0:1]
	v_add_u32_e32 v12, v15, v12
	v_add_u32_e32 v13, v16, v13
	v_cmp_eq_u32_e64 s[0:1], 0, v12
	v_mov_b32_dpp v15, v12 row_shr:4 row_mask:0xf bank_mask:0xf
	v_cmp_lt_u32_e64 s[26:27], 3, v14
	v_mov_b32_dpp v16, v13 row_shr:4 row_mask:0xf bank_mask:0xf
	s_and_b64 s[0:1], s[26:27], s[0:1]
	v_cndmask_b32_e64 v14, 0, v15, s[26:27]
	v_add_u32_e32 v12, v14, v12
	v_cndmask_b32_e64 v14, 0, v16, s[0:1]
	v_add_u32_e32 v13, v14, v13
	ds_write_b64 v4, v[12:13] offset:1040
.LBB194_95:
	s_or_b64 exec, exec, s[28:29]
	v_cmp_lt_u32_e64 s[0:1], 63, v0
	v_mov_b32_e32 v12, 0
	v_mov_b32_e32 v4, 0
	s_waitcnt vmcnt(0)
	v_mov_b32_e32 v13, v6
	s_waitcnt lgkmcnt(0)
	s_barrier
	s_and_saveexec_b64 s[26:27], s[0:1]
	s_cbranch_execz .LBB194_97
; %bb.96:
	ds_read_b64 v[4:5], v5 offset:1032
	s_waitcnt lgkmcnt(0)
	v_cmp_eq_u32_e64 s[0:1], 0, v4
	s_nop 1
	v_cndmask_b32_e64 v13, 0, v6, s[0:1]
	v_add_u32_e32 v13, v13, v5
.LBB194_97:
	s_or_b64 exec, exec, s[26:27]
	v_cmp_eq_u32_e64 s[0:1], 0, v2
	v_add_u32_e32 v5, v4, v2
	v_and_b32_e32 v14, 64, v7
	v_cndmask_b32_e64 v2, 0, v13, s[0:1]
	v_add_u32_e32 v2, v2, v3
	v_add_u32_e32 v3, -1, v7
	v_cmp_lt_i32_e64 s[0:1], v3, v14
	ds_read_b64 v[16:17], v12 offset:1096
	s_nop 0
	v_cndmask_b32_e64 v3, v3, v7, s[0:1]
	v_lshlrev_b32_e32 v3, 2, v3
	ds_bpermute_b32 v2, v3, v2
	ds_bpermute_b32 v5, v3, v5
	v_cmp_eq_u32_e64 s[0:1], 0, v7
	s_waitcnt lgkmcnt(1)
	s_nop 0
	v_cndmask_b32_e64 v2, v2, v13, s[0:1]
	s_waitcnt lgkmcnt(0)
	v_cndmask_b32_e64 v3, v5, v4, s[0:1]
	v_cndmask_b32_e64 v51, v2, v6, s[34:35]
	v_cmp_eq_u32_e64 s[0:1], 0, v79
	v_cndmask_b32_e64 v50, v3, 0, s[34:35]
	v_add_u32_e32 v48, v50, v79
	v_cndmask_b32_e64 v2, 0, v51, s[0:1]
	v_add_u32_e32 v49, v2, v52
	v_cndmask_b32_e64 v2, 0, v49, s[2:3]
	v_add_u32_e32 v47, v2, v52
	v_cndmask_b32_e64 v2, 0, v47, s[4:5]
	v_add_u32_e32 v45, v2, v52
	v_cndmask_b32_e64 v2, 0, v45, s[6:7]
	v_add_u32_e32 v43, v2, v52
	v_cndmask_b32_e64 v2, 0, v43, s[8:9]
	v_add_u32_e32 v41, v2, v52
	v_cndmask_b32_e64 v2, 0, v41, s[10:11]
	v_add_u32_e32 v39, v2, v52
	v_cndmask_b32_e64 v2, 0, v39, s[12:13]
	v_add_u32_e32 v37, v2, v52
	v_cndmask_b32_e64 v2, 0, v37, s[14:15]
	v_add_u32_e32 v35, v2, v52
	v_add_u32_e32 v46, v48, v78
	v_cndmask_b32_e64 v2, 0, v35, s[16:17]
	v_add_u32_e32 v44, v46, v77
	v_add_u32_e32 v33, v2, v52
	v_add_u32_e32 v42, v44, v76
	v_cndmask_b32_e64 v2, 0, v33, s[18:19]
	v_add_u32_e32 v40, v42, v75
	v_add_u32_e32 v31, v2, v52
	;; [unrolled: 4-line block ×5, first 2 shown]
	v_add_u32_e32 v26, v28, v69
	v_cndmask_b32_e32 v2, 0, v23, vcc
	v_cmp_eq_u32_e32 vcc, 0, v16
	v_add_u32_e32 v22, v26, v67
	v_add_u32_e32 v25, v2, v52
	v_cndmask_b32_e32 v2, 0, v6, vcc
	v_add_u32_e32 v24, v22, v65
	v_add_u32_e32 v20, v2, v17
	s_and_saveexec_b64 s[0:1], s[34:35]
	s_cbranch_execz .LBB194_99
; %bb.98:
	s_add_u32 s2, s36, 0x400
	v_and_b32_e32 v2, 0xff000000, v20
	v_and_b32_e32 v3, 0xff0000, v20
	s_addc_u32 s3, s37, 0
	v_or_b32_e32 v2, v3, v2
	v_and_b32_e32 v3, 0xff00, v20
	v_and_b32_e32 v4, 0xff, v20
	v_mov_b32_e32 v19, 0
	v_or3_b32 v17, v2, v3, v4
	v_mov_b32_e32 v18, 2
	v_mov_b64_e32 v[2:3], s[2:3]
	;;#ASMSTART
	global_store_dwordx4 v[2:3], v[16:19] off sc1	
s_waitcnt vmcnt(0)
	;;#ASMEND
.LBB194_99:
	s_or_b64 exec, exec, s[0:1]
	v_mov_b32_e32 v18, 0
.LBB194_100:
	s_and_b64 s[0:1], s[38:39], exec
	s_cselect_b32 s1, 0, s31
	s_cselect_b32 s0, 0, s30
	s_cmp_eq_u64 s[0:1], 0
	v_mov_b64_e32 v[52:53], 0
	s_barrier
	s_cbranch_scc1 .LBB194_102
; %bb.101:
	v_mov_b32_e32 v2, 0
	global_load_dwordx2 v[52:53], v2, s[0:1]
.LBB194_102:
	s_waitcnt vmcnt(0)
	v_lshl_add_u64 v[2:3], s[44:45], 0, v[52:53]
	v_mov_b32_e32 v19, 0
	v_cmp_eq_u32_e32 vcc, 0, v79
	v_lshl_add_u64 v[54:55], v[2:3], 0, v[18:19]
	s_movk_i32 s0, 0x200
	v_cndmask_b32_e64 v2, 1, 2, vcc
	v_cmp_eq_u32_e32 vcc, 0, v78
	v_cmp_ne_u32_e64 s[30:31], 0, v79
	v_cmp_ne_u32_e64 s[28:29], 0, v78
	v_cndmask_b32_e64 v3, 1, 2, vcc
	v_cmp_eq_u32_e32 vcc, 0, v77
	v_and_b32_e32 v2, v3, v2
	v_cmp_ne_u32_e64 s[26:27], 0, v77
	v_cndmask_b32_e64 v3, 1, 2, vcc
	v_cmp_eq_u32_e32 vcc, 0, v76
	v_and_b32_e32 v2, v2, v3
	;; [unrolled: 4-line block ×13, first 2 shown]
	v_cmp_ne_u32_e64 s[2:3], 0, v63
	v_cndmask_b32_e64 v3, 1, 2, vcc
	v_and_b32_e32 v2, v2, v3
	v_cmp_gt_u32_e32 vcc, s0, v16
	s_mov_b64 s[36:37], -1
	v_cmp_gt_i16_e64 s[0:1], 2, v2
	s_cbranch_vccz .LBB194_109
; %bb.103:
	s_and_saveexec_b64 s[36:37], s[0:1]
	s_cbranch_execz .LBB194_108
; %bb.104:
	v_cmp_ne_u16_e32 vcc, 1, v2
	s_mov_b64 s[38:39], 0
	s_and_saveexec_b64 s[0:1], vcc
	s_xor_b64 s[0:1], exec, s[0:1]
	s_cbranch_execnz .LBB194_150
; %bb.105:
	s_andn2_saveexec_b64 s[0:1], s[0:1]
	s_cbranch_execnz .LBB194_166
.LBB194_106:
	s_or_b64 exec, exec, s[0:1]
	s_and_b64 exec, exec, s[38:39]
	s_cbranch_execz .LBB194_108
.LBB194_107:
	v_sub_u32_e32 v3, v24, v18
	v_readfirstlane_b32 s0, v54
	v_readfirstlane_b32 s1, v55
	s_nop 4
	global_store_byte v3, v1, s[0:1]
.LBB194_108:
	s_or_b64 exec, exec, s[36:37]
	s_mov_b64 s[36:37], 0
.LBB194_109:
	s_and_b64 vcc, exec, s[36:37]
	s_cbranch_vccz .LBB194_128
; %bb.110:
	v_cmp_gt_i16_e32 vcc, 2, v2
	s_and_saveexec_b64 s[0:1], vcc
	s_cbranch_execz .LBB194_115
; %bb.111:
	v_cmp_ne_u16_e32 vcc, 1, v2
	s_mov_b64 s[38:39], 0
	s_and_saveexec_b64 s[36:37], vcc
	s_xor_b64 s[36:37], exec, s[36:37]
	s_cbranch_execnz .LBB194_167
; %bb.112:
	s_andn2_saveexec_b64 s[2:3], s[36:37]
	s_cbranch_execnz .LBB194_183
.LBB194_113:
	s_or_b64 exec, exec, s[2:3]
	s_and_b64 exec, exec, s[38:39]
	s_cbranch_execz .LBB194_115
.LBB194_114:
	v_sub_u32_e32 v2, v24, v18
	ds_write_b8 v2, v1
.LBB194_115:
	s_or_b64 exec, exec, s[0:1]
	v_cmp_lt_u32_e32 vcc, v0, v16
	s_waitcnt lgkmcnt(0)
	s_barrier
	s_and_saveexec_b64 s[0:1], vcc
	s_cbranch_execz .LBB194_127
; %bb.116:
	v_xad_u32 v2, v0, -1, v16
	s_movk_i32 s2, 0xdff
	v_cmp_lt_u32_e32 vcc, s2, v2
	s_mov_b64 s[4:5], -1
	v_mov_b32_e32 v1, v0
	s_and_saveexec_b64 s[2:3], vcc
	s_cbranch_execz .LBB194_124
; %bb.117:
	v_lshrrev_b32_e32 v17, 9, v2
	v_or_b32_e32 v7, 0xe00, v0
	v_or_b32_e32 v6, 0xc00, v0
	;; [unrolled: 1-line block ×7, first 2 shown]
	v_add_u32_e32 v58, -7, v17
	v_mov_b64_e32 v[14:15], v[6:7]
	v_cmp_lt_u32_e32 vcc, 7, v58
	v_mov_b32_e32 v61, 0
	v_mov_b64_e32 v[12:13], v[4:5]
	v_mov_b64_e32 v[10:11], v[2:3]
	;; [unrolled: 1-line block ×3, first 2 shown]
	s_and_saveexec_b64 s[4:5], vcc
	s_cbranch_execz .LBB194_121
; %bb.118:
	v_lshrrev_b32_e32 v8, 3, v58
	v_add_u32_e32 v8, 1, v8
	v_and_b32_e32 v59, 0x3ffffffe, v8
	v_mov_b64_e32 v[14:15], v[6:7]
	s_mov_b32 s8, 0
	s_mov_b64 s[6:7], 0
	v_mov_b32_e32 v57, 0
	v_mov_b32_e32 v60, v0
	v_mov_b64_e32 v[12:13], v[4:5]
	v_mov_b64_e32 v[10:11], v[2:3]
	;; [unrolled: 1-line block ×3, first 2 shown]
.LBB194_119:                            ; =>This Inner Loop Header: Depth=1
	v_mov_b32_e32 v56, v8
	v_lshl_add_u64 v[88:89], v[54:55], 0, v[56:57]
	v_mov_b32_e32 v56, v9
	v_lshl_add_u64 v[90:91], v[54:55], 0, v[56:57]
	;; [unrolled: 2-line block ×3, first 2 shown]
	v_mov_b32_e32 v56, v11
	ds_read_u8 v1, v60
	ds_read_u8 v62, v60 offset:512
	ds_read_u8 v64, v60 offset:1024
	;; [unrolled: 1-line block ×7, first 2 shown]
	v_lshl_add_u64 v[94:95], v[54:55], 0, v[56:57]
	v_mov_b32_e32 v56, v12
	ds_read_u8 v101, v60 offset:4096
	ds_read_u8 v102, v60 offset:4608
	;; [unrolled: 1-line block ×8, first 2 shown]
	v_lshl_add_u64 v[96:97], v[54:55], 0, v[56:57]
	v_mov_b32_e32 v56, v13
	s_waitcnt lgkmcnt(14)
	global_store_byte v[88:89], v1, off
	global_store_byte v[90:91], v62, off
	s_waitcnt lgkmcnt(13)
	global_store_byte v[92:93], v64, off
	s_waitcnt lgkmcnt(12)
	global_store_byte v[94:95], v66, off
	v_lshl_add_u64 v[88:89], v[54:55], 0, v[56:57]
	v_mov_b32_e32 v56, v14
	v_add_u32_e32 v59, -2, v59
	v_lshl_add_u64 v[90:91], v[54:55], 0, v[56:57]
	v_mov_b32_e32 v56, v15
	s_add_i32 s8, s8, 16
	v_cmp_eq_u32_e32 vcc, 0, v59
	s_waitcnt lgkmcnt(11)
	global_store_byte v[96:97], v68, off
	s_waitcnt lgkmcnt(10)
	global_store_byte v[88:89], v98, off
	v_lshl_add_u64 v[88:89], v[54:55], 0, v[56:57]
	v_add_u32_e32 v56, 0x1000, v8
	v_add_u32_e32 v2, 0x1000, v15
	;; [unrolled: 1-line block ×8, first 2 shown]
	v_mov_b32_e32 v87, v57
	v_mov_b32_e32 v85, v57
	;; [unrolled: 1-line block ×7, first 2 shown]
	v_add_u32_e32 v60, 0x2000, v60
	v_add_u32_e32 v9, 0x2000, v9
	v_mov_b32_e32 v61, s8
	v_add_u32_e32 v10, 0x2000, v10
	s_or_b64 s[6:7], vcc, s[6:7]
	v_add_u32_e32 v11, 0x2000, v11
	v_add_u32_e32 v12, 0x2000, v12
	;; [unrolled: 1-line block ×5, first 2 shown]
	s_waitcnt lgkmcnt(9)
	global_store_byte v[90:91], v99, off
	v_add_u32_e32 v8, 0x2000, v8
	s_waitcnt lgkmcnt(8)
	global_store_byte v[88:89], v100, off
	v_lshl_add_u64 v[88:89], v[54:55], 0, v[56:57]
	v_lshl_add_u64 v[86:87], v[54:55], 0, v[86:87]
	v_lshl_add_u64 v[84:85], v[54:55], 0, v[84:85]
	v_lshl_add_u64 v[82:83], v[54:55], 0, v[82:83]
	v_lshl_add_u64 v[80:81], v[54:55], 0, v[80:81]
	v_lshl_add_u64 v[6:7], v[54:55], 0, v[6:7]
	v_lshl_add_u64 v[4:5], v[54:55], 0, v[4:5]
	v_lshl_add_u64 v[2:3], v[54:55], 0, v[2:3]
	s_waitcnt lgkmcnt(7)
	global_store_byte v[88:89], v101, off
	s_waitcnt lgkmcnt(6)
	global_store_byte v[86:87], v102, off
	;; [unrolled: 2-line block ×8, first 2 shown]
	s_andn2_b64 exec, exec, s[6:7]
	s_cbranch_execnz .LBB194_119
; %bb.120:
	s_or_b64 exec, exec, s[6:7]
.LBB194_121:
	s_or_b64 exec, exec, s[4:5]
	v_and_b32_e32 v1, 8, v58
	v_cmp_eq_u32_e32 vcc, 0, v1
	s_and_saveexec_b64 s[4:5], vcc
	s_cbranch_execz .LBB194_123
; %bb.122:
	v_mov_b32_e32 v3, 0
	v_mov_b32_e32 v2, v8
	v_lshl_add_u64 v[4:5], v[54:55], 0, v[2:3]
	v_mov_b32_e32 v2, v9
	v_lshl_or_b32 v1, v61, 9, v0
	v_lshl_add_u64 v[6:7], v[54:55], 0, v[2:3]
	v_mov_b32_e32 v2, v10
	ds_read_u8 v60, v1
	ds_read_u8 v61, v1 offset:512
	ds_read_u8 v62, v1 offset:1024
	;; [unrolled: 1-line block ×7, first 2 shown]
	v_lshl_add_u64 v[8:9], v[54:55], 0, v[2:3]
	v_mov_b32_e32 v2, v11
	v_lshl_add_u64 v[10:11], v[54:55], 0, v[2:3]
	v_mov_b32_e32 v2, v12
	;; [unrolled: 2-line block ×5, first 2 shown]
	v_lshl_add_u64 v[2:3], v[54:55], 0, v[2:3]
	s_waitcnt lgkmcnt(7)
	global_store_byte v[4:5], v60, off
	s_waitcnt lgkmcnt(6)
	global_store_byte v[6:7], v61, off
	s_waitcnt lgkmcnt(5)
	global_store_byte v[8:9], v62, off
	s_waitcnt lgkmcnt(4)
	global_store_byte v[10:11], v64, off
	s_waitcnt lgkmcnt(3)
	global_store_byte v[56:57], v66, off
	s_waitcnt lgkmcnt(2)
	global_store_byte v[12:13], v68, off
	s_waitcnt lgkmcnt(1)
	global_store_byte v[58:59], v80, off
	s_waitcnt lgkmcnt(0)
	global_store_byte v[2:3], v1, off
.LBB194_123:
	s_or_b64 exec, exec, s[4:5]
	v_add_u32_e32 v2, 1, v17
	v_and_b32_e32 v3, 0xfffff8, v2
	v_cmp_ne_u32_e32 vcc, v2, v3
	v_lshl_or_b32 v1, v3, 9, v0
	s_orn2_b64 s[4:5], vcc, exec
.LBB194_124:
	s_or_b64 exec, exec, s[2:3]
	s_and_b64 exec, exec, s[4:5]
	s_cbranch_execz .LBB194_127
; %bb.125:
	s_mov_b64 s[2:3], 0
.LBB194_126:                            ; =>This Inner Loop Header: Depth=1
	ds_read_u8 v2, v1
	v_readfirstlane_b32 s4, v54
	v_readfirstlane_b32 s5, v55
	s_waitcnt lgkmcnt(0)
	s_nop 3
	global_store_byte v1, v2, s[4:5]
	v_add_u32_e32 v1, 0x200, v1
	v_cmp_ge_u32_e32 vcc, v1, v16
	s_or_b64 s[2:3], vcc, s[2:3]
	s_andn2_b64 exec, exec, s[2:3]
	s_cbranch_execnz .LBB194_126
.LBB194_127:
	s_or_b64 exec, exec, s[0:1]
.LBB194_128:
	s_cmpk_lg_i32 s33, 0x1e00
	s_cselect_b64 s[0:1], -1, 0
	v_cndmask_b32_e64 v10, 0, 1, s[42:43]
	s_and_b64 s[0:1], s[0:1], s[40:41]
	v_sub_u32_e32 v1, v16, v10
	v_cndmask_b32_e64 v2, 0, 1, s[0:1]
	s_and_b64 s[0:1], s[34:35], s[42:43]
	v_add_u32_e32 v1, v1, v2
	v_cndmask_b32_e64 v2, v79, 0, s[0:1]
	s_mul_hi_u32 s0, s33, 0x88888889
	s_lshr_b32 s0, s0, 3
	v_mad_i32_i24 v3, v0, -15, s33
	v_cmp_eq_u32_e32 vcc, s0, v0
	v_cmp_ne_u32_e64 s[0:1], 0, v3
	s_and_b64 vcc, vcc, s[40:41]
	s_mov_b32 s2, 0
	v_cndmask_b32_e64 v4, 1, v2, s[0:1]
	v_cmp_ne_u32_e64 s[0:1], 1, v3
	s_movk_i32 s30, 0x200
	s_mov_b64 s[34:35], -1
	v_cndmask_b32_e64 v5, 1, v78, s[0:1]
	v_cmp_ne_u32_e64 s[0:1], 2, v3
	v_cndmask_b32_e32 v62, v78, v5, vcc
	v_cmp_ne_u32_e64 s[26:27], 0, v62
	v_cndmask_b32_e64 v6, 1, v77, s[0:1]
	v_cmp_ne_u32_e64 s[0:1], 3, v3
	v_cndmask_b32_e32 v61, v77, v6, vcc
	v_cmp_ne_u32_e64 s[24:25], 0, v61
	v_cndmask_b32_e64 v7, 1, v76, s[0:1]
	v_cmp_ne_u32_e64 s[0:1], 4, v3
	v_cndmask_b32_e32 v60, v76, v7, vcc
	v_lshlrev_b64 v[6:7], 3, v[18:19]
	v_cndmask_b32_e64 v8, 1, v75, s[0:1]
	v_cmp_ne_u32_e64 s[0:1], 5, v3
	v_cndmask_b32_e32 v59, v75, v8, vcc
	v_cmp_ne_u32_e64 s[22:23], 0, v60
	v_cndmask_b32_e64 v9, 1, v74, s[0:1]
	v_cmp_ne_u32_e64 s[0:1], 6, v3
	v_cndmask_b32_e32 v58, v74, v9, vcc
	v_cmp_ne_u32_e64 s[20:21], 0, v59
	v_cndmask_b32_e64 v11, 1, v21, s[0:1]
	v_cmp_ne_u32_e64 s[0:1], 7, v3
	v_cndmask_b32_e32 v21, v21, v11, vcc
	v_mov_b32_e32 v11, s2
	v_cndmask_b32_e64 v12, 1, v73, s[0:1]
	v_cmp_ne_u32_e64 s[0:1], 8, v3
	v_cndmask_b32_e32 v57, v73, v12, vcc
	v_lshl_add_u64 v[8:9], v[10:11], 0, -1
	v_cndmask_b32_e64 v13, 1, v72, s[0:1]
	v_cmp_ne_u32_e64 s[0:1], 9, v3
	v_cndmask_b32_e32 v13, v72, v13, vcc
	v_add_u32_e32 v12, v18, v10
	v_cndmask_b32_e64 v14, 1, v71, s[0:1]
	v_cmp_ne_u32_e64 s[0:1], 10, v3
	v_cndmask_b32_e32 v14, v71, v14, vcc
	v_cmp_ne_u32_e64 s[12:13], 0, v13
	v_cndmask_b32_e64 v15, 1, v70, s[0:1]
	v_cmp_ne_u32_e64 s[0:1], 11, v3
	v_cndmask_b32_e32 v15, v70, v15, vcc
	v_cmp_ne_u32_e64 s[18:19], 0, v58
	;; [unrolled: 4-line block ×5, first 2 shown]
	v_cndmask_b32_e64 v3, 1, v63, s[0:1]
	v_cndmask_b32_e32 v56, v63, v3, vcc
	v_cndmask_b32_e32 v63, v2, v4, vcc
	v_cmp_eq_u32_e32 vcc, 0, v63
	v_lshlrev_b64 v[4:5], 3, v[52:53]
	v_lshl_add_u64 v[2:3], s[46:47], 0, v[4:5]
	v_cndmask_b32_e64 v10, 1, 2, vcc
	v_cmp_eq_u32_e32 vcc, 0, v62
	v_lshl_add_u64 v[2:3], v[2:3], 0, v[6:7]
	v_cmp_ne_u32_e64 s[28:29], 0, v63
	v_cndmask_b32_e64 v11, 1, 2, vcc
	v_cmp_eq_u32_e32 vcc, 0, v61
	v_and_b32_e32 v10, v11, v10
	v_cmp_ne_u32_e64 s[8:9], 0, v15
	v_cndmask_b32_e64 v11, 1, 2, vcc
	v_cmp_eq_u32_e32 vcc, 0, v60
	v_and_b32_e32 v10, v10, v11
	;; [unrolled: 4-line block ×6, first 2 shown]
	s_nop 0
	v_cndmask_b32_e64 v11, 1, 2, vcc
	v_cmp_eq_u32_e32 vcc, 0, v13
	v_and_b32_e32 v10, v10, v11
	s_barrier
	v_cndmask_b32_e64 v11, 1, 2, vcc
	v_cmp_eq_u32_e32 vcc, 0, v14
	v_and_b32_e32 v10, v10, v11
	s_nop 0
	v_cndmask_b32_e64 v11, 1, 2, vcc
	v_cmp_eq_u32_e32 vcc, 0, v15
	v_and_b32_e32 v10, v10, v11
	s_nop 0
	;; [unrolled: 4-line block ×6, first 2 shown]
	v_cndmask_b32_e64 v11, 1, 2, vcc
	v_and_b32_e32 v13, v10, v11
	v_cmp_gt_u32_e32 vcc, s30, v1
	v_cmp_gt_i16_e64 s[30:31], 2, v13
	s_cbranch_vccz .LBB194_135
; %bb.129:
	s_and_saveexec_b64 s[34:35], s[30:31]
	s_cbranch_execz .LBB194_134
; %bb.130:
	v_lshlrev_b64 v[10:11], 3, v[8:9]
	v_lshl_add_u64 v[10:11], v[2:3], 0, v[10:11]
	v_cmp_ne_u16_e32 vcc, 1, v13
	s_mov_b64 s[36:37], 0
	s_and_saveexec_b64 s[30:31], vcc
	s_xor_b64 s[30:31], exec, s[30:31]
	s_cbranch_execnz .LBB194_184
; %bb.131:
	s_andn2_saveexec_b64 s[30:31], s[30:31]
	s_cbranch_execnz .LBB194_200
.LBB194_132:
	s_or_b64 exec, exec, s[30:31]
	s_and_b64 exec, exec, s[36:37]
	s_cbranch_execz .LBB194_134
.LBB194_133:
	v_mov_b32_e32 v15, 0
	v_sub_u32_e32 v54, v24, v12
	v_mov_b32_e32 v55, v15
	v_mov_b32_e32 v14, v25
	v_lshl_add_u64 v[10:11], v[54:55], 3, v[10:11]
	global_store_dwordx2 v[10:11], v[14:15], off
.LBB194_134:
	s_or_b64 exec, exec, s[34:35]
	s_mov_b64 s[34:35], 0
.LBB194_135:
	s_and_b64 vcc, exec, s[34:35]
	s_cbranch_vccz .LBB194_145
; %bb.136:
	v_cmp_gt_i16_e32 vcc, 2, v13
	s_and_saveexec_b64 s[30:31], vcc
	s_cbranch_execz .LBB194_141
; %bb.137:
	v_cmp_ne_u16_e32 vcc, 1, v13
	s_mov_b64 s[36:37], 0
	s_and_saveexec_b64 s[34:35], vcc
	s_xor_b64 s[34:35], exec, s[34:35]
	s_cbranch_execnz .LBB194_201
; %bb.138:
	s_andn2_saveexec_b64 s[0:1], s[34:35]
	s_cbranch_execnz .LBB194_217
.LBB194_139:
	s_or_b64 exec, exec, s[0:1]
	s_and_b64 exec, exec, s[36:37]
	s_cbranch_execz .LBB194_141
.LBB194_140:
	v_sub_u32_e32 v10, v24, v12
	v_lshlrev_b32_e32 v10, 2, v10
	ds_write_b32 v10, v25
.LBB194_141:
	s_or_b64 exec, exec, s[30:31]
	v_cmp_lt_u32_e32 vcc, v0, v1
	s_waitcnt lgkmcnt(0)
	s_barrier
	s_and_saveexec_b64 s[0:1], vcc
	s_cbranch_execz .LBB194_144
; %bb.142:
	v_lshlrev_b64 v[8:9], 3, v[8:9]
	v_lshl_add_u64 v[4:5], v[4:5], 0, v[8:9]
	v_lshl_add_u64 v[6:7], v[4:5], 0, v[6:7]
	v_lshlrev_b32_e32 v4, 3, v0
	v_mov_b32_e32 v5, 0
	v_lshl_add_u64 v[6:7], s[46:47], 0, v[6:7]
	v_lshlrev_b32_e32 v10, 2, v0
	v_lshl_add_u64 v[6:7], v[6:7], 0, v[4:5]
	s_mov_b64 s[2:3], 0
	s_mov_b64 s[4:5], 0x1000
	v_mov_b32_e32 v8, v0
.LBB194_143:                            ; =>This Inner Loop Header: Depth=1
	ds_read_b32 v4, v10
	v_add_u32_e32 v8, 0x200, v8
	v_cmp_ge_u32_e32 vcc, v8, v1
	v_add_u32_e32 v10, 0x800, v10
	s_or_b64 s[2:3], vcc, s[2:3]
	s_waitcnt lgkmcnt(0)
	global_store_dwordx2 v[6:7], v[4:5], off
	v_lshl_add_u64 v[6:7], v[6:7], 0, s[4:5]
	s_andn2_b64 exec, exec, s[2:3]
	s_cbranch_execnz .LBB194_143
.LBB194_144:
	s_or_b64 exec, exec, s[0:1]
.LBB194_145:
	s_movk_i32 s0, 0x1ff
	v_cmp_eq_u32_e32 vcc, s0, v0
	s_and_b64 s[0:1], vcc, s[40:41]
	s_and_saveexec_b64 s[2:3], s[0:1]
	s_cbranch_execz .LBB194_148
; %bb.146:
	v_mov_b32_e32 v17, 0
	v_lshl_add_u64 v[0:1], v[16:17], 0, v[18:19]
	v_lshl_add_u64 v[0:1], v[0:1], 0, v[52:53]
	s_cmpk_lg_i32 s33, 0x1e00
	global_store_dwordx2 v17, v[0:1], s[48:49]
	s_cbranch_scc1 .LBB194_148
; %bb.147:
	v_lshlrev_b64 v[0:1], 3, v[16:17]
	v_mov_b32_e32 v21, v17
	v_lshl_add_u64 v[0:1], v[2:3], 0, v[0:1]
	global_store_dwordx2 v[0:1], v[20:21], off offset:-8
.LBB194_148:
	s_endpgm
.LBB194_149:
	s_or_b64 exec, exec, s[8:9]
	v_mov_b32_e32 v79, s12
	s_and_saveexec_b64 s[0:1], s[4:5]
	s_cbranch_execnz .LBB194_60
	s_branch .LBB194_61
.LBB194_150:
	s_and_saveexec_b64 s[38:39], s[30:31]
	s_cbranch_execnz .LBB194_218
; %bb.151:
	s_or_b64 exec, exec, s[38:39]
	s_and_saveexec_b64 s[38:39], s[28:29]
	s_cbranch_execnz .LBB194_219
.LBB194_152:
	s_or_b64 exec, exec, s[38:39]
	s_and_saveexec_b64 s[38:39], s[26:27]
	s_cbranch_execnz .LBB194_220
.LBB194_153:
	s_or_b64 exec, exec, s[38:39]
	s_and_saveexec_b64 s[38:39], s[24:25]
	s_cbranch_execnz .LBB194_221
.LBB194_154:
	s_or_b64 exec, exec, s[38:39]
	s_and_saveexec_b64 s[38:39], s[22:23]
	s_cbranch_execnz .LBB194_222
.LBB194_155:
	s_or_b64 exec, exec, s[38:39]
	s_and_saveexec_b64 s[38:39], s[20:21]
	s_cbranch_execnz .LBB194_223
.LBB194_156:
	s_or_b64 exec, exec, s[38:39]
	s_and_saveexec_b64 s[38:39], s[18:19]
	s_cbranch_execnz .LBB194_224
.LBB194_157:
	s_or_b64 exec, exec, s[38:39]
	s_and_saveexec_b64 s[38:39], s[16:17]
	s_cbranch_execnz .LBB194_225
.LBB194_158:
	s_or_b64 exec, exec, s[38:39]
	s_and_saveexec_b64 s[38:39], s[14:15]
	s_cbranch_execnz .LBB194_226
.LBB194_159:
	s_or_b64 exec, exec, s[38:39]
	s_and_saveexec_b64 s[38:39], s[12:13]
	s_cbranch_execnz .LBB194_227
.LBB194_160:
	s_or_b64 exec, exec, s[38:39]
	s_and_saveexec_b64 s[38:39], s[10:11]
	s_cbranch_execnz .LBB194_228
.LBB194_161:
	s_or_b64 exec, exec, s[38:39]
	s_and_saveexec_b64 s[38:39], s[8:9]
	s_cbranch_execnz .LBB194_229
.LBB194_162:
	s_or_b64 exec, exec, s[38:39]
	s_and_saveexec_b64 s[38:39], s[6:7]
	s_cbranch_execnz .LBB194_230
.LBB194_163:
	s_or_b64 exec, exec, s[38:39]
	s_and_saveexec_b64 s[38:39], s[4:5]
	s_cbranch_execz .LBB194_165
.LBB194_164:
	v_sub_u32_e32 v3, v22, v18
	v_readfirstlane_b32 s44, v54
	v_readfirstlane_b32 s45, v55
	s_nop 4
	global_store_byte v3, v11, s[44:45]
.LBB194_165:
	s_or_b64 exec, exec, s[38:39]
	s_and_b64 s[38:39], s[2:3], exec
	s_andn2_saveexec_b64 s[0:1], s[0:1]
	s_cbranch_execz .LBB194_106
.LBB194_166:
	v_sub_u32_e32 v3, v50, v18
	v_readfirstlane_b32 s44, v54
	v_readfirstlane_b32 s45, v55
	s_or_b64 s[38:39], s[38:39], exec
	s_nop 3
	global_store_byte v3, v8, s[44:45]
	v_sub_u32_e32 v3, v48, v18
	global_store_byte v3, v68, s[44:45]
	v_sub_u32_e32 v3, v46, v18
	;; [unrolled: 2-line block ×13, first 2 shown]
	global_store_byte v3, v11, s[44:45]
	s_or_b64 exec, exec, s[0:1]
	s_and_b64 exec, exec, s[38:39]
	s_cbranch_execnz .LBB194_107
	s_branch .LBB194_108
.LBB194_167:
	s_and_saveexec_b64 s[38:39], s[30:31]
	s_cbranch_execnz .LBB194_231
; %bb.168:
	s_or_b64 exec, exec, s[38:39]
	s_and_saveexec_b64 s[30:31], s[28:29]
	s_cbranch_execnz .LBB194_232
.LBB194_169:
	s_or_b64 exec, exec, s[30:31]
	s_and_saveexec_b64 s[28:29], s[26:27]
	s_cbranch_execnz .LBB194_233
.LBB194_170:
	s_or_b64 exec, exec, s[28:29]
	s_and_saveexec_b64 s[26:27], s[24:25]
	s_cbranch_execnz .LBB194_234
.LBB194_171:
	s_or_b64 exec, exec, s[26:27]
	s_and_saveexec_b64 s[24:25], s[22:23]
	s_cbranch_execnz .LBB194_235
.LBB194_172:
	s_or_b64 exec, exec, s[24:25]
	s_and_saveexec_b64 s[22:23], s[20:21]
	s_cbranch_execnz .LBB194_236
.LBB194_173:
	s_or_b64 exec, exec, s[22:23]
	s_and_saveexec_b64 s[20:21], s[18:19]
	s_cbranch_execnz .LBB194_237
.LBB194_174:
	s_or_b64 exec, exec, s[20:21]
	s_and_saveexec_b64 s[18:19], s[16:17]
	s_cbranch_execnz .LBB194_238
.LBB194_175:
	s_or_b64 exec, exec, s[18:19]
	s_and_saveexec_b64 s[16:17], s[14:15]
	s_cbranch_execnz .LBB194_239
.LBB194_176:
	s_or_b64 exec, exec, s[16:17]
	s_and_saveexec_b64 s[14:15], s[12:13]
	s_cbranch_execnz .LBB194_240
.LBB194_177:
	s_or_b64 exec, exec, s[14:15]
	s_and_saveexec_b64 s[12:13], s[10:11]
	s_cbranch_execnz .LBB194_241
.LBB194_178:
	s_or_b64 exec, exec, s[12:13]
	s_and_saveexec_b64 s[10:11], s[8:9]
	s_cbranch_execnz .LBB194_242
.LBB194_179:
	s_or_b64 exec, exec, s[10:11]
	s_and_saveexec_b64 s[8:9], s[6:7]
	s_cbranch_execnz .LBB194_243
.LBB194_180:
	s_or_b64 exec, exec, s[8:9]
	s_and_saveexec_b64 s[6:7], s[4:5]
	s_cbranch_execz .LBB194_182
.LBB194_181:
	v_sub_u32_e32 v2, v22, v18
	ds_write_b8 v2, v11
.LBB194_182:
	s_or_b64 exec, exec, s[6:7]
	s_and_b64 s[38:39], s[2:3], exec
                                        ; implicit-def: $vgpr11
                                        ; implicit-def: $vgpr56
                                        ; implicit-def: $vgpr57
                                        ; implicit-def: $vgpr58
                                        ; implicit-def: $vgpr59
                                        ; implicit-def: $vgpr10
                                        ; implicit-def: $vgpr60
                                        ; implicit-def: $vgpr61
                                        ; implicit-def: $vgpr62
                                        ; implicit-def: $vgpr64
                                        ; implicit-def: $vgpr66
                                        ; implicit-def: $vgpr68
	s_andn2_saveexec_b64 s[2:3], s[36:37]
	s_cbranch_execz .LBB194_113
.LBB194_183:
	v_sub_u32_e32 v2, v50, v18
	ds_write_b8 v2, v8
	v_sub_u32_e32 v2, v48, v18
	ds_write_b8 v2, v68
	;; [unrolled: 2-line block ×13, first 2 shown]
	v_sub_u32_e32 v2, v22, v18
	s_or_b64 s[38:39], s[38:39], exec
	ds_write_b8 v2, v11
	s_or_b64 exec, exec, s[2:3]
	s_and_b64 exec, exec, s[38:39]
	s_cbranch_execnz .LBB194_114
	s_branch .LBB194_115
.LBB194_184:
	s_and_saveexec_b64 s[36:37], s[28:29]
	s_cbranch_execnz .LBB194_244
; %bb.185:
	s_or_b64 exec, exec, s[36:37]
	s_and_saveexec_b64 s[36:37], s[26:27]
	s_cbranch_execnz .LBB194_245
.LBB194_186:
	s_or_b64 exec, exec, s[36:37]
	s_and_saveexec_b64 s[36:37], s[24:25]
	s_cbranch_execnz .LBB194_246
.LBB194_187:
	s_or_b64 exec, exec, s[36:37]
	s_and_saveexec_b64 s[36:37], s[22:23]
	s_cbranch_execnz .LBB194_247
.LBB194_188:
	s_or_b64 exec, exec, s[36:37]
	s_and_saveexec_b64 s[36:37], s[20:21]
	s_cbranch_execnz .LBB194_248
.LBB194_189:
	s_or_b64 exec, exec, s[36:37]
	s_and_saveexec_b64 s[36:37], s[18:19]
	s_cbranch_execnz .LBB194_249
.LBB194_190:
	s_or_b64 exec, exec, s[36:37]
	s_and_saveexec_b64 s[36:37], s[16:17]
	s_cbranch_execnz .LBB194_250
.LBB194_191:
	s_or_b64 exec, exec, s[36:37]
	s_and_saveexec_b64 s[36:37], s[14:15]
	s_cbranch_execnz .LBB194_251
.LBB194_192:
	s_or_b64 exec, exec, s[36:37]
	s_and_saveexec_b64 s[36:37], s[12:13]
	s_cbranch_execnz .LBB194_252
.LBB194_193:
	s_or_b64 exec, exec, s[36:37]
	s_and_saveexec_b64 s[36:37], s[10:11]
	s_cbranch_execnz .LBB194_253
.LBB194_194:
	s_or_b64 exec, exec, s[36:37]
	s_and_saveexec_b64 s[36:37], s[8:9]
	s_cbranch_execnz .LBB194_254
.LBB194_195:
	s_or_b64 exec, exec, s[36:37]
	s_and_saveexec_b64 s[36:37], s[6:7]
	s_cbranch_execnz .LBB194_255
.LBB194_196:
	s_or_b64 exec, exec, s[36:37]
	s_and_saveexec_b64 s[36:37], s[4:5]
	s_cbranch_execnz .LBB194_256
.LBB194_197:
	s_or_b64 exec, exec, s[36:37]
	s_and_saveexec_b64 s[36:37], s[2:3]
	s_cbranch_execz .LBB194_199
.LBB194_198:
	v_sub_u32_e32 v14, v22, v12
	v_mov_b32_e32 v15, 0
	v_lshl_add_u64 v[54:55], v[14:15], 3, v[10:11]
	v_mov_b32_e32 v14, v23
	global_store_dwordx2 v[54:55], v[14:15], off
.LBB194_199:
	s_or_b64 exec, exec, s[36:37]
	s_and_b64 s[36:37], s[0:1], exec
	s_andn2_saveexec_b64 s[30:31], s[30:31]
	s_cbranch_execz .LBB194_132
.LBB194_200:
	v_mov_b32_e32 v15, 0
	v_sub_u32_e32 v54, v50, v12
	v_mov_b32_e32 v55, v15
	v_mov_b32_e32 v14, v51
	v_lshl_add_u64 v[54:55], v[54:55], 3, v[10:11]
	global_store_dwordx2 v[54:55], v[14:15], off
	v_sub_u32_e32 v54, v48, v12
	v_mov_b32_e32 v55, v15
	v_mov_b32_e32 v14, v49
	v_lshl_add_u64 v[54:55], v[54:55], 3, v[10:11]
	global_store_dwordx2 v[54:55], v[14:15], off
	;; [unrolled: 5-line block ×13, first 2 shown]
	v_sub_u32_e32 v54, v22, v12
	v_mov_b32_e32 v55, v15
	v_mov_b32_e32 v14, v23
	v_lshl_add_u64 v[54:55], v[54:55], 3, v[10:11]
	s_or_b64 s[36:37], s[36:37], exec
	global_store_dwordx2 v[54:55], v[14:15], off
	s_or_b64 exec, exec, s[30:31]
	s_and_b64 exec, exec, s[36:37]
	s_cbranch_execnz .LBB194_133
	s_branch .LBB194_134
.LBB194_201:
	s_and_saveexec_b64 s[36:37], s[28:29]
	s_cbranch_execnz .LBB194_257
; %bb.202:
	s_or_b64 exec, exec, s[36:37]
	s_and_saveexec_b64 s[28:29], s[26:27]
	s_cbranch_execnz .LBB194_258
.LBB194_203:
	s_or_b64 exec, exec, s[28:29]
	s_and_saveexec_b64 s[26:27], s[24:25]
	s_cbranch_execnz .LBB194_259
.LBB194_204:
	s_or_b64 exec, exec, s[26:27]
	s_and_saveexec_b64 s[24:25], s[22:23]
	s_cbranch_execnz .LBB194_260
.LBB194_205:
	s_or_b64 exec, exec, s[24:25]
	s_and_saveexec_b64 s[22:23], s[20:21]
	s_cbranch_execnz .LBB194_261
.LBB194_206:
	s_or_b64 exec, exec, s[22:23]
	s_and_saveexec_b64 s[20:21], s[18:19]
	s_cbranch_execnz .LBB194_262
.LBB194_207:
	s_or_b64 exec, exec, s[20:21]
	s_and_saveexec_b64 s[18:19], s[16:17]
	s_cbranch_execnz .LBB194_263
.LBB194_208:
	s_or_b64 exec, exec, s[18:19]
	s_and_saveexec_b64 s[16:17], s[14:15]
	s_cbranch_execnz .LBB194_264
.LBB194_209:
	s_or_b64 exec, exec, s[16:17]
	s_and_saveexec_b64 s[14:15], s[12:13]
	s_cbranch_execnz .LBB194_265
.LBB194_210:
	s_or_b64 exec, exec, s[14:15]
	s_and_saveexec_b64 s[12:13], s[10:11]
	s_cbranch_execnz .LBB194_266
.LBB194_211:
	s_or_b64 exec, exec, s[12:13]
	s_and_saveexec_b64 s[10:11], s[8:9]
	s_cbranch_execnz .LBB194_267
.LBB194_212:
	s_or_b64 exec, exec, s[10:11]
	s_and_saveexec_b64 s[8:9], s[6:7]
	s_cbranch_execnz .LBB194_268
.LBB194_213:
	s_or_b64 exec, exec, s[8:9]
	s_and_saveexec_b64 s[6:7], s[4:5]
	s_cbranch_execnz .LBB194_269
.LBB194_214:
	s_or_b64 exec, exec, s[6:7]
	s_and_saveexec_b64 s[4:5], s[2:3]
	s_cbranch_execz .LBB194_216
.LBB194_215:
	v_sub_u32_e32 v10, v22, v12
	v_lshlrev_b32_e32 v10, 2, v10
	ds_write_b32 v10, v23
.LBB194_216:
	s_or_b64 exec, exec, s[4:5]
	s_and_b64 s[36:37], s[0:1], exec
                                        ; implicit-def: $vgpr22_vgpr23
                                        ; implicit-def: $vgpr26_vgpr27
                                        ; implicit-def: $vgpr28_vgpr29
                                        ; implicit-def: $vgpr50_vgpr51
                                        ; implicit-def: $vgpr48_vgpr49
                                        ; implicit-def: $vgpr46_vgpr47
                                        ; implicit-def: $vgpr44_vgpr45
                                        ; implicit-def: $vgpr42_vgpr43
                                        ; implicit-def: $vgpr40_vgpr41
                                        ; implicit-def: $vgpr38_vgpr39
                                        ; implicit-def: $vgpr36_vgpr37
                                        ; implicit-def: $vgpr34_vgpr35
                                        ; implicit-def: $vgpr32_vgpr33
                                        ; implicit-def: $vgpr30_vgpr31
	s_andn2_saveexec_b64 s[0:1], s[34:35]
	s_cbranch_execz .LBB194_139
.LBB194_217:
	v_sub_u32_e32 v10, v50, v12
	v_lshlrev_b32_e32 v10, 2, v10
	ds_write_b32 v10, v51
	v_sub_u32_e32 v10, v48, v12
	v_lshlrev_b32_e32 v10, 2, v10
	ds_write_b32 v10, v49
	;; [unrolled: 3-line block ×13, first 2 shown]
	v_sub_u32_e32 v10, v22, v12
	v_lshlrev_b32_e32 v10, 2, v10
	s_or_b64 s[36:37], s[36:37], exec
	ds_write_b32 v10, v23
	s_or_b64 exec, exec, s[0:1]
	s_and_b64 exec, exec, s[36:37]
	s_cbranch_execnz .LBB194_140
	s_branch .LBB194_141
.LBB194_218:
	v_sub_u32_e32 v3, v50, v18
	v_readfirstlane_b32 s44, v54
	v_readfirstlane_b32 s45, v55
	s_nop 4
	global_store_byte v3, v8, s[44:45]
	s_or_b64 exec, exec, s[38:39]
	s_and_saveexec_b64 s[38:39], s[28:29]
	s_cbranch_execz .LBB194_152
.LBB194_219:
	v_sub_u32_e32 v3, v48, v18
	v_readfirstlane_b32 s44, v54
	v_readfirstlane_b32 s45, v55
	s_nop 4
	global_store_byte v3, v68, s[44:45]
	s_or_b64 exec, exec, s[38:39]
	s_and_saveexec_b64 s[38:39], s[26:27]
	s_cbranch_execz .LBB194_153
.LBB194_220:
	v_sub_u32_e32 v3, v46, v18
	v_readfirstlane_b32 s44, v54
	v_readfirstlane_b32 s45, v55
	s_nop 4
	global_store_byte v3, v66, s[44:45]
	s_or_b64 exec, exec, s[38:39]
	s_and_saveexec_b64 s[38:39], s[24:25]
	s_cbranch_execz .LBB194_154
.LBB194_221:
	v_sub_u32_e32 v3, v44, v18
	v_readfirstlane_b32 s44, v54
	v_readfirstlane_b32 s45, v55
	s_nop 4
	global_store_byte v3, v64, s[44:45]
	s_or_b64 exec, exec, s[38:39]
	s_and_saveexec_b64 s[38:39], s[22:23]
	s_cbranch_execz .LBB194_155
.LBB194_222:
	v_sub_u32_e32 v3, v42, v18
	v_readfirstlane_b32 s44, v54
	v_readfirstlane_b32 s45, v55
	s_nop 4
	global_store_byte v3, v9, s[44:45]
	s_or_b64 exec, exec, s[38:39]
	s_and_saveexec_b64 s[38:39], s[20:21]
	s_cbranch_execz .LBB194_156
.LBB194_223:
	v_sub_u32_e32 v3, v40, v18
	v_readfirstlane_b32 s44, v54
	v_readfirstlane_b32 s45, v55
	s_nop 4
	global_store_byte v3, v62, s[44:45]
	s_or_b64 exec, exec, s[38:39]
	s_and_saveexec_b64 s[38:39], s[18:19]
	s_cbranch_execz .LBB194_157
.LBB194_224:
	v_sub_u32_e32 v3, v38, v18
	v_readfirstlane_b32 s44, v54
	v_readfirstlane_b32 s45, v55
	s_nop 4
	global_store_byte v3, v61, s[44:45]
	s_or_b64 exec, exec, s[38:39]
	s_and_saveexec_b64 s[38:39], s[16:17]
	s_cbranch_execz .LBB194_158
.LBB194_225:
	v_sub_u32_e32 v3, v36, v18
	v_readfirstlane_b32 s44, v54
	v_readfirstlane_b32 s45, v55
	s_nop 4
	global_store_byte v3, v60, s[44:45]
	s_or_b64 exec, exec, s[38:39]
	s_and_saveexec_b64 s[38:39], s[14:15]
	s_cbranch_execz .LBB194_159
.LBB194_226:
	v_sub_u32_e32 v3, v34, v18
	v_readfirstlane_b32 s44, v54
	v_readfirstlane_b32 s45, v55
	s_nop 4
	global_store_byte v3, v10, s[44:45]
	s_or_b64 exec, exec, s[38:39]
	s_and_saveexec_b64 s[38:39], s[12:13]
	s_cbranch_execz .LBB194_160
.LBB194_227:
	v_sub_u32_e32 v3, v32, v18
	v_readfirstlane_b32 s44, v54
	v_readfirstlane_b32 s45, v55
	s_nop 4
	global_store_byte v3, v59, s[44:45]
	s_or_b64 exec, exec, s[38:39]
	s_and_saveexec_b64 s[38:39], s[10:11]
	s_cbranch_execz .LBB194_161
.LBB194_228:
	v_sub_u32_e32 v3, v30, v18
	v_readfirstlane_b32 s44, v54
	v_readfirstlane_b32 s45, v55
	s_nop 4
	global_store_byte v3, v58, s[44:45]
	s_or_b64 exec, exec, s[38:39]
	s_and_saveexec_b64 s[38:39], s[8:9]
	s_cbranch_execz .LBB194_162
.LBB194_229:
	v_sub_u32_e32 v3, v28, v18
	v_readfirstlane_b32 s44, v54
	v_readfirstlane_b32 s45, v55
	s_nop 4
	global_store_byte v3, v57, s[44:45]
	s_or_b64 exec, exec, s[38:39]
	s_and_saveexec_b64 s[38:39], s[6:7]
	s_cbranch_execz .LBB194_163
.LBB194_230:
	v_sub_u32_e32 v3, v26, v18
	v_readfirstlane_b32 s44, v54
	v_readfirstlane_b32 s45, v55
	s_nop 4
	global_store_byte v3, v56, s[44:45]
	s_or_b64 exec, exec, s[38:39]
	s_and_saveexec_b64 s[38:39], s[4:5]
	s_cbranch_execnz .LBB194_164
	s_branch .LBB194_165
.LBB194_231:
	v_sub_u32_e32 v2, v50, v18
	ds_write_b8 v2, v8
	s_or_b64 exec, exec, s[38:39]
	s_and_saveexec_b64 s[30:31], s[28:29]
	s_cbranch_execz .LBB194_169
.LBB194_232:
	v_sub_u32_e32 v2, v48, v18
	ds_write_b8 v2, v68
	s_or_b64 exec, exec, s[30:31]
	s_and_saveexec_b64 s[28:29], s[26:27]
	s_cbranch_execz .LBB194_170
.LBB194_233:
	v_sub_u32_e32 v2, v46, v18
	ds_write_b8 v2, v66
	s_or_b64 exec, exec, s[28:29]
	s_and_saveexec_b64 s[26:27], s[24:25]
	s_cbranch_execz .LBB194_171
.LBB194_234:
	v_sub_u32_e32 v2, v44, v18
	ds_write_b8 v2, v64
	s_or_b64 exec, exec, s[26:27]
	s_and_saveexec_b64 s[24:25], s[22:23]
	s_cbranch_execz .LBB194_172
.LBB194_235:
	v_sub_u32_e32 v2, v42, v18
	ds_write_b8 v2, v9
	s_or_b64 exec, exec, s[24:25]
	s_and_saveexec_b64 s[22:23], s[20:21]
	s_cbranch_execz .LBB194_173
.LBB194_236:
	v_sub_u32_e32 v2, v40, v18
	ds_write_b8 v2, v62
	s_or_b64 exec, exec, s[22:23]
	s_and_saveexec_b64 s[20:21], s[18:19]
	s_cbranch_execz .LBB194_174
.LBB194_237:
	v_sub_u32_e32 v2, v38, v18
	ds_write_b8 v2, v61
	s_or_b64 exec, exec, s[20:21]
	s_and_saveexec_b64 s[18:19], s[16:17]
	s_cbranch_execz .LBB194_175
.LBB194_238:
	v_sub_u32_e32 v2, v36, v18
	ds_write_b8 v2, v60
	s_or_b64 exec, exec, s[18:19]
	s_and_saveexec_b64 s[16:17], s[14:15]
	s_cbranch_execz .LBB194_176
.LBB194_239:
	v_sub_u32_e32 v2, v34, v18
	ds_write_b8 v2, v10
	s_or_b64 exec, exec, s[16:17]
	s_and_saveexec_b64 s[14:15], s[12:13]
	s_cbranch_execz .LBB194_177
.LBB194_240:
	v_sub_u32_e32 v2, v32, v18
	ds_write_b8 v2, v59
	s_or_b64 exec, exec, s[14:15]
	s_and_saveexec_b64 s[12:13], s[10:11]
	s_cbranch_execz .LBB194_178
.LBB194_241:
	v_sub_u32_e32 v2, v30, v18
	ds_write_b8 v2, v58
	s_or_b64 exec, exec, s[12:13]
	s_and_saveexec_b64 s[10:11], s[8:9]
	s_cbranch_execz .LBB194_179
.LBB194_242:
	v_sub_u32_e32 v2, v28, v18
	ds_write_b8 v2, v57
	s_or_b64 exec, exec, s[10:11]
	s_and_saveexec_b64 s[8:9], s[6:7]
	s_cbranch_execz .LBB194_180
.LBB194_243:
	v_sub_u32_e32 v2, v26, v18
	ds_write_b8 v2, v56
	s_or_b64 exec, exec, s[8:9]
	s_and_saveexec_b64 s[6:7], s[4:5]
	s_cbranch_execnz .LBB194_181
	s_branch .LBB194_182
.LBB194_244:
	v_sub_u32_e32 v14, v50, v12
	v_mov_b32_e32 v15, 0
	v_lshl_add_u64 v[54:55], v[14:15], 3, v[10:11]
	v_mov_b32_e32 v14, v51
	global_store_dwordx2 v[54:55], v[14:15], off
	s_or_b64 exec, exec, s[36:37]
	s_and_saveexec_b64 s[36:37], s[26:27]
	s_cbranch_execz .LBB194_186
.LBB194_245:
	v_sub_u32_e32 v14, v48, v12
	v_mov_b32_e32 v15, 0
	v_lshl_add_u64 v[54:55], v[14:15], 3, v[10:11]
	v_mov_b32_e32 v14, v49
	global_store_dwordx2 v[54:55], v[14:15], off
	s_or_b64 exec, exec, s[36:37]
	s_and_saveexec_b64 s[36:37], s[24:25]
	s_cbranch_execz .LBB194_187
.LBB194_246:
	v_sub_u32_e32 v14, v46, v12
	v_mov_b32_e32 v15, 0
	v_lshl_add_u64 v[54:55], v[14:15], 3, v[10:11]
	v_mov_b32_e32 v14, v47
	global_store_dwordx2 v[54:55], v[14:15], off
	s_or_b64 exec, exec, s[36:37]
	s_and_saveexec_b64 s[36:37], s[22:23]
	s_cbranch_execz .LBB194_188
.LBB194_247:
	v_sub_u32_e32 v14, v44, v12
	v_mov_b32_e32 v15, 0
	v_lshl_add_u64 v[54:55], v[14:15], 3, v[10:11]
	v_mov_b32_e32 v14, v45
	global_store_dwordx2 v[54:55], v[14:15], off
	s_or_b64 exec, exec, s[36:37]
	s_and_saveexec_b64 s[36:37], s[20:21]
	s_cbranch_execz .LBB194_189
.LBB194_248:
	v_sub_u32_e32 v14, v42, v12
	v_mov_b32_e32 v15, 0
	v_lshl_add_u64 v[54:55], v[14:15], 3, v[10:11]
	v_mov_b32_e32 v14, v43
	global_store_dwordx2 v[54:55], v[14:15], off
	s_or_b64 exec, exec, s[36:37]
	s_and_saveexec_b64 s[36:37], s[18:19]
	s_cbranch_execz .LBB194_190
.LBB194_249:
	v_sub_u32_e32 v14, v40, v12
	v_mov_b32_e32 v15, 0
	v_lshl_add_u64 v[54:55], v[14:15], 3, v[10:11]
	v_mov_b32_e32 v14, v41
	global_store_dwordx2 v[54:55], v[14:15], off
	s_or_b64 exec, exec, s[36:37]
	s_and_saveexec_b64 s[36:37], s[16:17]
	s_cbranch_execz .LBB194_191
.LBB194_250:
	v_sub_u32_e32 v14, v38, v12
	v_mov_b32_e32 v15, 0
	v_lshl_add_u64 v[54:55], v[14:15], 3, v[10:11]
	v_mov_b32_e32 v14, v39
	global_store_dwordx2 v[54:55], v[14:15], off
	s_or_b64 exec, exec, s[36:37]
	s_and_saveexec_b64 s[36:37], s[14:15]
	s_cbranch_execz .LBB194_192
.LBB194_251:
	v_sub_u32_e32 v14, v36, v12
	v_mov_b32_e32 v15, 0
	v_lshl_add_u64 v[54:55], v[14:15], 3, v[10:11]
	v_mov_b32_e32 v14, v37
	global_store_dwordx2 v[54:55], v[14:15], off
	s_or_b64 exec, exec, s[36:37]
	s_and_saveexec_b64 s[36:37], s[12:13]
	s_cbranch_execz .LBB194_193
.LBB194_252:
	v_sub_u32_e32 v14, v34, v12
	v_mov_b32_e32 v15, 0
	v_lshl_add_u64 v[54:55], v[14:15], 3, v[10:11]
	v_mov_b32_e32 v14, v35
	global_store_dwordx2 v[54:55], v[14:15], off
	s_or_b64 exec, exec, s[36:37]
	s_and_saveexec_b64 s[36:37], s[10:11]
	s_cbranch_execz .LBB194_194
.LBB194_253:
	v_sub_u32_e32 v14, v32, v12
	v_mov_b32_e32 v15, 0
	v_lshl_add_u64 v[54:55], v[14:15], 3, v[10:11]
	v_mov_b32_e32 v14, v33
	global_store_dwordx2 v[54:55], v[14:15], off
	s_or_b64 exec, exec, s[36:37]
	s_and_saveexec_b64 s[36:37], s[8:9]
	s_cbranch_execz .LBB194_195
.LBB194_254:
	v_sub_u32_e32 v14, v30, v12
	v_mov_b32_e32 v15, 0
	v_lshl_add_u64 v[54:55], v[14:15], 3, v[10:11]
	v_mov_b32_e32 v14, v31
	global_store_dwordx2 v[54:55], v[14:15], off
	s_or_b64 exec, exec, s[36:37]
	s_and_saveexec_b64 s[36:37], s[6:7]
	s_cbranch_execz .LBB194_196
.LBB194_255:
	v_sub_u32_e32 v14, v28, v12
	v_mov_b32_e32 v15, 0
	v_lshl_add_u64 v[54:55], v[14:15], 3, v[10:11]
	v_mov_b32_e32 v14, v29
	global_store_dwordx2 v[54:55], v[14:15], off
	s_or_b64 exec, exec, s[36:37]
	s_and_saveexec_b64 s[36:37], s[4:5]
	s_cbranch_execz .LBB194_197
.LBB194_256:
	v_sub_u32_e32 v14, v26, v12
	v_mov_b32_e32 v15, 0
	v_lshl_add_u64 v[54:55], v[14:15], 3, v[10:11]
	v_mov_b32_e32 v14, v27
	global_store_dwordx2 v[54:55], v[14:15], off
	s_or_b64 exec, exec, s[36:37]
	s_and_saveexec_b64 s[36:37], s[2:3]
	s_cbranch_execnz .LBB194_198
	s_branch .LBB194_199
.LBB194_257:
	v_sub_u32_e32 v10, v50, v12
	v_lshlrev_b32_e32 v10, 2, v10
	ds_write_b32 v10, v51
	s_or_b64 exec, exec, s[36:37]
	s_and_saveexec_b64 s[28:29], s[26:27]
	s_cbranch_execz .LBB194_203
.LBB194_258:
	v_sub_u32_e32 v10, v48, v12
	v_lshlrev_b32_e32 v10, 2, v10
	ds_write_b32 v10, v49
	s_or_b64 exec, exec, s[28:29]
	s_and_saveexec_b64 s[26:27], s[24:25]
	s_cbranch_execz .LBB194_204
.LBB194_259:
	v_sub_u32_e32 v10, v46, v12
	v_lshlrev_b32_e32 v10, 2, v10
	ds_write_b32 v10, v47
	s_or_b64 exec, exec, s[26:27]
	s_and_saveexec_b64 s[24:25], s[22:23]
	s_cbranch_execz .LBB194_205
.LBB194_260:
	v_sub_u32_e32 v10, v44, v12
	v_lshlrev_b32_e32 v10, 2, v10
	ds_write_b32 v10, v45
	s_or_b64 exec, exec, s[24:25]
	s_and_saveexec_b64 s[22:23], s[20:21]
	s_cbranch_execz .LBB194_206
.LBB194_261:
	v_sub_u32_e32 v10, v42, v12
	v_lshlrev_b32_e32 v10, 2, v10
	ds_write_b32 v10, v43
	s_or_b64 exec, exec, s[22:23]
	s_and_saveexec_b64 s[20:21], s[18:19]
	s_cbranch_execz .LBB194_207
.LBB194_262:
	v_sub_u32_e32 v10, v40, v12
	v_lshlrev_b32_e32 v10, 2, v10
	ds_write_b32 v10, v41
	s_or_b64 exec, exec, s[20:21]
	s_and_saveexec_b64 s[18:19], s[16:17]
	s_cbranch_execz .LBB194_208
.LBB194_263:
	v_sub_u32_e32 v10, v38, v12
	v_lshlrev_b32_e32 v10, 2, v10
	ds_write_b32 v10, v39
	s_or_b64 exec, exec, s[18:19]
	s_and_saveexec_b64 s[16:17], s[14:15]
	s_cbranch_execz .LBB194_209
.LBB194_264:
	v_sub_u32_e32 v10, v36, v12
	v_lshlrev_b32_e32 v10, 2, v10
	ds_write_b32 v10, v37
	s_or_b64 exec, exec, s[16:17]
	s_and_saveexec_b64 s[14:15], s[12:13]
	s_cbranch_execz .LBB194_210
.LBB194_265:
	v_sub_u32_e32 v10, v34, v12
	v_lshlrev_b32_e32 v10, 2, v10
	ds_write_b32 v10, v35
	s_or_b64 exec, exec, s[14:15]
	s_and_saveexec_b64 s[12:13], s[10:11]
	s_cbranch_execz .LBB194_211
.LBB194_266:
	v_sub_u32_e32 v10, v32, v12
	v_lshlrev_b32_e32 v10, 2, v10
	ds_write_b32 v10, v33
	s_or_b64 exec, exec, s[12:13]
	s_and_saveexec_b64 s[10:11], s[8:9]
	s_cbranch_execz .LBB194_212
.LBB194_267:
	v_sub_u32_e32 v10, v30, v12
	v_lshlrev_b32_e32 v10, 2, v10
	ds_write_b32 v10, v31
	s_or_b64 exec, exec, s[10:11]
	s_and_saveexec_b64 s[8:9], s[6:7]
	s_cbranch_execz .LBB194_213
.LBB194_268:
	v_sub_u32_e32 v10, v28, v12
	v_lshlrev_b32_e32 v10, 2, v10
	ds_write_b32 v10, v29
	s_or_b64 exec, exec, s[8:9]
	s_and_saveexec_b64 s[6:7], s[4:5]
	s_cbranch_execz .LBB194_214
.LBB194_269:
	v_sub_u32_e32 v10, v26, v12
	v_lshlrev_b32_e32 v10, 2, v10
	ds_write_b32 v10, v27
	s_or_b64 exec, exec, s[6:7]
	s_and_saveexec_b64 s[4:5], s[2:3]
	s_cbranch_execnz .LBB194_215
	s_branch .LBB194_216
	.section	.rodata,"a",@progbits
	.p2align	6, 0x0
	.amdhsa_kernel _ZN7rocprim17ROCPRIM_400000_NS6detail17trampoline_kernelINS0_14default_configENS1_33run_length_encode_config_selectorIhjNS0_4plusIjEEEEZZNS1_33reduce_by_key_impl_wrapped_configILNS1_25lookback_scan_determinismE0ES3_S7_PKhNS0_17constant_iteratorIjlEEPhPlSF_S6_NS0_8equal_toIhEEEE10hipError_tPvRmT2_T3_mT4_T5_T6_T7_T8_P12ihipStream_tbENKUlT_T0_E_clISt17integral_constantIbLb0EESY_IbLb1EEEEDaSU_SV_EUlSU_E_NS1_11comp_targetILNS1_3genE5ELNS1_11target_archE942ELNS1_3gpuE9ELNS1_3repE0EEENS1_30default_config_static_selectorELNS0_4arch9wavefront6targetE1EEEvT1_
		.amdhsa_group_segment_fixed_size 30720
		.amdhsa_private_segment_fixed_size 0
		.amdhsa_kernarg_size 128
		.amdhsa_user_sgpr_count 2
		.amdhsa_user_sgpr_dispatch_ptr 0
		.amdhsa_user_sgpr_queue_ptr 0
		.amdhsa_user_sgpr_kernarg_segment_ptr 1
		.amdhsa_user_sgpr_dispatch_id 0
		.amdhsa_user_sgpr_kernarg_preload_length 0
		.amdhsa_user_sgpr_kernarg_preload_offset 0
		.amdhsa_user_sgpr_private_segment_size 0
		.amdhsa_uses_dynamic_stack 0
		.amdhsa_enable_private_segment 0
		.amdhsa_system_sgpr_workgroup_id_x 1
		.amdhsa_system_sgpr_workgroup_id_y 0
		.amdhsa_system_sgpr_workgroup_id_z 0
		.amdhsa_system_sgpr_workgroup_info 0
		.amdhsa_system_vgpr_workitem_id 0
		.amdhsa_next_free_vgpr 109
		.amdhsa_next_free_sgpr 66
		.amdhsa_accum_offset 112
		.amdhsa_reserve_vcc 1
		.amdhsa_float_round_mode_32 0
		.amdhsa_float_round_mode_16_64 0
		.amdhsa_float_denorm_mode_32 3
		.amdhsa_float_denorm_mode_16_64 3
		.amdhsa_dx10_clamp 1
		.amdhsa_ieee_mode 1
		.amdhsa_fp16_overflow 0
		.amdhsa_tg_split 0
		.amdhsa_exception_fp_ieee_invalid_op 0
		.amdhsa_exception_fp_denorm_src 0
		.amdhsa_exception_fp_ieee_div_zero 0
		.amdhsa_exception_fp_ieee_overflow 0
		.amdhsa_exception_fp_ieee_underflow 0
		.amdhsa_exception_fp_ieee_inexact 0
		.amdhsa_exception_int_div_zero 0
	.end_amdhsa_kernel
	.section	.text._ZN7rocprim17ROCPRIM_400000_NS6detail17trampoline_kernelINS0_14default_configENS1_33run_length_encode_config_selectorIhjNS0_4plusIjEEEEZZNS1_33reduce_by_key_impl_wrapped_configILNS1_25lookback_scan_determinismE0ES3_S7_PKhNS0_17constant_iteratorIjlEEPhPlSF_S6_NS0_8equal_toIhEEEE10hipError_tPvRmT2_T3_mT4_T5_T6_T7_T8_P12ihipStream_tbENKUlT_T0_E_clISt17integral_constantIbLb0EESY_IbLb1EEEEDaSU_SV_EUlSU_E_NS1_11comp_targetILNS1_3genE5ELNS1_11target_archE942ELNS1_3gpuE9ELNS1_3repE0EEENS1_30default_config_static_selectorELNS0_4arch9wavefront6targetE1EEEvT1_,"axG",@progbits,_ZN7rocprim17ROCPRIM_400000_NS6detail17trampoline_kernelINS0_14default_configENS1_33run_length_encode_config_selectorIhjNS0_4plusIjEEEEZZNS1_33reduce_by_key_impl_wrapped_configILNS1_25lookback_scan_determinismE0ES3_S7_PKhNS0_17constant_iteratorIjlEEPhPlSF_S6_NS0_8equal_toIhEEEE10hipError_tPvRmT2_T3_mT4_T5_T6_T7_T8_P12ihipStream_tbENKUlT_T0_E_clISt17integral_constantIbLb0EESY_IbLb1EEEEDaSU_SV_EUlSU_E_NS1_11comp_targetILNS1_3genE5ELNS1_11target_archE942ELNS1_3gpuE9ELNS1_3repE0EEENS1_30default_config_static_selectorELNS0_4arch9wavefront6targetE1EEEvT1_,comdat
.Lfunc_end194:
	.size	_ZN7rocprim17ROCPRIM_400000_NS6detail17trampoline_kernelINS0_14default_configENS1_33run_length_encode_config_selectorIhjNS0_4plusIjEEEEZZNS1_33reduce_by_key_impl_wrapped_configILNS1_25lookback_scan_determinismE0ES3_S7_PKhNS0_17constant_iteratorIjlEEPhPlSF_S6_NS0_8equal_toIhEEEE10hipError_tPvRmT2_T3_mT4_T5_T6_T7_T8_P12ihipStream_tbENKUlT_T0_E_clISt17integral_constantIbLb0EESY_IbLb1EEEEDaSU_SV_EUlSU_E_NS1_11comp_targetILNS1_3genE5ELNS1_11target_archE942ELNS1_3gpuE9ELNS1_3repE0EEENS1_30default_config_static_selectorELNS0_4arch9wavefront6targetE1EEEvT1_, .Lfunc_end194-_ZN7rocprim17ROCPRIM_400000_NS6detail17trampoline_kernelINS0_14default_configENS1_33run_length_encode_config_selectorIhjNS0_4plusIjEEEEZZNS1_33reduce_by_key_impl_wrapped_configILNS1_25lookback_scan_determinismE0ES3_S7_PKhNS0_17constant_iteratorIjlEEPhPlSF_S6_NS0_8equal_toIhEEEE10hipError_tPvRmT2_T3_mT4_T5_T6_T7_T8_P12ihipStream_tbENKUlT_T0_E_clISt17integral_constantIbLb0EESY_IbLb1EEEEDaSU_SV_EUlSU_E_NS1_11comp_targetILNS1_3genE5ELNS1_11target_archE942ELNS1_3gpuE9ELNS1_3repE0EEENS1_30default_config_static_selectorELNS0_4arch9wavefront6targetE1EEEvT1_
                                        ; -- End function
	.section	.AMDGPU.csdata,"",@progbits
; Kernel info:
; codeLenInByte = 14920
; NumSgprs: 72
; NumVgprs: 109
; NumAgprs: 0
; TotalNumVgprs: 109
; ScratchSize: 0
; MemoryBound: 0
; FloatMode: 240
; IeeeMode: 1
; LDSByteSize: 30720 bytes/workgroup (compile time only)
; SGPRBlocks: 8
; VGPRBlocks: 13
; NumSGPRsForWavesPerEU: 72
; NumVGPRsForWavesPerEU: 109
; AccumOffset: 112
; Occupancy: 4
; WaveLimiterHint : 1
; COMPUTE_PGM_RSRC2:SCRATCH_EN: 0
; COMPUTE_PGM_RSRC2:USER_SGPR: 2
; COMPUTE_PGM_RSRC2:TRAP_HANDLER: 0
; COMPUTE_PGM_RSRC2:TGID_X_EN: 1
; COMPUTE_PGM_RSRC2:TGID_Y_EN: 0
; COMPUTE_PGM_RSRC2:TGID_Z_EN: 0
; COMPUTE_PGM_RSRC2:TIDIG_COMP_CNT: 0
; COMPUTE_PGM_RSRC3_GFX90A:ACCUM_OFFSET: 27
; COMPUTE_PGM_RSRC3_GFX90A:TG_SPLIT: 0
	.section	.text._ZN7rocprim17ROCPRIM_400000_NS6detail17trampoline_kernelINS0_14default_configENS1_33run_length_encode_config_selectorIhjNS0_4plusIjEEEEZZNS1_33reduce_by_key_impl_wrapped_configILNS1_25lookback_scan_determinismE0ES3_S7_PKhNS0_17constant_iteratorIjlEEPhPlSF_S6_NS0_8equal_toIhEEEE10hipError_tPvRmT2_T3_mT4_T5_T6_T7_T8_P12ihipStream_tbENKUlT_T0_E_clISt17integral_constantIbLb0EESY_IbLb1EEEEDaSU_SV_EUlSU_E_NS1_11comp_targetILNS1_3genE4ELNS1_11target_archE910ELNS1_3gpuE8ELNS1_3repE0EEENS1_30default_config_static_selectorELNS0_4arch9wavefront6targetE1EEEvT1_,"axG",@progbits,_ZN7rocprim17ROCPRIM_400000_NS6detail17trampoline_kernelINS0_14default_configENS1_33run_length_encode_config_selectorIhjNS0_4plusIjEEEEZZNS1_33reduce_by_key_impl_wrapped_configILNS1_25lookback_scan_determinismE0ES3_S7_PKhNS0_17constant_iteratorIjlEEPhPlSF_S6_NS0_8equal_toIhEEEE10hipError_tPvRmT2_T3_mT4_T5_T6_T7_T8_P12ihipStream_tbENKUlT_T0_E_clISt17integral_constantIbLb0EESY_IbLb1EEEEDaSU_SV_EUlSU_E_NS1_11comp_targetILNS1_3genE4ELNS1_11target_archE910ELNS1_3gpuE8ELNS1_3repE0EEENS1_30default_config_static_selectorELNS0_4arch9wavefront6targetE1EEEvT1_,comdat
	.protected	_ZN7rocprim17ROCPRIM_400000_NS6detail17trampoline_kernelINS0_14default_configENS1_33run_length_encode_config_selectorIhjNS0_4plusIjEEEEZZNS1_33reduce_by_key_impl_wrapped_configILNS1_25lookback_scan_determinismE0ES3_S7_PKhNS0_17constant_iteratorIjlEEPhPlSF_S6_NS0_8equal_toIhEEEE10hipError_tPvRmT2_T3_mT4_T5_T6_T7_T8_P12ihipStream_tbENKUlT_T0_E_clISt17integral_constantIbLb0EESY_IbLb1EEEEDaSU_SV_EUlSU_E_NS1_11comp_targetILNS1_3genE4ELNS1_11target_archE910ELNS1_3gpuE8ELNS1_3repE0EEENS1_30default_config_static_selectorELNS0_4arch9wavefront6targetE1EEEvT1_ ; -- Begin function _ZN7rocprim17ROCPRIM_400000_NS6detail17trampoline_kernelINS0_14default_configENS1_33run_length_encode_config_selectorIhjNS0_4plusIjEEEEZZNS1_33reduce_by_key_impl_wrapped_configILNS1_25lookback_scan_determinismE0ES3_S7_PKhNS0_17constant_iteratorIjlEEPhPlSF_S6_NS0_8equal_toIhEEEE10hipError_tPvRmT2_T3_mT4_T5_T6_T7_T8_P12ihipStream_tbENKUlT_T0_E_clISt17integral_constantIbLb0EESY_IbLb1EEEEDaSU_SV_EUlSU_E_NS1_11comp_targetILNS1_3genE4ELNS1_11target_archE910ELNS1_3gpuE8ELNS1_3repE0EEENS1_30default_config_static_selectorELNS0_4arch9wavefront6targetE1EEEvT1_
	.globl	_ZN7rocprim17ROCPRIM_400000_NS6detail17trampoline_kernelINS0_14default_configENS1_33run_length_encode_config_selectorIhjNS0_4plusIjEEEEZZNS1_33reduce_by_key_impl_wrapped_configILNS1_25lookback_scan_determinismE0ES3_S7_PKhNS0_17constant_iteratorIjlEEPhPlSF_S6_NS0_8equal_toIhEEEE10hipError_tPvRmT2_T3_mT4_T5_T6_T7_T8_P12ihipStream_tbENKUlT_T0_E_clISt17integral_constantIbLb0EESY_IbLb1EEEEDaSU_SV_EUlSU_E_NS1_11comp_targetILNS1_3genE4ELNS1_11target_archE910ELNS1_3gpuE8ELNS1_3repE0EEENS1_30default_config_static_selectorELNS0_4arch9wavefront6targetE1EEEvT1_
	.p2align	8
	.type	_ZN7rocprim17ROCPRIM_400000_NS6detail17trampoline_kernelINS0_14default_configENS1_33run_length_encode_config_selectorIhjNS0_4plusIjEEEEZZNS1_33reduce_by_key_impl_wrapped_configILNS1_25lookback_scan_determinismE0ES3_S7_PKhNS0_17constant_iteratorIjlEEPhPlSF_S6_NS0_8equal_toIhEEEE10hipError_tPvRmT2_T3_mT4_T5_T6_T7_T8_P12ihipStream_tbENKUlT_T0_E_clISt17integral_constantIbLb0EESY_IbLb1EEEEDaSU_SV_EUlSU_E_NS1_11comp_targetILNS1_3genE4ELNS1_11target_archE910ELNS1_3gpuE8ELNS1_3repE0EEENS1_30default_config_static_selectorELNS0_4arch9wavefront6targetE1EEEvT1_,@function
_ZN7rocprim17ROCPRIM_400000_NS6detail17trampoline_kernelINS0_14default_configENS1_33run_length_encode_config_selectorIhjNS0_4plusIjEEEEZZNS1_33reduce_by_key_impl_wrapped_configILNS1_25lookback_scan_determinismE0ES3_S7_PKhNS0_17constant_iteratorIjlEEPhPlSF_S6_NS0_8equal_toIhEEEE10hipError_tPvRmT2_T3_mT4_T5_T6_T7_T8_P12ihipStream_tbENKUlT_T0_E_clISt17integral_constantIbLb0EESY_IbLb1EEEEDaSU_SV_EUlSU_E_NS1_11comp_targetILNS1_3genE4ELNS1_11target_archE910ELNS1_3gpuE8ELNS1_3repE0EEENS1_30default_config_static_selectorELNS0_4arch9wavefront6targetE1EEEvT1_: ; @_ZN7rocprim17ROCPRIM_400000_NS6detail17trampoline_kernelINS0_14default_configENS1_33run_length_encode_config_selectorIhjNS0_4plusIjEEEEZZNS1_33reduce_by_key_impl_wrapped_configILNS1_25lookback_scan_determinismE0ES3_S7_PKhNS0_17constant_iteratorIjlEEPhPlSF_S6_NS0_8equal_toIhEEEE10hipError_tPvRmT2_T3_mT4_T5_T6_T7_T8_P12ihipStream_tbENKUlT_T0_E_clISt17integral_constantIbLb0EESY_IbLb1EEEEDaSU_SV_EUlSU_E_NS1_11comp_targetILNS1_3genE4ELNS1_11target_archE910ELNS1_3gpuE8ELNS1_3repE0EEENS1_30default_config_static_selectorELNS0_4arch9wavefront6targetE1EEEvT1_
; %bb.0:
	.section	.rodata,"a",@progbits
	.p2align	6, 0x0
	.amdhsa_kernel _ZN7rocprim17ROCPRIM_400000_NS6detail17trampoline_kernelINS0_14default_configENS1_33run_length_encode_config_selectorIhjNS0_4plusIjEEEEZZNS1_33reduce_by_key_impl_wrapped_configILNS1_25lookback_scan_determinismE0ES3_S7_PKhNS0_17constant_iteratorIjlEEPhPlSF_S6_NS0_8equal_toIhEEEE10hipError_tPvRmT2_T3_mT4_T5_T6_T7_T8_P12ihipStream_tbENKUlT_T0_E_clISt17integral_constantIbLb0EESY_IbLb1EEEEDaSU_SV_EUlSU_E_NS1_11comp_targetILNS1_3genE4ELNS1_11target_archE910ELNS1_3gpuE8ELNS1_3repE0EEENS1_30default_config_static_selectorELNS0_4arch9wavefront6targetE1EEEvT1_
		.amdhsa_group_segment_fixed_size 0
		.amdhsa_private_segment_fixed_size 0
		.amdhsa_kernarg_size 128
		.amdhsa_user_sgpr_count 2
		.amdhsa_user_sgpr_dispatch_ptr 0
		.amdhsa_user_sgpr_queue_ptr 0
		.amdhsa_user_sgpr_kernarg_segment_ptr 1
		.amdhsa_user_sgpr_dispatch_id 0
		.amdhsa_user_sgpr_kernarg_preload_length 0
		.amdhsa_user_sgpr_kernarg_preload_offset 0
		.amdhsa_user_sgpr_private_segment_size 0
		.amdhsa_uses_dynamic_stack 0
		.amdhsa_enable_private_segment 0
		.amdhsa_system_sgpr_workgroup_id_x 1
		.amdhsa_system_sgpr_workgroup_id_y 0
		.amdhsa_system_sgpr_workgroup_id_z 0
		.amdhsa_system_sgpr_workgroup_info 0
		.amdhsa_system_vgpr_workitem_id 0
		.amdhsa_next_free_vgpr 1
		.amdhsa_next_free_sgpr 0
		.amdhsa_accum_offset 4
		.amdhsa_reserve_vcc 0
		.amdhsa_float_round_mode_32 0
		.amdhsa_float_round_mode_16_64 0
		.amdhsa_float_denorm_mode_32 3
		.amdhsa_float_denorm_mode_16_64 3
		.amdhsa_dx10_clamp 1
		.amdhsa_ieee_mode 1
		.amdhsa_fp16_overflow 0
		.amdhsa_tg_split 0
		.amdhsa_exception_fp_ieee_invalid_op 0
		.amdhsa_exception_fp_denorm_src 0
		.amdhsa_exception_fp_ieee_div_zero 0
		.amdhsa_exception_fp_ieee_overflow 0
		.amdhsa_exception_fp_ieee_underflow 0
		.amdhsa_exception_fp_ieee_inexact 0
		.amdhsa_exception_int_div_zero 0
	.end_amdhsa_kernel
	.section	.text._ZN7rocprim17ROCPRIM_400000_NS6detail17trampoline_kernelINS0_14default_configENS1_33run_length_encode_config_selectorIhjNS0_4plusIjEEEEZZNS1_33reduce_by_key_impl_wrapped_configILNS1_25lookback_scan_determinismE0ES3_S7_PKhNS0_17constant_iteratorIjlEEPhPlSF_S6_NS0_8equal_toIhEEEE10hipError_tPvRmT2_T3_mT4_T5_T6_T7_T8_P12ihipStream_tbENKUlT_T0_E_clISt17integral_constantIbLb0EESY_IbLb1EEEEDaSU_SV_EUlSU_E_NS1_11comp_targetILNS1_3genE4ELNS1_11target_archE910ELNS1_3gpuE8ELNS1_3repE0EEENS1_30default_config_static_selectorELNS0_4arch9wavefront6targetE1EEEvT1_,"axG",@progbits,_ZN7rocprim17ROCPRIM_400000_NS6detail17trampoline_kernelINS0_14default_configENS1_33run_length_encode_config_selectorIhjNS0_4plusIjEEEEZZNS1_33reduce_by_key_impl_wrapped_configILNS1_25lookback_scan_determinismE0ES3_S7_PKhNS0_17constant_iteratorIjlEEPhPlSF_S6_NS0_8equal_toIhEEEE10hipError_tPvRmT2_T3_mT4_T5_T6_T7_T8_P12ihipStream_tbENKUlT_T0_E_clISt17integral_constantIbLb0EESY_IbLb1EEEEDaSU_SV_EUlSU_E_NS1_11comp_targetILNS1_3genE4ELNS1_11target_archE910ELNS1_3gpuE8ELNS1_3repE0EEENS1_30default_config_static_selectorELNS0_4arch9wavefront6targetE1EEEvT1_,comdat
.Lfunc_end195:
	.size	_ZN7rocprim17ROCPRIM_400000_NS6detail17trampoline_kernelINS0_14default_configENS1_33run_length_encode_config_selectorIhjNS0_4plusIjEEEEZZNS1_33reduce_by_key_impl_wrapped_configILNS1_25lookback_scan_determinismE0ES3_S7_PKhNS0_17constant_iteratorIjlEEPhPlSF_S6_NS0_8equal_toIhEEEE10hipError_tPvRmT2_T3_mT4_T5_T6_T7_T8_P12ihipStream_tbENKUlT_T0_E_clISt17integral_constantIbLb0EESY_IbLb1EEEEDaSU_SV_EUlSU_E_NS1_11comp_targetILNS1_3genE4ELNS1_11target_archE910ELNS1_3gpuE8ELNS1_3repE0EEENS1_30default_config_static_selectorELNS0_4arch9wavefront6targetE1EEEvT1_, .Lfunc_end195-_ZN7rocprim17ROCPRIM_400000_NS6detail17trampoline_kernelINS0_14default_configENS1_33run_length_encode_config_selectorIhjNS0_4plusIjEEEEZZNS1_33reduce_by_key_impl_wrapped_configILNS1_25lookback_scan_determinismE0ES3_S7_PKhNS0_17constant_iteratorIjlEEPhPlSF_S6_NS0_8equal_toIhEEEE10hipError_tPvRmT2_T3_mT4_T5_T6_T7_T8_P12ihipStream_tbENKUlT_T0_E_clISt17integral_constantIbLb0EESY_IbLb1EEEEDaSU_SV_EUlSU_E_NS1_11comp_targetILNS1_3genE4ELNS1_11target_archE910ELNS1_3gpuE8ELNS1_3repE0EEENS1_30default_config_static_selectorELNS0_4arch9wavefront6targetE1EEEvT1_
                                        ; -- End function
	.section	.AMDGPU.csdata,"",@progbits
; Kernel info:
; codeLenInByte = 0
; NumSgprs: 6
; NumVgprs: 0
; NumAgprs: 0
; TotalNumVgprs: 0
; ScratchSize: 0
; MemoryBound: 0
; FloatMode: 240
; IeeeMode: 1
; LDSByteSize: 0 bytes/workgroup (compile time only)
; SGPRBlocks: 0
; VGPRBlocks: 0
; NumSGPRsForWavesPerEU: 6
; NumVGPRsForWavesPerEU: 1
; AccumOffset: 4
; Occupancy: 8
; WaveLimiterHint : 0
; COMPUTE_PGM_RSRC2:SCRATCH_EN: 0
; COMPUTE_PGM_RSRC2:USER_SGPR: 2
; COMPUTE_PGM_RSRC2:TRAP_HANDLER: 0
; COMPUTE_PGM_RSRC2:TGID_X_EN: 1
; COMPUTE_PGM_RSRC2:TGID_Y_EN: 0
; COMPUTE_PGM_RSRC2:TGID_Z_EN: 0
; COMPUTE_PGM_RSRC2:TIDIG_COMP_CNT: 0
; COMPUTE_PGM_RSRC3_GFX90A:ACCUM_OFFSET: 0
; COMPUTE_PGM_RSRC3_GFX90A:TG_SPLIT: 0
	.section	.text._ZN7rocprim17ROCPRIM_400000_NS6detail17trampoline_kernelINS0_14default_configENS1_33run_length_encode_config_selectorIhjNS0_4plusIjEEEEZZNS1_33reduce_by_key_impl_wrapped_configILNS1_25lookback_scan_determinismE0ES3_S7_PKhNS0_17constant_iteratorIjlEEPhPlSF_S6_NS0_8equal_toIhEEEE10hipError_tPvRmT2_T3_mT4_T5_T6_T7_T8_P12ihipStream_tbENKUlT_T0_E_clISt17integral_constantIbLb0EESY_IbLb1EEEEDaSU_SV_EUlSU_E_NS1_11comp_targetILNS1_3genE3ELNS1_11target_archE908ELNS1_3gpuE7ELNS1_3repE0EEENS1_30default_config_static_selectorELNS0_4arch9wavefront6targetE1EEEvT1_,"axG",@progbits,_ZN7rocprim17ROCPRIM_400000_NS6detail17trampoline_kernelINS0_14default_configENS1_33run_length_encode_config_selectorIhjNS0_4plusIjEEEEZZNS1_33reduce_by_key_impl_wrapped_configILNS1_25lookback_scan_determinismE0ES3_S7_PKhNS0_17constant_iteratorIjlEEPhPlSF_S6_NS0_8equal_toIhEEEE10hipError_tPvRmT2_T3_mT4_T5_T6_T7_T8_P12ihipStream_tbENKUlT_T0_E_clISt17integral_constantIbLb0EESY_IbLb1EEEEDaSU_SV_EUlSU_E_NS1_11comp_targetILNS1_3genE3ELNS1_11target_archE908ELNS1_3gpuE7ELNS1_3repE0EEENS1_30default_config_static_selectorELNS0_4arch9wavefront6targetE1EEEvT1_,comdat
	.protected	_ZN7rocprim17ROCPRIM_400000_NS6detail17trampoline_kernelINS0_14default_configENS1_33run_length_encode_config_selectorIhjNS0_4plusIjEEEEZZNS1_33reduce_by_key_impl_wrapped_configILNS1_25lookback_scan_determinismE0ES3_S7_PKhNS0_17constant_iteratorIjlEEPhPlSF_S6_NS0_8equal_toIhEEEE10hipError_tPvRmT2_T3_mT4_T5_T6_T7_T8_P12ihipStream_tbENKUlT_T0_E_clISt17integral_constantIbLb0EESY_IbLb1EEEEDaSU_SV_EUlSU_E_NS1_11comp_targetILNS1_3genE3ELNS1_11target_archE908ELNS1_3gpuE7ELNS1_3repE0EEENS1_30default_config_static_selectorELNS0_4arch9wavefront6targetE1EEEvT1_ ; -- Begin function _ZN7rocprim17ROCPRIM_400000_NS6detail17trampoline_kernelINS0_14default_configENS1_33run_length_encode_config_selectorIhjNS0_4plusIjEEEEZZNS1_33reduce_by_key_impl_wrapped_configILNS1_25lookback_scan_determinismE0ES3_S7_PKhNS0_17constant_iteratorIjlEEPhPlSF_S6_NS0_8equal_toIhEEEE10hipError_tPvRmT2_T3_mT4_T5_T6_T7_T8_P12ihipStream_tbENKUlT_T0_E_clISt17integral_constantIbLb0EESY_IbLb1EEEEDaSU_SV_EUlSU_E_NS1_11comp_targetILNS1_3genE3ELNS1_11target_archE908ELNS1_3gpuE7ELNS1_3repE0EEENS1_30default_config_static_selectorELNS0_4arch9wavefront6targetE1EEEvT1_
	.globl	_ZN7rocprim17ROCPRIM_400000_NS6detail17trampoline_kernelINS0_14default_configENS1_33run_length_encode_config_selectorIhjNS0_4plusIjEEEEZZNS1_33reduce_by_key_impl_wrapped_configILNS1_25lookback_scan_determinismE0ES3_S7_PKhNS0_17constant_iteratorIjlEEPhPlSF_S6_NS0_8equal_toIhEEEE10hipError_tPvRmT2_T3_mT4_T5_T6_T7_T8_P12ihipStream_tbENKUlT_T0_E_clISt17integral_constantIbLb0EESY_IbLb1EEEEDaSU_SV_EUlSU_E_NS1_11comp_targetILNS1_3genE3ELNS1_11target_archE908ELNS1_3gpuE7ELNS1_3repE0EEENS1_30default_config_static_selectorELNS0_4arch9wavefront6targetE1EEEvT1_
	.p2align	8
	.type	_ZN7rocprim17ROCPRIM_400000_NS6detail17trampoline_kernelINS0_14default_configENS1_33run_length_encode_config_selectorIhjNS0_4plusIjEEEEZZNS1_33reduce_by_key_impl_wrapped_configILNS1_25lookback_scan_determinismE0ES3_S7_PKhNS0_17constant_iteratorIjlEEPhPlSF_S6_NS0_8equal_toIhEEEE10hipError_tPvRmT2_T3_mT4_T5_T6_T7_T8_P12ihipStream_tbENKUlT_T0_E_clISt17integral_constantIbLb0EESY_IbLb1EEEEDaSU_SV_EUlSU_E_NS1_11comp_targetILNS1_3genE3ELNS1_11target_archE908ELNS1_3gpuE7ELNS1_3repE0EEENS1_30default_config_static_selectorELNS0_4arch9wavefront6targetE1EEEvT1_,@function
_ZN7rocprim17ROCPRIM_400000_NS6detail17trampoline_kernelINS0_14default_configENS1_33run_length_encode_config_selectorIhjNS0_4plusIjEEEEZZNS1_33reduce_by_key_impl_wrapped_configILNS1_25lookback_scan_determinismE0ES3_S7_PKhNS0_17constant_iteratorIjlEEPhPlSF_S6_NS0_8equal_toIhEEEE10hipError_tPvRmT2_T3_mT4_T5_T6_T7_T8_P12ihipStream_tbENKUlT_T0_E_clISt17integral_constantIbLb0EESY_IbLb1EEEEDaSU_SV_EUlSU_E_NS1_11comp_targetILNS1_3genE3ELNS1_11target_archE908ELNS1_3gpuE7ELNS1_3repE0EEENS1_30default_config_static_selectorELNS0_4arch9wavefront6targetE1EEEvT1_: ; @_ZN7rocprim17ROCPRIM_400000_NS6detail17trampoline_kernelINS0_14default_configENS1_33run_length_encode_config_selectorIhjNS0_4plusIjEEEEZZNS1_33reduce_by_key_impl_wrapped_configILNS1_25lookback_scan_determinismE0ES3_S7_PKhNS0_17constant_iteratorIjlEEPhPlSF_S6_NS0_8equal_toIhEEEE10hipError_tPvRmT2_T3_mT4_T5_T6_T7_T8_P12ihipStream_tbENKUlT_T0_E_clISt17integral_constantIbLb0EESY_IbLb1EEEEDaSU_SV_EUlSU_E_NS1_11comp_targetILNS1_3genE3ELNS1_11target_archE908ELNS1_3gpuE7ELNS1_3repE0EEENS1_30default_config_static_selectorELNS0_4arch9wavefront6targetE1EEEvT1_
; %bb.0:
	.section	.rodata,"a",@progbits
	.p2align	6, 0x0
	.amdhsa_kernel _ZN7rocprim17ROCPRIM_400000_NS6detail17trampoline_kernelINS0_14default_configENS1_33run_length_encode_config_selectorIhjNS0_4plusIjEEEEZZNS1_33reduce_by_key_impl_wrapped_configILNS1_25lookback_scan_determinismE0ES3_S7_PKhNS0_17constant_iteratorIjlEEPhPlSF_S6_NS0_8equal_toIhEEEE10hipError_tPvRmT2_T3_mT4_T5_T6_T7_T8_P12ihipStream_tbENKUlT_T0_E_clISt17integral_constantIbLb0EESY_IbLb1EEEEDaSU_SV_EUlSU_E_NS1_11comp_targetILNS1_3genE3ELNS1_11target_archE908ELNS1_3gpuE7ELNS1_3repE0EEENS1_30default_config_static_selectorELNS0_4arch9wavefront6targetE1EEEvT1_
		.amdhsa_group_segment_fixed_size 0
		.amdhsa_private_segment_fixed_size 0
		.amdhsa_kernarg_size 128
		.amdhsa_user_sgpr_count 2
		.amdhsa_user_sgpr_dispatch_ptr 0
		.amdhsa_user_sgpr_queue_ptr 0
		.amdhsa_user_sgpr_kernarg_segment_ptr 1
		.amdhsa_user_sgpr_dispatch_id 0
		.amdhsa_user_sgpr_kernarg_preload_length 0
		.amdhsa_user_sgpr_kernarg_preload_offset 0
		.amdhsa_user_sgpr_private_segment_size 0
		.amdhsa_uses_dynamic_stack 0
		.amdhsa_enable_private_segment 0
		.amdhsa_system_sgpr_workgroup_id_x 1
		.amdhsa_system_sgpr_workgroup_id_y 0
		.amdhsa_system_sgpr_workgroup_id_z 0
		.amdhsa_system_sgpr_workgroup_info 0
		.amdhsa_system_vgpr_workitem_id 0
		.amdhsa_next_free_vgpr 1
		.amdhsa_next_free_sgpr 0
		.amdhsa_accum_offset 4
		.amdhsa_reserve_vcc 0
		.amdhsa_float_round_mode_32 0
		.amdhsa_float_round_mode_16_64 0
		.amdhsa_float_denorm_mode_32 3
		.amdhsa_float_denorm_mode_16_64 3
		.amdhsa_dx10_clamp 1
		.amdhsa_ieee_mode 1
		.amdhsa_fp16_overflow 0
		.amdhsa_tg_split 0
		.amdhsa_exception_fp_ieee_invalid_op 0
		.amdhsa_exception_fp_denorm_src 0
		.amdhsa_exception_fp_ieee_div_zero 0
		.amdhsa_exception_fp_ieee_overflow 0
		.amdhsa_exception_fp_ieee_underflow 0
		.amdhsa_exception_fp_ieee_inexact 0
		.amdhsa_exception_int_div_zero 0
	.end_amdhsa_kernel
	.section	.text._ZN7rocprim17ROCPRIM_400000_NS6detail17trampoline_kernelINS0_14default_configENS1_33run_length_encode_config_selectorIhjNS0_4plusIjEEEEZZNS1_33reduce_by_key_impl_wrapped_configILNS1_25lookback_scan_determinismE0ES3_S7_PKhNS0_17constant_iteratorIjlEEPhPlSF_S6_NS0_8equal_toIhEEEE10hipError_tPvRmT2_T3_mT4_T5_T6_T7_T8_P12ihipStream_tbENKUlT_T0_E_clISt17integral_constantIbLb0EESY_IbLb1EEEEDaSU_SV_EUlSU_E_NS1_11comp_targetILNS1_3genE3ELNS1_11target_archE908ELNS1_3gpuE7ELNS1_3repE0EEENS1_30default_config_static_selectorELNS0_4arch9wavefront6targetE1EEEvT1_,"axG",@progbits,_ZN7rocprim17ROCPRIM_400000_NS6detail17trampoline_kernelINS0_14default_configENS1_33run_length_encode_config_selectorIhjNS0_4plusIjEEEEZZNS1_33reduce_by_key_impl_wrapped_configILNS1_25lookback_scan_determinismE0ES3_S7_PKhNS0_17constant_iteratorIjlEEPhPlSF_S6_NS0_8equal_toIhEEEE10hipError_tPvRmT2_T3_mT4_T5_T6_T7_T8_P12ihipStream_tbENKUlT_T0_E_clISt17integral_constantIbLb0EESY_IbLb1EEEEDaSU_SV_EUlSU_E_NS1_11comp_targetILNS1_3genE3ELNS1_11target_archE908ELNS1_3gpuE7ELNS1_3repE0EEENS1_30default_config_static_selectorELNS0_4arch9wavefront6targetE1EEEvT1_,comdat
.Lfunc_end196:
	.size	_ZN7rocprim17ROCPRIM_400000_NS6detail17trampoline_kernelINS0_14default_configENS1_33run_length_encode_config_selectorIhjNS0_4plusIjEEEEZZNS1_33reduce_by_key_impl_wrapped_configILNS1_25lookback_scan_determinismE0ES3_S7_PKhNS0_17constant_iteratorIjlEEPhPlSF_S6_NS0_8equal_toIhEEEE10hipError_tPvRmT2_T3_mT4_T5_T6_T7_T8_P12ihipStream_tbENKUlT_T0_E_clISt17integral_constantIbLb0EESY_IbLb1EEEEDaSU_SV_EUlSU_E_NS1_11comp_targetILNS1_3genE3ELNS1_11target_archE908ELNS1_3gpuE7ELNS1_3repE0EEENS1_30default_config_static_selectorELNS0_4arch9wavefront6targetE1EEEvT1_, .Lfunc_end196-_ZN7rocprim17ROCPRIM_400000_NS6detail17trampoline_kernelINS0_14default_configENS1_33run_length_encode_config_selectorIhjNS0_4plusIjEEEEZZNS1_33reduce_by_key_impl_wrapped_configILNS1_25lookback_scan_determinismE0ES3_S7_PKhNS0_17constant_iteratorIjlEEPhPlSF_S6_NS0_8equal_toIhEEEE10hipError_tPvRmT2_T3_mT4_T5_T6_T7_T8_P12ihipStream_tbENKUlT_T0_E_clISt17integral_constantIbLb0EESY_IbLb1EEEEDaSU_SV_EUlSU_E_NS1_11comp_targetILNS1_3genE3ELNS1_11target_archE908ELNS1_3gpuE7ELNS1_3repE0EEENS1_30default_config_static_selectorELNS0_4arch9wavefront6targetE1EEEvT1_
                                        ; -- End function
	.section	.AMDGPU.csdata,"",@progbits
; Kernel info:
; codeLenInByte = 0
; NumSgprs: 6
; NumVgprs: 0
; NumAgprs: 0
; TotalNumVgprs: 0
; ScratchSize: 0
; MemoryBound: 0
; FloatMode: 240
; IeeeMode: 1
; LDSByteSize: 0 bytes/workgroup (compile time only)
; SGPRBlocks: 0
; VGPRBlocks: 0
; NumSGPRsForWavesPerEU: 6
; NumVGPRsForWavesPerEU: 1
; AccumOffset: 4
; Occupancy: 8
; WaveLimiterHint : 0
; COMPUTE_PGM_RSRC2:SCRATCH_EN: 0
; COMPUTE_PGM_RSRC2:USER_SGPR: 2
; COMPUTE_PGM_RSRC2:TRAP_HANDLER: 0
; COMPUTE_PGM_RSRC2:TGID_X_EN: 1
; COMPUTE_PGM_RSRC2:TGID_Y_EN: 0
; COMPUTE_PGM_RSRC2:TGID_Z_EN: 0
; COMPUTE_PGM_RSRC2:TIDIG_COMP_CNT: 0
; COMPUTE_PGM_RSRC3_GFX90A:ACCUM_OFFSET: 0
; COMPUTE_PGM_RSRC3_GFX90A:TG_SPLIT: 0
	.section	.text._ZN7rocprim17ROCPRIM_400000_NS6detail17trampoline_kernelINS0_14default_configENS1_33run_length_encode_config_selectorIhjNS0_4plusIjEEEEZZNS1_33reduce_by_key_impl_wrapped_configILNS1_25lookback_scan_determinismE0ES3_S7_PKhNS0_17constant_iteratorIjlEEPhPlSF_S6_NS0_8equal_toIhEEEE10hipError_tPvRmT2_T3_mT4_T5_T6_T7_T8_P12ihipStream_tbENKUlT_T0_E_clISt17integral_constantIbLb0EESY_IbLb1EEEEDaSU_SV_EUlSU_E_NS1_11comp_targetILNS1_3genE2ELNS1_11target_archE906ELNS1_3gpuE6ELNS1_3repE0EEENS1_30default_config_static_selectorELNS0_4arch9wavefront6targetE1EEEvT1_,"axG",@progbits,_ZN7rocprim17ROCPRIM_400000_NS6detail17trampoline_kernelINS0_14default_configENS1_33run_length_encode_config_selectorIhjNS0_4plusIjEEEEZZNS1_33reduce_by_key_impl_wrapped_configILNS1_25lookback_scan_determinismE0ES3_S7_PKhNS0_17constant_iteratorIjlEEPhPlSF_S6_NS0_8equal_toIhEEEE10hipError_tPvRmT2_T3_mT4_T5_T6_T7_T8_P12ihipStream_tbENKUlT_T0_E_clISt17integral_constantIbLb0EESY_IbLb1EEEEDaSU_SV_EUlSU_E_NS1_11comp_targetILNS1_3genE2ELNS1_11target_archE906ELNS1_3gpuE6ELNS1_3repE0EEENS1_30default_config_static_selectorELNS0_4arch9wavefront6targetE1EEEvT1_,comdat
	.protected	_ZN7rocprim17ROCPRIM_400000_NS6detail17trampoline_kernelINS0_14default_configENS1_33run_length_encode_config_selectorIhjNS0_4plusIjEEEEZZNS1_33reduce_by_key_impl_wrapped_configILNS1_25lookback_scan_determinismE0ES3_S7_PKhNS0_17constant_iteratorIjlEEPhPlSF_S6_NS0_8equal_toIhEEEE10hipError_tPvRmT2_T3_mT4_T5_T6_T7_T8_P12ihipStream_tbENKUlT_T0_E_clISt17integral_constantIbLb0EESY_IbLb1EEEEDaSU_SV_EUlSU_E_NS1_11comp_targetILNS1_3genE2ELNS1_11target_archE906ELNS1_3gpuE6ELNS1_3repE0EEENS1_30default_config_static_selectorELNS0_4arch9wavefront6targetE1EEEvT1_ ; -- Begin function _ZN7rocprim17ROCPRIM_400000_NS6detail17trampoline_kernelINS0_14default_configENS1_33run_length_encode_config_selectorIhjNS0_4plusIjEEEEZZNS1_33reduce_by_key_impl_wrapped_configILNS1_25lookback_scan_determinismE0ES3_S7_PKhNS0_17constant_iteratorIjlEEPhPlSF_S6_NS0_8equal_toIhEEEE10hipError_tPvRmT2_T3_mT4_T5_T6_T7_T8_P12ihipStream_tbENKUlT_T0_E_clISt17integral_constantIbLb0EESY_IbLb1EEEEDaSU_SV_EUlSU_E_NS1_11comp_targetILNS1_3genE2ELNS1_11target_archE906ELNS1_3gpuE6ELNS1_3repE0EEENS1_30default_config_static_selectorELNS0_4arch9wavefront6targetE1EEEvT1_
	.globl	_ZN7rocprim17ROCPRIM_400000_NS6detail17trampoline_kernelINS0_14default_configENS1_33run_length_encode_config_selectorIhjNS0_4plusIjEEEEZZNS1_33reduce_by_key_impl_wrapped_configILNS1_25lookback_scan_determinismE0ES3_S7_PKhNS0_17constant_iteratorIjlEEPhPlSF_S6_NS0_8equal_toIhEEEE10hipError_tPvRmT2_T3_mT4_T5_T6_T7_T8_P12ihipStream_tbENKUlT_T0_E_clISt17integral_constantIbLb0EESY_IbLb1EEEEDaSU_SV_EUlSU_E_NS1_11comp_targetILNS1_3genE2ELNS1_11target_archE906ELNS1_3gpuE6ELNS1_3repE0EEENS1_30default_config_static_selectorELNS0_4arch9wavefront6targetE1EEEvT1_
	.p2align	8
	.type	_ZN7rocprim17ROCPRIM_400000_NS6detail17trampoline_kernelINS0_14default_configENS1_33run_length_encode_config_selectorIhjNS0_4plusIjEEEEZZNS1_33reduce_by_key_impl_wrapped_configILNS1_25lookback_scan_determinismE0ES3_S7_PKhNS0_17constant_iteratorIjlEEPhPlSF_S6_NS0_8equal_toIhEEEE10hipError_tPvRmT2_T3_mT4_T5_T6_T7_T8_P12ihipStream_tbENKUlT_T0_E_clISt17integral_constantIbLb0EESY_IbLb1EEEEDaSU_SV_EUlSU_E_NS1_11comp_targetILNS1_3genE2ELNS1_11target_archE906ELNS1_3gpuE6ELNS1_3repE0EEENS1_30default_config_static_selectorELNS0_4arch9wavefront6targetE1EEEvT1_,@function
_ZN7rocprim17ROCPRIM_400000_NS6detail17trampoline_kernelINS0_14default_configENS1_33run_length_encode_config_selectorIhjNS0_4plusIjEEEEZZNS1_33reduce_by_key_impl_wrapped_configILNS1_25lookback_scan_determinismE0ES3_S7_PKhNS0_17constant_iteratorIjlEEPhPlSF_S6_NS0_8equal_toIhEEEE10hipError_tPvRmT2_T3_mT4_T5_T6_T7_T8_P12ihipStream_tbENKUlT_T0_E_clISt17integral_constantIbLb0EESY_IbLb1EEEEDaSU_SV_EUlSU_E_NS1_11comp_targetILNS1_3genE2ELNS1_11target_archE906ELNS1_3gpuE6ELNS1_3repE0EEENS1_30default_config_static_selectorELNS0_4arch9wavefront6targetE1EEEvT1_: ; @_ZN7rocprim17ROCPRIM_400000_NS6detail17trampoline_kernelINS0_14default_configENS1_33run_length_encode_config_selectorIhjNS0_4plusIjEEEEZZNS1_33reduce_by_key_impl_wrapped_configILNS1_25lookback_scan_determinismE0ES3_S7_PKhNS0_17constant_iteratorIjlEEPhPlSF_S6_NS0_8equal_toIhEEEE10hipError_tPvRmT2_T3_mT4_T5_T6_T7_T8_P12ihipStream_tbENKUlT_T0_E_clISt17integral_constantIbLb0EESY_IbLb1EEEEDaSU_SV_EUlSU_E_NS1_11comp_targetILNS1_3genE2ELNS1_11target_archE906ELNS1_3gpuE6ELNS1_3repE0EEENS1_30default_config_static_selectorELNS0_4arch9wavefront6targetE1EEEvT1_
; %bb.0:
	.section	.rodata,"a",@progbits
	.p2align	6, 0x0
	.amdhsa_kernel _ZN7rocprim17ROCPRIM_400000_NS6detail17trampoline_kernelINS0_14default_configENS1_33run_length_encode_config_selectorIhjNS0_4plusIjEEEEZZNS1_33reduce_by_key_impl_wrapped_configILNS1_25lookback_scan_determinismE0ES3_S7_PKhNS0_17constant_iteratorIjlEEPhPlSF_S6_NS0_8equal_toIhEEEE10hipError_tPvRmT2_T3_mT4_T5_T6_T7_T8_P12ihipStream_tbENKUlT_T0_E_clISt17integral_constantIbLb0EESY_IbLb1EEEEDaSU_SV_EUlSU_E_NS1_11comp_targetILNS1_3genE2ELNS1_11target_archE906ELNS1_3gpuE6ELNS1_3repE0EEENS1_30default_config_static_selectorELNS0_4arch9wavefront6targetE1EEEvT1_
		.amdhsa_group_segment_fixed_size 0
		.amdhsa_private_segment_fixed_size 0
		.amdhsa_kernarg_size 128
		.amdhsa_user_sgpr_count 2
		.amdhsa_user_sgpr_dispatch_ptr 0
		.amdhsa_user_sgpr_queue_ptr 0
		.amdhsa_user_sgpr_kernarg_segment_ptr 1
		.amdhsa_user_sgpr_dispatch_id 0
		.amdhsa_user_sgpr_kernarg_preload_length 0
		.amdhsa_user_sgpr_kernarg_preload_offset 0
		.amdhsa_user_sgpr_private_segment_size 0
		.amdhsa_uses_dynamic_stack 0
		.amdhsa_enable_private_segment 0
		.amdhsa_system_sgpr_workgroup_id_x 1
		.amdhsa_system_sgpr_workgroup_id_y 0
		.amdhsa_system_sgpr_workgroup_id_z 0
		.amdhsa_system_sgpr_workgroup_info 0
		.amdhsa_system_vgpr_workitem_id 0
		.amdhsa_next_free_vgpr 1
		.amdhsa_next_free_sgpr 0
		.amdhsa_accum_offset 4
		.amdhsa_reserve_vcc 0
		.amdhsa_float_round_mode_32 0
		.amdhsa_float_round_mode_16_64 0
		.amdhsa_float_denorm_mode_32 3
		.amdhsa_float_denorm_mode_16_64 3
		.amdhsa_dx10_clamp 1
		.amdhsa_ieee_mode 1
		.amdhsa_fp16_overflow 0
		.amdhsa_tg_split 0
		.amdhsa_exception_fp_ieee_invalid_op 0
		.amdhsa_exception_fp_denorm_src 0
		.amdhsa_exception_fp_ieee_div_zero 0
		.amdhsa_exception_fp_ieee_overflow 0
		.amdhsa_exception_fp_ieee_underflow 0
		.amdhsa_exception_fp_ieee_inexact 0
		.amdhsa_exception_int_div_zero 0
	.end_amdhsa_kernel
	.section	.text._ZN7rocprim17ROCPRIM_400000_NS6detail17trampoline_kernelINS0_14default_configENS1_33run_length_encode_config_selectorIhjNS0_4plusIjEEEEZZNS1_33reduce_by_key_impl_wrapped_configILNS1_25lookback_scan_determinismE0ES3_S7_PKhNS0_17constant_iteratorIjlEEPhPlSF_S6_NS0_8equal_toIhEEEE10hipError_tPvRmT2_T3_mT4_T5_T6_T7_T8_P12ihipStream_tbENKUlT_T0_E_clISt17integral_constantIbLb0EESY_IbLb1EEEEDaSU_SV_EUlSU_E_NS1_11comp_targetILNS1_3genE2ELNS1_11target_archE906ELNS1_3gpuE6ELNS1_3repE0EEENS1_30default_config_static_selectorELNS0_4arch9wavefront6targetE1EEEvT1_,"axG",@progbits,_ZN7rocprim17ROCPRIM_400000_NS6detail17trampoline_kernelINS0_14default_configENS1_33run_length_encode_config_selectorIhjNS0_4plusIjEEEEZZNS1_33reduce_by_key_impl_wrapped_configILNS1_25lookback_scan_determinismE0ES3_S7_PKhNS0_17constant_iteratorIjlEEPhPlSF_S6_NS0_8equal_toIhEEEE10hipError_tPvRmT2_T3_mT4_T5_T6_T7_T8_P12ihipStream_tbENKUlT_T0_E_clISt17integral_constantIbLb0EESY_IbLb1EEEEDaSU_SV_EUlSU_E_NS1_11comp_targetILNS1_3genE2ELNS1_11target_archE906ELNS1_3gpuE6ELNS1_3repE0EEENS1_30default_config_static_selectorELNS0_4arch9wavefront6targetE1EEEvT1_,comdat
.Lfunc_end197:
	.size	_ZN7rocprim17ROCPRIM_400000_NS6detail17trampoline_kernelINS0_14default_configENS1_33run_length_encode_config_selectorIhjNS0_4plusIjEEEEZZNS1_33reduce_by_key_impl_wrapped_configILNS1_25lookback_scan_determinismE0ES3_S7_PKhNS0_17constant_iteratorIjlEEPhPlSF_S6_NS0_8equal_toIhEEEE10hipError_tPvRmT2_T3_mT4_T5_T6_T7_T8_P12ihipStream_tbENKUlT_T0_E_clISt17integral_constantIbLb0EESY_IbLb1EEEEDaSU_SV_EUlSU_E_NS1_11comp_targetILNS1_3genE2ELNS1_11target_archE906ELNS1_3gpuE6ELNS1_3repE0EEENS1_30default_config_static_selectorELNS0_4arch9wavefront6targetE1EEEvT1_, .Lfunc_end197-_ZN7rocprim17ROCPRIM_400000_NS6detail17trampoline_kernelINS0_14default_configENS1_33run_length_encode_config_selectorIhjNS0_4plusIjEEEEZZNS1_33reduce_by_key_impl_wrapped_configILNS1_25lookback_scan_determinismE0ES3_S7_PKhNS0_17constant_iteratorIjlEEPhPlSF_S6_NS0_8equal_toIhEEEE10hipError_tPvRmT2_T3_mT4_T5_T6_T7_T8_P12ihipStream_tbENKUlT_T0_E_clISt17integral_constantIbLb0EESY_IbLb1EEEEDaSU_SV_EUlSU_E_NS1_11comp_targetILNS1_3genE2ELNS1_11target_archE906ELNS1_3gpuE6ELNS1_3repE0EEENS1_30default_config_static_selectorELNS0_4arch9wavefront6targetE1EEEvT1_
                                        ; -- End function
	.section	.AMDGPU.csdata,"",@progbits
; Kernel info:
; codeLenInByte = 0
; NumSgprs: 6
; NumVgprs: 0
; NumAgprs: 0
; TotalNumVgprs: 0
; ScratchSize: 0
; MemoryBound: 0
; FloatMode: 240
; IeeeMode: 1
; LDSByteSize: 0 bytes/workgroup (compile time only)
; SGPRBlocks: 0
; VGPRBlocks: 0
; NumSGPRsForWavesPerEU: 6
; NumVGPRsForWavesPerEU: 1
; AccumOffset: 4
; Occupancy: 8
; WaveLimiterHint : 0
; COMPUTE_PGM_RSRC2:SCRATCH_EN: 0
; COMPUTE_PGM_RSRC2:USER_SGPR: 2
; COMPUTE_PGM_RSRC2:TRAP_HANDLER: 0
; COMPUTE_PGM_RSRC2:TGID_X_EN: 1
; COMPUTE_PGM_RSRC2:TGID_Y_EN: 0
; COMPUTE_PGM_RSRC2:TGID_Z_EN: 0
; COMPUTE_PGM_RSRC2:TIDIG_COMP_CNT: 0
; COMPUTE_PGM_RSRC3_GFX90A:ACCUM_OFFSET: 0
; COMPUTE_PGM_RSRC3_GFX90A:TG_SPLIT: 0
	.section	.text._ZN7rocprim17ROCPRIM_400000_NS6detail17trampoline_kernelINS0_14default_configENS1_33run_length_encode_config_selectorIhjNS0_4plusIjEEEEZZNS1_33reduce_by_key_impl_wrapped_configILNS1_25lookback_scan_determinismE0ES3_S7_PKhNS0_17constant_iteratorIjlEEPhPlSF_S6_NS0_8equal_toIhEEEE10hipError_tPvRmT2_T3_mT4_T5_T6_T7_T8_P12ihipStream_tbENKUlT_T0_E_clISt17integral_constantIbLb0EESY_IbLb1EEEEDaSU_SV_EUlSU_E_NS1_11comp_targetILNS1_3genE10ELNS1_11target_archE1201ELNS1_3gpuE5ELNS1_3repE0EEENS1_30default_config_static_selectorELNS0_4arch9wavefront6targetE1EEEvT1_,"axG",@progbits,_ZN7rocprim17ROCPRIM_400000_NS6detail17trampoline_kernelINS0_14default_configENS1_33run_length_encode_config_selectorIhjNS0_4plusIjEEEEZZNS1_33reduce_by_key_impl_wrapped_configILNS1_25lookback_scan_determinismE0ES3_S7_PKhNS0_17constant_iteratorIjlEEPhPlSF_S6_NS0_8equal_toIhEEEE10hipError_tPvRmT2_T3_mT4_T5_T6_T7_T8_P12ihipStream_tbENKUlT_T0_E_clISt17integral_constantIbLb0EESY_IbLb1EEEEDaSU_SV_EUlSU_E_NS1_11comp_targetILNS1_3genE10ELNS1_11target_archE1201ELNS1_3gpuE5ELNS1_3repE0EEENS1_30default_config_static_selectorELNS0_4arch9wavefront6targetE1EEEvT1_,comdat
	.protected	_ZN7rocprim17ROCPRIM_400000_NS6detail17trampoline_kernelINS0_14default_configENS1_33run_length_encode_config_selectorIhjNS0_4plusIjEEEEZZNS1_33reduce_by_key_impl_wrapped_configILNS1_25lookback_scan_determinismE0ES3_S7_PKhNS0_17constant_iteratorIjlEEPhPlSF_S6_NS0_8equal_toIhEEEE10hipError_tPvRmT2_T3_mT4_T5_T6_T7_T8_P12ihipStream_tbENKUlT_T0_E_clISt17integral_constantIbLb0EESY_IbLb1EEEEDaSU_SV_EUlSU_E_NS1_11comp_targetILNS1_3genE10ELNS1_11target_archE1201ELNS1_3gpuE5ELNS1_3repE0EEENS1_30default_config_static_selectorELNS0_4arch9wavefront6targetE1EEEvT1_ ; -- Begin function _ZN7rocprim17ROCPRIM_400000_NS6detail17trampoline_kernelINS0_14default_configENS1_33run_length_encode_config_selectorIhjNS0_4plusIjEEEEZZNS1_33reduce_by_key_impl_wrapped_configILNS1_25lookback_scan_determinismE0ES3_S7_PKhNS0_17constant_iteratorIjlEEPhPlSF_S6_NS0_8equal_toIhEEEE10hipError_tPvRmT2_T3_mT4_T5_T6_T7_T8_P12ihipStream_tbENKUlT_T0_E_clISt17integral_constantIbLb0EESY_IbLb1EEEEDaSU_SV_EUlSU_E_NS1_11comp_targetILNS1_3genE10ELNS1_11target_archE1201ELNS1_3gpuE5ELNS1_3repE0EEENS1_30default_config_static_selectorELNS0_4arch9wavefront6targetE1EEEvT1_
	.globl	_ZN7rocprim17ROCPRIM_400000_NS6detail17trampoline_kernelINS0_14default_configENS1_33run_length_encode_config_selectorIhjNS0_4plusIjEEEEZZNS1_33reduce_by_key_impl_wrapped_configILNS1_25lookback_scan_determinismE0ES3_S7_PKhNS0_17constant_iteratorIjlEEPhPlSF_S6_NS0_8equal_toIhEEEE10hipError_tPvRmT2_T3_mT4_T5_T6_T7_T8_P12ihipStream_tbENKUlT_T0_E_clISt17integral_constantIbLb0EESY_IbLb1EEEEDaSU_SV_EUlSU_E_NS1_11comp_targetILNS1_3genE10ELNS1_11target_archE1201ELNS1_3gpuE5ELNS1_3repE0EEENS1_30default_config_static_selectorELNS0_4arch9wavefront6targetE1EEEvT1_
	.p2align	8
	.type	_ZN7rocprim17ROCPRIM_400000_NS6detail17trampoline_kernelINS0_14default_configENS1_33run_length_encode_config_selectorIhjNS0_4plusIjEEEEZZNS1_33reduce_by_key_impl_wrapped_configILNS1_25lookback_scan_determinismE0ES3_S7_PKhNS0_17constant_iteratorIjlEEPhPlSF_S6_NS0_8equal_toIhEEEE10hipError_tPvRmT2_T3_mT4_T5_T6_T7_T8_P12ihipStream_tbENKUlT_T0_E_clISt17integral_constantIbLb0EESY_IbLb1EEEEDaSU_SV_EUlSU_E_NS1_11comp_targetILNS1_3genE10ELNS1_11target_archE1201ELNS1_3gpuE5ELNS1_3repE0EEENS1_30default_config_static_selectorELNS0_4arch9wavefront6targetE1EEEvT1_,@function
_ZN7rocprim17ROCPRIM_400000_NS6detail17trampoline_kernelINS0_14default_configENS1_33run_length_encode_config_selectorIhjNS0_4plusIjEEEEZZNS1_33reduce_by_key_impl_wrapped_configILNS1_25lookback_scan_determinismE0ES3_S7_PKhNS0_17constant_iteratorIjlEEPhPlSF_S6_NS0_8equal_toIhEEEE10hipError_tPvRmT2_T3_mT4_T5_T6_T7_T8_P12ihipStream_tbENKUlT_T0_E_clISt17integral_constantIbLb0EESY_IbLb1EEEEDaSU_SV_EUlSU_E_NS1_11comp_targetILNS1_3genE10ELNS1_11target_archE1201ELNS1_3gpuE5ELNS1_3repE0EEENS1_30default_config_static_selectorELNS0_4arch9wavefront6targetE1EEEvT1_: ; @_ZN7rocprim17ROCPRIM_400000_NS6detail17trampoline_kernelINS0_14default_configENS1_33run_length_encode_config_selectorIhjNS0_4plusIjEEEEZZNS1_33reduce_by_key_impl_wrapped_configILNS1_25lookback_scan_determinismE0ES3_S7_PKhNS0_17constant_iteratorIjlEEPhPlSF_S6_NS0_8equal_toIhEEEE10hipError_tPvRmT2_T3_mT4_T5_T6_T7_T8_P12ihipStream_tbENKUlT_T0_E_clISt17integral_constantIbLb0EESY_IbLb1EEEEDaSU_SV_EUlSU_E_NS1_11comp_targetILNS1_3genE10ELNS1_11target_archE1201ELNS1_3gpuE5ELNS1_3repE0EEENS1_30default_config_static_selectorELNS0_4arch9wavefront6targetE1EEEvT1_
; %bb.0:
	.section	.rodata,"a",@progbits
	.p2align	6, 0x0
	.amdhsa_kernel _ZN7rocprim17ROCPRIM_400000_NS6detail17trampoline_kernelINS0_14default_configENS1_33run_length_encode_config_selectorIhjNS0_4plusIjEEEEZZNS1_33reduce_by_key_impl_wrapped_configILNS1_25lookback_scan_determinismE0ES3_S7_PKhNS0_17constant_iteratorIjlEEPhPlSF_S6_NS0_8equal_toIhEEEE10hipError_tPvRmT2_T3_mT4_T5_T6_T7_T8_P12ihipStream_tbENKUlT_T0_E_clISt17integral_constantIbLb0EESY_IbLb1EEEEDaSU_SV_EUlSU_E_NS1_11comp_targetILNS1_3genE10ELNS1_11target_archE1201ELNS1_3gpuE5ELNS1_3repE0EEENS1_30default_config_static_selectorELNS0_4arch9wavefront6targetE1EEEvT1_
		.amdhsa_group_segment_fixed_size 0
		.amdhsa_private_segment_fixed_size 0
		.amdhsa_kernarg_size 128
		.amdhsa_user_sgpr_count 2
		.amdhsa_user_sgpr_dispatch_ptr 0
		.amdhsa_user_sgpr_queue_ptr 0
		.amdhsa_user_sgpr_kernarg_segment_ptr 1
		.amdhsa_user_sgpr_dispatch_id 0
		.amdhsa_user_sgpr_kernarg_preload_length 0
		.amdhsa_user_sgpr_kernarg_preload_offset 0
		.amdhsa_user_sgpr_private_segment_size 0
		.amdhsa_uses_dynamic_stack 0
		.amdhsa_enable_private_segment 0
		.amdhsa_system_sgpr_workgroup_id_x 1
		.amdhsa_system_sgpr_workgroup_id_y 0
		.amdhsa_system_sgpr_workgroup_id_z 0
		.amdhsa_system_sgpr_workgroup_info 0
		.amdhsa_system_vgpr_workitem_id 0
		.amdhsa_next_free_vgpr 1
		.amdhsa_next_free_sgpr 0
		.amdhsa_accum_offset 4
		.amdhsa_reserve_vcc 0
		.amdhsa_float_round_mode_32 0
		.amdhsa_float_round_mode_16_64 0
		.amdhsa_float_denorm_mode_32 3
		.amdhsa_float_denorm_mode_16_64 3
		.amdhsa_dx10_clamp 1
		.amdhsa_ieee_mode 1
		.amdhsa_fp16_overflow 0
		.amdhsa_tg_split 0
		.amdhsa_exception_fp_ieee_invalid_op 0
		.amdhsa_exception_fp_denorm_src 0
		.amdhsa_exception_fp_ieee_div_zero 0
		.amdhsa_exception_fp_ieee_overflow 0
		.amdhsa_exception_fp_ieee_underflow 0
		.amdhsa_exception_fp_ieee_inexact 0
		.amdhsa_exception_int_div_zero 0
	.end_amdhsa_kernel
	.section	.text._ZN7rocprim17ROCPRIM_400000_NS6detail17trampoline_kernelINS0_14default_configENS1_33run_length_encode_config_selectorIhjNS0_4plusIjEEEEZZNS1_33reduce_by_key_impl_wrapped_configILNS1_25lookback_scan_determinismE0ES3_S7_PKhNS0_17constant_iteratorIjlEEPhPlSF_S6_NS0_8equal_toIhEEEE10hipError_tPvRmT2_T3_mT4_T5_T6_T7_T8_P12ihipStream_tbENKUlT_T0_E_clISt17integral_constantIbLb0EESY_IbLb1EEEEDaSU_SV_EUlSU_E_NS1_11comp_targetILNS1_3genE10ELNS1_11target_archE1201ELNS1_3gpuE5ELNS1_3repE0EEENS1_30default_config_static_selectorELNS0_4arch9wavefront6targetE1EEEvT1_,"axG",@progbits,_ZN7rocprim17ROCPRIM_400000_NS6detail17trampoline_kernelINS0_14default_configENS1_33run_length_encode_config_selectorIhjNS0_4plusIjEEEEZZNS1_33reduce_by_key_impl_wrapped_configILNS1_25lookback_scan_determinismE0ES3_S7_PKhNS0_17constant_iteratorIjlEEPhPlSF_S6_NS0_8equal_toIhEEEE10hipError_tPvRmT2_T3_mT4_T5_T6_T7_T8_P12ihipStream_tbENKUlT_T0_E_clISt17integral_constantIbLb0EESY_IbLb1EEEEDaSU_SV_EUlSU_E_NS1_11comp_targetILNS1_3genE10ELNS1_11target_archE1201ELNS1_3gpuE5ELNS1_3repE0EEENS1_30default_config_static_selectorELNS0_4arch9wavefront6targetE1EEEvT1_,comdat
.Lfunc_end198:
	.size	_ZN7rocprim17ROCPRIM_400000_NS6detail17trampoline_kernelINS0_14default_configENS1_33run_length_encode_config_selectorIhjNS0_4plusIjEEEEZZNS1_33reduce_by_key_impl_wrapped_configILNS1_25lookback_scan_determinismE0ES3_S7_PKhNS0_17constant_iteratorIjlEEPhPlSF_S6_NS0_8equal_toIhEEEE10hipError_tPvRmT2_T3_mT4_T5_T6_T7_T8_P12ihipStream_tbENKUlT_T0_E_clISt17integral_constantIbLb0EESY_IbLb1EEEEDaSU_SV_EUlSU_E_NS1_11comp_targetILNS1_3genE10ELNS1_11target_archE1201ELNS1_3gpuE5ELNS1_3repE0EEENS1_30default_config_static_selectorELNS0_4arch9wavefront6targetE1EEEvT1_, .Lfunc_end198-_ZN7rocprim17ROCPRIM_400000_NS6detail17trampoline_kernelINS0_14default_configENS1_33run_length_encode_config_selectorIhjNS0_4plusIjEEEEZZNS1_33reduce_by_key_impl_wrapped_configILNS1_25lookback_scan_determinismE0ES3_S7_PKhNS0_17constant_iteratorIjlEEPhPlSF_S6_NS0_8equal_toIhEEEE10hipError_tPvRmT2_T3_mT4_T5_T6_T7_T8_P12ihipStream_tbENKUlT_T0_E_clISt17integral_constantIbLb0EESY_IbLb1EEEEDaSU_SV_EUlSU_E_NS1_11comp_targetILNS1_3genE10ELNS1_11target_archE1201ELNS1_3gpuE5ELNS1_3repE0EEENS1_30default_config_static_selectorELNS0_4arch9wavefront6targetE1EEEvT1_
                                        ; -- End function
	.section	.AMDGPU.csdata,"",@progbits
; Kernel info:
; codeLenInByte = 0
; NumSgprs: 6
; NumVgprs: 0
; NumAgprs: 0
; TotalNumVgprs: 0
; ScratchSize: 0
; MemoryBound: 0
; FloatMode: 240
; IeeeMode: 1
; LDSByteSize: 0 bytes/workgroup (compile time only)
; SGPRBlocks: 0
; VGPRBlocks: 0
; NumSGPRsForWavesPerEU: 6
; NumVGPRsForWavesPerEU: 1
; AccumOffset: 4
; Occupancy: 8
; WaveLimiterHint : 0
; COMPUTE_PGM_RSRC2:SCRATCH_EN: 0
; COMPUTE_PGM_RSRC2:USER_SGPR: 2
; COMPUTE_PGM_RSRC2:TRAP_HANDLER: 0
; COMPUTE_PGM_RSRC2:TGID_X_EN: 1
; COMPUTE_PGM_RSRC2:TGID_Y_EN: 0
; COMPUTE_PGM_RSRC2:TGID_Z_EN: 0
; COMPUTE_PGM_RSRC2:TIDIG_COMP_CNT: 0
; COMPUTE_PGM_RSRC3_GFX90A:ACCUM_OFFSET: 0
; COMPUTE_PGM_RSRC3_GFX90A:TG_SPLIT: 0
	.section	.text._ZN7rocprim17ROCPRIM_400000_NS6detail17trampoline_kernelINS0_14default_configENS1_33run_length_encode_config_selectorIhjNS0_4plusIjEEEEZZNS1_33reduce_by_key_impl_wrapped_configILNS1_25lookback_scan_determinismE0ES3_S7_PKhNS0_17constant_iteratorIjlEEPhPlSF_S6_NS0_8equal_toIhEEEE10hipError_tPvRmT2_T3_mT4_T5_T6_T7_T8_P12ihipStream_tbENKUlT_T0_E_clISt17integral_constantIbLb0EESY_IbLb1EEEEDaSU_SV_EUlSU_E_NS1_11comp_targetILNS1_3genE10ELNS1_11target_archE1200ELNS1_3gpuE4ELNS1_3repE0EEENS1_30default_config_static_selectorELNS0_4arch9wavefront6targetE1EEEvT1_,"axG",@progbits,_ZN7rocprim17ROCPRIM_400000_NS6detail17trampoline_kernelINS0_14default_configENS1_33run_length_encode_config_selectorIhjNS0_4plusIjEEEEZZNS1_33reduce_by_key_impl_wrapped_configILNS1_25lookback_scan_determinismE0ES3_S7_PKhNS0_17constant_iteratorIjlEEPhPlSF_S6_NS0_8equal_toIhEEEE10hipError_tPvRmT2_T3_mT4_T5_T6_T7_T8_P12ihipStream_tbENKUlT_T0_E_clISt17integral_constantIbLb0EESY_IbLb1EEEEDaSU_SV_EUlSU_E_NS1_11comp_targetILNS1_3genE10ELNS1_11target_archE1200ELNS1_3gpuE4ELNS1_3repE0EEENS1_30default_config_static_selectorELNS0_4arch9wavefront6targetE1EEEvT1_,comdat
	.protected	_ZN7rocprim17ROCPRIM_400000_NS6detail17trampoline_kernelINS0_14default_configENS1_33run_length_encode_config_selectorIhjNS0_4plusIjEEEEZZNS1_33reduce_by_key_impl_wrapped_configILNS1_25lookback_scan_determinismE0ES3_S7_PKhNS0_17constant_iteratorIjlEEPhPlSF_S6_NS0_8equal_toIhEEEE10hipError_tPvRmT2_T3_mT4_T5_T6_T7_T8_P12ihipStream_tbENKUlT_T0_E_clISt17integral_constantIbLb0EESY_IbLb1EEEEDaSU_SV_EUlSU_E_NS1_11comp_targetILNS1_3genE10ELNS1_11target_archE1200ELNS1_3gpuE4ELNS1_3repE0EEENS1_30default_config_static_selectorELNS0_4arch9wavefront6targetE1EEEvT1_ ; -- Begin function _ZN7rocprim17ROCPRIM_400000_NS6detail17trampoline_kernelINS0_14default_configENS1_33run_length_encode_config_selectorIhjNS0_4plusIjEEEEZZNS1_33reduce_by_key_impl_wrapped_configILNS1_25lookback_scan_determinismE0ES3_S7_PKhNS0_17constant_iteratorIjlEEPhPlSF_S6_NS0_8equal_toIhEEEE10hipError_tPvRmT2_T3_mT4_T5_T6_T7_T8_P12ihipStream_tbENKUlT_T0_E_clISt17integral_constantIbLb0EESY_IbLb1EEEEDaSU_SV_EUlSU_E_NS1_11comp_targetILNS1_3genE10ELNS1_11target_archE1200ELNS1_3gpuE4ELNS1_3repE0EEENS1_30default_config_static_selectorELNS0_4arch9wavefront6targetE1EEEvT1_
	.globl	_ZN7rocprim17ROCPRIM_400000_NS6detail17trampoline_kernelINS0_14default_configENS1_33run_length_encode_config_selectorIhjNS0_4plusIjEEEEZZNS1_33reduce_by_key_impl_wrapped_configILNS1_25lookback_scan_determinismE0ES3_S7_PKhNS0_17constant_iteratorIjlEEPhPlSF_S6_NS0_8equal_toIhEEEE10hipError_tPvRmT2_T3_mT4_T5_T6_T7_T8_P12ihipStream_tbENKUlT_T0_E_clISt17integral_constantIbLb0EESY_IbLb1EEEEDaSU_SV_EUlSU_E_NS1_11comp_targetILNS1_3genE10ELNS1_11target_archE1200ELNS1_3gpuE4ELNS1_3repE0EEENS1_30default_config_static_selectorELNS0_4arch9wavefront6targetE1EEEvT1_
	.p2align	8
	.type	_ZN7rocprim17ROCPRIM_400000_NS6detail17trampoline_kernelINS0_14default_configENS1_33run_length_encode_config_selectorIhjNS0_4plusIjEEEEZZNS1_33reduce_by_key_impl_wrapped_configILNS1_25lookback_scan_determinismE0ES3_S7_PKhNS0_17constant_iteratorIjlEEPhPlSF_S6_NS0_8equal_toIhEEEE10hipError_tPvRmT2_T3_mT4_T5_T6_T7_T8_P12ihipStream_tbENKUlT_T0_E_clISt17integral_constantIbLb0EESY_IbLb1EEEEDaSU_SV_EUlSU_E_NS1_11comp_targetILNS1_3genE10ELNS1_11target_archE1200ELNS1_3gpuE4ELNS1_3repE0EEENS1_30default_config_static_selectorELNS0_4arch9wavefront6targetE1EEEvT1_,@function
_ZN7rocprim17ROCPRIM_400000_NS6detail17trampoline_kernelINS0_14default_configENS1_33run_length_encode_config_selectorIhjNS0_4plusIjEEEEZZNS1_33reduce_by_key_impl_wrapped_configILNS1_25lookback_scan_determinismE0ES3_S7_PKhNS0_17constant_iteratorIjlEEPhPlSF_S6_NS0_8equal_toIhEEEE10hipError_tPvRmT2_T3_mT4_T5_T6_T7_T8_P12ihipStream_tbENKUlT_T0_E_clISt17integral_constantIbLb0EESY_IbLb1EEEEDaSU_SV_EUlSU_E_NS1_11comp_targetILNS1_3genE10ELNS1_11target_archE1200ELNS1_3gpuE4ELNS1_3repE0EEENS1_30default_config_static_selectorELNS0_4arch9wavefront6targetE1EEEvT1_: ; @_ZN7rocprim17ROCPRIM_400000_NS6detail17trampoline_kernelINS0_14default_configENS1_33run_length_encode_config_selectorIhjNS0_4plusIjEEEEZZNS1_33reduce_by_key_impl_wrapped_configILNS1_25lookback_scan_determinismE0ES3_S7_PKhNS0_17constant_iteratorIjlEEPhPlSF_S6_NS0_8equal_toIhEEEE10hipError_tPvRmT2_T3_mT4_T5_T6_T7_T8_P12ihipStream_tbENKUlT_T0_E_clISt17integral_constantIbLb0EESY_IbLb1EEEEDaSU_SV_EUlSU_E_NS1_11comp_targetILNS1_3genE10ELNS1_11target_archE1200ELNS1_3gpuE4ELNS1_3repE0EEENS1_30default_config_static_selectorELNS0_4arch9wavefront6targetE1EEEvT1_
; %bb.0:
	.section	.rodata,"a",@progbits
	.p2align	6, 0x0
	.amdhsa_kernel _ZN7rocprim17ROCPRIM_400000_NS6detail17trampoline_kernelINS0_14default_configENS1_33run_length_encode_config_selectorIhjNS0_4plusIjEEEEZZNS1_33reduce_by_key_impl_wrapped_configILNS1_25lookback_scan_determinismE0ES3_S7_PKhNS0_17constant_iteratorIjlEEPhPlSF_S6_NS0_8equal_toIhEEEE10hipError_tPvRmT2_T3_mT4_T5_T6_T7_T8_P12ihipStream_tbENKUlT_T0_E_clISt17integral_constantIbLb0EESY_IbLb1EEEEDaSU_SV_EUlSU_E_NS1_11comp_targetILNS1_3genE10ELNS1_11target_archE1200ELNS1_3gpuE4ELNS1_3repE0EEENS1_30default_config_static_selectorELNS0_4arch9wavefront6targetE1EEEvT1_
		.amdhsa_group_segment_fixed_size 0
		.amdhsa_private_segment_fixed_size 0
		.amdhsa_kernarg_size 128
		.amdhsa_user_sgpr_count 2
		.amdhsa_user_sgpr_dispatch_ptr 0
		.amdhsa_user_sgpr_queue_ptr 0
		.amdhsa_user_sgpr_kernarg_segment_ptr 1
		.amdhsa_user_sgpr_dispatch_id 0
		.amdhsa_user_sgpr_kernarg_preload_length 0
		.amdhsa_user_sgpr_kernarg_preload_offset 0
		.amdhsa_user_sgpr_private_segment_size 0
		.amdhsa_uses_dynamic_stack 0
		.amdhsa_enable_private_segment 0
		.amdhsa_system_sgpr_workgroup_id_x 1
		.amdhsa_system_sgpr_workgroup_id_y 0
		.amdhsa_system_sgpr_workgroup_id_z 0
		.amdhsa_system_sgpr_workgroup_info 0
		.amdhsa_system_vgpr_workitem_id 0
		.amdhsa_next_free_vgpr 1
		.amdhsa_next_free_sgpr 0
		.amdhsa_accum_offset 4
		.amdhsa_reserve_vcc 0
		.amdhsa_float_round_mode_32 0
		.amdhsa_float_round_mode_16_64 0
		.amdhsa_float_denorm_mode_32 3
		.amdhsa_float_denorm_mode_16_64 3
		.amdhsa_dx10_clamp 1
		.amdhsa_ieee_mode 1
		.amdhsa_fp16_overflow 0
		.amdhsa_tg_split 0
		.amdhsa_exception_fp_ieee_invalid_op 0
		.amdhsa_exception_fp_denorm_src 0
		.amdhsa_exception_fp_ieee_div_zero 0
		.amdhsa_exception_fp_ieee_overflow 0
		.amdhsa_exception_fp_ieee_underflow 0
		.amdhsa_exception_fp_ieee_inexact 0
		.amdhsa_exception_int_div_zero 0
	.end_amdhsa_kernel
	.section	.text._ZN7rocprim17ROCPRIM_400000_NS6detail17trampoline_kernelINS0_14default_configENS1_33run_length_encode_config_selectorIhjNS0_4plusIjEEEEZZNS1_33reduce_by_key_impl_wrapped_configILNS1_25lookback_scan_determinismE0ES3_S7_PKhNS0_17constant_iteratorIjlEEPhPlSF_S6_NS0_8equal_toIhEEEE10hipError_tPvRmT2_T3_mT4_T5_T6_T7_T8_P12ihipStream_tbENKUlT_T0_E_clISt17integral_constantIbLb0EESY_IbLb1EEEEDaSU_SV_EUlSU_E_NS1_11comp_targetILNS1_3genE10ELNS1_11target_archE1200ELNS1_3gpuE4ELNS1_3repE0EEENS1_30default_config_static_selectorELNS0_4arch9wavefront6targetE1EEEvT1_,"axG",@progbits,_ZN7rocprim17ROCPRIM_400000_NS6detail17trampoline_kernelINS0_14default_configENS1_33run_length_encode_config_selectorIhjNS0_4plusIjEEEEZZNS1_33reduce_by_key_impl_wrapped_configILNS1_25lookback_scan_determinismE0ES3_S7_PKhNS0_17constant_iteratorIjlEEPhPlSF_S6_NS0_8equal_toIhEEEE10hipError_tPvRmT2_T3_mT4_T5_T6_T7_T8_P12ihipStream_tbENKUlT_T0_E_clISt17integral_constantIbLb0EESY_IbLb1EEEEDaSU_SV_EUlSU_E_NS1_11comp_targetILNS1_3genE10ELNS1_11target_archE1200ELNS1_3gpuE4ELNS1_3repE0EEENS1_30default_config_static_selectorELNS0_4arch9wavefront6targetE1EEEvT1_,comdat
.Lfunc_end199:
	.size	_ZN7rocprim17ROCPRIM_400000_NS6detail17trampoline_kernelINS0_14default_configENS1_33run_length_encode_config_selectorIhjNS0_4plusIjEEEEZZNS1_33reduce_by_key_impl_wrapped_configILNS1_25lookback_scan_determinismE0ES3_S7_PKhNS0_17constant_iteratorIjlEEPhPlSF_S6_NS0_8equal_toIhEEEE10hipError_tPvRmT2_T3_mT4_T5_T6_T7_T8_P12ihipStream_tbENKUlT_T0_E_clISt17integral_constantIbLb0EESY_IbLb1EEEEDaSU_SV_EUlSU_E_NS1_11comp_targetILNS1_3genE10ELNS1_11target_archE1200ELNS1_3gpuE4ELNS1_3repE0EEENS1_30default_config_static_selectorELNS0_4arch9wavefront6targetE1EEEvT1_, .Lfunc_end199-_ZN7rocprim17ROCPRIM_400000_NS6detail17trampoline_kernelINS0_14default_configENS1_33run_length_encode_config_selectorIhjNS0_4plusIjEEEEZZNS1_33reduce_by_key_impl_wrapped_configILNS1_25lookback_scan_determinismE0ES3_S7_PKhNS0_17constant_iteratorIjlEEPhPlSF_S6_NS0_8equal_toIhEEEE10hipError_tPvRmT2_T3_mT4_T5_T6_T7_T8_P12ihipStream_tbENKUlT_T0_E_clISt17integral_constantIbLb0EESY_IbLb1EEEEDaSU_SV_EUlSU_E_NS1_11comp_targetILNS1_3genE10ELNS1_11target_archE1200ELNS1_3gpuE4ELNS1_3repE0EEENS1_30default_config_static_selectorELNS0_4arch9wavefront6targetE1EEEvT1_
                                        ; -- End function
	.section	.AMDGPU.csdata,"",@progbits
; Kernel info:
; codeLenInByte = 0
; NumSgprs: 6
; NumVgprs: 0
; NumAgprs: 0
; TotalNumVgprs: 0
; ScratchSize: 0
; MemoryBound: 0
; FloatMode: 240
; IeeeMode: 1
; LDSByteSize: 0 bytes/workgroup (compile time only)
; SGPRBlocks: 0
; VGPRBlocks: 0
; NumSGPRsForWavesPerEU: 6
; NumVGPRsForWavesPerEU: 1
; AccumOffset: 4
; Occupancy: 8
; WaveLimiterHint : 0
; COMPUTE_PGM_RSRC2:SCRATCH_EN: 0
; COMPUTE_PGM_RSRC2:USER_SGPR: 2
; COMPUTE_PGM_RSRC2:TRAP_HANDLER: 0
; COMPUTE_PGM_RSRC2:TGID_X_EN: 1
; COMPUTE_PGM_RSRC2:TGID_Y_EN: 0
; COMPUTE_PGM_RSRC2:TGID_Z_EN: 0
; COMPUTE_PGM_RSRC2:TIDIG_COMP_CNT: 0
; COMPUTE_PGM_RSRC3_GFX90A:ACCUM_OFFSET: 0
; COMPUTE_PGM_RSRC3_GFX90A:TG_SPLIT: 0
	.section	.text._ZN7rocprim17ROCPRIM_400000_NS6detail17trampoline_kernelINS0_14default_configENS1_33run_length_encode_config_selectorIhjNS0_4plusIjEEEEZZNS1_33reduce_by_key_impl_wrapped_configILNS1_25lookback_scan_determinismE0ES3_S7_PKhNS0_17constant_iteratorIjlEEPhPlSF_S6_NS0_8equal_toIhEEEE10hipError_tPvRmT2_T3_mT4_T5_T6_T7_T8_P12ihipStream_tbENKUlT_T0_E_clISt17integral_constantIbLb0EESY_IbLb1EEEEDaSU_SV_EUlSU_E_NS1_11comp_targetILNS1_3genE9ELNS1_11target_archE1100ELNS1_3gpuE3ELNS1_3repE0EEENS1_30default_config_static_selectorELNS0_4arch9wavefront6targetE1EEEvT1_,"axG",@progbits,_ZN7rocprim17ROCPRIM_400000_NS6detail17trampoline_kernelINS0_14default_configENS1_33run_length_encode_config_selectorIhjNS0_4plusIjEEEEZZNS1_33reduce_by_key_impl_wrapped_configILNS1_25lookback_scan_determinismE0ES3_S7_PKhNS0_17constant_iteratorIjlEEPhPlSF_S6_NS0_8equal_toIhEEEE10hipError_tPvRmT2_T3_mT4_T5_T6_T7_T8_P12ihipStream_tbENKUlT_T0_E_clISt17integral_constantIbLb0EESY_IbLb1EEEEDaSU_SV_EUlSU_E_NS1_11comp_targetILNS1_3genE9ELNS1_11target_archE1100ELNS1_3gpuE3ELNS1_3repE0EEENS1_30default_config_static_selectorELNS0_4arch9wavefront6targetE1EEEvT1_,comdat
	.protected	_ZN7rocprim17ROCPRIM_400000_NS6detail17trampoline_kernelINS0_14default_configENS1_33run_length_encode_config_selectorIhjNS0_4plusIjEEEEZZNS1_33reduce_by_key_impl_wrapped_configILNS1_25lookback_scan_determinismE0ES3_S7_PKhNS0_17constant_iteratorIjlEEPhPlSF_S6_NS0_8equal_toIhEEEE10hipError_tPvRmT2_T3_mT4_T5_T6_T7_T8_P12ihipStream_tbENKUlT_T0_E_clISt17integral_constantIbLb0EESY_IbLb1EEEEDaSU_SV_EUlSU_E_NS1_11comp_targetILNS1_3genE9ELNS1_11target_archE1100ELNS1_3gpuE3ELNS1_3repE0EEENS1_30default_config_static_selectorELNS0_4arch9wavefront6targetE1EEEvT1_ ; -- Begin function _ZN7rocprim17ROCPRIM_400000_NS6detail17trampoline_kernelINS0_14default_configENS1_33run_length_encode_config_selectorIhjNS0_4plusIjEEEEZZNS1_33reduce_by_key_impl_wrapped_configILNS1_25lookback_scan_determinismE0ES3_S7_PKhNS0_17constant_iteratorIjlEEPhPlSF_S6_NS0_8equal_toIhEEEE10hipError_tPvRmT2_T3_mT4_T5_T6_T7_T8_P12ihipStream_tbENKUlT_T0_E_clISt17integral_constantIbLb0EESY_IbLb1EEEEDaSU_SV_EUlSU_E_NS1_11comp_targetILNS1_3genE9ELNS1_11target_archE1100ELNS1_3gpuE3ELNS1_3repE0EEENS1_30default_config_static_selectorELNS0_4arch9wavefront6targetE1EEEvT1_
	.globl	_ZN7rocprim17ROCPRIM_400000_NS6detail17trampoline_kernelINS0_14default_configENS1_33run_length_encode_config_selectorIhjNS0_4plusIjEEEEZZNS1_33reduce_by_key_impl_wrapped_configILNS1_25lookback_scan_determinismE0ES3_S7_PKhNS0_17constant_iteratorIjlEEPhPlSF_S6_NS0_8equal_toIhEEEE10hipError_tPvRmT2_T3_mT4_T5_T6_T7_T8_P12ihipStream_tbENKUlT_T0_E_clISt17integral_constantIbLb0EESY_IbLb1EEEEDaSU_SV_EUlSU_E_NS1_11comp_targetILNS1_3genE9ELNS1_11target_archE1100ELNS1_3gpuE3ELNS1_3repE0EEENS1_30default_config_static_selectorELNS0_4arch9wavefront6targetE1EEEvT1_
	.p2align	8
	.type	_ZN7rocprim17ROCPRIM_400000_NS6detail17trampoline_kernelINS0_14default_configENS1_33run_length_encode_config_selectorIhjNS0_4plusIjEEEEZZNS1_33reduce_by_key_impl_wrapped_configILNS1_25lookback_scan_determinismE0ES3_S7_PKhNS0_17constant_iteratorIjlEEPhPlSF_S6_NS0_8equal_toIhEEEE10hipError_tPvRmT2_T3_mT4_T5_T6_T7_T8_P12ihipStream_tbENKUlT_T0_E_clISt17integral_constantIbLb0EESY_IbLb1EEEEDaSU_SV_EUlSU_E_NS1_11comp_targetILNS1_3genE9ELNS1_11target_archE1100ELNS1_3gpuE3ELNS1_3repE0EEENS1_30default_config_static_selectorELNS0_4arch9wavefront6targetE1EEEvT1_,@function
_ZN7rocprim17ROCPRIM_400000_NS6detail17trampoline_kernelINS0_14default_configENS1_33run_length_encode_config_selectorIhjNS0_4plusIjEEEEZZNS1_33reduce_by_key_impl_wrapped_configILNS1_25lookback_scan_determinismE0ES3_S7_PKhNS0_17constant_iteratorIjlEEPhPlSF_S6_NS0_8equal_toIhEEEE10hipError_tPvRmT2_T3_mT4_T5_T6_T7_T8_P12ihipStream_tbENKUlT_T0_E_clISt17integral_constantIbLb0EESY_IbLb1EEEEDaSU_SV_EUlSU_E_NS1_11comp_targetILNS1_3genE9ELNS1_11target_archE1100ELNS1_3gpuE3ELNS1_3repE0EEENS1_30default_config_static_selectorELNS0_4arch9wavefront6targetE1EEEvT1_: ; @_ZN7rocprim17ROCPRIM_400000_NS6detail17trampoline_kernelINS0_14default_configENS1_33run_length_encode_config_selectorIhjNS0_4plusIjEEEEZZNS1_33reduce_by_key_impl_wrapped_configILNS1_25lookback_scan_determinismE0ES3_S7_PKhNS0_17constant_iteratorIjlEEPhPlSF_S6_NS0_8equal_toIhEEEE10hipError_tPvRmT2_T3_mT4_T5_T6_T7_T8_P12ihipStream_tbENKUlT_T0_E_clISt17integral_constantIbLb0EESY_IbLb1EEEEDaSU_SV_EUlSU_E_NS1_11comp_targetILNS1_3genE9ELNS1_11target_archE1100ELNS1_3gpuE3ELNS1_3repE0EEENS1_30default_config_static_selectorELNS0_4arch9wavefront6targetE1EEEvT1_
; %bb.0:
	.section	.rodata,"a",@progbits
	.p2align	6, 0x0
	.amdhsa_kernel _ZN7rocprim17ROCPRIM_400000_NS6detail17trampoline_kernelINS0_14default_configENS1_33run_length_encode_config_selectorIhjNS0_4plusIjEEEEZZNS1_33reduce_by_key_impl_wrapped_configILNS1_25lookback_scan_determinismE0ES3_S7_PKhNS0_17constant_iteratorIjlEEPhPlSF_S6_NS0_8equal_toIhEEEE10hipError_tPvRmT2_T3_mT4_T5_T6_T7_T8_P12ihipStream_tbENKUlT_T0_E_clISt17integral_constantIbLb0EESY_IbLb1EEEEDaSU_SV_EUlSU_E_NS1_11comp_targetILNS1_3genE9ELNS1_11target_archE1100ELNS1_3gpuE3ELNS1_3repE0EEENS1_30default_config_static_selectorELNS0_4arch9wavefront6targetE1EEEvT1_
		.amdhsa_group_segment_fixed_size 0
		.amdhsa_private_segment_fixed_size 0
		.amdhsa_kernarg_size 128
		.amdhsa_user_sgpr_count 2
		.amdhsa_user_sgpr_dispatch_ptr 0
		.amdhsa_user_sgpr_queue_ptr 0
		.amdhsa_user_sgpr_kernarg_segment_ptr 1
		.amdhsa_user_sgpr_dispatch_id 0
		.amdhsa_user_sgpr_kernarg_preload_length 0
		.amdhsa_user_sgpr_kernarg_preload_offset 0
		.amdhsa_user_sgpr_private_segment_size 0
		.amdhsa_uses_dynamic_stack 0
		.amdhsa_enable_private_segment 0
		.amdhsa_system_sgpr_workgroup_id_x 1
		.amdhsa_system_sgpr_workgroup_id_y 0
		.amdhsa_system_sgpr_workgroup_id_z 0
		.amdhsa_system_sgpr_workgroup_info 0
		.amdhsa_system_vgpr_workitem_id 0
		.amdhsa_next_free_vgpr 1
		.amdhsa_next_free_sgpr 0
		.amdhsa_accum_offset 4
		.amdhsa_reserve_vcc 0
		.amdhsa_float_round_mode_32 0
		.amdhsa_float_round_mode_16_64 0
		.amdhsa_float_denorm_mode_32 3
		.amdhsa_float_denorm_mode_16_64 3
		.amdhsa_dx10_clamp 1
		.amdhsa_ieee_mode 1
		.amdhsa_fp16_overflow 0
		.amdhsa_tg_split 0
		.amdhsa_exception_fp_ieee_invalid_op 0
		.amdhsa_exception_fp_denorm_src 0
		.amdhsa_exception_fp_ieee_div_zero 0
		.amdhsa_exception_fp_ieee_overflow 0
		.amdhsa_exception_fp_ieee_underflow 0
		.amdhsa_exception_fp_ieee_inexact 0
		.amdhsa_exception_int_div_zero 0
	.end_amdhsa_kernel
	.section	.text._ZN7rocprim17ROCPRIM_400000_NS6detail17trampoline_kernelINS0_14default_configENS1_33run_length_encode_config_selectorIhjNS0_4plusIjEEEEZZNS1_33reduce_by_key_impl_wrapped_configILNS1_25lookback_scan_determinismE0ES3_S7_PKhNS0_17constant_iteratorIjlEEPhPlSF_S6_NS0_8equal_toIhEEEE10hipError_tPvRmT2_T3_mT4_T5_T6_T7_T8_P12ihipStream_tbENKUlT_T0_E_clISt17integral_constantIbLb0EESY_IbLb1EEEEDaSU_SV_EUlSU_E_NS1_11comp_targetILNS1_3genE9ELNS1_11target_archE1100ELNS1_3gpuE3ELNS1_3repE0EEENS1_30default_config_static_selectorELNS0_4arch9wavefront6targetE1EEEvT1_,"axG",@progbits,_ZN7rocprim17ROCPRIM_400000_NS6detail17trampoline_kernelINS0_14default_configENS1_33run_length_encode_config_selectorIhjNS0_4plusIjEEEEZZNS1_33reduce_by_key_impl_wrapped_configILNS1_25lookback_scan_determinismE0ES3_S7_PKhNS0_17constant_iteratorIjlEEPhPlSF_S6_NS0_8equal_toIhEEEE10hipError_tPvRmT2_T3_mT4_T5_T6_T7_T8_P12ihipStream_tbENKUlT_T0_E_clISt17integral_constantIbLb0EESY_IbLb1EEEEDaSU_SV_EUlSU_E_NS1_11comp_targetILNS1_3genE9ELNS1_11target_archE1100ELNS1_3gpuE3ELNS1_3repE0EEENS1_30default_config_static_selectorELNS0_4arch9wavefront6targetE1EEEvT1_,comdat
.Lfunc_end200:
	.size	_ZN7rocprim17ROCPRIM_400000_NS6detail17trampoline_kernelINS0_14default_configENS1_33run_length_encode_config_selectorIhjNS0_4plusIjEEEEZZNS1_33reduce_by_key_impl_wrapped_configILNS1_25lookback_scan_determinismE0ES3_S7_PKhNS0_17constant_iteratorIjlEEPhPlSF_S6_NS0_8equal_toIhEEEE10hipError_tPvRmT2_T3_mT4_T5_T6_T7_T8_P12ihipStream_tbENKUlT_T0_E_clISt17integral_constantIbLb0EESY_IbLb1EEEEDaSU_SV_EUlSU_E_NS1_11comp_targetILNS1_3genE9ELNS1_11target_archE1100ELNS1_3gpuE3ELNS1_3repE0EEENS1_30default_config_static_selectorELNS0_4arch9wavefront6targetE1EEEvT1_, .Lfunc_end200-_ZN7rocprim17ROCPRIM_400000_NS6detail17trampoline_kernelINS0_14default_configENS1_33run_length_encode_config_selectorIhjNS0_4plusIjEEEEZZNS1_33reduce_by_key_impl_wrapped_configILNS1_25lookback_scan_determinismE0ES3_S7_PKhNS0_17constant_iteratorIjlEEPhPlSF_S6_NS0_8equal_toIhEEEE10hipError_tPvRmT2_T3_mT4_T5_T6_T7_T8_P12ihipStream_tbENKUlT_T0_E_clISt17integral_constantIbLb0EESY_IbLb1EEEEDaSU_SV_EUlSU_E_NS1_11comp_targetILNS1_3genE9ELNS1_11target_archE1100ELNS1_3gpuE3ELNS1_3repE0EEENS1_30default_config_static_selectorELNS0_4arch9wavefront6targetE1EEEvT1_
                                        ; -- End function
	.section	.AMDGPU.csdata,"",@progbits
; Kernel info:
; codeLenInByte = 0
; NumSgprs: 6
; NumVgprs: 0
; NumAgprs: 0
; TotalNumVgprs: 0
; ScratchSize: 0
; MemoryBound: 0
; FloatMode: 240
; IeeeMode: 1
; LDSByteSize: 0 bytes/workgroup (compile time only)
; SGPRBlocks: 0
; VGPRBlocks: 0
; NumSGPRsForWavesPerEU: 6
; NumVGPRsForWavesPerEU: 1
; AccumOffset: 4
; Occupancy: 8
; WaveLimiterHint : 0
; COMPUTE_PGM_RSRC2:SCRATCH_EN: 0
; COMPUTE_PGM_RSRC2:USER_SGPR: 2
; COMPUTE_PGM_RSRC2:TRAP_HANDLER: 0
; COMPUTE_PGM_RSRC2:TGID_X_EN: 1
; COMPUTE_PGM_RSRC2:TGID_Y_EN: 0
; COMPUTE_PGM_RSRC2:TGID_Z_EN: 0
; COMPUTE_PGM_RSRC2:TIDIG_COMP_CNT: 0
; COMPUTE_PGM_RSRC3_GFX90A:ACCUM_OFFSET: 0
; COMPUTE_PGM_RSRC3_GFX90A:TG_SPLIT: 0
	.section	.text._ZN7rocprim17ROCPRIM_400000_NS6detail17trampoline_kernelINS0_14default_configENS1_33run_length_encode_config_selectorIhjNS0_4plusIjEEEEZZNS1_33reduce_by_key_impl_wrapped_configILNS1_25lookback_scan_determinismE0ES3_S7_PKhNS0_17constant_iteratorIjlEEPhPlSF_S6_NS0_8equal_toIhEEEE10hipError_tPvRmT2_T3_mT4_T5_T6_T7_T8_P12ihipStream_tbENKUlT_T0_E_clISt17integral_constantIbLb0EESY_IbLb1EEEEDaSU_SV_EUlSU_E_NS1_11comp_targetILNS1_3genE8ELNS1_11target_archE1030ELNS1_3gpuE2ELNS1_3repE0EEENS1_30default_config_static_selectorELNS0_4arch9wavefront6targetE1EEEvT1_,"axG",@progbits,_ZN7rocprim17ROCPRIM_400000_NS6detail17trampoline_kernelINS0_14default_configENS1_33run_length_encode_config_selectorIhjNS0_4plusIjEEEEZZNS1_33reduce_by_key_impl_wrapped_configILNS1_25lookback_scan_determinismE0ES3_S7_PKhNS0_17constant_iteratorIjlEEPhPlSF_S6_NS0_8equal_toIhEEEE10hipError_tPvRmT2_T3_mT4_T5_T6_T7_T8_P12ihipStream_tbENKUlT_T0_E_clISt17integral_constantIbLb0EESY_IbLb1EEEEDaSU_SV_EUlSU_E_NS1_11comp_targetILNS1_3genE8ELNS1_11target_archE1030ELNS1_3gpuE2ELNS1_3repE0EEENS1_30default_config_static_selectorELNS0_4arch9wavefront6targetE1EEEvT1_,comdat
	.protected	_ZN7rocprim17ROCPRIM_400000_NS6detail17trampoline_kernelINS0_14default_configENS1_33run_length_encode_config_selectorIhjNS0_4plusIjEEEEZZNS1_33reduce_by_key_impl_wrapped_configILNS1_25lookback_scan_determinismE0ES3_S7_PKhNS0_17constant_iteratorIjlEEPhPlSF_S6_NS0_8equal_toIhEEEE10hipError_tPvRmT2_T3_mT4_T5_T6_T7_T8_P12ihipStream_tbENKUlT_T0_E_clISt17integral_constantIbLb0EESY_IbLb1EEEEDaSU_SV_EUlSU_E_NS1_11comp_targetILNS1_3genE8ELNS1_11target_archE1030ELNS1_3gpuE2ELNS1_3repE0EEENS1_30default_config_static_selectorELNS0_4arch9wavefront6targetE1EEEvT1_ ; -- Begin function _ZN7rocprim17ROCPRIM_400000_NS6detail17trampoline_kernelINS0_14default_configENS1_33run_length_encode_config_selectorIhjNS0_4plusIjEEEEZZNS1_33reduce_by_key_impl_wrapped_configILNS1_25lookback_scan_determinismE0ES3_S7_PKhNS0_17constant_iteratorIjlEEPhPlSF_S6_NS0_8equal_toIhEEEE10hipError_tPvRmT2_T3_mT4_T5_T6_T7_T8_P12ihipStream_tbENKUlT_T0_E_clISt17integral_constantIbLb0EESY_IbLb1EEEEDaSU_SV_EUlSU_E_NS1_11comp_targetILNS1_3genE8ELNS1_11target_archE1030ELNS1_3gpuE2ELNS1_3repE0EEENS1_30default_config_static_selectorELNS0_4arch9wavefront6targetE1EEEvT1_
	.globl	_ZN7rocprim17ROCPRIM_400000_NS6detail17trampoline_kernelINS0_14default_configENS1_33run_length_encode_config_selectorIhjNS0_4plusIjEEEEZZNS1_33reduce_by_key_impl_wrapped_configILNS1_25lookback_scan_determinismE0ES3_S7_PKhNS0_17constant_iteratorIjlEEPhPlSF_S6_NS0_8equal_toIhEEEE10hipError_tPvRmT2_T3_mT4_T5_T6_T7_T8_P12ihipStream_tbENKUlT_T0_E_clISt17integral_constantIbLb0EESY_IbLb1EEEEDaSU_SV_EUlSU_E_NS1_11comp_targetILNS1_3genE8ELNS1_11target_archE1030ELNS1_3gpuE2ELNS1_3repE0EEENS1_30default_config_static_selectorELNS0_4arch9wavefront6targetE1EEEvT1_
	.p2align	8
	.type	_ZN7rocprim17ROCPRIM_400000_NS6detail17trampoline_kernelINS0_14default_configENS1_33run_length_encode_config_selectorIhjNS0_4plusIjEEEEZZNS1_33reduce_by_key_impl_wrapped_configILNS1_25lookback_scan_determinismE0ES3_S7_PKhNS0_17constant_iteratorIjlEEPhPlSF_S6_NS0_8equal_toIhEEEE10hipError_tPvRmT2_T3_mT4_T5_T6_T7_T8_P12ihipStream_tbENKUlT_T0_E_clISt17integral_constantIbLb0EESY_IbLb1EEEEDaSU_SV_EUlSU_E_NS1_11comp_targetILNS1_3genE8ELNS1_11target_archE1030ELNS1_3gpuE2ELNS1_3repE0EEENS1_30default_config_static_selectorELNS0_4arch9wavefront6targetE1EEEvT1_,@function
_ZN7rocprim17ROCPRIM_400000_NS6detail17trampoline_kernelINS0_14default_configENS1_33run_length_encode_config_selectorIhjNS0_4plusIjEEEEZZNS1_33reduce_by_key_impl_wrapped_configILNS1_25lookback_scan_determinismE0ES3_S7_PKhNS0_17constant_iteratorIjlEEPhPlSF_S6_NS0_8equal_toIhEEEE10hipError_tPvRmT2_T3_mT4_T5_T6_T7_T8_P12ihipStream_tbENKUlT_T0_E_clISt17integral_constantIbLb0EESY_IbLb1EEEEDaSU_SV_EUlSU_E_NS1_11comp_targetILNS1_3genE8ELNS1_11target_archE1030ELNS1_3gpuE2ELNS1_3repE0EEENS1_30default_config_static_selectorELNS0_4arch9wavefront6targetE1EEEvT1_: ; @_ZN7rocprim17ROCPRIM_400000_NS6detail17trampoline_kernelINS0_14default_configENS1_33run_length_encode_config_selectorIhjNS0_4plusIjEEEEZZNS1_33reduce_by_key_impl_wrapped_configILNS1_25lookback_scan_determinismE0ES3_S7_PKhNS0_17constant_iteratorIjlEEPhPlSF_S6_NS0_8equal_toIhEEEE10hipError_tPvRmT2_T3_mT4_T5_T6_T7_T8_P12ihipStream_tbENKUlT_T0_E_clISt17integral_constantIbLb0EESY_IbLb1EEEEDaSU_SV_EUlSU_E_NS1_11comp_targetILNS1_3genE8ELNS1_11target_archE1030ELNS1_3gpuE2ELNS1_3repE0EEENS1_30default_config_static_selectorELNS0_4arch9wavefront6targetE1EEEvT1_
; %bb.0:
	.section	.rodata,"a",@progbits
	.p2align	6, 0x0
	.amdhsa_kernel _ZN7rocprim17ROCPRIM_400000_NS6detail17trampoline_kernelINS0_14default_configENS1_33run_length_encode_config_selectorIhjNS0_4plusIjEEEEZZNS1_33reduce_by_key_impl_wrapped_configILNS1_25lookback_scan_determinismE0ES3_S7_PKhNS0_17constant_iteratorIjlEEPhPlSF_S6_NS0_8equal_toIhEEEE10hipError_tPvRmT2_T3_mT4_T5_T6_T7_T8_P12ihipStream_tbENKUlT_T0_E_clISt17integral_constantIbLb0EESY_IbLb1EEEEDaSU_SV_EUlSU_E_NS1_11comp_targetILNS1_3genE8ELNS1_11target_archE1030ELNS1_3gpuE2ELNS1_3repE0EEENS1_30default_config_static_selectorELNS0_4arch9wavefront6targetE1EEEvT1_
		.amdhsa_group_segment_fixed_size 0
		.amdhsa_private_segment_fixed_size 0
		.amdhsa_kernarg_size 128
		.amdhsa_user_sgpr_count 2
		.amdhsa_user_sgpr_dispatch_ptr 0
		.amdhsa_user_sgpr_queue_ptr 0
		.amdhsa_user_sgpr_kernarg_segment_ptr 1
		.amdhsa_user_sgpr_dispatch_id 0
		.amdhsa_user_sgpr_kernarg_preload_length 0
		.amdhsa_user_sgpr_kernarg_preload_offset 0
		.amdhsa_user_sgpr_private_segment_size 0
		.amdhsa_uses_dynamic_stack 0
		.amdhsa_enable_private_segment 0
		.amdhsa_system_sgpr_workgroup_id_x 1
		.amdhsa_system_sgpr_workgroup_id_y 0
		.amdhsa_system_sgpr_workgroup_id_z 0
		.amdhsa_system_sgpr_workgroup_info 0
		.amdhsa_system_vgpr_workitem_id 0
		.amdhsa_next_free_vgpr 1
		.amdhsa_next_free_sgpr 0
		.amdhsa_accum_offset 4
		.amdhsa_reserve_vcc 0
		.amdhsa_float_round_mode_32 0
		.amdhsa_float_round_mode_16_64 0
		.amdhsa_float_denorm_mode_32 3
		.amdhsa_float_denorm_mode_16_64 3
		.amdhsa_dx10_clamp 1
		.amdhsa_ieee_mode 1
		.amdhsa_fp16_overflow 0
		.amdhsa_tg_split 0
		.amdhsa_exception_fp_ieee_invalid_op 0
		.amdhsa_exception_fp_denorm_src 0
		.amdhsa_exception_fp_ieee_div_zero 0
		.amdhsa_exception_fp_ieee_overflow 0
		.amdhsa_exception_fp_ieee_underflow 0
		.amdhsa_exception_fp_ieee_inexact 0
		.amdhsa_exception_int_div_zero 0
	.end_amdhsa_kernel
	.section	.text._ZN7rocprim17ROCPRIM_400000_NS6detail17trampoline_kernelINS0_14default_configENS1_33run_length_encode_config_selectorIhjNS0_4plusIjEEEEZZNS1_33reduce_by_key_impl_wrapped_configILNS1_25lookback_scan_determinismE0ES3_S7_PKhNS0_17constant_iteratorIjlEEPhPlSF_S6_NS0_8equal_toIhEEEE10hipError_tPvRmT2_T3_mT4_T5_T6_T7_T8_P12ihipStream_tbENKUlT_T0_E_clISt17integral_constantIbLb0EESY_IbLb1EEEEDaSU_SV_EUlSU_E_NS1_11comp_targetILNS1_3genE8ELNS1_11target_archE1030ELNS1_3gpuE2ELNS1_3repE0EEENS1_30default_config_static_selectorELNS0_4arch9wavefront6targetE1EEEvT1_,"axG",@progbits,_ZN7rocprim17ROCPRIM_400000_NS6detail17trampoline_kernelINS0_14default_configENS1_33run_length_encode_config_selectorIhjNS0_4plusIjEEEEZZNS1_33reduce_by_key_impl_wrapped_configILNS1_25lookback_scan_determinismE0ES3_S7_PKhNS0_17constant_iteratorIjlEEPhPlSF_S6_NS0_8equal_toIhEEEE10hipError_tPvRmT2_T3_mT4_T5_T6_T7_T8_P12ihipStream_tbENKUlT_T0_E_clISt17integral_constantIbLb0EESY_IbLb1EEEEDaSU_SV_EUlSU_E_NS1_11comp_targetILNS1_3genE8ELNS1_11target_archE1030ELNS1_3gpuE2ELNS1_3repE0EEENS1_30default_config_static_selectorELNS0_4arch9wavefront6targetE1EEEvT1_,comdat
.Lfunc_end201:
	.size	_ZN7rocprim17ROCPRIM_400000_NS6detail17trampoline_kernelINS0_14default_configENS1_33run_length_encode_config_selectorIhjNS0_4plusIjEEEEZZNS1_33reduce_by_key_impl_wrapped_configILNS1_25lookback_scan_determinismE0ES3_S7_PKhNS0_17constant_iteratorIjlEEPhPlSF_S6_NS0_8equal_toIhEEEE10hipError_tPvRmT2_T3_mT4_T5_T6_T7_T8_P12ihipStream_tbENKUlT_T0_E_clISt17integral_constantIbLb0EESY_IbLb1EEEEDaSU_SV_EUlSU_E_NS1_11comp_targetILNS1_3genE8ELNS1_11target_archE1030ELNS1_3gpuE2ELNS1_3repE0EEENS1_30default_config_static_selectorELNS0_4arch9wavefront6targetE1EEEvT1_, .Lfunc_end201-_ZN7rocprim17ROCPRIM_400000_NS6detail17trampoline_kernelINS0_14default_configENS1_33run_length_encode_config_selectorIhjNS0_4plusIjEEEEZZNS1_33reduce_by_key_impl_wrapped_configILNS1_25lookback_scan_determinismE0ES3_S7_PKhNS0_17constant_iteratorIjlEEPhPlSF_S6_NS0_8equal_toIhEEEE10hipError_tPvRmT2_T3_mT4_T5_T6_T7_T8_P12ihipStream_tbENKUlT_T0_E_clISt17integral_constantIbLb0EESY_IbLb1EEEEDaSU_SV_EUlSU_E_NS1_11comp_targetILNS1_3genE8ELNS1_11target_archE1030ELNS1_3gpuE2ELNS1_3repE0EEENS1_30default_config_static_selectorELNS0_4arch9wavefront6targetE1EEEvT1_
                                        ; -- End function
	.section	.AMDGPU.csdata,"",@progbits
; Kernel info:
; codeLenInByte = 0
; NumSgprs: 6
; NumVgprs: 0
; NumAgprs: 0
; TotalNumVgprs: 0
; ScratchSize: 0
; MemoryBound: 0
; FloatMode: 240
; IeeeMode: 1
; LDSByteSize: 0 bytes/workgroup (compile time only)
; SGPRBlocks: 0
; VGPRBlocks: 0
; NumSGPRsForWavesPerEU: 6
; NumVGPRsForWavesPerEU: 1
; AccumOffset: 4
; Occupancy: 8
; WaveLimiterHint : 0
; COMPUTE_PGM_RSRC2:SCRATCH_EN: 0
; COMPUTE_PGM_RSRC2:USER_SGPR: 2
; COMPUTE_PGM_RSRC2:TRAP_HANDLER: 0
; COMPUTE_PGM_RSRC2:TGID_X_EN: 1
; COMPUTE_PGM_RSRC2:TGID_Y_EN: 0
; COMPUTE_PGM_RSRC2:TGID_Z_EN: 0
; COMPUTE_PGM_RSRC2:TIDIG_COMP_CNT: 0
; COMPUTE_PGM_RSRC3_GFX90A:ACCUM_OFFSET: 0
; COMPUTE_PGM_RSRC3_GFX90A:TG_SPLIT: 0
	.section	.text._ZN2at6native8internal12_GLOBAL__N_126adjacent_difference_kernelIPKaEEvlT_Pi,"axG",@progbits,_ZN2at6native8internal12_GLOBAL__N_126adjacent_difference_kernelIPKaEEvlT_Pi,comdat
	.globl	_ZN2at6native8internal12_GLOBAL__N_126adjacent_difference_kernelIPKaEEvlT_Pi ; -- Begin function _ZN2at6native8internal12_GLOBAL__N_126adjacent_difference_kernelIPKaEEvlT_Pi
	.p2align	8
	.type	_ZN2at6native8internal12_GLOBAL__N_126adjacent_difference_kernelIPKaEEvlT_Pi,@function
_ZN2at6native8internal12_GLOBAL__N_126adjacent_difference_kernelIPKaEEvlT_Pi: ; @_ZN2at6native8internal12_GLOBAL__N_126adjacent_difference_kernelIPKaEEvlT_Pi
; %bb.0:
	s_load_dword s3, s[0:1], 0x24
	s_load_dwordx4 s[4:7], s[0:1], 0x0
	s_add_u32 s10, s0, 24
	s_addc_u32 s11, s1, 0
	v_mov_b32_e32 v1, 0
	s_waitcnt lgkmcnt(0)
	s_and_b32 s12, s3, 0xffff
	v_mov_b32_e32 v2, s2
	v_mad_u64_u32 v[4:5], s[8:9], s12, v2, v[0:1]
	v_cmp_gt_i64_e32 vcc, s[4:5], v[4:5]
	s_and_saveexec_b64 s[8:9], vcc
	s_cbranch_execz .LBB202_5
; %bb.1:
	s_load_dword s13, s[10:11], 0x0
	s_load_dwordx2 s[8:9], s[0:1], 0x10
	s_mul_hi_u32 s1, s12, s2
	s_mul_i32 s0, s12, s2
	s_mov_b32 s3, 0
	s_waitcnt lgkmcnt(0)
	s_mul_i32 s2, s13, s12
	v_mov_b32_e32 v2, v1
	v_mov_b32_e32 v3, v4
	s_mov_b32 s10, s3
	s_mov_b32 s11, s2
	s_mov_b64 s[12:13], 0
	v_mov_b64_e32 v[4:5], v[0:1]
	s_branch .LBB202_3
.LBB202_2:                              ;   in Loop: Header=BB202_3 Depth=1
	s_or_b64 exec, exec, s[14:15]
	v_ashrrev_i64 v[6:7], 30, v[2:3]
	v_lshl_add_u64 v[6:7], s[8:9], 0, v[6:7]
	v_lshl_add_u64 v[4:5], v[4:5], 0, s[2:3]
	global_store_dword v[6:7], v0, off
	v_lshl_add_u64 v[6:7], s[0:1], 0, v[4:5]
	v_cmp_le_i64_e32 vcc, s[4:5], v[6:7]
	s_or_b64 s[12:13], vcc, s[12:13]
	v_lshl_add_u64 v[2:3], v[2:3], 0, s[10:11]
	s_andn2_b64 exec, exec, s[12:13]
	s_cbranch_execz .LBB202_5
.LBB202_3:                              ; =>This Inner Loop Header: Depth=1
	v_add_u32_e32 v0, s0, v4
	v_cmp_lt_i32_e32 vcc, 0, v0
	v_mov_b32_e32 v0, 0
	s_and_saveexec_b64 s[14:15], vcc
	s_cbranch_execz .LBB202_2
; %bb.4:                                ;   in Loop: Header=BB202_3 Depth=1
	v_add_u32_e32 v8, s0, v4
	v_and_b32_e32 v0, 0x7fffffff, v8
	v_lshl_add_u64 v[6:7], s[6:7], 0, v[0:1]
	v_add_u32_e32 v0, -1, v8
	global_load_ubyte v8, v[6:7], off
	global_load_ubyte v9, v0, s[6:7]
	s_waitcnt vmcnt(0)
	v_cmp_ne_u16_e32 vcc, v8, v9
	s_nop 1
	v_cndmask_b32_e64 v0, 0, 1, vcc
	s_branch .LBB202_2
.LBB202_5:
	s_endpgm
	.section	.rodata,"a",@progbits
	.p2align	6, 0x0
	.amdhsa_kernel _ZN2at6native8internal12_GLOBAL__N_126adjacent_difference_kernelIPKaEEvlT_Pi
		.amdhsa_group_segment_fixed_size 0
		.amdhsa_private_segment_fixed_size 0
		.amdhsa_kernarg_size 280
		.amdhsa_user_sgpr_count 2
		.amdhsa_user_sgpr_dispatch_ptr 0
		.amdhsa_user_sgpr_queue_ptr 0
		.amdhsa_user_sgpr_kernarg_segment_ptr 1
		.amdhsa_user_sgpr_dispatch_id 0
		.amdhsa_user_sgpr_kernarg_preload_length 0
		.amdhsa_user_sgpr_kernarg_preload_offset 0
		.amdhsa_user_sgpr_private_segment_size 0
		.amdhsa_uses_dynamic_stack 0
		.amdhsa_enable_private_segment 0
		.amdhsa_system_sgpr_workgroup_id_x 1
		.amdhsa_system_sgpr_workgroup_id_y 0
		.amdhsa_system_sgpr_workgroup_id_z 0
		.amdhsa_system_sgpr_workgroup_info 0
		.amdhsa_system_vgpr_workitem_id 0
		.amdhsa_next_free_vgpr 10
		.amdhsa_next_free_sgpr 16
		.amdhsa_accum_offset 12
		.amdhsa_reserve_vcc 1
		.amdhsa_float_round_mode_32 0
		.amdhsa_float_round_mode_16_64 0
		.amdhsa_float_denorm_mode_32 3
		.amdhsa_float_denorm_mode_16_64 3
		.amdhsa_dx10_clamp 1
		.amdhsa_ieee_mode 1
		.amdhsa_fp16_overflow 0
		.amdhsa_tg_split 0
		.amdhsa_exception_fp_ieee_invalid_op 0
		.amdhsa_exception_fp_denorm_src 0
		.amdhsa_exception_fp_ieee_div_zero 0
		.amdhsa_exception_fp_ieee_overflow 0
		.amdhsa_exception_fp_ieee_underflow 0
		.amdhsa_exception_fp_ieee_inexact 0
		.amdhsa_exception_int_div_zero 0
	.end_amdhsa_kernel
	.section	.text._ZN2at6native8internal12_GLOBAL__N_126adjacent_difference_kernelIPKaEEvlT_Pi,"axG",@progbits,_ZN2at6native8internal12_GLOBAL__N_126adjacent_difference_kernelIPKaEEvlT_Pi,comdat
.Lfunc_end202:
	.size	_ZN2at6native8internal12_GLOBAL__N_126adjacent_difference_kernelIPKaEEvlT_Pi, .Lfunc_end202-_ZN2at6native8internal12_GLOBAL__N_126adjacent_difference_kernelIPKaEEvlT_Pi
                                        ; -- End function
	.section	.AMDGPU.csdata,"",@progbits
; Kernel info:
; codeLenInByte = 284
; NumSgprs: 22
; NumVgprs: 10
; NumAgprs: 0
; TotalNumVgprs: 10
; ScratchSize: 0
; MemoryBound: 0
; FloatMode: 240
; IeeeMode: 1
; LDSByteSize: 0 bytes/workgroup (compile time only)
; SGPRBlocks: 2
; VGPRBlocks: 1
; NumSGPRsForWavesPerEU: 22
; NumVGPRsForWavesPerEU: 10
; AccumOffset: 12
; Occupancy: 8
; WaveLimiterHint : 0
; COMPUTE_PGM_RSRC2:SCRATCH_EN: 0
; COMPUTE_PGM_RSRC2:USER_SGPR: 2
; COMPUTE_PGM_RSRC2:TRAP_HANDLER: 0
; COMPUTE_PGM_RSRC2:TGID_X_EN: 1
; COMPUTE_PGM_RSRC2:TGID_Y_EN: 0
; COMPUTE_PGM_RSRC2:TGID_Z_EN: 0
; COMPUTE_PGM_RSRC2:TIDIG_COMP_CNT: 0
; COMPUTE_PGM_RSRC3_GFX90A:ACCUM_OFFSET: 2
; COMPUTE_PGM_RSRC3_GFX90A:TG_SPLIT: 0
	.section	.text._ZN7rocprim17ROCPRIM_400000_NS6detail17trampoline_kernelINS0_14default_configENS1_25partition_config_selectorILNS1_17partition_subalgoE8EaNS0_10empty_typeEbEEZZNS1_14partition_implILS5_8ELb0ES3_jPKaPS6_PKS6_NS0_5tupleIJPaS6_EEENSE_IJSB_SB_EEENS0_18inequality_wrapperIN6hipcub16HIPCUB_304000_NS8EqualityEEEPlJS6_EEE10hipError_tPvRmT3_T4_T5_T6_T7_T9_mT8_P12ihipStream_tbDpT10_ENKUlT_T0_E_clISt17integral_constantIbLb0EES17_EEDaS12_S13_EUlS12_E_NS1_11comp_targetILNS1_3genE0ELNS1_11target_archE4294967295ELNS1_3gpuE0ELNS1_3repE0EEENS1_30default_config_static_selectorELNS0_4arch9wavefront6targetE1EEEvT1_,"axG",@progbits,_ZN7rocprim17ROCPRIM_400000_NS6detail17trampoline_kernelINS0_14default_configENS1_25partition_config_selectorILNS1_17partition_subalgoE8EaNS0_10empty_typeEbEEZZNS1_14partition_implILS5_8ELb0ES3_jPKaPS6_PKS6_NS0_5tupleIJPaS6_EEENSE_IJSB_SB_EEENS0_18inequality_wrapperIN6hipcub16HIPCUB_304000_NS8EqualityEEEPlJS6_EEE10hipError_tPvRmT3_T4_T5_T6_T7_T9_mT8_P12ihipStream_tbDpT10_ENKUlT_T0_E_clISt17integral_constantIbLb0EES17_EEDaS12_S13_EUlS12_E_NS1_11comp_targetILNS1_3genE0ELNS1_11target_archE4294967295ELNS1_3gpuE0ELNS1_3repE0EEENS1_30default_config_static_selectorELNS0_4arch9wavefront6targetE1EEEvT1_,comdat
	.protected	_ZN7rocprim17ROCPRIM_400000_NS6detail17trampoline_kernelINS0_14default_configENS1_25partition_config_selectorILNS1_17partition_subalgoE8EaNS0_10empty_typeEbEEZZNS1_14partition_implILS5_8ELb0ES3_jPKaPS6_PKS6_NS0_5tupleIJPaS6_EEENSE_IJSB_SB_EEENS0_18inequality_wrapperIN6hipcub16HIPCUB_304000_NS8EqualityEEEPlJS6_EEE10hipError_tPvRmT3_T4_T5_T6_T7_T9_mT8_P12ihipStream_tbDpT10_ENKUlT_T0_E_clISt17integral_constantIbLb0EES17_EEDaS12_S13_EUlS12_E_NS1_11comp_targetILNS1_3genE0ELNS1_11target_archE4294967295ELNS1_3gpuE0ELNS1_3repE0EEENS1_30default_config_static_selectorELNS0_4arch9wavefront6targetE1EEEvT1_ ; -- Begin function _ZN7rocprim17ROCPRIM_400000_NS6detail17trampoline_kernelINS0_14default_configENS1_25partition_config_selectorILNS1_17partition_subalgoE8EaNS0_10empty_typeEbEEZZNS1_14partition_implILS5_8ELb0ES3_jPKaPS6_PKS6_NS0_5tupleIJPaS6_EEENSE_IJSB_SB_EEENS0_18inequality_wrapperIN6hipcub16HIPCUB_304000_NS8EqualityEEEPlJS6_EEE10hipError_tPvRmT3_T4_T5_T6_T7_T9_mT8_P12ihipStream_tbDpT10_ENKUlT_T0_E_clISt17integral_constantIbLb0EES17_EEDaS12_S13_EUlS12_E_NS1_11comp_targetILNS1_3genE0ELNS1_11target_archE4294967295ELNS1_3gpuE0ELNS1_3repE0EEENS1_30default_config_static_selectorELNS0_4arch9wavefront6targetE1EEEvT1_
	.globl	_ZN7rocprim17ROCPRIM_400000_NS6detail17trampoline_kernelINS0_14default_configENS1_25partition_config_selectorILNS1_17partition_subalgoE8EaNS0_10empty_typeEbEEZZNS1_14partition_implILS5_8ELb0ES3_jPKaPS6_PKS6_NS0_5tupleIJPaS6_EEENSE_IJSB_SB_EEENS0_18inequality_wrapperIN6hipcub16HIPCUB_304000_NS8EqualityEEEPlJS6_EEE10hipError_tPvRmT3_T4_T5_T6_T7_T9_mT8_P12ihipStream_tbDpT10_ENKUlT_T0_E_clISt17integral_constantIbLb0EES17_EEDaS12_S13_EUlS12_E_NS1_11comp_targetILNS1_3genE0ELNS1_11target_archE4294967295ELNS1_3gpuE0ELNS1_3repE0EEENS1_30default_config_static_selectorELNS0_4arch9wavefront6targetE1EEEvT1_
	.p2align	8
	.type	_ZN7rocprim17ROCPRIM_400000_NS6detail17trampoline_kernelINS0_14default_configENS1_25partition_config_selectorILNS1_17partition_subalgoE8EaNS0_10empty_typeEbEEZZNS1_14partition_implILS5_8ELb0ES3_jPKaPS6_PKS6_NS0_5tupleIJPaS6_EEENSE_IJSB_SB_EEENS0_18inequality_wrapperIN6hipcub16HIPCUB_304000_NS8EqualityEEEPlJS6_EEE10hipError_tPvRmT3_T4_T5_T6_T7_T9_mT8_P12ihipStream_tbDpT10_ENKUlT_T0_E_clISt17integral_constantIbLb0EES17_EEDaS12_S13_EUlS12_E_NS1_11comp_targetILNS1_3genE0ELNS1_11target_archE4294967295ELNS1_3gpuE0ELNS1_3repE0EEENS1_30default_config_static_selectorELNS0_4arch9wavefront6targetE1EEEvT1_,@function
_ZN7rocprim17ROCPRIM_400000_NS6detail17trampoline_kernelINS0_14default_configENS1_25partition_config_selectorILNS1_17partition_subalgoE8EaNS0_10empty_typeEbEEZZNS1_14partition_implILS5_8ELb0ES3_jPKaPS6_PKS6_NS0_5tupleIJPaS6_EEENSE_IJSB_SB_EEENS0_18inequality_wrapperIN6hipcub16HIPCUB_304000_NS8EqualityEEEPlJS6_EEE10hipError_tPvRmT3_T4_T5_T6_T7_T9_mT8_P12ihipStream_tbDpT10_ENKUlT_T0_E_clISt17integral_constantIbLb0EES17_EEDaS12_S13_EUlS12_E_NS1_11comp_targetILNS1_3genE0ELNS1_11target_archE4294967295ELNS1_3gpuE0ELNS1_3repE0EEENS1_30default_config_static_selectorELNS0_4arch9wavefront6targetE1EEEvT1_: ; @_ZN7rocprim17ROCPRIM_400000_NS6detail17trampoline_kernelINS0_14default_configENS1_25partition_config_selectorILNS1_17partition_subalgoE8EaNS0_10empty_typeEbEEZZNS1_14partition_implILS5_8ELb0ES3_jPKaPS6_PKS6_NS0_5tupleIJPaS6_EEENSE_IJSB_SB_EEENS0_18inequality_wrapperIN6hipcub16HIPCUB_304000_NS8EqualityEEEPlJS6_EEE10hipError_tPvRmT3_T4_T5_T6_T7_T9_mT8_P12ihipStream_tbDpT10_ENKUlT_T0_E_clISt17integral_constantIbLb0EES17_EEDaS12_S13_EUlS12_E_NS1_11comp_targetILNS1_3genE0ELNS1_11target_archE4294967295ELNS1_3gpuE0ELNS1_3repE0EEENS1_30default_config_static_selectorELNS0_4arch9wavefront6targetE1EEEvT1_
; %bb.0:
	.section	.rodata,"a",@progbits
	.p2align	6, 0x0
	.amdhsa_kernel _ZN7rocprim17ROCPRIM_400000_NS6detail17trampoline_kernelINS0_14default_configENS1_25partition_config_selectorILNS1_17partition_subalgoE8EaNS0_10empty_typeEbEEZZNS1_14partition_implILS5_8ELb0ES3_jPKaPS6_PKS6_NS0_5tupleIJPaS6_EEENSE_IJSB_SB_EEENS0_18inequality_wrapperIN6hipcub16HIPCUB_304000_NS8EqualityEEEPlJS6_EEE10hipError_tPvRmT3_T4_T5_T6_T7_T9_mT8_P12ihipStream_tbDpT10_ENKUlT_T0_E_clISt17integral_constantIbLb0EES17_EEDaS12_S13_EUlS12_E_NS1_11comp_targetILNS1_3genE0ELNS1_11target_archE4294967295ELNS1_3gpuE0ELNS1_3repE0EEENS1_30default_config_static_selectorELNS0_4arch9wavefront6targetE1EEEvT1_
		.amdhsa_group_segment_fixed_size 0
		.amdhsa_private_segment_fixed_size 0
		.amdhsa_kernarg_size 112
		.amdhsa_user_sgpr_count 2
		.amdhsa_user_sgpr_dispatch_ptr 0
		.amdhsa_user_sgpr_queue_ptr 0
		.amdhsa_user_sgpr_kernarg_segment_ptr 1
		.amdhsa_user_sgpr_dispatch_id 0
		.amdhsa_user_sgpr_kernarg_preload_length 0
		.amdhsa_user_sgpr_kernarg_preload_offset 0
		.amdhsa_user_sgpr_private_segment_size 0
		.amdhsa_uses_dynamic_stack 0
		.amdhsa_enable_private_segment 0
		.amdhsa_system_sgpr_workgroup_id_x 1
		.amdhsa_system_sgpr_workgroup_id_y 0
		.amdhsa_system_sgpr_workgroup_id_z 0
		.amdhsa_system_sgpr_workgroup_info 0
		.amdhsa_system_vgpr_workitem_id 0
		.amdhsa_next_free_vgpr 1
		.amdhsa_next_free_sgpr 0
		.amdhsa_accum_offset 4
		.amdhsa_reserve_vcc 0
		.amdhsa_float_round_mode_32 0
		.amdhsa_float_round_mode_16_64 0
		.amdhsa_float_denorm_mode_32 3
		.amdhsa_float_denorm_mode_16_64 3
		.amdhsa_dx10_clamp 1
		.amdhsa_ieee_mode 1
		.amdhsa_fp16_overflow 0
		.amdhsa_tg_split 0
		.amdhsa_exception_fp_ieee_invalid_op 0
		.amdhsa_exception_fp_denorm_src 0
		.amdhsa_exception_fp_ieee_div_zero 0
		.amdhsa_exception_fp_ieee_overflow 0
		.amdhsa_exception_fp_ieee_underflow 0
		.amdhsa_exception_fp_ieee_inexact 0
		.amdhsa_exception_int_div_zero 0
	.end_amdhsa_kernel
	.section	.text._ZN7rocprim17ROCPRIM_400000_NS6detail17trampoline_kernelINS0_14default_configENS1_25partition_config_selectorILNS1_17partition_subalgoE8EaNS0_10empty_typeEbEEZZNS1_14partition_implILS5_8ELb0ES3_jPKaPS6_PKS6_NS0_5tupleIJPaS6_EEENSE_IJSB_SB_EEENS0_18inequality_wrapperIN6hipcub16HIPCUB_304000_NS8EqualityEEEPlJS6_EEE10hipError_tPvRmT3_T4_T5_T6_T7_T9_mT8_P12ihipStream_tbDpT10_ENKUlT_T0_E_clISt17integral_constantIbLb0EES17_EEDaS12_S13_EUlS12_E_NS1_11comp_targetILNS1_3genE0ELNS1_11target_archE4294967295ELNS1_3gpuE0ELNS1_3repE0EEENS1_30default_config_static_selectorELNS0_4arch9wavefront6targetE1EEEvT1_,"axG",@progbits,_ZN7rocprim17ROCPRIM_400000_NS6detail17trampoline_kernelINS0_14default_configENS1_25partition_config_selectorILNS1_17partition_subalgoE8EaNS0_10empty_typeEbEEZZNS1_14partition_implILS5_8ELb0ES3_jPKaPS6_PKS6_NS0_5tupleIJPaS6_EEENSE_IJSB_SB_EEENS0_18inequality_wrapperIN6hipcub16HIPCUB_304000_NS8EqualityEEEPlJS6_EEE10hipError_tPvRmT3_T4_T5_T6_T7_T9_mT8_P12ihipStream_tbDpT10_ENKUlT_T0_E_clISt17integral_constantIbLb0EES17_EEDaS12_S13_EUlS12_E_NS1_11comp_targetILNS1_3genE0ELNS1_11target_archE4294967295ELNS1_3gpuE0ELNS1_3repE0EEENS1_30default_config_static_selectorELNS0_4arch9wavefront6targetE1EEEvT1_,comdat
.Lfunc_end203:
	.size	_ZN7rocprim17ROCPRIM_400000_NS6detail17trampoline_kernelINS0_14default_configENS1_25partition_config_selectorILNS1_17partition_subalgoE8EaNS0_10empty_typeEbEEZZNS1_14partition_implILS5_8ELb0ES3_jPKaPS6_PKS6_NS0_5tupleIJPaS6_EEENSE_IJSB_SB_EEENS0_18inequality_wrapperIN6hipcub16HIPCUB_304000_NS8EqualityEEEPlJS6_EEE10hipError_tPvRmT3_T4_T5_T6_T7_T9_mT8_P12ihipStream_tbDpT10_ENKUlT_T0_E_clISt17integral_constantIbLb0EES17_EEDaS12_S13_EUlS12_E_NS1_11comp_targetILNS1_3genE0ELNS1_11target_archE4294967295ELNS1_3gpuE0ELNS1_3repE0EEENS1_30default_config_static_selectorELNS0_4arch9wavefront6targetE1EEEvT1_, .Lfunc_end203-_ZN7rocprim17ROCPRIM_400000_NS6detail17trampoline_kernelINS0_14default_configENS1_25partition_config_selectorILNS1_17partition_subalgoE8EaNS0_10empty_typeEbEEZZNS1_14partition_implILS5_8ELb0ES3_jPKaPS6_PKS6_NS0_5tupleIJPaS6_EEENSE_IJSB_SB_EEENS0_18inequality_wrapperIN6hipcub16HIPCUB_304000_NS8EqualityEEEPlJS6_EEE10hipError_tPvRmT3_T4_T5_T6_T7_T9_mT8_P12ihipStream_tbDpT10_ENKUlT_T0_E_clISt17integral_constantIbLb0EES17_EEDaS12_S13_EUlS12_E_NS1_11comp_targetILNS1_3genE0ELNS1_11target_archE4294967295ELNS1_3gpuE0ELNS1_3repE0EEENS1_30default_config_static_selectorELNS0_4arch9wavefront6targetE1EEEvT1_
                                        ; -- End function
	.section	.AMDGPU.csdata,"",@progbits
; Kernel info:
; codeLenInByte = 0
; NumSgprs: 6
; NumVgprs: 0
; NumAgprs: 0
; TotalNumVgprs: 0
; ScratchSize: 0
; MemoryBound: 0
; FloatMode: 240
; IeeeMode: 1
; LDSByteSize: 0 bytes/workgroup (compile time only)
; SGPRBlocks: 0
; VGPRBlocks: 0
; NumSGPRsForWavesPerEU: 6
; NumVGPRsForWavesPerEU: 1
; AccumOffset: 4
; Occupancy: 8
; WaveLimiterHint : 0
; COMPUTE_PGM_RSRC2:SCRATCH_EN: 0
; COMPUTE_PGM_RSRC2:USER_SGPR: 2
; COMPUTE_PGM_RSRC2:TRAP_HANDLER: 0
; COMPUTE_PGM_RSRC2:TGID_X_EN: 1
; COMPUTE_PGM_RSRC2:TGID_Y_EN: 0
; COMPUTE_PGM_RSRC2:TGID_Z_EN: 0
; COMPUTE_PGM_RSRC2:TIDIG_COMP_CNT: 0
; COMPUTE_PGM_RSRC3_GFX90A:ACCUM_OFFSET: 0
; COMPUTE_PGM_RSRC3_GFX90A:TG_SPLIT: 0
	.section	.text._ZN7rocprim17ROCPRIM_400000_NS6detail17trampoline_kernelINS0_14default_configENS1_25partition_config_selectorILNS1_17partition_subalgoE8EaNS0_10empty_typeEbEEZZNS1_14partition_implILS5_8ELb0ES3_jPKaPS6_PKS6_NS0_5tupleIJPaS6_EEENSE_IJSB_SB_EEENS0_18inequality_wrapperIN6hipcub16HIPCUB_304000_NS8EqualityEEEPlJS6_EEE10hipError_tPvRmT3_T4_T5_T6_T7_T9_mT8_P12ihipStream_tbDpT10_ENKUlT_T0_E_clISt17integral_constantIbLb0EES17_EEDaS12_S13_EUlS12_E_NS1_11comp_targetILNS1_3genE5ELNS1_11target_archE942ELNS1_3gpuE9ELNS1_3repE0EEENS1_30default_config_static_selectorELNS0_4arch9wavefront6targetE1EEEvT1_,"axG",@progbits,_ZN7rocprim17ROCPRIM_400000_NS6detail17trampoline_kernelINS0_14default_configENS1_25partition_config_selectorILNS1_17partition_subalgoE8EaNS0_10empty_typeEbEEZZNS1_14partition_implILS5_8ELb0ES3_jPKaPS6_PKS6_NS0_5tupleIJPaS6_EEENSE_IJSB_SB_EEENS0_18inequality_wrapperIN6hipcub16HIPCUB_304000_NS8EqualityEEEPlJS6_EEE10hipError_tPvRmT3_T4_T5_T6_T7_T9_mT8_P12ihipStream_tbDpT10_ENKUlT_T0_E_clISt17integral_constantIbLb0EES17_EEDaS12_S13_EUlS12_E_NS1_11comp_targetILNS1_3genE5ELNS1_11target_archE942ELNS1_3gpuE9ELNS1_3repE0EEENS1_30default_config_static_selectorELNS0_4arch9wavefront6targetE1EEEvT1_,comdat
	.protected	_ZN7rocprim17ROCPRIM_400000_NS6detail17trampoline_kernelINS0_14default_configENS1_25partition_config_selectorILNS1_17partition_subalgoE8EaNS0_10empty_typeEbEEZZNS1_14partition_implILS5_8ELb0ES3_jPKaPS6_PKS6_NS0_5tupleIJPaS6_EEENSE_IJSB_SB_EEENS0_18inequality_wrapperIN6hipcub16HIPCUB_304000_NS8EqualityEEEPlJS6_EEE10hipError_tPvRmT3_T4_T5_T6_T7_T9_mT8_P12ihipStream_tbDpT10_ENKUlT_T0_E_clISt17integral_constantIbLb0EES17_EEDaS12_S13_EUlS12_E_NS1_11comp_targetILNS1_3genE5ELNS1_11target_archE942ELNS1_3gpuE9ELNS1_3repE0EEENS1_30default_config_static_selectorELNS0_4arch9wavefront6targetE1EEEvT1_ ; -- Begin function _ZN7rocprim17ROCPRIM_400000_NS6detail17trampoline_kernelINS0_14default_configENS1_25partition_config_selectorILNS1_17partition_subalgoE8EaNS0_10empty_typeEbEEZZNS1_14partition_implILS5_8ELb0ES3_jPKaPS6_PKS6_NS0_5tupleIJPaS6_EEENSE_IJSB_SB_EEENS0_18inequality_wrapperIN6hipcub16HIPCUB_304000_NS8EqualityEEEPlJS6_EEE10hipError_tPvRmT3_T4_T5_T6_T7_T9_mT8_P12ihipStream_tbDpT10_ENKUlT_T0_E_clISt17integral_constantIbLb0EES17_EEDaS12_S13_EUlS12_E_NS1_11comp_targetILNS1_3genE5ELNS1_11target_archE942ELNS1_3gpuE9ELNS1_3repE0EEENS1_30default_config_static_selectorELNS0_4arch9wavefront6targetE1EEEvT1_
	.globl	_ZN7rocprim17ROCPRIM_400000_NS6detail17trampoline_kernelINS0_14default_configENS1_25partition_config_selectorILNS1_17partition_subalgoE8EaNS0_10empty_typeEbEEZZNS1_14partition_implILS5_8ELb0ES3_jPKaPS6_PKS6_NS0_5tupleIJPaS6_EEENSE_IJSB_SB_EEENS0_18inequality_wrapperIN6hipcub16HIPCUB_304000_NS8EqualityEEEPlJS6_EEE10hipError_tPvRmT3_T4_T5_T6_T7_T9_mT8_P12ihipStream_tbDpT10_ENKUlT_T0_E_clISt17integral_constantIbLb0EES17_EEDaS12_S13_EUlS12_E_NS1_11comp_targetILNS1_3genE5ELNS1_11target_archE942ELNS1_3gpuE9ELNS1_3repE0EEENS1_30default_config_static_selectorELNS0_4arch9wavefront6targetE1EEEvT1_
	.p2align	8
	.type	_ZN7rocprim17ROCPRIM_400000_NS6detail17trampoline_kernelINS0_14default_configENS1_25partition_config_selectorILNS1_17partition_subalgoE8EaNS0_10empty_typeEbEEZZNS1_14partition_implILS5_8ELb0ES3_jPKaPS6_PKS6_NS0_5tupleIJPaS6_EEENSE_IJSB_SB_EEENS0_18inequality_wrapperIN6hipcub16HIPCUB_304000_NS8EqualityEEEPlJS6_EEE10hipError_tPvRmT3_T4_T5_T6_T7_T9_mT8_P12ihipStream_tbDpT10_ENKUlT_T0_E_clISt17integral_constantIbLb0EES17_EEDaS12_S13_EUlS12_E_NS1_11comp_targetILNS1_3genE5ELNS1_11target_archE942ELNS1_3gpuE9ELNS1_3repE0EEENS1_30default_config_static_selectorELNS0_4arch9wavefront6targetE1EEEvT1_,@function
_ZN7rocprim17ROCPRIM_400000_NS6detail17trampoline_kernelINS0_14default_configENS1_25partition_config_selectorILNS1_17partition_subalgoE8EaNS0_10empty_typeEbEEZZNS1_14partition_implILS5_8ELb0ES3_jPKaPS6_PKS6_NS0_5tupleIJPaS6_EEENSE_IJSB_SB_EEENS0_18inequality_wrapperIN6hipcub16HIPCUB_304000_NS8EqualityEEEPlJS6_EEE10hipError_tPvRmT3_T4_T5_T6_T7_T9_mT8_P12ihipStream_tbDpT10_ENKUlT_T0_E_clISt17integral_constantIbLb0EES17_EEDaS12_S13_EUlS12_E_NS1_11comp_targetILNS1_3genE5ELNS1_11target_archE942ELNS1_3gpuE9ELNS1_3repE0EEENS1_30default_config_static_selectorELNS0_4arch9wavefront6targetE1EEEvT1_: ; @_ZN7rocprim17ROCPRIM_400000_NS6detail17trampoline_kernelINS0_14default_configENS1_25partition_config_selectorILNS1_17partition_subalgoE8EaNS0_10empty_typeEbEEZZNS1_14partition_implILS5_8ELb0ES3_jPKaPS6_PKS6_NS0_5tupleIJPaS6_EEENSE_IJSB_SB_EEENS0_18inequality_wrapperIN6hipcub16HIPCUB_304000_NS8EqualityEEEPlJS6_EEE10hipError_tPvRmT3_T4_T5_T6_T7_T9_mT8_P12ihipStream_tbDpT10_ENKUlT_T0_E_clISt17integral_constantIbLb0EES17_EEDaS12_S13_EUlS12_E_NS1_11comp_targetILNS1_3genE5ELNS1_11target_archE942ELNS1_3gpuE9ELNS1_3repE0EEENS1_30default_config_static_selectorELNS0_4arch9wavefront6targetE1EEEvT1_
; %bb.0:
	s_load_dwordx2 s[8:9], s[0:1], 0x50
	s_load_dwordx4 s[4:7], s[0:1], 0x8
	s_load_dwordx4 s[20:23], s[0:1], 0x40
	s_load_dword s10, s[0:1], 0x68
	v_mov_b32_e32 v22, v0
	s_waitcnt lgkmcnt(0)
	v_mov_b32_e32 v3, s9
	s_add_u32 s9, s4, s6
	s_addc_u32 s11, s5, s7
	s_add_i32 s12, s10, -1
	s_lshl_b32 s3, s12, 14
	s_lshl_b32 s14, s2, 14
	s_add_i32 s3, s6, s3
	s_lshl_b32 s4, s10, 14
	s_add_u32 s4, s6, s4
	s_addc_u32 s5, s7, 0
	v_mov_b32_e32 v2, s8
	s_cmp_eq_u32 s2, s12
	s_load_dwordx2 s[22:23], s[22:23], 0x0
	v_cmp_ge_u64_e32 vcc, s[4:5], v[2:3]
	s_cselect_b64 s[24:25], -1, 0
	s_and_b64 s[4:5], s[24:25], vcc
	s_xor_b64 s[26:27], s[4:5], -1
	s_add_u32 s10, s9, s14
	s_mov_b64 s[12:13], -1
	s_addc_u32 s11, s11, 0
	s_and_b64 vcc, exec, s[26:27]
	v_lshrrev_b32_e32 v2, 5, v0
	s_cbranch_vccz .LBB204_2
; %bb.1:
	global_load_ubyte v3, v0, s[10:11]
	global_load_ubyte v10, v0, s[10:11] offset:512
	global_load_ubyte v11, v0, s[10:11] offset:1024
	;; [unrolled: 1-line block ×7, first 2 shown]
	v_mov_b32_e32 v1, 0
	v_lshl_add_u64 v[4:5], s[10:11], 0, v[0:1]
	v_add_co_u32_e32 v6, vcc, 0x1000, v4
	v_and_b32_e32 v8, 12, v2
	s_nop 0
	v_addc_co_u32_e32 v7, vcc, 0, v5, vcc
	global_load_ubyte v1, v[6:7], off
	global_load_ubyte v17, v[6:7], off offset:512
	global_load_ubyte v20, v[6:7], off offset:1024
	;; [unrolled: 1-line block ×3, first 2 shown]
	v_or_b32_e32 v9, 0x200, v0
	v_or_b32_e32 v18, 0x400, v0
	;; [unrolled: 1-line block ×4, first 2 shown]
	v_add_u32_e32 v25, v8, v0
	v_lshrrev_b32_e32 v8, 5, v9
	v_lshrrev_b32_e32 v9, 5, v18
	v_lshrrev_b32_e32 v18, 5, v19
	v_lshrrev_b32_e32 v19, 5, v21
	global_load_ubyte v21, v[6:7], off offset:2048
	global_load_ubyte v28, v[6:7], off offset:2560
	;; [unrolled: 1-line block ×3, first 2 shown]
	v_and_b32_e32 v27, 28, v8
	v_and_b32_e32 v9, 44, v9
	v_add_co_u32_e32 v8, vcc, 0x2000, v4
	v_add_u32_e32 v30, v9, v0
	s_nop 0
	v_addc_co_u32_e32 v9, vcc, 0, v5, vcc
	global_load_ubyte v31, v[8:9], off offset:512
	v_and_b32_e32 v18, 60, v18
	global_load_ubyte v6, v[6:7], off offset:3584
	v_add_u32_e32 v7, v18, v0
	global_load_ubyte v18, v[8:9], off
	global_load_ubyte v32, v[8:9], off offset:1024
	global_load_ubyte v33, v[8:9], off offset:1536
	global_load_ubyte v34, v[8:9], off offset:2048
	global_load_ubyte v35, v[8:9], off offset:2560
	global_load_ubyte v36, v[8:9], off offset:3072
	global_load_ubyte v37, v[8:9], off offset:3584
	v_or_b32_e32 v23, 0xa00, v0
	v_or_b32_e32 v24, 0xc00, v0
	v_add_co_u32_e32 v4, vcc, 0x3000, v4
	v_lshrrev_b32_e32 v23, 5, v23
	v_lshrrev_b32_e32 v24, 5, v24
	v_addc_co_u32_e32 v5, vcc, 0, v5, vcc
	v_and_b32_e32 v19, 0x4c, v19
	v_and_b32_e32 v23, 0x5c, v23
	;; [unrolled: 1-line block ×3, first 2 shown]
	global_load_ubyte v8, v[4:5], off
	global_load_ubyte v9, v[4:5], off offset:512
	global_load_ubyte v38, v[4:5], off offset:1024
	;; [unrolled: 1-line block ×7, first 2 shown]
	v_add_u32_e32 v27, v27, v0
	v_add_u32_e32 v19, v19, v0
	;; [unrolled: 1-line block ×4, first 2 shown]
	s_mov_b64 s[12:13], 0
	s_waitcnt vmcnt(31)
	ds_write_b8 v25, v3
	s_waitcnt vmcnt(30)
	ds_write_b8 v27, v10 offset:512
	s_waitcnt vmcnt(29)
	ds_write_b8 v30, v11 offset:1024
	;; [unrolled: 2-line block ×6, first 2 shown]
	v_or_b32_e32 v3, 0xe00, v0
	v_lshrrev_b32_e32 v3, 5, v3
	v_and_b32_e32 v3, 0x7c, v3
	v_add_u32_e32 v3, v3, v0
	s_waitcnt vmcnt(24)
	ds_write_b8 v3, v16 offset:3584
	v_or_b32_e32 v3, 0x1000, v0
	v_lshrrev_b32_e32 v3, 5, v3
	v_and_b32_e32 v3, 0x8c, v3
	v_add_u32_e32 v3, v3, v0
	s_waitcnt vmcnt(23)
	ds_write_b8 v3, v1 offset:4096
	;; [unrolled: 6-line block ×10, first 2 shown]
	v_or_b32_e32 v1, 0x2200, v0
	v_lshrrev_b32_e32 v1, 5, v1
	v_and_b32_e32 v1, 0x11c, v1
	v_add_u32_e32 v1, v1, v0
	ds_write_b8 v1, v31 offset:8704
	v_or_b32_e32 v1, 0x2400, v0
	v_lshrrev_b32_e32 v1, 5, v1
	v_and_b32_e32 v1, 0x12c, v1
	v_add_u32_e32 v1, v1, v0
	s_waitcnt vmcnt(13)
	ds_write_b8 v1, v32 offset:9216
	v_or_b32_e32 v1, 0x2600, v0
	v_lshrrev_b32_e32 v1, 5, v1
	v_and_b32_e32 v1, 0x13c, v1
	v_add_u32_e32 v1, v1, v0
	s_waitcnt vmcnt(12)
	;; [unrolled: 6-line block ×14, first 2 shown]
	ds_write_b8 v1, v43 offset:15872
	s_waitcnt lgkmcnt(0)
	s_barrier
.LBB204_2:
	s_andn2_b64 vcc, exec, s[12:13]
	s_sub_i32 s3, s8, s3
	s_cbranch_vccnz .LBB204_68
; %bb.3:
	v_cmp_gt_u32_e32 vcc, s3, v0
                                        ; implicit-def: $vgpr1
	s_and_saveexec_b64 s[8:9], vcc
	s_cbranch_execz .LBB204_5
; %bb.4:
	global_load_ubyte v1, v0, s[10:11]
.LBB204_5:
	s_or_b64 exec, exec, s[8:9]
	v_or_b32_e32 v3, 0x200, v0
	v_cmp_gt_u32_e32 vcc, s3, v3
                                        ; implicit-def: $vgpr4
	s_and_saveexec_b64 s[8:9], vcc
	s_cbranch_execz .LBB204_7
; %bb.6:
	global_load_ubyte v4, v0, s[10:11] offset:512
.LBB204_7:
	s_or_b64 exec, exec, s[8:9]
	v_or_b32_e32 v5, 0x400, v0
	v_cmp_gt_u32_e32 vcc, s3, v5
                                        ; implicit-def: $vgpr6
	s_and_saveexec_b64 s[8:9], vcc
	s_cbranch_execz .LBB204_9
; %bb.8:
	global_load_ubyte v6, v0, s[10:11] offset:1024
.LBB204_9:
	s_or_b64 exec, exec, s[8:9]
	v_or_b32_e32 v7, 0x600, v0
	v_cmp_gt_u32_e32 vcc, s3, v7
                                        ; implicit-def: $vgpr8
	s_and_saveexec_b64 s[8:9], vcc
	s_cbranch_execz .LBB204_11
; %bb.10:
	global_load_ubyte v8, v0, s[10:11] offset:1536
.LBB204_11:
	s_or_b64 exec, exec, s[8:9]
	v_or_b32_e32 v9, 0x800, v0
	v_cmp_gt_u32_e32 vcc, s3, v9
                                        ; implicit-def: $vgpr10
	s_and_saveexec_b64 s[8:9], vcc
	s_cbranch_execz .LBB204_13
; %bb.12:
	global_load_ubyte v10, v0, s[10:11] offset:2048
.LBB204_13:
	s_or_b64 exec, exec, s[8:9]
	v_or_b32_e32 v11, 0xa00, v0
	v_cmp_gt_u32_e32 vcc, s3, v11
                                        ; implicit-def: $vgpr12
	s_and_saveexec_b64 s[8:9], vcc
	s_cbranch_execz .LBB204_15
; %bb.14:
	global_load_ubyte v12, v0, s[10:11] offset:2560
.LBB204_15:
	s_or_b64 exec, exec, s[8:9]
	v_or_b32_e32 v13, 0xc00, v0
	v_cmp_gt_u32_e32 vcc, s3, v13
                                        ; implicit-def: $vgpr14
	s_and_saveexec_b64 s[8:9], vcc
	s_cbranch_execz .LBB204_17
; %bb.16:
	global_load_ubyte v14, v0, s[10:11] offset:3072
.LBB204_17:
	s_or_b64 exec, exec, s[8:9]
	v_or_b32_e32 v15, 0xe00, v0
	v_cmp_gt_u32_e32 vcc, s3, v15
                                        ; implicit-def: $vgpr16
	s_and_saveexec_b64 s[8:9], vcc
	s_cbranch_execz .LBB204_19
; %bb.18:
	global_load_ubyte v16, v0, s[10:11] offset:3584
.LBB204_19:
	s_or_b64 exec, exec, s[8:9]
	v_or_b32_e32 v17, 0x1000, v0
	v_cmp_gt_u32_e32 vcc, s3, v17
                                        ; implicit-def: $vgpr18
	s_and_saveexec_b64 s[8:9], vcc
	s_cbranch_execz .LBB204_21
; %bb.20:
	global_load_ubyte v18, v17, s[10:11]
.LBB204_21:
	s_or_b64 exec, exec, s[8:9]
	v_or_b32_e32 v19, 0x1200, v0
	v_cmp_gt_u32_e32 vcc, s3, v19
                                        ; implicit-def: $vgpr20
	s_and_saveexec_b64 s[8:9], vcc
	s_cbranch_execz .LBB204_23
; %bb.22:
	global_load_ubyte v20, v19, s[10:11]
.LBB204_23:
	s_or_b64 exec, exec, s[8:9]
	v_or_b32_e32 v21, 0x1400, v0
	v_cmp_gt_u32_e32 vcc, s3, v21
                                        ; implicit-def: $vgpr23
	s_and_saveexec_b64 s[8:9], vcc
	s_cbranch_execz .LBB204_25
; %bb.24:
	global_load_ubyte v23, v21, s[10:11]
.LBB204_25:
	s_or_b64 exec, exec, s[8:9]
	v_or_b32_e32 v24, 0x1600, v0
	v_cmp_gt_u32_e32 vcc, s3, v24
                                        ; implicit-def: $vgpr25
	s_and_saveexec_b64 s[8:9], vcc
	s_cbranch_execz .LBB204_27
; %bb.26:
	global_load_ubyte v25, v24, s[10:11]
.LBB204_27:
	s_or_b64 exec, exec, s[8:9]
	v_or_b32_e32 v26, 0x1800, v0
	v_cmp_gt_u32_e32 vcc, s3, v26
                                        ; implicit-def: $vgpr27
	s_and_saveexec_b64 s[8:9], vcc
	s_cbranch_execz .LBB204_29
; %bb.28:
	global_load_ubyte v27, v26, s[10:11]
.LBB204_29:
	s_or_b64 exec, exec, s[8:9]
	v_or_b32_e32 v28, 0x1a00, v0
	v_cmp_gt_u32_e32 vcc, s3, v28
                                        ; implicit-def: $vgpr29
	s_and_saveexec_b64 s[8:9], vcc
	s_cbranch_execz .LBB204_31
; %bb.30:
	global_load_ubyte v29, v28, s[10:11]
.LBB204_31:
	s_or_b64 exec, exec, s[8:9]
	v_or_b32_e32 v30, 0x1c00, v0
	v_cmp_gt_u32_e32 vcc, s3, v30
                                        ; implicit-def: $vgpr31
	s_and_saveexec_b64 s[8:9], vcc
	s_cbranch_execz .LBB204_33
; %bb.32:
	global_load_ubyte v31, v30, s[10:11]
.LBB204_33:
	s_or_b64 exec, exec, s[8:9]
	v_or_b32_e32 v32, 0x1e00, v0
	v_cmp_gt_u32_e32 vcc, s3, v32
                                        ; implicit-def: $vgpr33
	s_and_saveexec_b64 s[8:9], vcc
	s_cbranch_execz .LBB204_35
; %bb.34:
	global_load_ubyte v33, v32, s[10:11]
.LBB204_35:
	s_or_b64 exec, exec, s[8:9]
	v_or_b32_e32 v34, 0x2000, v0
	v_cmp_gt_u32_e32 vcc, s3, v34
                                        ; implicit-def: $vgpr35
	s_and_saveexec_b64 s[8:9], vcc
	s_cbranch_execz .LBB204_37
; %bb.36:
	global_load_ubyte v35, v34, s[10:11]
.LBB204_37:
	s_or_b64 exec, exec, s[8:9]
	v_or_b32_e32 v36, 0x2200, v0
	v_cmp_gt_u32_e32 vcc, s3, v36
                                        ; implicit-def: $vgpr37
	s_and_saveexec_b64 s[8:9], vcc
	s_cbranch_execz .LBB204_39
; %bb.38:
	global_load_ubyte v37, v36, s[10:11]
.LBB204_39:
	s_or_b64 exec, exec, s[8:9]
	v_or_b32_e32 v38, 0x2400, v0
	v_cmp_gt_u32_e32 vcc, s3, v38
                                        ; implicit-def: $vgpr39
	s_and_saveexec_b64 s[8:9], vcc
	s_cbranch_execz .LBB204_41
; %bb.40:
	global_load_ubyte v39, v38, s[10:11]
.LBB204_41:
	s_or_b64 exec, exec, s[8:9]
	v_or_b32_e32 v40, 0x2600, v0
	v_cmp_gt_u32_e32 vcc, s3, v40
                                        ; implicit-def: $vgpr41
	s_and_saveexec_b64 s[8:9], vcc
	s_cbranch_execz .LBB204_43
; %bb.42:
	global_load_ubyte v41, v40, s[10:11]
.LBB204_43:
	s_or_b64 exec, exec, s[8:9]
	v_or_b32_e32 v42, 0x2800, v0
	v_cmp_gt_u32_e32 vcc, s3, v42
                                        ; implicit-def: $vgpr43
	s_and_saveexec_b64 s[8:9], vcc
	s_cbranch_execz .LBB204_45
; %bb.44:
	global_load_ubyte v43, v42, s[10:11]
.LBB204_45:
	s_or_b64 exec, exec, s[8:9]
	v_or_b32_e32 v44, 0x2a00, v0
	v_cmp_gt_u32_e32 vcc, s3, v44
                                        ; implicit-def: $vgpr45
	s_and_saveexec_b64 s[8:9], vcc
	s_cbranch_execz .LBB204_47
; %bb.46:
	global_load_ubyte v45, v44, s[10:11]
.LBB204_47:
	s_or_b64 exec, exec, s[8:9]
	v_or_b32_e32 v46, 0x2c00, v0
	v_cmp_gt_u32_e32 vcc, s3, v46
                                        ; implicit-def: $vgpr47
	s_and_saveexec_b64 s[8:9], vcc
	s_cbranch_execz .LBB204_49
; %bb.48:
	global_load_ubyte v47, v46, s[10:11]
.LBB204_49:
	s_or_b64 exec, exec, s[8:9]
	v_or_b32_e32 v48, 0x2e00, v0
	v_cmp_gt_u32_e32 vcc, s3, v48
                                        ; implicit-def: $vgpr49
	s_and_saveexec_b64 s[8:9], vcc
	s_cbranch_execz .LBB204_51
; %bb.50:
	global_load_ubyte v49, v48, s[10:11]
.LBB204_51:
	s_or_b64 exec, exec, s[8:9]
	v_or_b32_e32 v50, 0x3000, v0
	v_cmp_gt_u32_e32 vcc, s3, v50
                                        ; implicit-def: $vgpr51
	s_and_saveexec_b64 s[8:9], vcc
	s_cbranch_execz .LBB204_53
; %bb.52:
	global_load_ubyte v51, v50, s[10:11]
.LBB204_53:
	s_or_b64 exec, exec, s[8:9]
	v_or_b32_e32 v52, 0x3200, v0
	v_cmp_gt_u32_e32 vcc, s3, v52
                                        ; implicit-def: $vgpr53
	s_and_saveexec_b64 s[8:9], vcc
	s_cbranch_execz .LBB204_55
; %bb.54:
	global_load_ubyte v53, v52, s[10:11]
.LBB204_55:
	s_or_b64 exec, exec, s[8:9]
	v_or_b32_e32 v54, 0x3400, v0
	v_cmp_gt_u32_e32 vcc, s3, v54
                                        ; implicit-def: $vgpr55
	s_and_saveexec_b64 s[8:9], vcc
	s_cbranch_execz .LBB204_57
; %bb.56:
	global_load_ubyte v55, v54, s[10:11]
.LBB204_57:
	s_or_b64 exec, exec, s[8:9]
	v_or_b32_e32 v56, 0x3600, v0
	v_cmp_gt_u32_e32 vcc, s3, v56
                                        ; implicit-def: $vgpr57
	s_and_saveexec_b64 s[8:9], vcc
	s_cbranch_execz .LBB204_59
; %bb.58:
	global_load_ubyte v57, v56, s[10:11]
.LBB204_59:
	s_or_b64 exec, exec, s[8:9]
	v_or_b32_e32 v58, 0x3800, v0
	v_cmp_gt_u32_e32 vcc, s3, v58
                                        ; implicit-def: $vgpr59
	s_and_saveexec_b64 s[8:9], vcc
	s_cbranch_execz .LBB204_61
; %bb.60:
	global_load_ubyte v59, v58, s[10:11]
.LBB204_61:
	s_or_b64 exec, exec, s[8:9]
	v_or_b32_e32 v60, 0x3a00, v0
	v_cmp_gt_u32_e32 vcc, s3, v60
                                        ; implicit-def: $vgpr61
	s_and_saveexec_b64 s[8:9], vcc
	s_cbranch_execz .LBB204_63
; %bb.62:
	global_load_ubyte v61, v60, s[10:11]
.LBB204_63:
	s_or_b64 exec, exec, s[8:9]
	v_or_b32_e32 v62, 0x3c00, v0
	v_cmp_gt_u32_e32 vcc, s3, v62
                                        ; implicit-def: $vgpr63
	s_and_saveexec_b64 s[8:9], vcc
	s_cbranch_execz .LBB204_65
; %bb.64:
	global_load_ubyte v63, v62, s[10:11]
.LBB204_65:
	s_or_b64 exec, exec, s[8:9]
	v_or_b32_e32 v64, 0x3e00, v0
	v_cmp_gt_u32_e32 vcc, s3, v64
                                        ; implicit-def: $vgpr65
	s_and_saveexec_b64 s[8:9], vcc
	s_cbranch_execz .LBB204_67
; %bb.66:
	global_load_ubyte v65, v64, s[10:11]
.LBB204_67:
	s_or_b64 exec, exec, s[8:9]
	v_and_b32_e32 v2, 12, v2
	v_add_u32_e32 v2, v2, v0
	s_waitcnt vmcnt(0)
	ds_write_b8 v2, v1
	v_lshrrev_b32_e32 v1, 5, v3
	v_and_b32_e32 v1, 28, v1
	v_add_u32_e32 v1, v1, v0
	ds_write_b8 v1, v4 offset:512
	v_lshrrev_b32_e32 v1, 5, v5
	v_and_b32_e32 v1, 60, v1
	v_add_u32_e32 v1, v1, v0
	ds_write_b8 v1, v6 offset:1024
	;; [unrolled: 4-line block ×31, first 2 shown]
	s_waitcnt lgkmcnt(0)
	s_barrier
.LBB204_68:
	v_lshlrev_b32_e32 v10, 5, v0
	v_and_b32_e32 v1, 0x1fc, v0
	v_add_u32_e32 v1, v1, v10
	s_waitcnt lgkmcnt(0)
	ds_read2_b32 v[2:3], v1 offset0:6 offset1:7
	ds_read2_b32 v[8:9], v1 offset1:1
	ds_read2_b32 v[6:7], v1 offset0:2 offset1:3
	ds_read2_b32 v[4:5], v1 offset0:4 offset1:5
	s_cmp_lg_u32 s2, 0
	s_cselect_b64 s[16:17], -1, 0
	s_cmp_lg_u64 s[6:7], 0
	s_cselect_b64 s[6:7], -1, 0
	s_or_b64 s[6:7], s[16:17], s[6:7]
	s_waitcnt lgkmcnt(3)
	v_lshrrev_b32_e32 v25, 8, v2
	v_lshrrev_b32_e32 v24, 16, v2
	v_lshrrev_b32_e32 v23, 24, v2
	v_lshrrev_b32_e32 v21, 8, v3
	v_lshrrev_b32_e32 v20, 16, v3
	v_lshrrev_b32_e32 v1, 24, v3
	s_waitcnt lgkmcnt(2)
	v_lshrrev_b32_e32 v50, 8, v8
	v_lshrrev_b32_e32 v48, 16, v8
	v_lshrrev_b32_e32 v47, 24, v8
	v_lshrrev_b32_e32 v45, 8, v9
	v_lshrrev_b32_e32 v43, 16, v9
	v_lshrrev_b32_e32 v42, 24, v9
	;; [unrolled: 7-line block ×4, first 2 shown]
	s_mov_b64 s[8:9], 0
	s_and_b64 vcc, exec, s[6:7]
	s_barrier
	s_cbranch_vccz .LBB204_73
; %bb.69:
	v_mov_b32_e32 v11, 0
	global_load_ubyte v11, v11, s[10:11] offset:-1
	s_and_b64 vcc, exec, s[26:27]
	ds_write_b8 v0, v1
	s_cbranch_vccz .LBB204_75
; %bb.70:
	v_cmp_ne_u32_e32 vcc, 0, v0
	s_waitcnt vmcnt(0)
	v_mov_b32_e32 v12, v11
	s_waitcnt lgkmcnt(0)
	s_barrier
	s_and_saveexec_b64 s[6:7], vcc
	s_cbranch_execz .LBB204_72
; %bb.71:
	v_add_u32_e32 v12, -1, v0
	ds_read_u8 v12, v12
.LBB204_72:
	s_or_b64 exec, exec, s[6:7]
	v_cmp_ne_u16_sdwa s[6:7], v20, v1 src0_sel:BYTE_0 src1_sel:DWORD
	s_nop 1
	v_cndmask_b32_e64 v34, 0, 1, s[6:7]
	v_cmp_ne_u16_sdwa s[6:7], v21, v20 src0_sel:BYTE_0 src1_sel:BYTE_0
	s_nop 1
	v_cndmask_b32_e64 v36, 0, 1, s[6:7]
	v_cmp_ne_u16_sdwa s[6:7], v3, v21 src0_sel:BYTE_0 src1_sel:BYTE_0
	s_nop 1
	v_cndmask_b32_e64 v39, 0, 1, s[6:7]
	v_cmp_ne_u16_sdwa s[6:7], v23, v3 src0_sel:DWORD src1_sel:BYTE_0
	s_nop 1
	v_cndmask_b32_e64 v41, 0, 1, s[6:7]
	v_cmp_ne_u16_sdwa s[6:7], v24, v23 src0_sel:BYTE_0 src1_sel:DWORD
	s_nop 1
	v_cndmask_b32_e64 v44, 0, 1, s[6:7]
	v_cmp_ne_u16_sdwa s[6:7], v25, v24 src0_sel:BYTE_0 src1_sel:BYTE_0
	s_nop 1
	v_cndmask_b32_e64 v46, 0, 1, s[6:7]
	v_cmp_ne_u16_sdwa s[6:7], v2, v25 src0_sel:BYTE_0 src1_sel:BYTE_0
	s_nop 1
	v_cndmask_b32_e64 v49, 0, 1, s[6:7]
	v_cmp_ne_u16_sdwa s[6:7], v26, v2 src0_sel:DWORD src1_sel:BYTE_0
	s_nop 1
	v_cndmask_b32_e64 v51, 0, 1, s[6:7]
	;; [unrolled: 12-line block ×7, first 2 shown]
	v_cmp_ne_u16_sdwa s[6:7], v48, v47 src0_sel:BYTE_0 src1_sel:DWORD
	s_nop 1
	v_cndmask_b32_e64 v72, 0, 1, s[6:7]
	v_cmp_ne_u16_sdwa s[6:7], v50, v48 src0_sel:BYTE_0 src1_sel:BYTE_0
	s_nop 1
	v_cndmask_b32_e64 v73, 0, 1, s[6:7]
	v_cmp_ne_u16_sdwa s[6:7], v8, v50 src0_sel:BYTE_0 src1_sel:BYTE_0
	s_nop 1
	v_cndmask_b32_e64 v74, 0, 1, s[6:7]
	s_waitcnt lgkmcnt(0)
	v_cmp_ne_u16_sdwa s[6:7], v12, v8 src0_sel:BYTE_0 src1_sel:BYTE_0
	s_and_b64 vcc, exec, s[8:9]
	s_cbranch_vccnz .LBB204_76
	s_branch .LBB204_79
.LBB204_73:
                                        ; implicit-def: $sgpr6_sgpr7
                                        ; implicit-def: $vgpr74
                                        ; implicit-def: $vgpr73
                                        ; implicit-def: $vgpr72
                                        ; implicit-def: $vgpr71
                                        ; implicit-def: $vgpr70
                                        ; implicit-def: $vgpr69
                                        ; implicit-def: $vgpr68
                                        ; implicit-def: $vgpr67
                                        ; implicit-def: $vgpr66
                                        ; implicit-def: $vgpr65
                                        ; implicit-def: $vgpr64
                                        ; implicit-def: $vgpr63
                                        ; implicit-def: $vgpr62
                                        ; implicit-def: $vgpr61
                                        ; implicit-def: $vgpr60
                                        ; implicit-def: $vgpr59
                                        ; implicit-def: $vgpr58
                                        ; implicit-def: $vgpr57
                                        ; implicit-def: $vgpr56
                                        ; implicit-def: $vgpr55
                                        ; implicit-def: $vgpr54
                                        ; implicit-def: $vgpr53
                                        ; implicit-def: $vgpr52
                                        ; implicit-def: $vgpr51
                                        ; implicit-def: $vgpr49
                                        ; implicit-def: $vgpr46
                                        ; implicit-def: $vgpr44
                                        ; implicit-def: $vgpr41
                                        ; implicit-def: $vgpr39
                                        ; implicit-def: $vgpr36
                                        ; implicit-def: $vgpr34
	s_branch .LBB204_80
.LBB204_74:
                                        ; implicit-def: $sgpr12
	v_mov_b32_e32 v75, s12
	s_and_saveexec_b64 s[10:11], s[8:9]
	s_cbranch_execnz .LBB204_88
	s_branch .LBB204_89
.LBB204_75:
                                        ; implicit-def: $sgpr6_sgpr7
                                        ; implicit-def: $vgpr74
                                        ; implicit-def: $vgpr73
                                        ; implicit-def: $vgpr72
                                        ; implicit-def: $vgpr71
                                        ; implicit-def: $vgpr70
                                        ; implicit-def: $vgpr69
                                        ; implicit-def: $vgpr68
                                        ; implicit-def: $vgpr67
                                        ; implicit-def: $vgpr66
                                        ; implicit-def: $vgpr65
                                        ; implicit-def: $vgpr64
                                        ; implicit-def: $vgpr63
                                        ; implicit-def: $vgpr62
                                        ; implicit-def: $vgpr61
                                        ; implicit-def: $vgpr60
                                        ; implicit-def: $vgpr59
                                        ; implicit-def: $vgpr58
                                        ; implicit-def: $vgpr57
                                        ; implicit-def: $vgpr56
                                        ; implicit-def: $vgpr55
                                        ; implicit-def: $vgpr54
                                        ; implicit-def: $vgpr53
                                        ; implicit-def: $vgpr52
                                        ; implicit-def: $vgpr51
                                        ; implicit-def: $vgpr49
                                        ; implicit-def: $vgpr46
                                        ; implicit-def: $vgpr44
                                        ; implicit-def: $vgpr41
                                        ; implicit-def: $vgpr39
                                        ; implicit-def: $vgpr36
                                        ; implicit-def: $vgpr34
	s_cbranch_execz .LBB204_79
.LBB204_76:
	v_cmp_ne_u32_e32 vcc, 0, v0
	s_waitcnt lgkmcnt(0)
	s_barrier
	s_and_saveexec_b64 s[6:7], vcc
	s_cbranch_execz .LBB204_78
; %bb.77:
	s_waitcnt vmcnt(0)
	v_add_u32_e32 v11, -1, v0
	ds_read_u8 v11, v11
.LBB204_78:
	s_or_b64 exec, exec, s[6:7]
	v_or_b32_e32 v12, 31, v10
	v_cmp_gt_u32_e32 vcc, s3, v12
	v_cmp_ne_u16_sdwa s[6:7], v20, v1 src0_sel:BYTE_0 src1_sel:BYTE_0
	s_and_b64 s[6:7], vcc, s[6:7]
	v_or_b32_e32 v12, 30, v10
	v_cndmask_b32_e64 v34, 0, 1, s[6:7]
	v_cmp_gt_u32_e32 vcc, s3, v12
	v_cmp_ne_u16_sdwa s[6:7], v21, v20 src0_sel:BYTE_0 src1_sel:BYTE_0
	s_and_b64 s[6:7], vcc, s[6:7]
	v_or_b32_e32 v12, 29, v10
	v_cndmask_b32_e64 v36, 0, 1, s[6:7]
	;; [unrolled: 5-line block ×30, first 2 shown]
	v_cmp_gt_u32_e32 vcc, s3, v12
	v_cmp_ne_u16_sdwa s[6:7], v8, v50 src0_sel:BYTE_0 src1_sel:BYTE_0
	s_and_b64 s[6:7], vcc, s[6:7]
	v_cmp_gt_u32_e32 vcc, s3, v10
	v_cndmask_b32_e64 v74, 0, 1, s[6:7]
	s_waitcnt vmcnt(0) lgkmcnt(0)
	v_cmp_ne_u16_sdwa s[6:7], v11, v8 src0_sel:BYTE_0 src1_sel:BYTE_0
	s_and_b64 s[6:7], vcc, s[6:7]
.LBB204_79:
	s_mov_b64 s[8:9], -1
	s_cbranch_execnz .LBB204_74
.LBB204_80:
	s_and_b64 vcc, exec, s[26:27]
	v_cmp_ne_u16_sdwa s[48:49], v21, v20 src0_sel:BYTE_0 src1_sel:BYTE_0
	v_cmp_ne_u16_sdwa s[50:51], v3, v21 src0_sel:BYTE_0 src1_sel:BYTE_0
	;; [unrolled: 1-line block ×16, first 2 shown]
	ds_write_b8 v0, v1
	s_cbranch_vccz .LBB204_84
; %bb.81:
	v_cndmask_b32_e64 v36, 0, 1, s[48:49]
	v_cmp_ne_u16_sdwa s[48:49], v23, v3 src0_sel:DWORD src1_sel:BYTE_0
	v_cndmask_b32_e64 v46, 0, 1, s[44:45]
	v_cmp_ne_u16_sdwa s[44:45], v26, v2 src0_sel:DWORD src1_sel:BYTE_0
	;; [unrolled: 2-line block ×7, first 2 shown]
	v_cmp_ne_u16_sdwa s[52:53], v20, v1 src0_sel:BYTE_0 src1_sel:DWORD
	v_cndmask_b32_e64 v41, 0, 1, s[48:49]
	v_cmp_ne_u16_sdwa s[48:49], v24, v23 src0_sel:BYTE_0 src1_sel:DWORD
	v_cndmask_b32_e64 v51, 0, 1, s[44:45]
	;; [unrolled: 2-line block ×8, first 2 shown]
	v_cndmask_b32_e64 v39, 0, 1, s[50:51]
	v_cndmask_b32_e64 v44, 0, 1, s[48:49]
	;; [unrolled: 1-line block ×16, first 2 shown]
	v_cmp_ne_u32_e32 vcc, 0, v0
	s_waitcnt lgkmcnt(0)
	s_barrier
	s_waitcnt lgkmcnt(0)
                                        ; implicit-def: $sgpr6_sgpr7
	s_and_saveexec_b64 s[10:11], vcc
	s_xor_b64 s[10:11], exec, s[10:11]
	s_cbranch_execz .LBB204_83
; %bb.82:
	s_waitcnt vmcnt(0)
	v_add_u32_e32 v11, -1, v0
	ds_read_u8 v11, v11
	s_or_b64 s[8:9], s[8:9], exec
	s_waitcnt lgkmcnt(0)
	v_cmp_ne_u16_sdwa s[6:7], v11, v8 src0_sel:DWORD src1_sel:BYTE_0
	s_and_b64 s[6:7], s[6:7], exec
.LBB204_83:
	s_or_b64 exec, exec, s[10:11]
	s_mov_b32 s12, 1
	s_branch .LBB204_87
.LBB204_84:
                                        ; implicit-def: $sgpr6_sgpr7
                                        ; implicit-def: $vgpr74
                                        ; implicit-def: $vgpr73
                                        ; implicit-def: $vgpr72
                                        ; implicit-def: $vgpr71
                                        ; implicit-def: $vgpr70
                                        ; implicit-def: $vgpr69
                                        ; implicit-def: $vgpr68
                                        ; implicit-def: $vgpr67
                                        ; implicit-def: $vgpr66
                                        ; implicit-def: $vgpr65
                                        ; implicit-def: $vgpr64
                                        ; implicit-def: $vgpr63
                                        ; implicit-def: $vgpr62
                                        ; implicit-def: $vgpr61
                                        ; implicit-def: $vgpr60
                                        ; implicit-def: $vgpr59
                                        ; implicit-def: $vgpr58
                                        ; implicit-def: $vgpr57
                                        ; implicit-def: $vgpr56
                                        ; implicit-def: $vgpr55
                                        ; implicit-def: $vgpr54
                                        ; implicit-def: $vgpr53
                                        ; implicit-def: $vgpr52
                                        ; implicit-def: $vgpr51
                                        ; implicit-def: $vgpr49
                                        ; implicit-def: $vgpr46
                                        ; implicit-def: $vgpr44
                                        ; implicit-def: $vgpr41
                                        ; implicit-def: $vgpr39
                                        ; implicit-def: $vgpr36
                                        ; implicit-def: $vgpr34
                                        ; implicit-def: $sgpr12
	s_cbranch_execz .LBB204_87
; %bb.85:
	s_waitcnt vmcnt(0)
	v_or_b32_e32 v11, 31, v10
	v_cmp_gt_u32_e32 vcc, s3, v11
	v_cmp_ne_u16_sdwa s[6:7], v20, v1 src0_sel:BYTE_0 src1_sel:BYTE_0
	s_and_b64 s[6:7], vcc, s[6:7]
	v_or_b32_e32 v11, 30, v10
	v_cndmask_b32_e64 v34, 0, 1, s[6:7]
	v_cmp_gt_u32_e32 vcc, s3, v11
	v_cmp_ne_u16_sdwa s[6:7], v21, v20 src0_sel:BYTE_0 src1_sel:BYTE_0
	s_and_b64 s[6:7], vcc, s[6:7]
	v_or_b32_e32 v11, 29, v10
	v_cndmask_b32_e64 v36, 0, 1, s[6:7]
	;; [unrolled: 5-line block ×30, first 2 shown]
	v_cmp_gt_u32_e32 vcc, s3, v11
	v_cmp_ne_u16_sdwa s[6:7], v8, v50 src0_sel:BYTE_0 src1_sel:BYTE_0
	s_and_b64 s[6:7], vcc, s[6:7]
	s_mov_b32 s12, 1
	v_cndmask_b32_e64 v74, 0, 1, s[6:7]
	v_cmp_ne_u32_e32 vcc, 0, v0
	s_waitcnt lgkmcnt(0)
	s_barrier
	s_waitcnt lgkmcnt(0)
                                        ; implicit-def: $sgpr6_sgpr7
	s_and_saveexec_b64 s[10:11], vcc
	s_cbranch_execz .LBB204_307
; %bb.86:
	v_add_u32_e32 v11, -1, v0
	ds_read_u8 v11, v11
	v_cmp_gt_u32_e32 vcc, s3, v10
	s_or_b64 s[8:9], s[8:9], exec
	s_waitcnt lgkmcnt(0)
	v_and_b32_e32 v11, 0xff, v11
	v_cmp_ne_u16_sdwa s[6:7], v11, v8 src0_sel:DWORD src1_sel:BYTE_0
	s_and_b64 s[6:7], vcc, s[6:7]
	s_and_b64 s[6:7], s[6:7], exec
	s_or_b64 exec, exec, s[10:11]
.LBB204_87:
	v_mov_b32_e32 v75, s12
	s_and_saveexec_b64 s[10:11], s[8:9]
.LBB204_88:
	v_cndmask_b32_e64 v75, 0, 1, s[6:7]
.LBB204_89:
	s_or_b64 exec, exec, s[10:11]
	s_load_dwordx2 s[28:29], s[0:1], 0x60
	s_andn2_b64 vcc, exec, s[4:5]
	s_cbranch_vccnz .LBB204_91
; %bb.90:
	v_cmp_gt_u32_e32 vcc, s3, v10
	s_waitcnt vmcnt(0)
	v_or_b32_e32 v11, 1, v10
	v_cndmask_b32_e32 v75, 0, v75, vcc
	v_cmp_gt_u32_e32 vcc, s3, v11
	v_or_b32_e32 v11, 2, v10
	s_nop 0
	v_cndmask_b32_e32 v74, 0, v74, vcc
	v_cmp_gt_u32_e32 vcc, s3, v11
	v_or_b32_e32 v11, 3, v10
	s_nop 0
	;; [unrolled: 4-line block ×28, first 2 shown]
	v_cndmask_b32_e32 v41, 0, v41, vcc
	v_cmp_gt_u32_e32 vcc, s3, v11
	v_or_b32_e32 v11, 30, v10
	v_or_b32_e32 v10, 31, v10
	v_cndmask_b32_e32 v39, 0, v39, vcc
	v_cmp_gt_u32_e32 vcc, s3, v11
	s_nop 1
	v_cndmask_b32_e32 v36, 0, v36, vcc
	v_cmp_gt_u32_e32 vcc, s3, v10
	s_nop 1
	v_cndmask_b32_e32 v34, 0, v34, vcc
.LBB204_91:
	v_and_b32_e32 v116, 0xff, v41
	v_and_b32_e32 v117, 0xff, v39
	v_add_u32_sdwa v10, v36, v34 dst_sel:DWORD dst_unused:UNUSED_PAD src0_sel:BYTE_0 src1_sel:BYTE_0
	v_and_b32_e32 v114, 0xff, v46
	v_and_b32_e32 v115, 0xff, v44
	v_add3_u32 v10, v10, v117, v116
	v_and_b32_e32 v112, 0xff, v51
	v_and_b32_e32 v113, 0xff, v49
	v_add3_u32 v10, v10, v115, v114
	;; [unrolled: 3-line block ×14, first 2 shown]
	v_add3_u32 v90, v10, v77, v76
	v_mbcnt_lo_u32_b32 v10, -1, 0
	v_mbcnt_hi_u32_b32 v88, -1, v10
	v_and_b32_e32 v10, 15, v88
	v_cmp_eq_u32_e64 s[14:15], 0, v10
	v_cmp_lt_u32_e64 s[12:13], 1, v10
	v_cmp_lt_u32_e64 s[10:11], 3, v10
	;; [unrolled: 1-line block ×3, first 2 shown]
	v_and_b32_e32 v10, 16, v88
	v_cmp_eq_u32_e64 s[6:7], 0, v10
	v_or_b32_e32 v10, 63, v0
	v_cmp_lt_u32_e64 s[18:19], 31, v88
	v_lshrrev_b32_e32 v89, 6, v0
	v_cmp_eq_u32_e64 s[4:5], v10, v0
	s_and_b64 vcc, exec, s[16:17]
	s_waitcnt lgkmcnt(0)
	s_barrier
	s_cbranch_vccz .LBB204_118
; %bb.92:
	v_mov_b32_dpp v10, v90 row_shr:1 row_mask:0xf bank_mask:0xf
	v_cndmask_b32_e64 v10, v10, 0, s[14:15]
	v_add_u32_e32 v10, v10, v90
	s_waitcnt vmcnt(0)
	s_nop 0
	v_mov_b32_dpp v11, v10 row_shr:2 row_mask:0xf bank_mask:0xf
	v_cndmask_b32_e64 v11, 0, v11, s[12:13]
	v_add_u32_e32 v10, v10, v11
	s_nop 1
	v_mov_b32_dpp v11, v10 row_shr:4 row_mask:0xf bank_mask:0xf
	v_cndmask_b32_e64 v11, 0, v11, s[10:11]
	v_add_u32_e32 v10, v10, v11
	;; [unrolled: 4-line block ×3, first 2 shown]
	s_nop 1
	v_mov_b32_dpp v11, v10 row_bcast:15 row_mask:0xf bank_mask:0xf
	v_cndmask_b32_e64 v11, v11, 0, s[6:7]
	v_add_u32_e32 v10, v10, v11
	s_nop 1
	v_mov_b32_dpp v11, v10 row_bcast:31 row_mask:0xf bank_mask:0xf
	v_cndmask_b32_e64 v11, 0, v11, s[18:19]
	v_add_u32_e32 v10, v10, v11
	s_and_saveexec_b64 s[16:17], s[4:5]
	s_cbranch_execz .LBB204_94
; %bb.93:
	v_lshlrev_b32_e32 v11, 2, v89
	ds_write_b32 v11, v10
.LBB204_94:
	s_or_b64 exec, exec, s[16:17]
	v_cmp_gt_u32_e32 vcc, 8, v0
	s_waitcnt lgkmcnt(0)
	s_barrier
	s_and_saveexec_b64 s[16:17], vcc
	s_cbranch_execz .LBB204_96
; %bb.95:
	v_lshlrev_b32_e32 v11, 2, v0
	ds_read_b32 v12, v11
	v_and_b32_e32 v13, 7, v88
	v_cmp_ne_u32_e32 vcc, 0, v13
	s_waitcnt lgkmcnt(0)
	v_mov_b32_dpp v14, v12 row_shr:1 row_mask:0xf bank_mask:0xf
	v_cndmask_b32_e32 v14, 0, v14, vcc
	v_add_u32_e32 v12, v14, v12
	v_cmp_lt_u32_e32 vcc, 1, v13
	s_nop 0
	v_mov_b32_dpp v14, v12 row_shr:2 row_mask:0xf bank_mask:0xf
	v_cndmask_b32_e32 v14, 0, v14, vcc
	v_add_u32_e32 v12, v12, v14
	v_cmp_lt_u32_e32 vcc, 3, v13
	s_nop 0
	v_mov_b32_dpp v14, v12 row_shr:4 row_mask:0xf bank_mask:0xf
	v_cndmask_b32_e32 v13, 0, v14, vcc
	v_add_u32_e32 v12, v12, v13
	ds_write_b32 v11, v12
.LBB204_96:
	s_or_b64 exec, exec, s[16:17]
	v_cmp_gt_u32_e32 vcc, 64, v0
	v_cmp_lt_u32_e64 s[16:17], 63, v0
	s_waitcnt lgkmcnt(0)
	s_barrier
	s_waitcnt lgkmcnt(0)
                                        ; implicit-def: $vgpr91
	s_and_saveexec_b64 s[30:31], s[16:17]
	s_cbranch_execz .LBB204_98
; %bb.97:
	v_lshl_add_u32 v11, v89, 2, -4
	ds_read_b32 v91, v11
	s_waitcnt lgkmcnt(0)
	v_add_u32_e32 v10, v91, v10
.LBB204_98:
	s_or_b64 exec, exec, s[30:31]
	v_add_u32_e32 v11, -1, v88
	v_and_b32_e32 v12, 64, v88
	v_cmp_lt_i32_e64 s[16:17], v11, v12
	s_nop 1
	v_cndmask_b32_e64 v11, v11, v88, s[16:17]
	v_lshlrev_b32_e32 v11, 2, v11
	ds_bpermute_b32 v92, v11, v10
	v_cmp_eq_u32_e64 s[16:17], 0, v88
	s_and_saveexec_b64 s[30:31], vcc
	s_cbranch_execz .LBB204_117
; %bb.99:
	v_mov_b32_e32 v17, 0
	ds_read_b32 v10, v17 offset:28
	s_and_saveexec_b64 s[34:35], s[16:17]
	s_cbranch_execz .LBB204_101
; %bb.100:
	s_add_i32 s36, s2, 64
	s_mov_b32 s37, 0
	s_lshl_b64 s[36:37], s[36:37], 3
	s_add_u32 s36, s28, s36
	v_mov_b32_e32 v11, 1
	s_addc_u32 s37, s29, s37
	s_waitcnt lgkmcnt(0)
	global_store_dwordx2 v17, v[10:11], s[36:37] sc1
.LBB204_101:
	s_or_b64 exec, exec, s[34:35]
	v_xad_u32 v12, v88, -1, s2
	v_add_u32_e32 v16, 64, v12
	v_lshl_add_u64 v[18:19], v[16:17], 3, s[28:29]
	global_load_dwordx2 v[14:15], v[18:19], off sc1
	s_waitcnt vmcnt(0)
	v_cmp_eq_u16_sdwa s[36:37], v15, v17 src0_sel:BYTE_0 src1_sel:DWORD
	s_and_saveexec_b64 s[34:35], s[36:37]
	s_cbranch_execz .LBB204_105
; %bb.102:
	s_mov_b64 s[36:37], 0
	v_mov_b32_e32 v11, 0
.LBB204_103:                            ; =>This Inner Loop Header: Depth=1
	global_load_dwordx2 v[14:15], v[18:19], off sc1
	s_waitcnt vmcnt(0)
	v_cmp_ne_u16_sdwa s[38:39], v15, v11 src0_sel:BYTE_0 src1_sel:DWORD
	s_or_b64 s[36:37], s[38:39], s[36:37]
	s_andn2_b64 exec, exec, s[36:37]
	s_cbranch_execnz .LBB204_103
; %bb.104:
	s_or_b64 exec, exec, s[36:37]
.LBB204_105:
	s_or_b64 exec, exec, s[34:35]
	v_and_b32_e32 v94, 63, v88
	v_mov_b32_e32 v93, 2
	v_cmp_ne_u32_e32 vcc, 63, v94
	v_cmp_eq_u16_sdwa s[34:35], v15, v93 src0_sel:BYTE_0 src1_sel:DWORD
	v_lshlrev_b64 v[16:17], v88, -1
	v_addc_co_u32_e32 v18, vcc, 0, v88, vcc
	v_and_b32_e32 v11, s35, v17
	v_lshlrev_b32_e32 v95, 2, v18
	v_or_b32_e32 v11, 0x80000000, v11
	ds_bpermute_b32 v18, v95, v14
	v_and_b32_e32 v13, s34, v16
	v_ffbl_b32_e32 v11, v11
	v_add_u32_e32 v11, 32, v11
	v_ffbl_b32_e32 v13, v13
	v_min_u32_e32 v11, v13, v11
	v_cmp_lt_u32_e32 vcc, v94, v11
	v_add_u32_e32 v97, 2, v94
	v_add_u32_e32 v99, 4, v94
	s_waitcnt lgkmcnt(0)
	v_cndmask_b32_e32 v13, 0, v18, vcc
	v_cmp_gt_u32_e32 vcc, 62, v94
	v_add_u32_e32 v13, v13, v14
	v_add_u32_e32 v119, 8, v94
	v_cndmask_b32_e64 v14, 0, 1, vcc
	v_lshlrev_b32_e32 v14, 1, v14
	v_add_lshl_u32 v96, v14, v88, 2
	ds_bpermute_b32 v14, v96, v13
	v_cmp_le_u32_e32 vcc, v97, v11
	v_add_u32_e32 v121, 16, v94
	v_add_u32_e32 v123, 32, v94
	s_waitcnt lgkmcnt(0)
	v_cndmask_b32_e32 v14, 0, v14, vcc
	v_cmp_gt_u32_e32 vcc, 60, v94
	v_add_u32_e32 v13, v13, v14
	s_nop 0
	v_cndmask_b32_e64 v14, 0, 1, vcc
	v_lshlrev_b32_e32 v14, 2, v14
	v_add_lshl_u32 v98, v14, v88, 2
	ds_bpermute_b32 v14, v98, v13
	v_cmp_le_u32_e32 vcc, v99, v11
	s_waitcnt lgkmcnt(0)
	s_nop 0
	v_cndmask_b32_e32 v14, 0, v14, vcc
	v_cmp_gt_u32_e32 vcc, 56, v94
	v_add_u32_e32 v13, v13, v14
	s_nop 0
	v_cndmask_b32_e64 v14, 0, 1, vcc
	v_lshlrev_b32_e32 v14, 3, v14
	v_add_lshl_u32 v118, v14, v88, 2
	ds_bpermute_b32 v14, v118, v13
	v_cmp_le_u32_e32 vcc, v119, v11
	s_waitcnt lgkmcnt(0)
	s_nop 0
	;; [unrolled: 11-line block ×4, first 2 shown]
	v_cndmask_b32_e32 v11, 0, v14, vcc
	v_add_u32_e32 v14, v13, v11
	v_mov_b32_e32 v13, 0
	s_branch .LBB204_107
.LBB204_106:                            ;   in Loop: Header=BB204_107 Depth=1
	s_or_b64 exec, exec, s[34:35]
	v_cmp_eq_u16_sdwa s[34:35], v15, v93 src0_sel:BYTE_0 src1_sel:DWORD
	ds_bpermute_b32 v124, v95, v14
	v_subrev_u32_e32 v12, 64, v12
	v_and_b32_e32 v18, s35, v17
	v_or_b32_e32 v18, 0x80000000, v18
	v_and_b32_e32 v19, s34, v16
	v_ffbl_b32_e32 v18, v18
	v_add_u32_e32 v18, 32, v18
	v_ffbl_b32_e32 v19, v19
	v_min_u32_e32 v18, v19, v18
	v_cmp_lt_u32_e32 vcc, v94, v18
	s_waitcnt lgkmcnt(0)
	s_nop 0
	v_cndmask_b32_e32 v19, 0, v124, vcc
	v_add_u32_e32 v14, v19, v14
	ds_bpermute_b32 v19, v96, v14
	v_cmp_le_u32_e32 vcc, v97, v18
	s_waitcnt lgkmcnt(0)
	s_nop 0
	v_cndmask_b32_e32 v19, 0, v19, vcc
	v_add_u32_e32 v14, v14, v19
	ds_bpermute_b32 v19, v98, v14
	v_cmp_le_u32_e32 vcc, v99, v18
	;; [unrolled: 6-line block ×5, first 2 shown]
	s_waitcnt lgkmcnt(0)
	s_nop 0
	v_cndmask_b32_e32 v18, 0, v19, vcc
	v_add3_u32 v14, v18, v11, v14
.LBB204_107:                            ; =>This Loop Header: Depth=1
                                        ;     Child Loop BB204_110 Depth 2
	v_cmp_ne_u16_sdwa s[34:35], v15, v93 src0_sel:BYTE_0 src1_sel:DWORD
	s_nop 1
	v_cndmask_b32_e64 v11, 0, 1, s[34:35]
	;;#ASMSTART
	;;#ASMEND
	s_nop 0
	v_cmp_ne_u32_e32 vcc, 0, v11
	s_cmp_lg_u64 vcc, exec
	v_mov_b32_e32 v11, v14
	s_cbranch_scc1 .LBB204_112
; %bb.108:                              ;   in Loop: Header=BB204_107 Depth=1
	v_lshl_add_u64 v[18:19], v[12:13], 3, s[28:29]
	global_load_dwordx2 v[14:15], v[18:19], off sc1
	s_waitcnt vmcnt(0)
	v_cmp_eq_u16_sdwa s[36:37], v15, v13 src0_sel:BYTE_0 src1_sel:DWORD
	s_and_saveexec_b64 s[34:35], s[36:37]
	s_cbranch_execz .LBB204_106
; %bb.109:                              ;   in Loop: Header=BB204_107 Depth=1
	s_mov_b64 s[36:37], 0
.LBB204_110:                            ;   Parent Loop BB204_107 Depth=1
                                        ; =>  This Inner Loop Header: Depth=2
	global_load_dwordx2 v[14:15], v[18:19], off sc1
	s_waitcnt vmcnt(0)
	v_cmp_ne_u16_sdwa s[38:39], v15, v13 src0_sel:BYTE_0 src1_sel:DWORD
	s_or_b64 s[36:37], s[38:39], s[36:37]
	s_andn2_b64 exec, exec, s[36:37]
	s_cbranch_execnz .LBB204_110
; %bb.111:                              ;   in Loop: Header=BB204_107 Depth=1
	s_or_b64 exec, exec, s[36:37]
	s_branch .LBB204_106
.LBB204_112:                            ;   in Loop: Header=BB204_107 Depth=1
                                        ; implicit-def: $vgpr14
                                        ; implicit-def: $vgpr15
	s_cbranch_execz .LBB204_107
; %bb.113:
	s_and_saveexec_b64 s[34:35], s[16:17]
	s_cbranch_execz .LBB204_115
; %bb.114:
	s_add_i32 s2, s2, 64
	s_mov_b32 s3, 0
	s_lshl_b64 s[2:3], s[2:3], 3
	s_add_u32 s2, s28, s2
	v_add_u32_e32 v12, v11, v10
	v_mov_b32_e32 v13, 2
	s_addc_u32 s3, s29, s3
	v_mov_b32_e32 v14, 0
	global_store_dwordx2 v14, v[12:13], s[2:3] sc1
	ds_write_b64 v14, v[10:11] offset:16896
.LBB204_115:
	s_or_b64 exec, exec, s[34:35]
	v_cmp_eq_u32_e32 vcc, 0, v0
	s_and_b64 exec, exec, vcc
	s_cbranch_execz .LBB204_117
; %bb.116:
	v_mov_b32_e32 v10, 0
	ds_write_b32 v10, v11 offset:28
.LBB204_117:
	s_or_b64 exec, exec, s[30:31]
	v_mov_b32_e32 v11, 0
	s_waitcnt lgkmcnt(0)
	s_barrier
	ds_read_b32 v12, v11 offset:28
	s_waitcnt lgkmcnt(0)
	s_barrier
	ds_read_b64 v[16:17], v11 offset:16896
	v_cndmask_b32_e64 v10, v92, v91, s[16:17]
	v_cmp_ne_u32_e32 vcc, 0, v0
	s_waitcnt lgkmcnt(0)
	v_mov_b32_e32 v18, v17
	v_cndmask_b32_e32 v10, 0, v10, vcc
	v_add_u32_e32 v96, v12, v10
	s_load_dwordx2 s[2:3], s[0:1], 0x28
	s_branch .LBB204_128
.LBB204_118:
                                        ; implicit-def: $vgpr18
                                        ; implicit-def: $vgpr16
                                        ; implicit-def: $vgpr96
	s_load_dwordx2 s[2:3], s[0:1], 0x28
	s_cbranch_execz .LBB204_128
; %bb.119:
	v_mov_b32_dpp v10, v90 row_shr:1 row_mask:0xf bank_mask:0xf
	v_cndmask_b32_e64 v10, v10, 0, s[14:15]
	v_add_u32_e32 v10, v10, v90
	s_waitcnt vmcnt(0)
	s_nop 0
	v_mov_b32_dpp v11, v10 row_shr:2 row_mask:0xf bank_mask:0xf
	v_cndmask_b32_e64 v11, 0, v11, s[12:13]
	v_add_u32_e32 v10, v10, v11
	s_nop 1
	v_mov_b32_dpp v11, v10 row_shr:4 row_mask:0xf bank_mask:0xf
	v_cndmask_b32_e64 v11, 0, v11, s[10:11]
	v_add_u32_e32 v10, v10, v11
	;; [unrolled: 4-line block ×3, first 2 shown]
	s_nop 1
	v_mov_b32_dpp v11, v10 row_bcast:15 row_mask:0xf bank_mask:0xf
	v_cndmask_b32_e64 v11, v11, 0, s[6:7]
	v_add_u32_e32 v10, v10, v11
	s_nop 1
	v_mov_b32_dpp v11, v10 row_bcast:31 row_mask:0xf bank_mask:0xf
	v_cndmask_b32_e64 v11, 0, v11, s[18:19]
	v_add_u32_e32 v10, v10, v11
	s_and_saveexec_b64 s[0:1], s[4:5]
	s_cbranch_execz .LBB204_121
; %bb.120:
	v_lshlrev_b32_e32 v11, 2, v89
	ds_write_b32 v11, v10
.LBB204_121:
	s_or_b64 exec, exec, s[0:1]
	v_cmp_gt_u32_e32 vcc, 8, v0
	s_waitcnt lgkmcnt(0)
	s_barrier
	s_and_saveexec_b64 s[0:1], vcc
	s_cbranch_execz .LBB204_123
; %bb.122:
	v_lshlrev_b32_e32 v11, 2, v0
	ds_read_b32 v12, v11
	v_and_b32_e32 v13, 7, v88
	v_cmp_ne_u32_e32 vcc, 0, v13
	s_waitcnt lgkmcnt(0)
	v_mov_b32_dpp v14, v12 row_shr:1 row_mask:0xf bank_mask:0xf
	v_cndmask_b32_e32 v14, 0, v14, vcc
	v_add_u32_e32 v12, v14, v12
	v_cmp_lt_u32_e32 vcc, 1, v13
	s_nop 0
	v_mov_b32_dpp v14, v12 row_shr:2 row_mask:0xf bank_mask:0xf
	v_cndmask_b32_e32 v14, 0, v14, vcc
	v_add_u32_e32 v12, v12, v14
	v_cmp_lt_u32_e32 vcc, 3, v13
	s_nop 0
	v_mov_b32_dpp v14, v12 row_shr:4 row_mask:0xf bank_mask:0xf
	v_cndmask_b32_e32 v13, 0, v14, vcc
	v_add_u32_e32 v12, v12, v13
	ds_write_b32 v11, v12
.LBB204_123:
	s_or_b64 exec, exec, s[0:1]
	v_cmp_lt_u32_e32 vcc, 63, v0
	v_mov_b32_e32 v12, 0
	v_mov_b32_e32 v11, 0
	s_waitcnt lgkmcnt(0)
	s_barrier
	s_and_saveexec_b64 s[0:1], vcc
	s_cbranch_execz .LBB204_125
; %bb.124:
	v_lshl_add_u32 v11, v89, 2, -4
	ds_read_b32 v11, v11
.LBB204_125:
	s_or_b64 exec, exec, s[0:1]
	v_add_u32_e32 v13, -1, v88
	v_and_b32_e32 v14, 64, v88
	v_cmp_lt_i32_e32 vcc, v13, v14
	s_waitcnt lgkmcnt(0)
	v_add_u32_e32 v10, v11, v10
	ds_read_b32 v16, v12 offset:28
	v_cndmask_b32_e32 v13, v13, v88, vcc
	v_lshlrev_b32_e32 v13, 2, v13
	ds_bpermute_b32 v10, v13, v10
	v_cmp_eq_u32_e32 vcc, 0, v0
	s_and_saveexec_b64 s[0:1], vcc
	s_cbranch_execz .LBB204_127
; %bb.126:
	v_mov_b32_e32 v12, 0
	v_mov_b32_e32 v17, 2
	s_waitcnt lgkmcnt(1)
	global_store_dwordx2 v12, v[16:17], s[28:29] offset:512 sc1
.LBB204_127:
	s_or_b64 exec, exec, s[0:1]
	v_cmp_eq_u32_e64 s[0:1], 0, v88
	v_mov_b32_e32 v18, 0
	s_waitcnt lgkmcnt(0)
	v_cndmask_b32_e64 v10, v10, v11, s[0:1]
	v_cndmask_b32_e64 v96, v10, 0, vcc
	s_barrier
.LBB204_128:
	v_add_u32_e32 v99, v96, v76
	v_add_u32_e32 v98, v99, v77
	;; [unrolled: 1-line block ×29, first 2 shown]
	s_movk_i32 s0, 0x201
	s_waitcnt vmcnt(0)
	v_add_u32_e32 v11, v12, v117
	v_cmp_gt_u32_e32 vcc, s0, v16
	v_add_u32_sdwa v10, v11, v36 dst_sel:DWORD dst_unused:UNUSED_PAD src0_sel:DWORD src1_sel:BYTE_0
	s_mov_b64 s[0:1], -1
	s_cbranch_vccnz .LBB204_132
; %bb.129:
	s_and_b64 vcc, exec, s[0:1]
	s_cbranch_vccnz .LBB204_229
.LBB204_130:
	v_cmp_eq_u32_e32 vcc, 0, v0
	s_and_b64 s[0:1], vcc, s[24:25]
	s_waitcnt lgkmcnt(0)
	s_and_saveexec_b64 s[2:3], s[0:1]
	s_cbranch_execnz .LBB204_306
.LBB204_131:
	s_endpgm
.LBB204_132:
	v_add_u32_e32 v100, v18, v16
	v_cmp_lt_u32_e32 vcc, v96, v100
	s_or_b64 s[4:5], s[26:27], vcc
	s_and_saveexec_b64 s[0:1], s[4:5]
	s_cbranch_execz .LBB204_135
; %bb.133:
	v_and_b32_e32 v101, 1, v75
	v_cmp_eq_u32_e32 vcc, 1, v101
	s_and_b64 exec, exec, vcc
	s_cbranch_execz .LBB204_135
; %bb.134:
	s_waitcnt lgkmcnt(0)
	s_add_u32 s4, s2, s22
	s_addc_u32 s5, s3, s23
	global_store_byte v96, v8, s[4:5]
.LBB204_135:
	s_or_b64 exec, exec, s[0:1]
	v_cmp_lt_u32_e32 vcc, v99, v100
	s_or_b64 s[4:5], s[26:27], vcc
	s_and_saveexec_b64 s[0:1], s[4:5]
	s_cbranch_execz .LBB204_138
; %bb.136:
	v_and_b32_e32 v101, 1, v74
	v_cmp_eq_u32_e32 vcc, 1, v101
	s_and_b64 exec, exec, vcc
	s_cbranch_execz .LBB204_138
; %bb.137:
	s_waitcnt lgkmcnt(0)
	s_add_u32 s4, s2, s22
	s_addc_u32 s5, s3, s23
	global_store_byte v99, v50, s[4:5]
.LBB204_138:
	s_or_b64 exec, exec, s[0:1]
	v_cmp_lt_u32_e32 vcc, v98, v100
	s_or_b64 s[4:5], s[26:27], vcc
	s_and_saveexec_b64 s[0:1], s[4:5]
	s_cbranch_execz .LBB204_141
; %bb.139:
	v_and_b32_e32 v101, 1, v73
	v_cmp_eq_u32_e32 vcc, 1, v101
	s_and_b64 exec, exec, vcc
	s_cbranch_execz .LBB204_141
; %bb.140:
	s_waitcnt lgkmcnt(0)
	s_add_u32 s4, s2, s22
	s_addc_u32 s5, s3, s23
	global_store_byte v98, v48, s[4:5]
.LBB204_141:
	s_or_b64 exec, exec, s[0:1]
	v_cmp_lt_u32_e32 vcc, v97, v100
	s_or_b64 s[4:5], s[26:27], vcc
	s_and_saveexec_b64 s[0:1], s[4:5]
	s_cbranch_execz .LBB204_144
; %bb.142:
	v_and_b32_e32 v101, 1, v72
	v_cmp_eq_u32_e32 vcc, 1, v101
	s_and_b64 exec, exec, vcc
	s_cbranch_execz .LBB204_144
; %bb.143:
	s_waitcnt lgkmcnt(0)
	s_add_u32 s4, s2, s22
	s_addc_u32 s5, s3, s23
	global_store_byte v97, v47, s[4:5]
.LBB204_144:
	s_or_b64 exec, exec, s[0:1]
	v_cmp_lt_u32_e32 vcc, v95, v100
	s_or_b64 s[4:5], s[26:27], vcc
	s_and_saveexec_b64 s[0:1], s[4:5]
	s_cbranch_execz .LBB204_147
; %bb.145:
	v_and_b32_e32 v101, 1, v71
	v_cmp_eq_u32_e32 vcc, 1, v101
	s_and_b64 exec, exec, vcc
	s_cbranch_execz .LBB204_147
; %bb.146:
	s_waitcnt lgkmcnt(0)
	s_add_u32 s4, s2, s22
	s_addc_u32 s5, s3, s23
	global_store_byte v95, v9, s[4:5]
.LBB204_147:
	s_or_b64 exec, exec, s[0:1]
	v_cmp_lt_u32_e32 vcc, v94, v100
	s_or_b64 s[4:5], s[26:27], vcc
	s_and_saveexec_b64 s[0:1], s[4:5]
	s_cbranch_execz .LBB204_150
; %bb.148:
	v_and_b32_e32 v101, 1, v70
	v_cmp_eq_u32_e32 vcc, 1, v101
	s_and_b64 exec, exec, vcc
	s_cbranch_execz .LBB204_150
; %bb.149:
	s_waitcnt lgkmcnt(0)
	s_add_u32 s4, s2, s22
	s_addc_u32 s5, s3, s23
	global_store_byte v94, v45, s[4:5]
.LBB204_150:
	s_or_b64 exec, exec, s[0:1]
	v_cmp_lt_u32_e32 vcc, v93, v100
	s_or_b64 s[4:5], s[26:27], vcc
	s_and_saveexec_b64 s[0:1], s[4:5]
	s_cbranch_execz .LBB204_153
; %bb.151:
	v_and_b32_e32 v101, 1, v69
	v_cmp_eq_u32_e32 vcc, 1, v101
	s_and_b64 exec, exec, vcc
	s_cbranch_execz .LBB204_153
; %bb.152:
	s_waitcnt lgkmcnt(0)
	s_add_u32 s4, s2, s22
	s_addc_u32 s5, s3, s23
	global_store_byte v93, v43, s[4:5]
.LBB204_153:
	s_or_b64 exec, exec, s[0:1]
	v_cmp_lt_u32_e32 vcc, v92, v100
	s_or_b64 s[4:5], s[26:27], vcc
	s_and_saveexec_b64 s[0:1], s[4:5]
	s_cbranch_execz .LBB204_156
; %bb.154:
	v_and_b32_e32 v101, 1, v68
	v_cmp_eq_u32_e32 vcc, 1, v101
	s_and_b64 exec, exec, vcc
	s_cbranch_execz .LBB204_156
; %bb.155:
	s_waitcnt lgkmcnt(0)
	s_add_u32 s4, s2, s22
	s_addc_u32 s5, s3, s23
	global_store_byte v92, v42, s[4:5]
.LBB204_156:
	s_or_b64 exec, exec, s[0:1]
	v_cmp_lt_u32_e32 vcc, v91, v100
	s_or_b64 s[4:5], s[26:27], vcc
	s_and_saveexec_b64 s[0:1], s[4:5]
	s_cbranch_execz .LBB204_159
; %bb.157:
	v_and_b32_e32 v101, 1, v67
	v_cmp_eq_u32_e32 vcc, 1, v101
	s_and_b64 exec, exec, vcc
	s_cbranch_execz .LBB204_159
; %bb.158:
	s_waitcnt lgkmcnt(0)
	s_add_u32 s4, s2, s22
	s_addc_u32 s5, s3, s23
	global_store_byte v91, v6, s[4:5]
.LBB204_159:
	s_or_b64 exec, exec, s[0:1]
	v_cmp_lt_u32_e32 vcc, v90, v100
	s_or_b64 s[4:5], s[26:27], vcc
	s_and_saveexec_b64 s[0:1], s[4:5]
	s_cbranch_execz .LBB204_162
; %bb.160:
	v_and_b32_e32 v101, 1, v66
	v_cmp_eq_u32_e32 vcc, 1, v101
	s_and_b64 exec, exec, vcc
	s_cbranch_execz .LBB204_162
; %bb.161:
	s_waitcnt lgkmcnt(0)
	s_add_u32 s4, s2, s22
	s_addc_u32 s5, s3, s23
	global_store_byte v90, v40, s[4:5]
.LBB204_162:
	s_or_b64 exec, exec, s[0:1]
	v_cmp_lt_u32_e32 vcc, v89, v100
	s_or_b64 s[4:5], s[26:27], vcc
	s_and_saveexec_b64 s[0:1], s[4:5]
	s_cbranch_execz .LBB204_165
; %bb.163:
	v_and_b32_e32 v101, 1, v65
	v_cmp_eq_u32_e32 vcc, 1, v101
	s_and_b64 exec, exec, vcc
	s_cbranch_execz .LBB204_165
; %bb.164:
	s_waitcnt lgkmcnt(0)
	s_add_u32 s4, s2, s22
	s_addc_u32 s5, s3, s23
	global_store_byte v89, v38, s[4:5]
.LBB204_165:
	s_or_b64 exec, exec, s[0:1]
	v_cmp_lt_u32_e32 vcc, v88, v100
	s_or_b64 s[4:5], s[26:27], vcc
	s_and_saveexec_b64 s[0:1], s[4:5]
	s_cbranch_execz .LBB204_168
; %bb.166:
	v_and_b32_e32 v101, 1, v64
	v_cmp_eq_u32_e32 vcc, 1, v101
	s_and_b64 exec, exec, vcc
	s_cbranch_execz .LBB204_168
; %bb.167:
	s_waitcnt lgkmcnt(0)
	s_add_u32 s4, s2, s22
	s_addc_u32 s5, s3, s23
	global_store_byte v88, v37, s[4:5]
.LBB204_168:
	s_or_b64 exec, exec, s[0:1]
	v_cmp_lt_u32_e32 vcc, v87, v100
	s_or_b64 s[4:5], s[26:27], vcc
	s_and_saveexec_b64 s[0:1], s[4:5]
	s_cbranch_execz .LBB204_171
; %bb.169:
	v_and_b32_e32 v101, 1, v63
	v_cmp_eq_u32_e32 vcc, 1, v101
	s_and_b64 exec, exec, vcc
	s_cbranch_execz .LBB204_171
; %bb.170:
	s_waitcnt lgkmcnt(0)
	s_add_u32 s4, s2, s22
	s_addc_u32 s5, s3, s23
	global_store_byte v87, v7, s[4:5]
.LBB204_171:
	s_or_b64 exec, exec, s[0:1]
	v_cmp_lt_u32_e32 vcc, v86, v100
	s_or_b64 s[4:5], s[26:27], vcc
	s_and_saveexec_b64 s[0:1], s[4:5]
	s_cbranch_execz .LBB204_174
; %bb.172:
	v_and_b32_e32 v101, 1, v62
	v_cmp_eq_u32_e32 vcc, 1, v101
	s_and_b64 exec, exec, vcc
	s_cbranch_execz .LBB204_174
; %bb.173:
	s_waitcnt lgkmcnt(0)
	s_add_u32 s4, s2, s22
	s_addc_u32 s5, s3, s23
	global_store_byte v86, v35, s[4:5]
.LBB204_174:
	s_or_b64 exec, exec, s[0:1]
	v_cmp_lt_u32_e32 vcc, v85, v100
	s_or_b64 s[4:5], s[26:27], vcc
	s_and_saveexec_b64 s[0:1], s[4:5]
	s_cbranch_execz .LBB204_177
; %bb.175:
	v_and_b32_e32 v101, 1, v61
	v_cmp_eq_u32_e32 vcc, 1, v101
	s_and_b64 exec, exec, vcc
	s_cbranch_execz .LBB204_177
; %bb.176:
	s_waitcnt lgkmcnt(0)
	s_add_u32 s4, s2, s22
	s_addc_u32 s5, s3, s23
	global_store_byte v85, v33, s[4:5]
.LBB204_177:
	s_or_b64 exec, exec, s[0:1]
	v_cmp_lt_u32_e32 vcc, v84, v100
	s_or_b64 s[4:5], s[26:27], vcc
	s_and_saveexec_b64 s[0:1], s[4:5]
	s_cbranch_execz .LBB204_180
; %bb.178:
	v_and_b32_e32 v101, 1, v60
	v_cmp_eq_u32_e32 vcc, 1, v101
	s_and_b64 exec, exec, vcc
	s_cbranch_execz .LBB204_180
; %bb.179:
	s_waitcnt lgkmcnt(0)
	s_add_u32 s4, s2, s22
	s_addc_u32 s5, s3, s23
	global_store_byte v84, v32, s[4:5]
.LBB204_180:
	s_or_b64 exec, exec, s[0:1]
	v_cmp_lt_u32_e32 vcc, v83, v100
	s_or_b64 s[4:5], s[26:27], vcc
	s_and_saveexec_b64 s[0:1], s[4:5]
	s_cbranch_execz .LBB204_183
; %bb.181:
	v_and_b32_e32 v101, 1, v59
	v_cmp_eq_u32_e32 vcc, 1, v101
	s_and_b64 exec, exec, vcc
	s_cbranch_execz .LBB204_183
; %bb.182:
	s_waitcnt lgkmcnt(0)
	s_add_u32 s4, s2, s22
	s_addc_u32 s5, s3, s23
	global_store_byte v83, v4, s[4:5]
.LBB204_183:
	s_or_b64 exec, exec, s[0:1]
	v_cmp_lt_u32_e32 vcc, v82, v100
	s_or_b64 s[4:5], s[26:27], vcc
	s_and_saveexec_b64 s[0:1], s[4:5]
	s_cbranch_execz .LBB204_186
; %bb.184:
	v_and_b32_e32 v101, 1, v58
	v_cmp_eq_u32_e32 vcc, 1, v101
	s_and_b64 exec, exec, vcc
	s_cbranch_execz .LBB204_186
; %bb.185:
	s_waitcnt lgkmcnt(0)
	s_add_u32 s4, s2, s22
	s_addc_u32 s5, s3, s23
	global_store_byte v82, v31, s[4:5]
.LBB204_186:
	s_or_b64 exec, exec, s[0:1]
	v_cmp_lt_u32_e32 vcc, v81, v100
	s_or_b64 s[4:5], s[26:27], vcc
	s_and_saveexec_b64 s[0:1], s[4:5]
	s_cbranch_execz .LBB204_189
; %bb.187:
	v_and_b32_e32 v101, 1, v57
	v_cmp_eq_u32_e32 vcc, 1, v101
	s_and_b64 exec, exec, vcc
	s_cbranch_execz .LBB204_189
; %bb.188:
	s_waitcnt lgkmcnt(0)
	s_add_u32 s4, s2, s22
	s_addc_u32 s5, s3, s23
	global_store_byte v81, v30, s[4:5]
.LBB204_189:
	s_or_b64 exec, exec, s[0:1]
	v_cmp_lt_u32_e32 vcc, v80, v100
	s_or_b64 s[4:5], s[26:27], vcc
	s_and_saveexec_b64 s[0:1], s[4:5]
	s_cbranch_execz .LBB204_192
; %bb.190:
	v_and_b32_e32 v101, 1, v56
	v_cmp_eq_u32_e32 vcc, 1, v101
	s_and_b64 exec, exec, vcc
	s_cbranch_execz .LBB204_192
; %bb.191:
	s_waitcnt lgkmcnt(0)
	s_add_u32 s4, s2, s22
	s_addc_u32 s5, s3, s23
	global_store_byte v80, v29, s[4:5]
.LBB204_192:
	s_or_b64 exec, exec, s[0:1]
	v_cmp_lt_u32_e32 vcc, v79, v100
	s_or_b64 s[4:5], s[26:27], vcc
	s_and_saveexec_b64 s[0:1], s[4:5]
	s_cbranch_execz .LBB204_195
; %bb.193:
	v_and_b32_e32 v101, 1, v55
	v_cmp_eq_u32_e32 vcc, 1, v101
	s_and_b64 exec, exec, vcc
	s_cbranch_execz .LBB204_195
; %bb.194:
	s_waitcnt lgkmcnt(0)
	s_add_u32 s4, s2, s22
	s_addc_u32 s5, s3, s23
	global_store_byte v79, v5, s[4:5]
.LBB204_195:
	s_or_b64 exec, exec, s[0:1]
	v_cmp_lt_u32_e32 vcc, v78, v100
	s_or_b64 s[4:5], s[26:27], vcc
	s_and_saveexec_b64 s[0:1], s[4:5]
	s_cbranch_execz .LBB204_198
; %bb.196:
	v_and_b32_e32 v101, 1, v54
	v_cmp_eq_u32_e32 vcc, 1, v101
	s_and_b64 exec, exec, vcc
	s_cbranch_execz .LBB204_198
; %bb.197:
	s_waitcnt lgkmcnt(0)
	s_add_u32 s4, s2, s22
	s_addc_u32 s5, s3, s23
	global_store_byte v78, v28, s[4:5]
.LBB204_198:
	s_or_b64 exec, exec, s[0:1]
	v_cmp_lt_u32_e32 vcc, v77, v100
	s_or_b64 s[4:5], s[26:27], vcc
	s_and_saveexec_b64 s[0:1], s[4:5]
	s_cbranch_execz .LBB204_201
; %bb.199:
	v_and_b32_e32 v101, 1, v53
	v_cmp_eq_u32_e32 vcc, 1, v101
	s_and_b64 exec, exec, vcc
	s_cbranch_execz .LBB204_201
; %bb.200:
	s_waitcnt lgkmcnt(0)
	s_add_u32 s4, s2, s22
	s_addc_u32 s5, s3, s23
	global_store_byte v77, v27, s[4:5]
.LBB204_201:
	s_or_b64 exec, exec, s[0:1]
	v_cmp_lt_u32_e32 vcc, v76, v100
	s_or_b64 s[4:5], s[26:27], vcc
	s_and_saveexec_b64 s[0:1], s[4:5]
	s_cbranch_execz .LBB204_204
; %bb.202:
	v_and_b32_e32 v101, 1, v52
	v_cmp_eq_u32_e32 vcc, 1, v101
	s_and_b64 exec, exec, vcc
	s_cbranch_execz .LBB204_204
; %bb.203:
	s_waitcnt lgkmcnt(0)
	s_add_u32 s4, s2, s22
	s_addc_u32 s5, s3, s23
	global_store_byte v76, v26, s[4:5]
.LBB204_204:
	s_or_b64 exec, exec, s[0:1]
	v_cmp_lt_u32_e32 vcc, v19, v100
	s_or_b64 s[4:5], s[26:27], vcc
	s_and_saveexec_b64 s[0:1], s[4:5]
	s_cbranch_execz .LBB204_207
; %bb.205:
	v_and_b32_e32 v101, 1, v51
	v_cmp_eq_u32_e32 vcc, 1, v101
	s_and_b64 exec, exec, vcc
	s_cbranch_execz .LBB204_207
; %bb.206:
	s_waitcnt lgkmcnt(0)
	s_add_u32 s4, s2, s22
	s_addc_u32 s5, s3, s23
	global_store_byte v19, v2, s[4:5]
.LBB204_207:
	s_or_b64 exec, exec, s[0:1]
	v_cmp_lt_u32_e32 vcc, v17, v100
	s_or_b64 s[4:5], s[26:27], vcc
	s_and_saveexec_b64 s[0:1], s[4:5]
	s_cbranch_execz .LBB204_210
; %bb.208:
	v_and_b32_e32 v101, 1, v49
	v_cmp_eq_u32_e32 vcc, 1, v101
	s_and_b64 exec, exec, vcc
	s_cbranch_execz .LBB204_210
; %bb.209:
	s_waitcnt lgkmcnt(0)
	s_add_u32 s4, s2, s22
	s_addc_u32 s5, s3, s23
	global_store_byte v17, v25, s[4:5]
.LBB204_210:
	s_or_b64 exec, exec, s[0:1]
	v_cmp_lt_u32_e32 vcc, v15, v100
	s_or_b64 s[4:5], s[26:27], vcc
	s_and_saveexec_b64 s[0:1], s[4:5]
	s_cbranch_execz .LBB204_213
; %bb.211:
	v_and_b32_e32 v101, 1, v46
	v_cmp_eq_u32_e32 vcc, 1, v101
	s_and_b64 exec, exec, vcc
	s_cbranch_execz .LBB204_213
; %bb.212:
	s_waitcnt lgkmcnt(0)
	s_add_u32 s4, s2, s22
	s_addc_u32 s5, s3, s23
	global_store_byte v15, v24, s[4:5]
.LBB204_213:
	s_or_b64 exec, exec, s[0:1]
	v_cmp_lt_u32_e32 vcc, v14, v100
	s_or_b64 s[4:5], s[26:27], vcc
	s_and_saveexec_b64 s[0:1], s[4:5]
	s_cbranch_execz .LBB204_216
; %bb.214:
	v_and_b32_e32 v101, 1, v44
	v_cmp_eq_u32_e32 vcc, 1, v101
	s_and_b64 exec, exec, vcc
	s_cbranch_execz .LBB204_216
; %bb.215:
	s_waitcnt lgkmcnt(0)
	s_add_u32 s4, s2, s22
	s_addc_u32 s5, s3, s23
	global_store_byte v14, v23, s[4:5]
.LBB204_216:
	s_or_b64 exec, exec, s[0:1]
	v_cmp_lt_u32_e32 vcc, v13, v100
	s_or_b64 s[4:5], s[26:27], vcc
	s_and_saveexec_b64 s[0:1], s[4:5]
	s_cbranch_execz .LBB204_219
; %bb.217:
	v_and_b32_e32 v101, 1, v41
	v_cmp_eq_u32_e32 vcc, 1, v101
	s_and_b64 exec, exec, vcc
	s_cbranch_execz .LBB204_219
; %bb.218:
	s_waitcnt lgkmcnt(0)
	s_add_u32 s4, s2, s22
	s_addc_u32 s5, s3, s23
	global_store_byte v13, v3, s[4:5]
.LBB204_219:
	s_or_b64 exec, exec, s[0:1]
	v_cmp_lt_u32_e32 vcc, v12, v100
	s_or_b64 s[4:5], s[26:27], vcc
	s_and_saveexec_b64 s[0:1], s[4:5]
	s_cbranch_execz .LBB204_222
; %bb.220:
	v_and_b32_e32 v101, 1, v39
	v_cmp_eq_u32_e32 vcc, 1, v101
	s_and_b64 exec, exec, vcc
	s_cbranch_execz .LBB204_222
; %bb.221:
	s_waitcnt lgkmcnt(0)
	s_add_u32 s4, s2, s22
	s_addc_u32 s5, s3, s23
	global_store_byte v12, v21, s[4:5]
.LBB204_222:
	s_or_b64 exec, exec, s[0:1]
	v_cmp_lt_u32_e32 vcc, v11, v100
	s_or_b64 s[4:5], s[26:27], vcc
	s_and_saveexec_b64 s[0:1], s[4:5]
	s_cbranch_execz .LBB204_225
; %bb.223:
	v_and_b32_e32 v101, 1, v36
	v_cmp_eq_u32_e32 vcc, 1, v101
	s_and_b64 exec, exec, vcc
	s_cbranch_execz .LBB204_225
; %bb.224:
	s_waitcnt lgkmcnt(0)
	s_add_u32 s4, s2, s22
	s_addc_u32 s5, s3, s23
	global_store_byte v11, v20, s[4:5]
.LBB204_225:
	s_or_b64 exec, exec, s[0:1]
	v_cmp_lt_u32_e32 vcc, v10, v100
	s_or_b64 s[4:5], s[26:27], vcc
	s_and_saveexec_b64 s[0:1], s[4:5]
	s_cbranch_execz .LBB204_228
; %bb.226:
	v_and_b32_e32 v100, 1, v34
	v_cmp_eq_u32_e32 vcc, 1, v100
	s_and_b64 exec, exec, vcc
	s_cbranch_execz .LBB204_228
; %bb.227:
	s_waitcnt lgkmcnt(0)
	s_add_u32 s4, s2, s22
	s_addc_u32 s5, s3, s23
	global_store_byte v10, v1, s[4:5]
.LBB204_228:
	s_or_b64 exec, exec, s[0:1]
	s_branch .LBB204_130
.LBB204_229:
	v_and_b32_e32 v75, 1, v75
	v_cmp_eq_u32_e32 vcc, 1, v75
	s_and_saveexec_b64 s[0:1], vcc
	s_cbranch_execz .LBB204_231
; %bb.230:
	v_sub_u32_e32 v75, v96, v18
	ds_write_b8 v75, v8
.LBB204_231:
	s_or_b64 exec, exec, s[0:1]
	v_and_b32_e32 v8, 1, v74
	v_cmp_eq_u32_e32 vcc, 1, v8
	s_and_saveexec_b64 s[0:1], vcc
	s_cbranch_execz .LBB204_233
; %bb.232:
	v_sub_u32_e32 v8, v99, v18
	ds_write_b8 v8, v50
.LBB204_233:
	s_or_b64 exec, exec, s[0:1]
	;; [unrolled: 9-line block ×32, first 2 shown]
	v_cmp_lt_u32_e32 vcc, v0, v16
	s_waitcnt lgkmcnt(0)
	s_barrier
	s_and_saveexec_b64 s[0:1], vcc
	s_cbranch_execz .LBB204_305
; %bb.294:
	v_mov_b32_e32 v19, 0
	v_lshl_add_u64 v[2:3], s[2:3], 0, v[18:19]
	v_xad_u32 v1, v0, -1, v16
	s_movk_i32 s2, 0xdff
	v_lshl_add_u64 v[20:21], v[2:3], 0, s[22:23]
	v_cmp_lt_u32_e32 vcc, s2, v1
	s_mov_b64 s[4:5], -1
	s_and_saveexec_b64 s[2:3], vcc
	s_cbranch_execz .LBB204_302
; %bb.295:
	v_lshrrev_b32_e32 v17, 9, v1
	v_or_b32_e32 v7, 0xe00, v0
	v_or_b32_e32 v6, 0xc00, v0
	;; [unrolled: 1-line block ×7, first 2 shown]
	v_add_u32_e32 v24, -7, v17
	v_mov_b64_e32 v[14:15], v[6:7]
	v_cmp_lt_u32_e32 vcc, 7, v24
	v_mov_b64_e32 v[12:13], v[4:5]
	v_mov_b64_e32 v[10:11], v[2:3]
	;; [unrolled: 1-line block ×3, first 2 shown]
	s_and_saveexec_b64 s[4:5], vcc
	s_cbranch_execz .LBB204_299
; %bb.296:
	v_lshrrev_b32_e32 v8, 3, v24
	v_add_u32_e32 v8, 1, v8
	v_and_b32_e32 v19, 0x3ffffffe, v8
	v_mov_b64_e32 v[14:15], v[6:7]
	s_mov_b32 s8, 0
	s_mov_b64 s[6:7], 0
	v_mov_b32_e32 v23, 0
	v_mov_b32_e32 v25, v0
	v_mov_b64_e32 v[12:13], v[4:5]
	v_mov_b64_e32 v[10:11], v[2:3]
	;; [unrolled: 1-line block ×3, first 2 shown]
.LBB204_297:                            ; =>This Inner Loop Header: Depth=1
	v_mov_b32_e32 v22, v8
	v_lshl_add_u64 v[34:35], v[20:21], 0, v[22:23]
	v_mov_b32_e32 v22, v9
	v_lshl_add_u64 v[36:37], v[20:21], 0, v[22:23]
	;; [unrolled: 2-line block ×3, first 2 shown]
	v_mov_b32_e32 v22, v11
	ds_read_u8 v44, v25
	ds_read_u8 v45, v25 offset:512
	ds_read_u8 v46, v25 offset:1024
	;; [unrolled: 1-line block ×7, first 2 shown]
	v_lshl_add_u64 v[40:41], v[20:21], 0, v[22:23]
	v_mov_b32_e32 v22, v12
	ds_read_u8 v52, v25 offset:4096
	ds_read_u8 v53, v25 offset:4608
	;; [unrolled: 1-line block ×8, first 2 shown]
	v_lshl_add_u64 v[42:43], v[20:21], 0, v[22:23]
	v_mov_b32_e32 v22, v13
	s_waitcnt lgkmcnt(14)
	global_store_byte v[34:35], v44, off
	global_store_byte v[36:37], v45, off
	s_waitcnt lgkmcnt(13)
	global_store_byte v[38:39], v46, off
	s_waitcnt lgkmcnt(12)
	global_store_byte v[40:41], v47, off
	v_lshl_add_u64 v[34:35], v[20:21], 0, v[22:23]
	v_mov_b32_e32 v22, v14
	v_add_u32_e32 v19, -2, v19
	v_lshl_add_u64 v[36:37], v[20:21], 0, v[22:23]
	v_mov_b32_e32 v22, v15
	s_add_i32 s8, s8, 16
	v_cmp_eq_u32_e32 vcc, 0, v19
	s_waitcnt lgkmcnt(11)
	global_store_byte v[42:43], v48, off
	s_waitcnt lgkmcnt(10)
	global_store_byte v[34:35], v49, off
	v_lshl_add_u64 v[34:35], v[20:21], 0, v[22:23]
	v_add_u32_e32 v22, 0x1000, v8
	v_add_u32_e32 v2, 0x1000, v15
	;; [unrolled: 1-line block ×8, first 2 shown]
	v_mov_b32_e32 v33, v23
	v_mov_b32_e32 v31, v23
	;; [unrolled: 1-line block ×7, first 2 shown]
	v_add_u32_e32 v25, 0x2000, v25
	v_add_u32_e32 v9, 0x2000, v9
	v_mov_b32_e32 v1, s8
	v_add_u32_e32 v10, 0x2000, v10
	s_or_b64 s[6:7], vcc, s[6:7]
	v_add_u32_e32 v11, 0x2000, v11
	v_add_u32_e32 v12, 0x2000, v12
	;; [unrolled: 1-line block ×5, first 2 shown]
	s_waitcnt lgkmcnt(9)
	global_store_byte v[36:37], v50, off
	v_add_u32_e32 v8, 0x2000, v8
	s_waitcnt lgkmcnt(8)
	global_store_byte v[34:35], v51, off
	v_lshl_add_u64 v[34:35], v[20:21], 0, v[22:23]
	v_lshl_add_u64 v[32:33], v[20:21], 0, v[32:33]
	;; [unrolled: 1-line block ×8, first 2 shown]
	s_waitcnt lgkmcnt(7)
	global_store_byte v[34:35], v52, off
	s_waitcnt lgkmcnt(6)
	global_store_byte v[32:33], v53, off
	;; [unrolled: 2-line block ×8, first 2 shown]
	s_andn2_b64 exec, exec, s[6:7]
	s_cbranch_execnz .LBB204_297
; %bb.298:
	s_or_b64 exec, exec, s[6:7]
	v_lshlrev_b32_e32 v19, 9, v1
.LBB204_299:
	s_or_b64 exec, exec, s[4:5]
	v_and_b32_e32 v1, 8, v24
	v_cmp_eq_u32_e32 vcc, 0, v1
	s_and_saveexec_b64 s[4:5], vcc
	s_cbranch_execz .LBB204_301
; %bb.300:
	v_mov_b32_e32 v3, 0
	v_mov_b32_e32 v2, v8
	v_lshl_add_u64 v[4:5], v[20:21], 0, v[2:3]
	v_mov_b32_e32 v2, v9
	v_or_b32_e32 v1, v0, v19
	v_lshl_add_u64 v[6:7], v[20:21], 0, v[2:3]
	v_mov_b32_e32 v2, v10
	ds_read_u8 v19, v1
	ds_read_u8 v26, v1 offset:512
	ds_read_u8 v27, v1 offset:1024
	;; [unrolled: 1-line block ×7, first 2 shown]
	v_lshl_add_u64 v[8:9], v[20:21], 0, v[2:3]
	v_mov_b32_e32 v2, v11
	v_lshl_add_u64 v[10:11], v[20:21], 0, v[2:3]
	v_mov_b32_e32 v2, v12
	v_lshl_add_u64 v[22:23], v[20:21], 0, v[2:3]
	v_mov_b32_e32 v2, v13
	v_lshl_add_u64 v[12:13], v[20:21], 0, v[2:3]
	v_mov_b32_e32 v2, v14
	v_lshl_add_u64 v[24:25], v[20:21], 0, v[2:3]
	v_mov_b32_e32 v2, v15
	v_lshl_add_u64 v[2:3], v[20:21], 0, v[2:3]
	s_waitcnt lgkmcnt(7)
	global_store_byte v[4:5], v19, off
	s_waitcnt lgkmcnt(6)
	global_store_byte v[6:7], v26, off
	;; [unrolled: 2-line block ×8, first 2 shown]
.LBB204_301:
	s_or_b64 exec, exec, s[4:5]
	v_add_u32_e32 v1, 1, v17
	v_and_b32_e32 v2, 0xfffff8, v1
	v_cmp_ne_u32_e32 vcc, v1, v2
	v_lshl_or_b32 v22, v2, 9, v0
	s_orn2_b64 s[4:5], vcc, exec
.LBB204_302:
	s_or_b64 exec, exec, s[2:3]
	s_and_b64 exec, exec, s[4:5]
	s_cbranch_execz .LBB204_305
; %bb.303:
	s_mov_b64 s[2:3], 0
.LBB204_304:                            ; =>This Inner Loop Header: Depth=1
	ds_read_u8 v1, v22
	v_readfirstlane_b32 s4, v20
	v_readfirstlane_b32 s5, v21
	s_waitcnt lgkmcnt(0)
	s_nop 3
	global_store_byte v22, v1, s[4:5]
	v_add_u32_e32 v22, 0x200, v22
	v_cmp_ge_u32_e32 vcc, v22, v16
	s_or_b64 s[2:3], vcc, s[2:3]
	s_andn2_b64 exec, exec, s[2:3]
	s_cbranch_execnz .LBB204_304
.LBB204_305:
	s_or_b64 exec, exec, s[0:1]
	v_cmp_eq_u32_e32 vcc, 0, v0
	s_and_b64 s[0:1], vcc, s[24:25]
	s_and_saveexec_b64 s[2:3], s[0:1]
	s_cbranch_execz .LBB204_131
.LBB204_306:
	v_mov_b32_e32 v17, 0
	v_lshl_add_u64 v[0:1], s[22:23], 0, v[16:17]
	v_mov_b32_e32 v19, v17
	v_lshl_add_u64 v[0:1], v[0:1], 0, v[18:19]
	global_store_dwordx2 v17, v[0:1], s[20:21]
	s_endpgm
.LBB204_307:
	s_or_b64 exec, exec, s[10:11]
	v_mov_b32_e32 v75, s12
	s_and_saveexec_b64 s[10:11], s[8:9]
	s_cbranch_execnz .LBB204_88
	s_branch .LBB204_89
	.section	.rodata,"a",@progbits
	.p2align	6, 0x0
	.amdhsa_kernel _ZN7rocprim17ROCPRIM_400000_NS6detail17trampoline_kernelINS0_14default_configENS1_25partition_config_selectorILNS1_17partition_subalgoE8EaNS0_10empty_typeEbEEZZNS1_14partition_implILS5_8ELb0ES3_jPKaPS6_PKS6_NS0_5tupleIJPaS6_EEENSE_IJSB_SB_EEENS0_18inequality_wrapperIN6hipcub16HIPCUB_304000_NS8EqualityEEEPlJS6_EEE10hipError_tPvRmT3_T4_T5_T6_T7_T9_mT8_P12ihipStream_tbDpT10_ENKUlT_T0_E_clISt17integral_constantIbLb0EES17_EEDaS12_S13_EUlS12_E_NS1_11comp_targetILNS1_3genE5ELNS1_11target_archE942ELNS1_3gpuE9ELNS1_3repE0EEENS1_30default_config_static_selectorELNS0_4arch9wavefront6targetE1EEEvT1_
		.amdhsa_group_segment_fixed_size 16904
		.amdhsa_private_segment_fixed_size 0
		.amdhsa_kernarg_size 112
		.amdhsa_user_sgpr_count 2
		.amdhsa_user_sgpr_dispatch_ptr 0
		.amdhsa_user_sgpr_queue_ptr 0
		.amdhsa_user_sgpr_kernarg_segment_ptr 1
		.amdhsa_user_sgpr_dispatch_id 0
		.amdhsa_user_sgpr_kernarg_preload_length 0
		.amdhsa_user_sgpr_kernarg_preload_offset 0
		.amdhsa_user_sgpr_private_segment_size 0
		.amdhsa_uses_dynamic_stack 0
		.amdhsa_enable_private_segment 0
		.amdhsa_system_sgpr_workgroup_id_x 1
		.amdhsa_system_sgpr_workgroup_id_y 0
		.amdhsa_system_sgpr_workgroup_id_z 0
		.amdhsa_system_sgpr_workgroup_info 0
		.amdhsa_system_vgpr_workitem_id 0
		.amdhsa_next_free_vgpr 125
		.amdhsa_next_free_sgpr 54
		.amdhsa_accum_offset 128
		.amdhsa_reserve_vcc 1
		.amdhsa_float_round_mode_32 0
		.amdhsa_float_round_mode_16_64 0
		.amdhsa_float_denorm_mode_32 3
		.amdhsa_float_denorm_mode_16_64 3
		.amdhsa_dx10_clamp 1
		.amdhsa_ieee_mode 1
		.amdhsa_fp16_overflow 0
		.amdhsa_tg_split 0
		.amdhsa_exception_fp_ieee_invalid_op 0
		.amdhsa_exception_fp_denorm_src 0
		.amdhsa_exception_fp_ieee_div_zero 0
		.amdhsa_exception_fp_ieee_overflow 0
		.amdhsa_exception_fp_ieee_underflow 0
		.amdhsa_exception_fp_ieee_inexact 0
		.amdhsa_exception_int_div_zero 0
	.end_amdhsa_kernel
	.section	.text._ZN7rocprim17ROCPRIM_400000_NS6detail17trampoline_kernelINS0_14default_configENS1_25partition_config_selectorILNS1_17partition_subalgoE8EaNS0_10empty_typeEbEEZZNS1_14partition_implILS5_8ELb0ES3_jPKaPS6_PKS6_NS0_5tupleIJPaS6_EEENSE_IJSB_SB_EEENS0_18inequality_wrapperIN6hipcub16HIPCUB_304000_NS8EqualityEEEPlJS6_EEE10hipError_tPvRmT3_T4_T5_T6_T7_T9_mT8_P12ihipStream_tbDpT10_ENKUlT_T0_E_clISt17integral_constantIbLb0EES17_EEDaS12_S13_EUlS12_E_NS1_11comp_targetILNS1_3genE5ELNS1_11target_archE942ELNS1_3gpuE9ELNS1_3repE0EEENS1_30default_config_static_selectorELNS0_4arch9wavefront6targetE1EEEvT1_,"axG",@progbits,_ZN7rocprim17ROCPRIM_400000_NS6detail17trampoline_kernelINS0_14default_configENS1_25partition_config_selectorILNS1_17partition_subalgoE8EaNS0_10empty_typeEbEEZZNS1_14partition_implILS5_8ELb0ES3_jPKaPS6_PKS6_NS0_5tupleIJPaS6_EEENSE_IJSB_SB_EEENS0_18inequality_wrapperIN6hipcub16HIPCUB_304000_NS8EqualityEEEPlJS6_EEE10hipError_tPvRmT3_T4_T5_T6_T7_T9_mT8_P12ihipStream_tbDpT10_ENKUlT_T0_E_clISt17integral_constantIbLb0EES17_EEDaS12_S13_EUlS12_E_NS1_11comp_targetILNS1_3genE5ELNS1_11target_archE942ELNS1_3gpuE9ELNS1_3repE0EEENS1_30default_config_static_selectorELNS0_4arch9wavefront6targetE1EEEvT1_,comdat
.Lfunc_end204:
	.size	_ZN7rocprim17ROCPRIM_400000_NS6detail17trampoline_kernelINS0_14default_configENS1_25partition_config_selectorILNS1_17partition_subalgoE8EaNS0_10empty_typeEbEEZZNS1_14partition_implILS5_8ELb0ES3_jPKaPS6_PKS6_NS0_5tupleIJPaS6_EEENSE_IJSB_SB_EEENS0_18inequality_wrapperIN6hipcub16HIPCUB_304000_NS8EqualityEEEPlJS6_EEE10hipError_tPvRmT3_T4_T5_T6_T7_T9_mT8_P12ihipStream_tbDpT10_ENKUlT_T0_E_clISt17integral_constantIbLb0EES17_EEDaS12_S13_EUlS12_E_NS1_11comp_targetILNS1_3genE5ELNS1_11target_archE942ELNS1_3gpuE9ELNS1_3repE0EEENS1_30default_config_static_selectorELNS0_4arch9wavefront6targetE1EEEvT1_, .Lfunc_end204-_ZN7rocprim17ROCPRIM_400000_NS6detail17trampoline_kernelINS0_14default_configENS1_25partition_config_selectorILNS1_17partition_subalgoE8EaNS0_10empty_typeEbEEZZNS1_14partition_implILS5_8ELb0ES3_jPKaPS6_PKS6_NS0_5tupleIJPaS6_EEENSE_IJSB_SB_EEENS0_18inequality_wrapperIN6hipcub16HIPCUB_304000_NS8EqualityEEEPlJS6_EEE10hipError_tPvRmT3_T4_T5_T6_T7_T9_mT8_P12ihipStream_tbDpT10_ENKUlT_T0_E_clISt17integral_constantIbLb0EES17_EEDaS12_S13_EUlS12_E_NS1_11comp_targetILNS1_3genE5ELNS1_11target_archE942ELNS1_3gpuE9ELNS1_3repE0EEENS1_30default_config_static_selectorELNS0_4arch9wavefront6targetE1EEEvT1_
                                        ; -- End function
	.section	.AMDGPU.csdata,"",@progbits
; Kernel info:
; codeLenInByte = 14076
; NumSgprs: 60
; NumVgprs: 125
; NumAgprs: 0
; TotalNumVgprs: 125
; ScratchSize: 0
; MemoryBound: 0
; FloatMode: 240
; IeeeMode: 1
; LDSByteSize: 16904 bytes/workgroup (compile time only)
; SGPRBlocks: 7
; VGPRBlocks: 15
; NumSGPRsForWavesPerEU: 60
; NumVGPRsForWavesPerEU: 125
; AccumOffset: 128
; Occupancy: 4
; WaveLimiterHint : 1
; COMPUTE_PGM_RSRC2:SCRATCH_EN: 0
; COMPUTE_PGM_RSRC2:USER_SGPR: 2
; COMPUTE_PGM_RSRC2:TRAP_HANDLER: 0
; COMPUTE_PGM_RSRC2:TGID_X_EN: 1
; COMPUTE_PGM_RSRC2:TGID_Y_EN: 0
; COMPUTE_PGM_RSRC2:TGID_Z_EN: 0
; COMPUTE_PGM_RSRC2:TIDIG_COMP_CNT: 0
; COMPUTE_PGM_RSRC3_GFX90A:ACCUM_OFFSET: 31
; COMPUTE_PGM_RSRC3_GFX90A:TG_SPLIT: 0
	.section	.text._ZN7rocprim17ROCPRIM_400000_NS6detail17trampoline_kernelINS0_14default_configENS1_25partition_config_selectorILNS1_17partition_subalgoE8EaNS0_10empty_typeEbEEZZNS1_14partition_implILS5_8ELb0ES3_jPKaPS6_PKS6_NS0_5tupleIJPaS6_EEENSE_IJSB_SB_EEENS0_18inequality_wrapperIN6hipcub16HIPCUB_304000_NS8EqualityEEEPlJS6_EEE10hipError_tPvRmT3_T4_T5_T6_T7_T9_mT8_P12ihipStream_tbDpT10_ENKUlT_T0_E_clISt17integral_constantIbLb0EES17_EEDaS12_S13_EUlS12_E_NS1_11comp_targetILNS1_3genE4ELNS1_11target_archE910ELNS1_3gpuE8ELNS1_3repE0EEENS1_30default_config_static_selectorELNS0_4arch9wavefront6targetE1EEEvT1_,"axG",@progbits,_ZN7rocprim17ROCPRIM_400000_NS6detail17trampoline_kernelINS0_14default_configENS1_25partition_config_selectorILNS1_17partition_subalgoE8EaNS0_10empty_typeEbEEZZNS1_14partition_implILS5_8ELb0ES3_jPKaPS6_PKS6_NS0_5tupleIJPaS6_EEENSE_IJSB_SB_EEENS0_18inequality_wrapperIN6hipcub16HIPCUB_304000_NS8EqualityEEEPlJS6_EEE10hipError_tPvRmT3_T4_T5_T6_T7_T9_mT8_P12ihipStream_tbDpT10_ENKUlT_T0_E_clISt17integral_constantIbLb0EES17_EEDaS12_S13_EUlS12_E_NS1_11comp_targetILNS1_3genE4ELNS1_11target_archE910ELNS1_3gpuE8ELNS1_3repE0EEENS1_30default_config_static_selectorELNS0_4arch9wavefront6targetE1EEEvT1_,comdat
	.protected	_ZN7rocprim17ROCPRIM_400000_NS6detail17trampoline_kernelINS0_14default_configENS1_25partition_config_selectorILNS1_17partition_subalgoE8EaNS0_10empty_typeEbEEZZNS1_14partition_implILS5_8ELb0ES3_jPKaPS6_PKS6_NS0_5tupleIJPaS6_EEENSE_IJSB_SB_EEENS0_18inequality_wrapperIN6hipcub16HIPCUB_304000_NS8EqualityEEEPlJS6_EEE10hipError_tPvRmT3_T4_T5_T6_T7_T9_mT8_P12ihipStream_tbDpT10_ENKUlT_T0_E_clISt17integral_constantIbLb0EES17_EEDaS12_S13_EUlS12_E_NS1_11comp_targetILNS1_3genE4ELNS1_11target_archE910ELNS1_3gpuE8ELNS1_3repE0EEENS1_30default_config_static_selectorELNS0_4arch9wavefront6targetE1EEEvT1_ ; -- Begin function _ZN7rocprim17ROCPRIM_400000_NS6detail17trampoline_kernelINS0_14default_configENS1_25partition_config_selectorILNS1_17partition_subalgoE8EaNS0_10empty_typeEbEEZZNS1_14partition_implILS5_8ELb0ES3_jPKaPS6_PKS6_NS0_5tupleIJPaS6_EEENSE_IJSB_SB_EEENS0_18inequality_wrapperIN6hipcub16HIPCUB_304000_NS8EqualityEEEPlJS6_EEE10hipError_tPvRmT3_T4_T5_T6_T7_T9_mT8_P12ihipStream_tbDpT10_ENKUlT_T0_E_clISt17integral_constantIbLb0EES17_EEDaS12_S13_EUlS12_E_NS1_11comp_targetILNS1_3genE4ELNS1_11target_archE910ELNS1_3gpuE8ELNS1_3repE0EEENS1_30default_config_static_selectorELNS0_4arch9wavefront6targetE1EEEvT1_
	.globl	_ZN7rocprim17ROCPRIM_400000_NS6detail17trampoline_kernelINS0_14default_configENS1_25partition_config_selectorILNS1_17partition_subalgoE8EaNS0_10empty_typeEbEEZZNS1_14partition_implILS5_8ELb0ES3_jPKaPS6_PKS6_NS0_5tupleIJPaS6_EEENSE_IJSB_SB_EEENS0_18inequality_wrapperIN6hipcub16HIPCUB_304000_NS8EqualityEEEPlJS6_EEE10hipError_tPvRmT3_T4_T5_T6_T7_T9_mT8_P12ihipStream_tbDpT10_ENKUlT_T0_E_clISt17integral_constantIbLb0EES17_EEDaS12_S13_EUlS12_E_NS1_11comp_targetILNS1_3genE4ELNS1_11target_archE910ELNS1_3gpuE8ELNS1_3repE0EEENS1_30default_config_static_selectorELNS0_4arch9wavefront6targetE1EEEvT1_
	.p2align	8
	.type	_ZN7rocprim17ROCPRIM_400000_NS6detail17trampoline_kernelINS0_14default_configENS1_25partition_config_selectorILNS1_17partition_subalgoE8EaNS0_10empty_typeEbEEZZNS1_14partition_implILS5_8ELb0ES3_jPKaPS6_PKS6_NS0_5tupleIJPaS6_EEENSE_IJSB_SB_EEENS0_18inequality_wrapperIN6hipcub16HIPCUB_304000_NS8EqualityEEEPlJS6_EEE10hipError_tPvRmT3_T4_T5_T6_T7_T9_mT8_P12ihipStream_tbDpT10_ENKUlT_T0_E_clISt17integral_constantIbLb0EES17_EEDaS12_S13_EUlS12_E_NS1_11comp_targetILNS1_3genE4ELNS1_11target_archE910ELNS1_3gpuE8ELNS1_3repE0EEENS1_30default_config_static_selectorELNS0_4arch9wavefront6targetE1EEEvT1_,@function
_ZN7rocprim17ROCPRIM_400000_NS6detail17trampoline_kernelINS0_14default_configENS1_25partition_config_selectorILNS1_17partition_subalgoE8EaNS0_10empty_typeEbEEZZNS1_14partition_implILS5_8ELb0ES3_jPKaPS6_PKS6_NS0_5tupleIJPaS6_EEENSE_IJSB_SB_EEENS0_18inequality_wrapperIN6hipcub16HIPCUB_304000_NS8EqualityEEEPlJS6_EEE10hipError_tPvRmT3_T4_T5_T6_T7_T9_mT8_P12ihipStream_tbDpT10_ENKUlT_T0_E_clISt17integral_constantIbLb0EES17_EEDaS12_S13_EUlS12_E_NS1_11comp_targetILNS1_3genE4ELNS1_11target_archE910ELNS1_3gpuE8ELNS1_3repE0EEENS1_30default_config_static_selectorELNS0_4arch9wavefront6targetE1EEEvT1_: ; @_ZN7rocprim17ROCPRIM_400000_NS6detail17trampoline_kernelINS0_14default_configENS1_25partition_config_selectorILNS1_17partition_subalgoE8EaNS0_10empty_typeEbEEZZNS1_14partition_implILS5_8ELb0ES3_jPKaPS6_PKS6_NS0_5tupleIJPaS6_EEENSE_IJSB_SB_EEENS0_18inequality_wrapperIN6hipcub16HIPCUB_304000_NS8EqualityEEEPlJS6_EEE10hipError_tPvRmT3_T4_T5_T6_T7_T9_mT8_P12ihipStream_tbDpT10_ENKUlT_T0_E_clISt17integral_constantIbLb0EES17_EEDaS12_S13_EUlS12_E_NS1_11comp_targetILNS1_3genE4ELNS1_11target_archE910ELNS1_3gpuE8ELNS1_3repE0EEENS1_30default_config_static_selectorELNS0_4arch9wavefront6targetE1EEEvT1_
; %bb.0:
	.section	.rodata,"a",@progbits
	.p2align	6, 0x0
	.amdhsa_kernel _ZN7rocprim17ROCPRIM_400000_NS6detail17trampoline_kernelINS0_14default_configENS1_25partition_config_selectorILNS1_17partition_subalgoE8EaNS0_10empty_typeEbEEZZNS1_14partition_implILS5_8ELb0ES3_jPKaPS6_PKS6_NS0_5tupleIJPaS6_EEENSE_IJSB_SB_EEENS0_18inequality_wrapperIN6hipcub16HIPCUB_304000_NS8EqualityEEEPlJS6_EEE10hipError_tPvRmT3_T4_T5_T6_T7_T9_mT8_P12ihipStream_tbDpT10_ENKUlT_T0_E_clISt17integral_constantIbLb0EES17_EEDaS12_S13_EUlS12_E_NS1_11comp_targetILNS1_3genE4ELNS1_11target_archE910ELNS1_3gpuE8ELNS1_3repE0EEENS1_30default_config_static_selectorELNS0_4arch9wavefront6targetE1EEEvT1_
		.amdhsa_group_segment_fixed_size 0
		.amdhsa_private_segment_fixed_size 0
		.amdhsa_kernarg_size 112
		.amdhsa_user_sgpr_count 2
		.amdhsa_user_sgpr_dispatch_ptr 0
		.amdhsa_user_sgpr_queue_ptr 0
		.amdhsa_user_sgpr_kernarg_segment_ptr 1
		.amdhsa_user_sgpr_dispatch_id 0
		.amdhsa_user_sgpr_kernarg_preload_length 0
		.amdhsa_user_sgpr_kernarg_preload_offset 0
		.amdhsa_user_sgpr_private_segment_size 0
		.amdhsa_uses_dynamic_stack 0
		.amdhsa_enable_private_segment 0
		.amdhsa_system_sgpr_workgroup_id_x 1
		.amdhsa_system_sgpr_workgroup_id_y 0
		.amdhsa_system_sgpr_workgroup_id_z 0
		.amdhsa_system_sgpr_workgroup_info 0
		.amdhsa_system_vgpr_workitem_id 0
		.amdhsa_next_free_vgpr 1
		.amdhsa_next_free_sgpr 0
		.amdhsa_accum_offset 4
		.amdhsa_reserve_vcc 0
		.amdhsa_float_round_mode_32 0
		.amdhsa_float_round_mode_16_64 0
		.amdhsa_float_denorm_mode_32 3
		.amdhsa_float_denorm_mode_16_64 3
		.amdhsa_dx10_clamp 1
		.amdhsa_ieee_mode 1
		.amdhsa_fp16_overflow 0
		.amdhsa_tg_split 0
		.amdhsa_exception_fp_ieee_invalid_op 0
		.amdhsa_exception_fp_denorm_src 0
		.amdhsa_exception_fp_ieee_div_zero 0
		.amdhsa_exception_fp_ieee_overflow 0
		.amdhsa_exception_fp_ieee_underflow 0
		.amdhsa_exception_fp_ieee_inexact 0
		.amdhsa_exception_int_div_zero 0
	.end_amdhsa_kernel
	.section	.text._ZN7rocprim17ROCPRIM_400000_NS6detail17trampoline_kernelINS0_14default_configENS1_25partition_config_selectorILNS1_17partition_subalgoE8EaNS0_10empty_typeEbEEZZNS1_14partition_implILS5_8ELb0ES3_jPKaPS6_PKS6_NS0_5tupleIJPaS6_EEENSE_IJSB_SB_EEENS0_18inequality_wrapperIN6hipcub16HIPCUB_304000_NS8EqualityEEEPlJS6_EEE10hipError_tPvRmT3_T4_T5_T6_T7_T9_mT8_P12ihipStream_tbDpT10_ENKUlT_T0_E_clISt17integral_constantIbLb0EES17_EEDaS12_S13_EUlS12_E_NS1_11comp_targetILNS1_3genE4ELNS1_11target_archE910ELNS1_3gpuE8ELNS1_3repE0EEENS1_30default_config_static_selectorELNS0_4arch9wavefront6targetE1EEEvT1_,"axG",@progbits,_ZN7rocprim17ROCPRIM_400000_NS6detail17trampoline_kernelINS0_14default_configENS1_25partition_config_selectorILNS1_17partition_subalgoE8EaNS0_10empty_typeEbEEZZNS1_14partition_implILS5_8ELb0ES3_jPKaPS6_PKS6_NS0_5tupleIJPaS6_EEENSE_IJSB_SB_EEENS0_18inequality_wrapperIN6hipcub16HIPCUB_304000_NS8EqualityEEEPlJS6_EEE10hipError_tPvRmT3_T4_T5_T6_T7_T9_mT8_P12ihipStream_tbDpT10_ENKUlT_T0_E_clISt17integral_constantIbLb0EES17_EEDaS12_S13_EUlS12_E_NS1_11comp_targetILNS1_3genE4ELNS1_11target_archE910ELNS1_3gpuE8ELNS1_3repE0EEENS1_30default_config_static_selectorELNS0_4arch9wavefront6targetE1EEEvT1_,comdat
.Lfunc_end205:
	.size	_ZN7rocprim17ROCPRIM_400000_NS6detail17trampoline_kernelINS0_14default_configENS1_25partition_config_selectorILNS1_17partition_subalgoE8EaNS0_10empty_typeEbEEZZNS1_14partition_implILS5_8ELb0ES3_jPKaPS6_PKS6_NS0_5tupleIJPaS6_EEENSE_IJSB_SB_EEENS0_18inequality_wrapperIN6hipcub16HIPCUB_304000_NS8EqualityEEEPlJS6_EEE10hipError_tPvRmT3_T4_T5_T6_T7_T9_mT8_P12ihipStream_tbDpT10_ENKUlT_T0_E_clISt17integral_constantIbLb0EES17_EEDaS12_S13_EUlS12_E_NS1_11comp_targetILNS1_3genE4ELNS1_11target_archE910ELNS1_3gpuE8ELNS1_3repE0EEENS1_30default_config_static_selectorELNS0_4arch9wavefront6targetE1EEEvT1_, .Lfunc_end205-_ZN7rocprim17ROCPRIM_400000_NS6detail17trampoline_kernelINS0_14default_configENS1_25partition_config_selectorILNS1_17partition_subalgoE8EaNS0_10empty_typeEbEEZZNS1_14partition_implILS5_8ELb0ES3_jPKaPS6_PKS6_NS0_5tupleIJPaS6_EEENSE_IJSB_SB_EEENS0_18inequality_wrapperIN6hipcub16HIPCUB_304000_NS8EqualityEEEPlJS6_EEE10hipError_tPvRmT3_T4_T5_T6_T7_T9_mT8_P12ihipStream_tbDpT10_ENKUlT_T0_E_clISt17integral_constantIbLb0EES17_EEDaS12_S13_EUlS12_E_NS1_11comp_targetILNS1_3genE4ELNS1_11target_archE910ELNS1_3gpuE8ELNS1_3repE0EEENS1_30default_config_static_selectorELNS0_4arch9wavefront6targetE1EEEvT1_
                                        ; -- End function
	.section	.AMDGPU.csdata,"",@progbits
; Kernel info:
; codeLenInByte = 0
; NumSgprs: 6
; NumVgprs: 0
; NumAgprs: 0
; TotalNumVgprs: 0
; ScratchSize: 0
; MemoryBound: 0
; FloatMode: 240
; IeeeMode: 1
; LDSByteSize: 0 bytes/workgroup (compile time only)
; SGPRBlocks: 0
; VGPRBlocks: 0
; NumSGPRsForWavesPerEU: 6
; NumVGPRsForWavesPerEU: 1
; AccumOffset: 4
; Occupancy: 8
; WaveLimiterHint : 0
; COMPUTE_PGM_RSRC2:SCRATCH_EN: 0
; COMPUTE_PGM_RSRC2:USER_SGPR: 2
; COMPUTE_PGM_RSRC2:TRAP_HANDLER: 0
; COMPUTE_PGM_RSRC2:TGID_X_EN: 1
; COMPUTE_PGM_RSRC2:TGID_Y_EN: 0
; COMPUTE_PGM_RSRC2:TGID_Z_EN: 0
; COMPUTE_PGM_RSRC2:TIDIG_COMP_CNT: 0
; COMPUTE_PGM_RSRC3_GFX90A:ACCUM_OFFSET: 0
; COMPUTE_PGM_RSRC3_GFX90A:TG_SPLIT: 0
	.section	.text._ZN7rocprim17ROCPRIM_400000_NS6detail17trampoline_kernelINS0_14default_configENS1_25partition_config_selectorILNS1_17partition_subalgoE8EaNS0_10empty_typeEbEEZZNS1_14partition_implILS5_8ELb0ES3_jPKaPS6_PKS6_NS0_5tupleIJPaS6_EEENSE_IJSB_SB_EEENS0_18inequality_wrapperIN6hipcub16HIPCUB_304000_NS8EqualityEEEPlJS6_EEE10hipError_tPvRmT3_T4_T5_T6_T7_T9_mT8_P12ihipStream_tbDpT10_ENKUlT_T0_E_clISt17integral_constantIbLb0EES17_EEDaS12_S13_EUlS12_E_NS1_11comp_targetILNS1_3genE3ELNS1_11target_archE908ELNS1_3gpuE7ELNS1_3repE0EEENS1_30default_config_static_selectorELNS0_4arch9wavefront6targetE1EEEvT1_,"axG",@progbits,_ZN7rocprim17ROCPRIM_400000_NS6detail17trampoline_kernelINS0_14default_configENS1_25partition_config_selectorILNS1_17partition_subalgoE8EaNS0_10empty_typeEbEEZZNS1_14partition_implILS5_8ELb0ES3_jPKaPS6_PKS6_NS0_5tupleIJPaS6_EEENSE_IJSB_SB_EEENS0_18inequality_wrapperIN6hipcub16HIPCUB_304000_NS8EqualityEEEPlJS6_EEE10hipError_tPvRmT3_T4_T5_T6_T7_T9_mT8_P12ihipStream_tbDpT10_ENKUlT_T0_E_clISt17integral_constantIbLb0EES17_EEDaS12_S13_EUlS12_E_NS1_11comp_targetILNS1_3genE3ELNS1_11target_archE908ELNS1_3gpuE7ELNS1_3repE0EEENS1_30default_config_static_selectorELNS0_4arch9wavefront6targetE1EEEvT1_,comdat
	.protected	_ZN7rocprim17ROCPRIM_400000_NS6detail17trampoline_kernelINS0_14default_configENS1_25partition_config_selectorILNS1_17partition_subalgoE8EaNS0_10empty_typeEbEEZZNS1_14partition_implILS5_8ELb0ES3_jPKaPS6_PKS6_NS0_5tupleIJPaS6_EEENSE_IJSB_SB_EEENS0_18inequality_wrapperIN6hipcub16HIPCUB_304000_NS8EqualityEEEPlJS6_EEE10hipError_tPvRmT3_T4_T5_T6_T7_T9_mT8_P12ihipStream_tbDpT10_ENKUlT_T0_E_clISt17integral_constantIbLb0EES17_EEDaS12_S13_EUlS12_E_NS1_11comp_targetILNS1_3genE3ELNS1_11target_archE908ELNS1_3gpuE7ELNS1_3repE0EEENS1_30default_config_static_selectorELNS0_4arch9wavefront6targetE1EEEvT1_ ; -- Begin function _ZN7rocprim17ROCPRIM_400000_NS6detail17trampoline_kernelINS0_14default_configENS1_25partition_config_selectorILNS1_17partition_subalgoE8EaNS0_10empty_typeEbEEZZNS1_14partition_implILS5_8ELb0ES3_jPKaPS6_PKS6_NS0_5tupleIJPaS6_EEENSE_IJSB_SB_EEENS0_18inequality_wrapperIN6hipcub16HIPCUB_304000_NS8EqualityEEEPlJS6_EEE10hipError_tPvRmT3_T4_T5_T6_T7_T9_mT8_P12ihipStream_tbDpT10_ENKUlT_T0_E_clISt17integral_constantIbLb0EES17_EEDaS12_S13_EUlS12_E_NS1_11comp_targetILNS1_3genE3ELNS1_11target_archE908ELNS1_3gpuE7ELNS1_3repE0EEENS1_30default_config_static_selectorELNS0_4arch9wavefront6targetE1EEEvT1_
	.globl	_ZN7rocprim17ROCPRIM_400000_NS6detail17trampoline_kernelINS0_14default_configENS1_25partition_config_selectorILNS1_17partition_subalgoE8EaNS0_10empty_typeEbEEZZNS1_14partition_implILS5_8ELb0ES3_jPKaPS6_PKS6_NS0_5tupleIJPaS6_EEENSE_IJSB_SB_EEENS0_18inequality_wrapperIN6hipcub16HIPCUB_304000_NS8EqualityEEEPlJS6_EEE10hipError_tPvRmT3_T4_T5_T6_T7_T9_mT8_P12ihipStream_tbDpT10_ENKUlT_T0_E_clISt17integral_constantIbLb0EES17_EEDaS12_S13_EUlS12_E_NS1_11comp_targetILNS1_3genE3ELNS1_11target_archE908ELNS1_3gpuE7ELNS1_3repE0EEENS1_30default_config_static_selectorELNS0_4arch9wavefront6targetE1EEEvT1_
	.p2align	8
	.type	_ZN7rocprim17ROCPRIM_400000_NS6detail17trampoline_kernelINS0_14default_configENS1_25partition_config_selectorILNS1_17partition_subalgoE8EaNS0_10empty_typeEbEEZZNS1_14partition_implILS5_8ELb0ES3_jPKaPS6_PKS6_NS0_5tupleIJPaS6_EEENSE_IJSB_SB_EEENS0_18inequality_wrapperIN6hipcub16HIPCUB_304000_NS8EqualityEEEPlJS6_EEE10hipError_tPvRmT3_T4_T5_T6_T7_T9_mT8_P12ihipStream_tbDpT10_ENKUlT_T0_E_clISt17integral_constantIbLb0EES17_EEDaS12_S13_EUlS12_E_NS1_11comp_targetILNS1_3genE3ELNS1_11target_archE908ELNS1_3gpuE7ELNS1_3repE0EEENS1_30default_config_static_selectorELNS0_4arch9wavefront6targetE1EEEvT1_,@function
_ZN7rocprim17ROCPRIM_400000_NS6detail17trampoline_kernelINS0_14default_configENS1_25partition_config_selectorILNS1_17partition_subalgoE8EaNS0_10empty_typeEbEEZZNS1_14partition_implILS5_8ELb0ES3_jPKaPS6_PKS6_NS0_5tupleIJPaS6_EEENSE_IJSB_SB_EEENS0_18inequality_wrapperIN6hipcub16HIPCUB_304000_NS8EqualityEEEPlJS6_EEE10hipError_tPvRmT3_T4_T5_T6_T7_T9_mT8_P12ihipStream_tbDpT10_ENKUlT_T0_E_clISt17integral_constantIbLb0EES17_EEDaS12_S13_EUlS12_E_NS1_11comp_targetILNS1_3genE3ELNS1_11target_archE908ELNS1_3gpuE7ELNS1_3repE0EEENS1_30default_config_static_selectorELNS0_4arch9wavefront6targetE1EEEvT1_: ; @_ZN7rocprim17ROCPRIM_400000_NS6detail17trampoline_kernelINS0_14default_configENS1_25partition_config_selectorILNS1_17partition_subalgoE8EaNS0_10empty_typeEbEEZZNS1_14partition_implILS5_8ELb0ES3_jPKaPS6_PKS6_NS0_5tupleIJPaS6_EEENSE_IJSB_SB_EEENS0_18inequality_wrapperIN6hipcub16HIPCUB_304000_NS8EqualityEEEPlJS6_EEE10hipError_tPvRmT3_T4_T5_T6_T7_T9_mT8_P12ihipStream_tbDpT10_ENKUlT_T0_E_clISt17integral_constantIbLb0EES17_EEDaS12_S13_EUlS12_E_NS1_11comp_targetILNS1_3genE3ELNS1_11target_archE908ELNS1_3gpuE7ELNS1_3repE0EEENS1_30default_config_static_selectorELNS0_4arch9wavefront6targetE1EEEvT1_
; %bb.0:
	.section	.rodata,"a",@progbits
	.p2align	6, 0x0
	.amdhsa_kernel _ZN7rocprim17ROCPRIM_400000_NS6detail17trampoline_kernelINS0_14default_configENS1_25partition_config_selectorILNS1_17partition_subalgoE8EaNS0_10empty_typeEbEEZZNS1_14partition_implILS5_8ELb0ES3_jPKaPS6_PKS6_NS0_5tupleIJPaS6_EEENSE_IJSB_SB_EEENS0_18inequality_wrapperIN6hipcub16HIPCUB_304000_NS8EqualityEEEPlJS6_EEE10hipError_tPvRmT3_T4_T5_T6_T7_T9_mT8_P12ihipStream_tbDpT10_ENKUlT_T0_E_clISt17integral_constantIbLb0EES17_EEDaS12_S13_EUlS12_E_NS1_11comp_targetILNS1_3genE3ELNS1_11target_archE908ELNS1_3gpuE7ELNS1_3repE0EEENS1_30default_config_static_selectorELNS0_4arch9wavefront6targetE1EEEvT1_
		.amdhsa_group_segment_fixed_size 0
		.amdhsa_private_segment_fixed_size 0
		.amdhsa_kernarg_size 112
		.amdhsa_user_sgpr_count 2
		.amdhsa_user_sgpr_dispatch_ptr 0
		.amdhsa_user_sgpr_queue_ptr 0
		.amdhsa_user_sgpr_kernarg_segment_ptr 1
		.amdhsa_user_sgpr_dispatch_id 0
		.amdhsa_user_sgpr_kernarg_preload_length 0
		.amdhsa_user_sgpr_kernarg_preload_offset 0
		.amdhsa_user_sgpr_private_segment_size 0
		.amdhsa_uses_dynamic_stack 0
		.amdhsa_enable_private_segment 0
		.amdhsa_system_sgpr_workgroup_id_x 1
		.amdhsa_system_sgpr_workgroup_id_y 0
		.amdhsa_system_sgpr_workgroup_id_z 0
		.amdhsa_system_sgpr_workgroup_info 0
		.amdhsa_system_vgpr_workitem_id 0
		.amdhsa_next_free_vgpr 1
		.amdhsa_next_free_sgpr 0
		.amdhsa_accum_offset 4
		.amdhsa_reserve_vcc 0
		.amdhsa_float_round_mode_32 0
		.amdhsa_float_round_mode_16_64 0
		.amdhsa_float_denorm_mode_32 3
		.amdhsa_float_denorm_mode_16_64 3
		.amdhsa_dx10_clamp 1
		.amdhsa_ieee_mode 1
		.amdhsa_fp16_overflow 0
		.amdhsa_tg_split 0
		.amdhsa_exception_fp_ieee_invalid_op 0
		.amdhsa_exception_fp_denorm_src 0
		.amdhsa_exception_fp_ieee_div_zero 0
		.amdhsa_exception_fp_ieee_overflow 0
		.amdhsa_exception_fp_ieee_underflow 0
		.amdhsa_exception_fp_ieee_inexact 0
		.amdhsa_exception_int_div_zero 0
	.end_amdhsa_kernel
	.section	.text._ZN7rocprim17ROCPRIM_400000_NS6detail17trampoline_kernelINS0_14default_configENS1_25partition_config_selectorILNS1_17partition_subalgoE8EaNS0_10empty_typeEbEEZZNS1_14partition_implILS5_8ELb0ES3_jPKaPS6_PKS6_NS0_5tupleIJPaS6_EEENSE_IJSB_SB_EEENS0_18inequality_wrapperIN6hipcub16HIPCUB_304000_NS8EqualityEEEPlJS6_EEE10hipError_tPvRmT3_T4_T5_T6_T7_T9_mT8_P12ihipStream_tbDpT10_ENKUlT_T0_E_clISt17integral_constantIbLb0EES17_EEDaS12_S13_EUlS12_E_NS1_11comp_targetILNS1_3genE3ELNS1_11target_archE908ELNS1_3gpuE7ELNS1_3repE0EEENS1_30default_config_static_selectorELNS0_4arch9wavefront6targetE1EEEvT1_,"axG",@progbits,_ZN7rocprim17ROCPRIM_400000_NS6detail17trampoline_kernelINS0_14default_configENS1_25partition_config_selectorILNS1_17partition_subalgoE8EaNS0_10empty_typeEbEEZZNS1_14partition_implILS5_8ELb0ES3_jPKaPS6_PKS6_NS0_5tupleIJPaS6_EEENSE_IJSB_SB_EEENS0_18inequality_wrapperIN6hipcub16HIPCUB_304000_NS8EqualityEEEPlJS6_EEE10hipError_tPvRmT3_T4_T5_T6_T7_T9_mT8_P12ihipStream_tbDpT10_ENKUlT_T0_E_clISt17integral_constantIbLb0EES17_EEDaS12_S13_EUlS12_E_NS1_11comp_targetILNS1_3genE3ELNS1_11target_archE908ELNS1_3gpuE7ELNS1_3repE0EEENS1_30default_config_static_selectorELNS0_4arch9wavefront6targetE1EEEvT1_,comdat
.Lfunc_end206:
	.size	_ZN7rocprim17ROCPRIM_400000_NS6detail17trampoline_kernelINS0_14default_configENS1_25partition_config_selectorILNS1_17partition_subalgoE8EaNS0_10empty_typeEbEEZZNS1_14partition_implILS5_8ELb0ES3_jPKaPS6_PKS6_NS0_5tupleIJPaS6_EEENSE_IJSB_SB_EEENS0_18inequality_wrapperIN6hipcub16HIPCUB_304000_NS8EqualityEEEPlJS6_EEE10hipError_tPvRmT3_T4_T5_T6_T7_T9_mT8_P12ihipStream_tbDpT10_ENKUlT_T0_E_clISt17integral_constantIbLb0EES17_EEDaS12_S13_EUlS12_E_NS1_11comp_targetILNS1_3genE3ELNS1_11target_archE908ELNS1_3gpuE7ELNS1_3repE0EEENS1_30default_config_static_selectorELNS0_4arch9wavefront6targetE1EEEvT1_, .Lfunc_end206-_ZN7rocprim17ROCPRIM_400000_NS6detail17trampoline_kernelINS0_14default_configENS1_25partition_config_selectorILNS1_17partition_subalgoE8EaNS0_10empty_typeEbEEZZNS1_14partition_implILS5_8ELb0ES3_jPKaPS6_PKS6_NS0_5tupleIJPaS6_EEENSE_IJSB_SB_EEENS0_18inequality_wrapperIN6hipcub16HIPCUB_304000_NS8EqualityEEEPlJS6_EEE10hipError_tPvRmT3_T4_T5_T6_T7_T9_mT8_P12ihipStream_tbDpT10_ENKUlT_T0_E_clISt17integral_constantIbLb0EES17_EEDaS12_S13_EUlS12_E_NS1_11comp_targetILNS1_3genE3ELNS1_11target_archE908ELNS1_3gpuE7ELNS1_3repE0EEENS1_30default_config_static_selectorELNS0_4arch9wavefront6targetE1EEEvT1_
                                        ; -- End function
	.section	.AMDGPU.csdata,"",@progbits
; Kernel info:
; codeLenInByte = 0
; NumSgprs: 6
; NumVgprs: 0
; NumAgprs: 0
; TotalNumVgprs: 0
; ScratchSize: 0
; MemoryBound: 0
; FloatMode: 240
; IeeeMode: 1
; LDSByteSize: 0 bytes/workgroup (compile time only)
; SGPRBlocks: 0
; VGPRBlocks: 0
; NumSGPRsForWavesPerEU: 6
; NumVGPRsForWavesPerEU: 1
; AccumOffset: 4
; Occupancy: 8
; WaveLimiterHint : 0
; COMPUTE_PGM_RSRC2:SCRATCH_EN: 0
; COMPUTE_PGM_RSRC2:USER_SGPR: 2
; COMPUTE_PGM_RSRC2:TRAP_HANDLER: 0
; COMPUTE_PGM_RSRC2:TGID_X_EN: 1
; COMPUTE_PGM_RSRC2:TGID_Y_EN: 0
; COMPUTE_PGM_RSRC2:TGID_Z_EN: 0
; COMPUTE_PGM_RSRC2:TIDIG_COMP_CNT: 0
; COMPUTE_PGM_RSRC3_GFX90A:ACCUM_OFFSET: 0
; COMPUTE_PGM_RSRC3_GFX90A:TG_SPLIT: 0
	.section	.text._ZN7rocprim17ROCPRIM_400000_NS6detail17trampoline_kernelINS0_14default_configENS1_25partition_config_selectorILNS1_17partition_subalgoE8EaNS0_10empty_typeEbEEZZNS1_14partition_implILS5_8ELb0ES3_jPKaPS6_PKS6_NS0_5tupleIJPaS6_EEENSE_IJSB_SB_EEENS0_18inequality_wrapperIN6hipcub16HIPCUB_304000_NS8EqualityEEEPlJS6_EEE10hipError_tPvRmT3_T4_T5_T6_T7_T9_mT8_P12ihipStream_tbDpT10_ENKUlT_T0_E_clISt17integral_constantIbLb0EES17_EEDaS12_S13_EUlS12_E_NS1_11comp_targetILNS1_3genE2ELNS1_11target_archE906ELNS1_3gpuE6ELNS1_3repE0EEENS1_30default_config_static_selectorELNS0_4arch9wavefront6targetE1EEEvT1_,"axG",@progbits,_ZN7rocprim17ROCPRIM_400000_NS6detail17trampoline_kernelINS0_14default_configENS1_25partition_config_selectorILNS1_17partition_subalgoE8EaNS0_10empty_typeEbEEZZNS1_14partition_implILS5_8ELb0ES3_jPKaPS6_PKS6_NS0_5tupleIJPaS6_EEENSE_IJSB_SB_EEENS0_18inequality_wrapperIN6hipcub16HIPCUB_304000_NS8EqualityEEEPlJS6_EEE10hipError_tPvRmT3_T4_T5_T6_T7_T9_mT8_P12ihipStream_tbDpT10_ENKUlT_T0_E_clISt17integral_constantIbLb0EES17_EEDaS12_S13_EUlS12_E_NS1_11comp_targetILNS1_3genE2ELNS1_11target_archE906ELNS1_3gpuE6ELNS1_3repE0EEENS1_30default_config_static_selectorELNS0_4arch9wavefront6targetE1EEEvT1_,comdat
	.protected	_ZN7rocprim17ROCPRIM_400000_NS6detail17trampoline_kernelINS0_14default_configENS1_25partition_config_selectorILNS1_17partition_subalgoE8EaNS0_10empty_typeEbEEZZNS1_14partition_implILS5_8ELb0ES3_jPKaPS6_PKS6_NS0_5tupleIJPaS6_EEENSE_IJSB_SB_EEENS0_18inequality_wrapperIN6hipcub16HIPCUB_304000_NS8EqualityEEEPlJS6_EEE10hipError_tPvRmT3_T4_T5_T6_T7_T9_mT8_P12ihipStream_tbDpT10_ENKUlT_T0_E_clISt17integral_constantIbLb0EES17_EEDaS12_S13_EUlS12_E_NS1_11comp_targetILNS1_3genE2ELNS1_11target_archE906ELNS1_3gpuE6ELNS1_3repE0EEENS1_30default_config_static_selectorELNS0_4arch9wavefront6targetE1EEEvT1_ ; -- Begin function _ZN7rocprim17ROCPRIM_400000_NS6detail17trampoline_kernelINS0_14default_configENS1_25partition_config_selectorILNS1_17partition_subalgoE8EaNS0_10empty_typeEbEEZZNS1_14partition_implILS5_8ELb0ES3_jPKaPS6_PKS6_NS0_5tupleIJPaS6_EEENSE_IJSB_SB_EEENS0_18inequality_wrapperIN6hipcub16HIPCUB_304000_NS8EqualityEEEPlJS6_EEE10hipError_tPvRmT3_T4_T5_T6_T7_T9_mT8_P12ihipStream_tbDpT10_ENKUlT_T0_E_clISt17integral_constantIbLb0EES17_EEDaS12_S13_EUlS12_E_NS1_11comp_targetILNS1_3genE2ELNS1_11target_archE906ELNS1_3gpuE6ELNS1_3repE0EEENS1_30default_config_static_selectorELNS0_4arch9wavefront6targetE1EEEvT1_
	.globl	_ZN7rocprim17ROCPRIM_400000_NS6detail17trampoline_kernelINS0_14default_configENS1_25partition_config_selectorILNS1_17partition_subalgoE8EaNS0_10empty_typeEbEEZZNS1_14partition_implILS5_8ELb0ES3_jPKaPS6_PKS6_NS0_5tupleIJPaS6_EEENSE_IJSB_SB_EEENS0_18inequality_wrapperIN6hipcub16HIPCUB_304000_NS8EqualityEEEPlJS6_EEE10hipError_tPvRmT3_T4_T5_T6_T7_T9_mT8_P12ihipStream_tbDpT10_ENKUlT_T0_E_clISt17integral_constantIbLb0EES17_EEDaS12_S13_EUlS12_E_NS1_11comp_targetILNS1_3genE2ELNS1_11target_archE906ELNS1_3gpuE6ELNS1_3repE0EEENS1_30default_config_static_selectorELNS0_4arch9wavefront6targetE1EEEvT1_
	.p2align	8
	.type	_ZN7rocprim17ROCPRIM_400000_NS6detail17trampoline_kernelINS0_14default_configENS1_25partition_config_selectorILNS1_17partition_subalgoE8EaNS0_10empty_typeEbEEZZNS1_14partition_implILS5_8ELb0ES3_jPKaPS6_PKS6_NS0_5tupleIJPaS6_EEENSE_IJSB_SB_EEENS0_18inequality_wrapperIN6hipcub16HIPCUB_304000_NS8EqualityEEEPlJS6_EEE10hipError_tPvRmT3_T4_T5_T6_T7_T9_mT8_P12ihipStream_tbDpT10_ENKUlT_T0_E_clISt17integral_constantIbLb0EES17_EEDaS12_S13_EUlS12_E_NS1_11comp_targetILNS1_3genE2ELNS1_11target_archE906ELNS1_3gpuE6ELNS1_3repE0EEENS1_30default_config_static_selectorELNS0_4arch9wavefront6targetE1EEEvT1_,@function
_ZN7rocprim17ROCPRIM_400000_NS6detail17trampoline_kernelINS0_14default_configENS1_25partition_config_selectorILNS1_17partition_subalgoE8EaNS0_10empty_typeEbEEZZNS1_14partition_implILS5_8ELb0ES3_jPKaPS6_PKS6_NS0_5tupleIJPaS6_EEENSE_IJSB_SB_EEENS0_18inequality_wrapperIN6hipcub16HIPCUB_304000_NS8EqualityEEEPlJS6_EEE10hipError_tPvRmT3_T4_T5_T6_T7_T9_mT8_P12ihipStream_tbDpT10_ENKUlT_T0_E_clISt17integral_constantIbLb0EES17_EEDaS12_S13_EUlS12_E_NS1_11comp_targetILNS1_3genE2ELNS1_11target_archE906ELNS1_3gpuE6ELNS1_3repE0EEENS1_30default_config_static_selectorELNS0_4arch9wavefront6targetE1EEEvT1_: ; @_ZN7rocprim17ROCPRIM_400000_NS6detail17trampoline_kernelINS0_14default_configENS1_25partition_config_selectorILNS1_17partition_subalgoE8EaNS0_10empty_typeEbEEZZNS1_14partition_implILS5_8ELb0ES3_jPKaPS6_PKS6_NS0_5tupleIJPaS6_EEENSE_IJSB_SB_EEENS0_18inequality_wrapperIN6hipcub16HIPCUB_304000_NS8EqualityEEEPlJS6_EEE10hipError_tPvRmT3_T4_T5_T6_T7_T9_mT8_P12ihipStream_tbDpT10_ENKUlT_T0_E_clISt17integral_constantIbLb0EES17_EEDaS12_S13_EUlS12_E_NS1_11comp_targetILNS1_3genE2ELNS1_11target_archE906ELNS1_3gpuE6ELNS1_3repE0EEENS1_30default_config_static_selectorELNS0_4arch9wavefront6targetE1EEEvT1_
; %bb.0:
	.section	.rodata,"a",@progbits
	.p2align	6, 0x0
	.amdhsa_kernel _ZN7rocprim17ROCPRIM_400000_NS6detail17trampoline_kernelINS0_14default_configENS1_25partition_config_selectorILNS1_17partition_subalgoE8EaNS0_10empty_typeEbEEZZNS1_14partition_implILS5_8ELb0ES3_jPKaPS6_PKS6_NS0_5tupleIJPaS6_EEENSE_IJSB_SB_EEENS0_18inequality_wrapperIN6hipcub16HIPCUB_304000_NS8EqualityEEEPlJS6_EEE10hipError_tPvRmT3_T4_T5_T6_T7_T9_mT8_P12ihipStream_tbDpT10_ENKUlT_T0_E_clISt17integral_constantIbLb0EES17_EEDaS12_S13_EUlS12_E_NS1_11comp_targetILNS1_3genE2ELNS1_11target_archE906ELNS1_3gpuE6ELNS1_3repE0EEENS1_30default_config_static_selectorELNS0_4arch9wavefront6targetE1EEEvT1_
		.amdhsa_group_segment_fixed_size 0
		.amdhsa_private_segment_fixed_size 0
		.amdhsa_kernarg_size 112
		.amdhsa_user_sgpr_count 2
		.amdhsa_user_sgpr_dispatch_ptr 0
		.amdhsa_user_sgpr_queue_ptr 0
		.amdhsa_user_sgpr_kernarg_segment_ptr 1
		.amdhsa_user_sgpr_dispatch_id 0
		.amdhsa_user_sgpr_kernarg_preload_length 0
		.amdhsa_user_sgpr_kernarg_preload_offset 0
		.amdhsa_user_sgpr_private_segment_size 0
		.amdhsa_uses_dynamic_stack 0
		.amdhsa_enable_private_segment 0
		.amdhsa_system_sgpr_workgroup_id_x 1
		.amdhsa_system_sgpr_workgroup_id_y 0
		.amdhsa_system_sgpr_workgroup_id_z 0
		.amdhsa_system_sgpr_workgroup_info 0
		.amdhsa_system_vgpr_workitem_id 0
		.amdhsa_next_free_vgpr 1
		.amdhsa_next_free_sgpr 0
		.amdhsa_accum_offset 4
		.amdhsa_reserve_vcc 0
		.amdhsa_float_round_mode_32 0
		.amdhsa_float_round_mode_16_64 0
		.amdhsa_float_denorm_mode_32 3
		.amdhsa_float_denorm_mode_16_64 3
		.amdhsa_dx10_clamp 1
		.amdhsa_ieee_mode 1
		.amdhsa_fp16_overflow 0
		.amdhsa_tg_split 0
		.amdhsa_exception_fp_ieee_invalid_op 0
		.amdhsa_exception_fp_denorm_src 0
		.amdhsa_exception_fp_ieee_div_zero 0
		.amdhsa_exception_fp_ieee_overflow 0
		.amdhsa_exception_fp_ieee_underflow 0
		.amdhsa_exception_fp_ieee_inexact 0
		.amdhsa_exception_int_div_zero 0
	.end_amdhsa_kernel
	.section	.text._ZN7rocprim17ROCPRIM_400000_NS6detail17trampoline_kernelINS0_14default_configENS1_25partition_config_selectorILNS1_17partition_subalgoE8EaNS0_10empty_typeEbEEZZNS1_14partition_implILS5_8ELb0ES3_jPKaPS6_PKS6_NS0_5tupleIJPaS6_EEENSE_IJSB_SB_EEENS0_18inequality_wrapperIN6hipcub16HIPCUB_304000_NS8EqualityEEEPlJS6_EEE10hipError_tPvRmT3_T4_T5_T6_T7_T9_mT8_P12ihipStream_tbDpT10_ENKUlT_T0_E_clISt17integral_constantIbLb0EES17_EEDaS12_S13_EUlS12_E_NS1_11comp_targetILNS1_3genE2ELNS1_11target_archE906ELNS1_3gpuE6ELNS1_3repE0EEENS1_30default_config_static_selectorELNS0_4arch9wavefront6targetE1EEEvT1_,"axG",@progbits,_ZN7rocprim17ROCPRIM_400000_NS6detail17trampoline_kernelINS0_14default_configENS1_25partition_config_selectorILNS1_17partition_subalgoE8EaNS0_10empty_typeEbEEZZNS1_14partition_implILS5_8ELb0ES3_jPKaPS6_PKS6_NS0_5tupleIJPaS6_EEENSE_IJSB_SB_EEENS0_18inequality_wrapperIN6hipcub16HIPCUB_304000_NS8EqualityEEEPlJS6_EEE10hipError_tPvRmT3_T4_T5_T6_T7_T9_mT8_P12ihipStream_tbDpT10_ENKUlT_T0_E_clISt17integral_constantIbLb0EES17_EEDaS12_S13_EUlS12_E_NS1_11comp_targetILNS1_3genE2ELNS1_11target_archE906ELNS1_3gpuE6ELNS1_3repE0EEENS1_30default_config_static_selectorELNS0_4arch9wavefront6targetE1EEEvT1_,comdat
.Lfunc_end207:
	.size	_ZN7rocprim17ROCPRIM_400000_NS6detail17trampoline_kernelINS0_14default_configENS1_25partition_config_selectorILNS1_17partition_subalgoE8EaNS0_10empty_typeEbEEZZNS1_14partition_implILS5_8ELb0ES3_jPKaPS6_PKS6_NS0_5tupleIJPaS6_EEENSE_IJSB_SB_EEENS0_18inequality_wrapperIN6hipcub16HIPCUB_304000_NS8EqualityEEEPlJS6_EEE10hipError_tPvRmT3_T4_T5_T6_T7_T9_mT8_P12ihipStream_tbDpT10_ENKUlT_T0_E_clISt17integral_constantIbLb0EES17_EEDaS12_S13_EUlS12_E_NS1_11comp_targetILNS1_3genE2ELNS1_11target_archE906ELNS1_3gpuE6ELNS1_3repE0EEENS1_30default_config_static_selectorELNS0_4arch9wavefront6targetE1EEEvT1_, .Lfunc_end207-_ZN7rocprim17ROCPRIM_400000_NS6detail17trampoline_kernelINS0_14default_configENS1_25partition_config_selectorILNS1_17partition_subalgoE8EaNS0_10empty_typeEbEEZZNS1_14partition_implILS5_8ELb0ES3_jPKaPS6_PKS6_NS0_5tupleIJPaS6_EEENSE_IJSB_SB_EEENS0_18inequality_wrapperIN6hipcub16HIPCUB_304000_NS8EqualityEEEPlJS6_EEE10hipError_tPvRmT3_T4_T5_T6_T7_T9_mT8_P12ihipStream_tbDpT10_ENKUlT_T0_E_clISt17integral_constantIbLb0EES17_EEDaS12_S13_EUlS12_E_NS1_11comp_targetILNS1_3genE2ELNS1_11target_archE906ELNS1_3gpuE6ELNS1_3repE0EEENS1_30default_config_static_selectorELNS0_4arch9wavefront6targetE1EEEvT1_
                                        ; -- End function
	.section	.AMDGPU.csdata,"",@progbits
; Kernel info:
; codeLenInByte = 0
; NumSgprs: 6
; NumVgprs: 0
; NumAgprs: 0
; TotalNumVgprs: 0
; ScratchSize: 0
; MemoryBound: 0
; FloatMode: 240
; IeeeMode: 1
; LDSByteSize: 0 bytes/workgroup (compile time only)
; SGPRBlocks: 0
; VGPRBlocks: 0
; NumSGPRsForWavesPerEU: 6
; NumVGPRsForWavesPerEU: 1
; AccumOffset: 4
; Occupancy: 8
; WaveLimiterHint : 0
; COMPUTE_PGM_RSRC2:SCRATCH_EN: 0
; COMPUTE_PGM_RSRC2:USER_SGPR: 2
; COMPUTE_PGM_RSRC2:TRAP_HANDLER: 0
; COMPUTE_PGM_RSRC2:TGID_X_EN: 1
; COMPUTE_PGM_RSRC2:TGID_Y_EN: 0
; COMPUTE_PGM_RSRC2:TGID_Z_EN: 0
; COMPUTE_PGM_RSRC2:TIDIG_COMP_CNT: 0
; COMPUTE_PGM_RSRC3_GFX90A:ACCUM_OFFSET: 0
; COMPUTE_PGM_RSRC3_GFX90A:TG_SPLIT: 0
	.section	.text._ZN7rocprim17ROCPRIM_400000_NS6detail17trampoline_kernelINS0_14default_configENS1_25partition_config_selectorILNS1_17partition_subalgoE8EaNS0_10empty_typeEbEEZZNS1_14partition_implILS5_8ELb0ES3_jPKaPS6_PKS6_NS0_5tupleIJPaS6_EEENSE_IJSB_SB_EEENS0_18inequality_wrapperIN6hipcub16HIPCUB_304000_NS8EqualityEEEPlJS6_EEE10hipError_tPvRmT3_T4_T5_T6_T7_T9_mT8_P12ihipStream_tbDpT10_ENKUlT_T0_E_clISt17integral_constantIbLb0EES17_EEDaS12_S13_EUlS12_E_NS1_11comp_targetILNS1_3genE10ELNS1_11target_archE1200ELNS1_3gpuE4ELNS1_3repE0EEENS1_30default_config_static_selectorELNS0_4arch9wavefront6targetE1EEEvT1_,"axG",@progbits,_ZN7rocprim17ROCPRIM_400000_NS6detail17trampoline_kernelINS0_14default_configENS1_25partition_config_selectorILNS1_17partition_subalgoE8EaNS0_10empty_typeEbEEZZNS1_14partition_implILS5_8ELb0ES3_jPKaPS6_PKS6_NS0_5tupleIJPaS6_EEENSE_IJSB_SB_EEENS0_18inequality_wrapperIN6hipcub16HIPCUB_304000_NS8EqualityEEEPlJS6_EEE10hipError_tPvRmT3_T4_T5_T6_T7_T9_mT8_P12ihipStream_tbDpT10_ENKUlT_T0_E_clISt17integral_constantIbLb0EES17_EEDaS12_S13_EUlS12_E_NS1_11comp_targetILNS1_3genE10ELNS1_11target_archE1200ELNS1_3gpuE4ELNS1_3repE0EEENS1_30default_config_static_selectorELNS0_4arch9wavefront6targetE1EEEvT1_,comdat
	.protected	_ZN7rocprim17ROCPRIM_400000_NS6detail17trampoline_kernelINS0_14default_configENS1_25partition_config_selectorILNS1_17partition_subalgoE8EaNS0_10empty_typeEbEEZZNS1_14partition_implILS5_8ELb0ES3_jPKaPS6_PKS6_NS0_5tupleIJPaS6_EEENSE_IJSB_SB_EEENS0_18inequality_wrapperIN6hipcub16HIPCUB_304000_NS8EqualityEEEPlJS6_EEE10hipError_tPvRmT3_T4_T5_T6_T7_T9_mT8_P12ihipStream_tbDpT10_ENKUlT_T0_E_clISt17integral_constantIbLb0EES17_EEDaS12_S13_EUlS12_E_NS1_11comp_targetILNS1_3genE10ELNS1_11target_archE1200ELNS1_3gpuE4ELNS1_3repE0EEENS1_30default_config_static_selectorELNS0_4arch9wavefront6targetE1EEEvT1_ ; -- Begin function _ZN7rocprim17ROCPRIM_400000_NS6detail17trampoline_kernelINS0_14default_configENS1_25partition_config_selectorILNS1_17partition_subalgoE8EaNS0_10empty_typeEbEEZZNS1_14partition_implILS5_8ELb0ES3_jPKaPS6_PKS6_NS0_5tupleIJPaS6_EEENSE_IJSB_SB_EEENS0_18inequality_wrapperIN6hipcub16HIPCUB_304000_NS8EqualityEEEPlJS6_EEE10hipError_tPvRmT3_T4_T5_T6_T7_T9_mT8_P12ihipStream_tbDpT10_ENKUlT_T0_E_clISt17integral_constantIbLb0EES17_EEDaS12_S13_EUlS12_E_NS1_11comp_targetILNS1_3genE10ELNS1_11target_archE1200ELNS1_3gpuE4ELNS1_3repE0EEENS1_30default_config_static_selectorELNS0_4arch9wavefront6targetE1EEEvT1_
	.globl	_ZN7rocprim17ROCPRIM_400000_NS6detail17trampoline_kernelINS0_14default_configENS1_25partition_config_selectorILNS1_17partition_subalgoE8EaNS0_10empty_typeEbEEZZNS1_14partition_implILS5_8ELb0ES3_jPKaPS6_PKS6_NS0_5tupleIJPaS6_EEENSE_IJSB_SB_EEENS0_18inequality_wrapperIN6hipcub16HIPCUB_304000_NS8EqualityEEEPlJS6_EEE10hipError_tPvRmT3_T4_T5_T6_T7_T9_mT8_P12ihipStream_tbDpT10_ENKUlT_T0_E_clISt17integral_constantIbLb0EES17_EEDaS12_S13_EUlS12_E_NS1_11comp_targetILNS1_3genE10ELNS1_11target_archE1200ELNS1_3gpuE4ELNS1_3repE0EEENS1_30default_config_static_selectorELNS0_4arch9wavefront6targetE1EEEvT1_
	.p2align	8
	.type	_ZN7rocprim17ROCPRIM_400000_NS6detail17trampoline_kernelINS0_14default_configENS1_25partition_config_selectorILNS1_17partition_subalgoE8EaNS0_10empty_typeEbEEZZNS1_14partition_implILS5_8ELb0ES3_jPKaPS6_PKS6_NS0_5tupleIJPaS6_EEENSE_IJSB_SB_EEENS0_18inequality_wrapperIN6hipcub16HIPCUB_304000_NS8EqualityEEEPlJS6_EEE10hipError_tPvRmT3_T4_T5_T6_T7_T9_mT8_P12ihipStream_tbDpT10_ENKUlT_T0_E_clISt17integral_constantIbLb0EES17_EEDaS12_S13_EUlS12_E_NS1_11comp_targetILNS1_3genE10ELNS1_11target_archE1200ELNS1_3gpuE4ELNS1_3repE0EEENS1_30default_config_static_selectorELNS0_4arch9wavefront6targetE1EEEvT1_,@function
_ZN7rocprim17ROCPRIM_400000_NS6detail17trampoline_kernelINS0_14default_configENS1_25partition_config_selectorILNS1_17partition_subalgoE8EaNS0_10empty_typeEbEEZZNS1_14partition_implILS5_8ELb0ES3_jPKaPS6_PKS6_NS0_5tupleIJPaS6_EEENSE_IJSB_SB_EEENS0_18inequality_wrapperIN6hipcub16HIPCUB_304000_NS8EqualityEEEPlJS6_EEE10hipError_tPvRmT3_T4_T5_T6_T7_T9_mT8_P12ihipStream_tbDpT10_ENKUlT_T0_E_clISt17integral_constantIbLb0EES17_EEDaS12_S13_EUlS12_E_NS1_11comp_targetILNS1_3genE10ELNS1_11target_archE1200ELNS1_3gpuE4ELNS1_3repE0EEENS1_30default_config_static_selectorELNS0_4arch9wavefront6targetE1EEEvT1_: ; @_ZN7rocprim17ROCPRIM_400000_NS6detail17trampoline_kernelINS0_14default_configENS1_25partition_config_selectorILNS1_17partition_subalgoE8EaNS0_10empty_typeEbEEZZNS1_14partition_implILS5_8ELb0ES3_jPKaPS6_PKS6_NS0_5tupleIJPaS6_EEENSE_IJSB_SB_EEENS0_18inequality_wrapperIN6hipcub16HIPCUB_304000_NS8EqualityEEEPlJS6_EEE10hipError_tPvRmT3_T4_T5_T6_T7_T9_mT8_P12ihipStream_tbDpT10_ENKUlT_T0_E_clISt17integral_constantIbLb0EES17_EEDaS12_S13_EUlS12_E_NS1_11comp_targetILNS1_3genE10ELNS1_11target_archE1200ELNS1_3gpuE4ELNS1_3repE0EEENS1_30default_config_static_selectorELNS0_4arch9wavefront6targetE1EEEvT1_
; %bb.0:
	.section	.rodata,"a",@progbits
	.p2align	6, 0x0
	.amdhsa_kernel _ZN7rocprim17ROCPRIM_400000_NS6detail17trampoline_kernelINS0_14default_configENS1_25partition_config_selectorILNS1_17partition_subalgoE8EaNS0_10empty_typeEbEEZZNS1_14partition_implILS5_8ELb0ES3_jPKaPS6_PKS6_NS0_5tupleIJPaS6_EEENSE_IJSB_SB_EEENS0_18inequality_wrapperIN6hipcub16HIPCUB_304000_NS8EqualityEEEPlJS6_EEE10hipError_tPvRmT3_T4_T5_T6_T7_T9_mT8_P12ihipStream_tbDpT10_ENKUlT_T0_E_clISt17integral_constantIbLb0EES17_EEDaS12_S13_EUlS12_E_NS1_11comp_targetILNS1_3genE10ELNS1_11target_archE1200ELNS1_3gpuE4ELNS1_3repE0EEENS1_30default_config_static_selectorELNS0_4arch9wavefront6targetE1EEEvT1_
		.amdhsa_group_segment_fixed_size 0
		.amdhsa_private_segment_fixed_size 0
		.amdhsa_kernarg_size 112
		.amdhsa_user_sgpr_count 2
		.amdhsa_user_sgpr_dispatch_ptr 0
		.amdhsa_user_sgpr_queue_ptr 0
		.amdhsa_user_sgpr_kernarg_segment_ptr 1
		.amdhsa_user_sgpr_dispatch_id 0
		.amdhsa_user_sgpr_kernarg_preload_length 0
		.amdhsa_user_sgpr_kernarg_preload_offset 0
		.amdhsa_user_sgpr_private_segment_size 0
		.amdhsa_uses_dynamic_stack 0
		.amdhsa_enable_private_segment 0
		.amdhsa_system_sgpr_workgroup_id_x 1
		.amdhsa_system_sgpr_workgroup_id_y 0
		.amdhsa_system_sgpr_workgroup_id_z 0
		.amdhsa_system_sgpr_workgroup_info 0
		.amdhsa_system_vgpr_workitem_id 0
		.amdhsa_next_free_vgpr 1
		.amdhsa_next_free_sgpr 0
		.amdhsa_accum_offset 4
		.amdhsa_reserve_vcc 0
		.amdhsa_float_round_mode_32 0
		.amdhsa_float_round_mode_16_64 0
		.amdhsa_float_denorm_mode_32 3
		.amdhsa_float_denorm_mode_16_64 3
		.amdhsa_dx10_clamp 1
		.amdhsa_ieee_mode 1
		.amdhsa_fp16_overflow 0
		.amdhsa_tg_split 0
		.amdhsa_exception_fp_ieee_invalid_op 0
		.amdhsa_exception_fp_denorm_src 0
		.amdhsa_exception_fp_ieee_div_zero 0
		.amdhsa_exception_fp_ieee_overflow 0
		.amdhsa_exception_fp_ieee_underflow 0
		.amdhsa_exception_fp_ieee_inexact 0
		.amdhsa_exception_int_div_zero 0
	.end_amdhsa_kernel
	.section	.text._ZN7rocprim17ROCPRIM_400000_NS6detail17trampoline_kernelINS0_14default_configENS1_25partition_config_selectorILNS1_17partition_subalgoE8EaNS0_10empty_typeEbEEZZNS1_14partition_implILS5_8ELb0ES3_jPKaPS6_PKS6_NS0_5tupleIJPaS6_EEENSE_IJSB_SB_EEENS0_18inequality_wrapperIN6hipcub16HIPCUB_304000_NS8EqualityEEEPlJS6_EEE10hipError_tPvRmT3_T4_T5_T6_T7_T9_mT8_P12ihipStream_tbDpT10_ENKUlT_T0_E_clISt17integral_constantIbLb0EES17_EEDaS12_S13_EUlS12_E_NS1_11comp_targetILNS1_3genE10ELNS1_11target_archE1200ELNS1_3gpuE4ELNS1_3repE0EEENS1_30default_config_static_selectorELNS0_4arch9wavefront6targetE1EEEvT1_,"axG",@progbits,_ZN7rocprim17ROCPRIM_400000_NS6detail17trampoline_kernelINS0_14default_configENS1_25partition_config_selectorILNS1_17partition_subalgoE8EaNS0_10empty_typeEbEEZZNS1_14partition_implILS5_8ELb0ES3_jPKaPS6_PKS6_NS0_5tupleIJPaS6_EEENSE_IJSB_SB_EEENS0_18inequality_wrapperIN6hipcub16HIPCUB_304000_NS8EqualityEEEPlJS6_EEE10hipError_tPvRmT3_T4_T5_T6_T7_T9_mT8_P12ihipStream_tbDpT10_ENKUlT_T0_E_clISt17integral_constantIbLb0EES17_EEDaS12_S13_EUlS12_E_NS1_11comp_targetILNS1_3genE10ELNS1_11target_archE1200ELNS1_3gpuE4ELNS1_3repE0EEENS1_30default_config_static_selectorELNS0_4arch9wavefront6targetE1EEEvT1_,comdat
.Lfunc_end208:
	.size	_ZN7rocprim17ROCPRIM_400000_NS6detail17trampoline_kernelINS0_14default_configENS1_25partition_config_selectorILNS1_17partition_subalgoE8EaNS0_10empty_typeEbEEZZNS1_14partition_implILS5_8ELb0ES3_jPKaPS6_PKS6_NS0_5tupleIJPaS6_EEENSE_IJSB_SB_EEENS0_18inequality_wrapperIN6hipcub16HIPCUB_304000_NS8EqualityEEEPlJS6_EEE10hipError_tPvRmT3_T4_T5_T6_T7_T9_mT8_P12ihipStream_tbDpT10_ENKUlT_T0_E_clISt17integral_constantIbLb0EES17_EEDaS12_S13_EUlS12_E_NS1_11comp_targetILNS1_3genE10ELNS1_11target_archE1200ELNS1_3gpuE4ELNS1_3repE0EEENS1_30default_config_static_selectorELNS0_4arch9wavefront6targetE1EEEvT1_, .Lfunc_end208-_ZN7rocprim17ROCPRIM_400000_NS6detail17trampoline_kernelINS0_14default_configENS1_25partition_config_selectorILNS1_17partition_subalgoE8EaNS0_10empty_typeEbEEZZNS1_14partition_implILS5_8ELb0ES3_jPKaPS6_PKS6_NS0_5tupleIJPaS6_EEENSE_IJSB_SB_EEENS0_18inequality_wrapperIN6hipcub16HIPCUB_304000_NS8EqualityEEEPlJS6_EEE10hipError_tPvRmT3_T4_T5_T6_T7_T9_mT8_P12ihipStream_tbDpT10_ENKUlT_T0_E_clISt17integral_constantIbLb0EES17_EEDaS12_S13_EUlS12_E_NS1_11comp_targetILNS1_3genE10ELNS1_11target_archE1200ELNS1_3gpuE4ELNS1_3repE0EEENS1_30default_config_static_selectorELNS0_4arch9wavefront6targetE1EEEvT1_
                                        ; -- End function
	.section	.AMDGPU.csdata,"",@progbits
; Kernel info:
; codeLenInByte = 0
; NumSgprs: 6
; NumVgprs: 0
; NumAgprs: 0
; TotalNumVgprs: 0
; ScratchSize: 0
; MemoryBound: 0
; FloatMode: 240
; IeeeMode: 1
; LDSByteSize: 0 bytes/workgroup (compile time only)
; SGPRBlocks: 0
; VGPRBlocks: 0
; NumSGPRsForWavesPerEU: 6
; NumVGPRsForWavesPerEU: 1
; AccumOffset: 4
; Occupancy: 8
; WaveLimiterHint : 0
; COMPUTE_PGM_RSRC2:SCRATCH_EN: 0
; COMPUTE_PGM_RSRC2:USER_SGPR: 2
; COMPUTE_PGM_RSRC2:TRAP_HANDLER: 0
; COMPUTE_PGM_RSRC2:TGID_X_EN: 1
; COMPUTE_PGM_RSRC2:TGID_Y_EN: 0
; COMPUTE_PGM_RSRC2:TGID_Z_EN: 0
; COMPUTE_PGM_RSRC2:TIDIG_COMP_CNT: 0
; COMPUTE_PGM_RSRC3_GFX90A:ACCUM_OFFSET: 0
; COMPUTE_PGM_RSRC3_GFX90A:TG_SPLIT: 0
	.section	.text._ZN7rocprim17ROCPRIM_400000_NS6detail17trampoline_kernelINS0_14default_configENS1_25partition_config_selectorILNS1_17partition_subalgoE8EaNS0_10empty_typeEbEEZZNS1_14partition_implILS5_8ELb0ES3_jPKaPS6_PKS6_NS0_5tupleIJPaS6_EEENSE_IJSB_SB_EEENS0_18inequality_wrapperIN6hipcub16HIPCUB_304000_NS8EqualityEEEPlJS6_EEE10hipError_tPvRmT3_T4_T5_T6_T7_T9_mT8_P12ihipStream_tbDpT10_ENKUlT_T0_E_clISt17integral_constantIbLb0EES17_EEDaS12_S13_EUlS12_E_NS1_11comp_targetILNS1_3genE9ELNS1_11target_archE1100ELNS1_3gpuE3ELNS1_3repE0EEENS1_30default_config_static_selectorELNS0_4arch9wavefront6targetE1EEEvT1_,"axG",@progbits,_ZN7rocprim17ROCPRIM_400000_NS6detail17trampoline_kernelINS0_14default_configENS1_25partition_config_selectorILNS1_17partition_subalgoE8EaNS0_10empty_typeEbEEZZNS1_14partition_implILS5_8ELb0ES3_jPKaPS6_PKS6_NS0_5tupleIJPaS6_EEENSE_IJSB_SB_EEENS0_18inequality_wrapperIN6hipcub16HIPCUB_304000_NS8EqualityEEEPlJS6_EEE10hipError_tPvRmT3_T4_T5_T6_T7_T9_mT8_P12ihipStream_tbDpT10_ENKUlT_T0_E_clISt17integral_constantIbLb0EES17_EEDaS12_S13_EUlS12_E_NS1_11comp_targetILNS1_3genE9ELNS1_11target_archE1100ELNS1_3gpuE3ELNS1_3repE0EEENS1_30default_config_static_selectorELNS0_4arch9wavefront6targetE1EEEvT1_,comdat
	.protected	_ZN7rocprim17ROCPRIM_400000_NS6detail17trampoline_kernelINS0_14default_configENS1_25partition_config_selectorILNS1_17partition_subalgoE8EaNS0_10empty_typeEbEEZZNS1_14partition_implILS5_8ELb0ES3_jPKaPS6_PKS6_NS0_5tupleIJPaS6_EEENSE_IJSB_SB_EEENS0_18inequality_wrapperIN6hipcub16HIPCUB_304000_NS8EqualityEEEPlJS6_EEE10hipError_tPvRmT3_T4_T5_T6_T7_T9_mT8_P12ihipStream_tbDpT10_ENKUlT_T0_E_clISt17integral_constantIbLb0EES17_EEDaS12_S13_EUlS12_E_NS1_11comp_targetILNS1_3genE9ELNS1_11target_archE1100ELNS1_3gpuE3ELNS1_3repE0EEENS1_30default_config_static_selectorELNS0_4arch9wavefront6targetE1EEEvT1_ ; -- Begin function _ZN7rocprim17ROCPRIM_400000_NS6detail17trampoline_kernelINS0_14default_configENS1_25partition_config_selectorILNS1_17partition_subalgoE8EaNS0_10empty_typeEbEEZZNS1_14partition_implILS5_8ELb0ES3_jPKaPS6_PKS6_NS0_5tupleIJPaS6_EEENSE_IJSB_SB_EEENS0_18inequality_wrapperIN6hipcub16HIPCUB_304000_NS8EqualityEEEPlJS6_EEE10hipError_tPvRmT3_T4_T5_T6_T7_T9_mT8_P12ihipStream_tbDpT10_ENKUlT_T0_E_clISt17integral_constantIbLb0EES17_EEDaS12_S13_EUlS12_E_NS1_11comp_targetILNS1_3genE9ELNS1_11target_archE1100ELNS1_3gpuE3ELNS1_3repE0EEENS1_30default_config_static_selectorELNS0_4arch9wavefront6targetE1EEEvT1_
	.globl	_ZN7rocprim17ROCPRIM_400000_NS6detail17trampoline_kernelINS0_14default_configENS1_25partition_config_selectorILNS1_17partition_subalgoE8EaNS0_10empty_typeEbEEZZNS1_14partition_implILS5_8ELb0ES3_jPKaPS6_PKS6_NS0_5tupleIJPaS6_EEENSE_IJSB_SB_EEENS0_18inequality_wrapperIN6hipcub16HIPCUB_304000_NS8EqualityEEEPlJS6_EEE10hipError_tPvRmT3_T4_T5_T6_T7_T9_mT8_P12ihipStream_tbDpT10_ENKUlT_T0_E_clISt17integral_constantIbLb0EES17_EEDaS12_S13_EUlS12_E_NS1_11comp_targetILNS1_3genE9ELNS1_11target_archE1100ELNS1_3gpuE3ELNS1_3repE0EEENS1_30default_config_static_selectorELNS0_4arch9wavefront6targetE1EEEvT1_
	.p2align	8
	.type	_ZN7rocprim17ROCPRIM_400000_NS6detail17trampoline_kernelINS0_14default_configENS1_25partition_config_selectorILNS1_17partition_subalgoE8EaNS0_10empty_typeEbEEZZNS1_14partition_implILS5_8ELb0ES3_jPKaPS6_PKS6_NS0_5tupleIJPaS6_EEENSE_IJSB_SB_EEENS0_18inequality_wrapperIN6hipcub16HIPCUB_304000_NS8EqualityEEEPlJS6_EEE10hipError_tPvRmT3_T4_T5_T6_T7_T9_mT8_P12ihipStream_tbDpT10_ENKUlT_T0_E_clISt17integral_constantIbLb0EES17_EEDaS12_S13_EUlS12_E_NS1_11comp_targetILNS1_3genE9ELNS1_11target_archE1100ELNS1_3gpuE3ELNS1_3repE0EEENS1_30default_config_static_selectorELNS0_4arch9wavefront6targetE1EEEvT1_,@function
_ZN7rocprim17ROCPRIM_400000_NS6detail17trampoline_kernelINS0_14default_configENS1_25partition_config_selectorILNS1_17partition_subalgoE8EaNS0_10empty_typeEbEEZZNS1_14partition_implILS5_8ELb0ES3_jPKaPS6_PKS6_NS0_5tupleIJPaS6_EEENSE_IJSB_SB_EEENS0_18inequality_wrapperIN6hipcub16HIPCUB_304000_NS8EqualityEEEPlJS6_EEE10hipError_tPvRmT3_T4_T5_T6_T7_T9_mT8_P12ihipStream_tbDpT10_ENKUlT_T0_E_clISt17integral_constantIbLb0EES17_EEDaS12_S13_EUlS12_E_NS1_11comp_targetILNS1_3genE9ELNS1_11target_archE1100ELNS1_3gpuE3ELNS1_3repE0EEENS1_30default_config_static_selectorELNS0_4arch9wavefront6targetE1EEEvT1_: ; @_ZN7rocprim17ROCPRIM_400000_NS6detail17trampoline_kernelINS0_14default_configENS1_25partition_config_selectorILNS1_17partition_subalgoE8EaNS0_10empty_typeEbEEZZNS1_14partition_implILS5_8ELb0ES3_jPKaPS6_PKS6_NS0_5tupleIJPaS6_EEENSE_IJSB_SB_EEENS0_18inequality_wrapperIN6hipcub16HIPCUB_304000_NS8EqualityEEEPlJS6_EEE10hipError_tPvRmT3_T4_T5_T6_T7_T9_mT8_P12ihipStream_tbDpT10_ENKUlT_T0_E_clISt17integral_constantIbLb0EES17_EEDaS12_S13_EUlS12_E_NS1_11comp_targetILNS1_3genE9ELNS1_11target_archE1100ELNS1_3gpuE3ELNS1_3repE0EEENS1_30default_config_static_selectorELNS0_4arch9wavefront6targetE1EEEvT1_
; %bb.0:
	.section	.rodata,"a",@progbits
	.p2align	6, 0x0
	.amdhsa_kernel _ZN7rocprim17ROCPRIM_400000_NS6detail17trampoline_kernelINS0_14default_configENS1_25partition_config_selectorILNS1_17partition_subalgoE8EaNS0_10empty_typeEbEEZZNS1_14partition_implILS5_8ELb0ES3_jPKaPS6_PKS6_NS0_5tupleIJPaS6_EEENSE_IJSB_SB_EEENS0_18inequality_wrapperIN6hipcub16HIPCUB_304000_NS8EqualityEEEPlJS6_EEE10hipError_tPvRmT3_T4_T5_T6_T7_T9_mT8_P12ihipStream_tbDpT10_ENKUlT_T0_E_clISt17integral_constantIbLb0EES17_EEDaS12_S13_EUlS12_E_NS1_11comp_targetILNS1_3genE9ELNS1_11target_archE1100ELNS1_3gpuE3ELNS1_3repE0EEENS1_30default_config_static_selectorELNS0_4arch9wavefront6targetE1EEEvT1_
		.amdhsa_group_segment_fixed_size 0
		.amdhsa_private_segment_fixed_size 0
		.amdhsa_kernarg_size 112
		.amdhsa_user_sgpr_count 2
		.amdhsa_user_sgpr_dispatch_ptr 0
		.amdhsa_user_sgpr_queue_ptr 0
		.amdhsa_user_sgpr_kernarg_segment_ptr 1
		.amdhsa_user_sgpr_dispatch_id 0
		.amdhsa_user_sgpr_kernarg_preload_length 0
		.amdhsa_user_sgpr_kernarg_preload_offset 0
		.amdhsa_user_sgpr_private_segment_size 0
		.amdhsa_uses_dynamic_stack 0
		.amdhsa_enable_private_segment 0
		.amdhsa_system_sgpr_workgroup_id_x 1
		.amdhsa_system_sgpr_workgroup_id_y 0
		.amdhsa_system_sgpr_workgroup_id_z 0
		.amdhsa_system_sgpr_workgroup_info 0
		.amdhsa_system_vgpr_workitem_id 0
		.amdhsa_next_free_vgpr 1
		.amdhsa_next_free_sgpr 0
		.amdhsa_accum_offset 4
		.amdhsa_reserve_vcc 0
		.amdhsa_float_round_mode_32 0
		.amdhsa_float_round_mode_16_64 0
		.amdhsa_float_denorm_mode_32 3
		.amdhsa_float_denorm_mode_16_64 3
		.amdhsa_dx10_clamp 1
		.amdhsa_ieee_mode 1
		.amdhsa_fp16_overflow 0
		.amdhsa_tg_split 0
		.amdhsa_exception_fp_ieee_invalid_op 0
		.amdhsa_exception_fp_denorm_src 0
		.amdhsa_exception_fp_ieee_div_zero 0
		.amdhsa_exception_fp_ieee_overflow 0
		.amdhsa_exception_fp_ieee_underflow 0
		.amdhsa_exception_fp_ieee_inexact 0
		.amdhsa_exception_int_div_zero 0
	.end_amdhsa_kernel
	.section	.text._ZN7rocprim17ROCPRIM_400000_NS6detail17trampoline_kernelINS0_14default_configENS1_25partition_config_selectorILNS1_17partition_subalgoE8EaNS0_10empty_typeEbEEZZNS1_14partition_implILS5_8ELb0ES3_jPKaPS6_PKS6_NS0_5tupleIJPaS6_EEENSE_IJSB_SB_EEENS0_18inequality_wrapperIN6hipcub16HIPCUB_304000_NS8EqualityEEEPlJS6_EEE10hipError_tPvRmT3_T4_T5_T6_T7_T9_mT8_P12ihipStream_tbDpT10_ENKUlT_T0_E_clISt17integral_constantIbLb0EES17_EEDaS12_S13_EUlS12_E_NS1_11comp_targetILNS1_3genE9ELNS1_11target_archE1100ELNS1_3gpuE3ELNS1_3repE0EEENS1_30default_config_static_selectorELNS0_4arch9wavefront6targetE1EEEvT1_,"axG",@progbits,_ZN7rocprim17ROCPRIM_400000_NS6detail17trampoline_kernelINS0_14default_configENS1_25partition_config_selectorILNS1_17partition_subalgoE8EaNS0_10empty_typeEbEEZZNS1_14partition_implILS5_8ELb0ES3_jPKaPS6_PKS6_NS0_5tupleIJPaS6_EEENSE_IJSB_SB_EEENS0_18inequality_wrapperIN6hipcub16HIPCUB_304000_NS8EqualityEEEPlJS6_EEE10hipError_tPvRmT3_T4_T5_T6_T7_T9_mT8_P12ihipStream_tbDpT10_ENKUlT_T0_E_clISt17integral_constantIbLb0EES17_EEDaS12_S13_EUlS12_E_NS1_11comp_targetILNS1_3genE9ELNS1_11target_archE1100ELNS1_3gpuE3ELNS1_3repE0EEENS1_30default_config_static_selectorELNS0_4arch9wavefront6targetE1EEEvT1_,comdat
.Lfunc_end209:
	.size	_ZN7rocprim17ROCPRIM_400000_NS6detail17trampoline_kernelINS0_14default_configENS1_25partition_config_selectorILNS1_17partition_subalgoE8EaNS0_10empty_typeEbEEZZNS1_14partition_implILS5_8ELb0ES3_jPKaPS6_PKS6_NS0_5tupleIJPaS6_EEENSE_IJSB_SB_EEENS0_18inequality_wrapperIN6hipcub16HIPCUB_304000_NS8EqualityEEEPlJS6_EEE10hipError_tPvRmT3_T4_T5_T6_T7_T9_mT8_P12ihipStream_tbDpT10_ENKUlT_T0_E_clISt17integral_constantIbLb0EES17_EEDaS12_S13_EUlS12_E_NS1_11comp_targetILNS1_3genE9ELNS1_11target_archE1100ELNS1_3gpuE3ELNS1_3repE0EEENS1_30default_config_static_selectorELNS0_4arch9wavefront6targetE1EEEvT1_, .Lfunc_end209-_ZN7rocprim17ROCPRIM_400000_NS6detail17trampoline_kernelINS0_14default_configENS1_25partition_config_selectorILNS1_17partition_subalgoE8EaNS0_10empty_typeEbEEZZNS1_14partition_implILS5_8ELb0ES3_jPKaPS6_PKS6_NS0_5tupleIJPaS6_EEENSE_IJSB_SB_EEENS0_18inequality_wrapperIN6hipcub16HIPCUB_304000_NS8EqualityEEEPlJS6_EEE10hipError_tPvRmT3_T4_T5_T6_T7_T9_mT8_P12ihipStream_tbDpT10_ENKUlT_T0_E_clISt17integral_constantIbLb0EES17_EEDaS12_S13_EUlS12_E_NS1_11comp_targetILNS1_3genE9ELNS1_11target_archE1100ELNS1_3gpuE3ELNS1_3repE0EEENS1_30default_config_static_selectorELNS0_4arch9wavefront6targetE1EEEvT1_
                                        ; -- End function
	.section	.AMDGPU.csdata,"",@progbits
; Kernel info:
; codeLenInByte = 0
; NumSgprs: 6
; NumVgprs: 0
; NumAgprs: 0
; TotalNumVgprs: 0
; ScratchSize: 0
; MemoryBound: 0
; FloatMode: 240
; IeeeMode: 1
; LDSByteSize: 0 bytes/workgroup (compile time only)
; SGPRBlocks: 0
; VGPRBlocks: 0
; NumSGPRsForWavesPerEU: 6
; NumVGPRsForWavesPerEU: 1
; AccumOffset: 4
; Occupancy: 8
; WaveLimiterHint : 0
; COMPUTE_PGM_RSRC2:SCRATCH_EN: 0
; COMPUTE_PGM_RSRC2:USER_SGPR: 2
; COMPUTE_PGM_RSRC2:TRAP_HANDLER: 0
; COMPUTE_PGM_RSRC2:TGID_X_EN: 1
; COMPUTE_PGM_RSRC2:TGID_Y_EN: 0
; COMPUTE_PGM_RSRC2:TGID_Z_EN: 0
; COMPUTE_PGM_RSRC2:TIDIG_COMP_CNT: 0
; COMPUTE_PGM_RSRC3_GFX90A:ACCUM_OFFSET: 0
; COMPUTE_PGM_RSRC3_GFX90A:TG_SPLIT: 0
	.section	.text._ZN7rocprim17ROCPRIM_400000_NS6detail17trampoline_kernelINS0_14default_configENS1_25partition_config_selectorILNS1_17partition_subalgoE8EaNS0_10empty_typeEbEEZZNS1_14partition_implILS5_8ELb0ES3_jPKaPS6_PKS6_NS0_5tupleIJPaS6_EEENSE_IJSB_SB_EEENS0_18inequality_wrapperIN6hipcub16HIPCUB_304000_NS8EqualityEEEPlJS6_EEE10hipError_tPvRmT3_T4_T5_T6_T7_T9_mT8_P12ihipStream_tbDpT10_ENKUlT_T0_E_clISt17integral_constantIbLb0EES17_EEDaS12_S13_EUlS12_E_NS1_11comp_targetILNS1_3genE8ELNS1_11target_archE1030ELNS1_3gpuE2ELNS1_3repE0EEENS1_30default_config_static_selectorELNS0_4arch9wavefront6targetE1EEEvT1_,"axG",@progbits,_ZN7rocprim17ROCPRIM_400000_NS6detail17trampoline_kernelINS0_14default_configENS1_25partition_config_selectorILNS1_17partition_subalgoE8EaNS0_10empty_typeEbEEZZNS1_14partition_implILS5_8ELb0ES3_jPKaPS6_PKS6_NS0_5tupleIJPaS6_EEENSE_IJSB_SB_EEENS0_18inequality_wrapperIN6hipcub16HIPCUB_304000_NS8EqualityEEEPlJS6_EEE10hipError_tPvRmT3_T4_T5_T6_T7_T9_mT8_P12ihipStream_tbDpT10_ENKUlT_T0_E_clISt17integral_constantIbLb0EES17_EEDaS12_S13_EUlS12_E_NS1_11comp_targetILNS1_3genE8ELNS1_11target_archE1030ELNS1_3gpuE2ELNS1_3repE0EEENS1_30default_config_static_selectorELNS0_4arch9wavefront6targetE1EEEvT1_,comdat
	.protected	_ZN7rocprim17ROCPRIM_400000_NS6detail17trampoline_kernelINS0_14default_configENS1_25partition_config_selectorILNS1_17partition_subalgoE8EaNS0_10empty_typeEbEEZZNS1_14partition_implILS5_8ELb0ES3_jPKaPS6_PKS6_NS0_5tupleIJPaS6_EEENSE_IJSB_SB_EEENS0_18inequality_wrapperIN6hipcub16HIPCUB_304000_NS8EqualityEEEPlJS6_EEE10hipError_tPvRmT3_T4_T5_T6_T7_T9_mT8_P12ihipStream_tbDpT10_ENKUlT_T0_E_clISt17integral_constantIbLb0EES17_EEDaS12_S13_EUlS12_E_NS1_11comp_targetILNS1_3genE8ELNS1_11target_archE1030ELNS1_3gpuE2ELNS1_3repE0EEENS1_30default_config_static_selectorELNS0_4arch9wavefront6targetE1EEEvT1_ ; -- Begin function _ZN7rocprim17ROCPRIM_400000_NS6detail17trampoline_kernelINS0_14default_configENS1_25partition_config_selectorILNS1_17partition_subalgoE8EaNS0_10empty_typeEbEEZZNS1_14partition_implILS5_8ELb0ES3_jPKaPS6_PKS6_NS0_5tupleIJPaS6_EEENSE_IJSB_SB_EEENS0_18inequality_wrapperIN6hipcub16HIPCUB_304000_NS8EqualityEEEPlJS6_EEE10hipError_tPvRmT3_T4_T5_T6_T7_T9_mT8_P12ihipStream_tbDpT10_ENKUlT_T0_E_clISt17integral_constantIbLb0EES17_EEDaS12_S13_EUlS12_E_NS1_11comp_targetILNS1_3genE8ELNS1_11target_archE1030ELNS1_3gpuE2ELNS1_3repE0EEENS1_30default_config_static_selectorELNS0_4arch9wavefront6targetE1EEEvT1_
	.globl	_ZN7rocprim17ROCPRIM_400000_NS6detail17trampoline_kernelINS0_14default_configENS1_25partition_config_selectorILNS1_17partition_subalgoE8EaNS0_10empty_typeEbEEZZNS1_14partition_implILS5_8ELb0ES3_jPKaPS6_PKS6_NS0_5tupleIJPaS6_EEENSE_IJSB_SB_EEENS0_18inequality_wrapperIN6hipcub16HIPCUB_304000_NS8EqualityEEEPlJS6_EEE10hipError_tPvRmT3_T4_T5_T6_T7_T9_mT8_P12ihipStream_tbDpT10_ENKUlT_T0_E_clISt17integral_constantIbLb0EES17_EEDaS12_S13_EUlS12_E_NS1_11comp_targetILNS1_3genE8ELNS1_11target_archE1030ELNS1_3gpuE2ELNS1_3repE0EEENS1_30default_config_static_selectorELNS0_4arch9wavefront6targetE1EEEvT1_
	.p2align	8
	.type	_ZN7rocprim17ROCPRIM_400000_NS6detail17trampoline_kernelINS0_14default_configENS1_25partition_config_selectorILNS1_17partition_subalgoE8EaNS0_10empty_typeEbEEZZNS1_14partition_implILS5_8ELb0ES3_jPKaPS6_PKS6_NS0_5tupleIJPaS6_EEENSE_IJSB_SB_EEENS0_18inequality_wrapperIN6hipcub16HIPCUB_304000_NS8EqualityEEEPlJS6_EEE10hipError_tPvRmT3_T4_T5_T6_T7_T9_mT8_P12ihipStream_tbDpT10_ENKUlT_T0_E_clISt17integral_constantIbLb0EES17_EEDaS12_S13_EUlS12_E_NS1_11comp_targetILNS1_3genE8ELNS1_11target_archE1030ELNS1_3gpuE2ELNS1_3repE0EEENS1_30default_config_static_selectorELNS0_4arch9wavefront6targetE1EEEvT1_,@function
_ZN7rocprim17ROCPRIM_400000_NS6detail17trampoline_kernelINS0_14default_configENS1_25partition_config_selectorILNS1_17partition_subalgoE8EaNS0_10empty_typeEbEEZZNS1_14partition_implILS5_8ELb0ES3_jPKaPS6_PKS6_NS0_5tupleIJPaS6_EEENSE_IJSB_SB_EEENS0_18inequality_wrapperIN6hipcub16HIPCUB_304000_NS8EqualityEEEPlJS6_EEE10hipError_tPvRmT3_T4_T5_T6_T7_T9_mT8_P12ihipStream_tbDpT10_ENKUlT_T0_E_clISt17integral_constantIbLb0EES17_EEDaS12_S13_EUlS12_E_NS1_11comp_targetILNS1_3genE8ELNS1_11target_archE1030ELNS1_3gpuE2ELNS1_3repE0EEENS1_30default_config_static_selectorELNS0_4arch9wavefront6targetE1EEEvT1_: ; @_ZN7rocprim17ROCPRIM_400000_NS6detail17trampoline_kernelINS0_14default_configENS1_25partition_config_selectorILNS1_17partition_subalgoE8EaNS0_10empty_typeEbEEZZNS1_14partition_implILS5_8ELb0ES3_jPKaPS6_PKS6_NS0_5tupleIJPaS6_EEENSE_IJSB_SB_EEENS0_18inequality_wrapperIN6hipcub16HIPCUB_304000_NS8EqualityEEEPlJS6_EEE10hipError_tPvRmT3_T4_T5_T6_T7_T9_mT8_P12ihipStream_tbDpT10_ENKUlT_T0_E_clISt17integral_constantIbLb0EES17_EEDaS12_S13_EUlS12_E_NS1_11comp_targetILNS1_3genE8ELNS1_11target_archE1030ELNS1_3gpuE2ELNS1_3repE0EEENS1_30default_config_static_selectorELNS0_4arch9wavefront6targetE1EEEvT1_
; %bb.0:
	.section	.rodata,"a",@progbits
	.p2align	6, 0x0
	.amdhsa_kernel _ZN7rocprim17ROCPRIM_400000_NS6detail17trampoline_kernelINS0_14default_configENS1_25partition_config_selectorILNS1_17partition_subalgoE8EaNS0_10empty_typeEbEEZZNS1_14partition_implILS5_8ELb0ES3_jPKaPS6_PKS6_NS0_5tupleIJPaS6_EEENSE_IJSB_SB_EEENS0_18inequality_wrapperIN6hipcub16HIPCUB_304000_NS8EqualityEEEPlJS6_EEE10hipError_tPvRmT3_T4_T5_T6_T7_T9_mT8_P12ihipStream_tbDpT10_ENKUlT_T0_E_clISt17integral_constantIbLb0EES17_EEDaS12_S13_EUlS12_E_NS1_11comp_targetILNS1_3genE8ELNS1_11target_archE1030ELNS1_3gpuE2ELNS1_3repE0EEENS1_30default_config_static_selectorELNS0_4arch9wavefront6targetE1EEEvT1_
		.amdhsa_group_segment_fixed_size 0
		.amdhsa_private_segment_fixed_size 0
		.amdhsa_kernarg_size 112
		.amdhsa_user_sgpr_count 2
		.amdhsa_user_sgpr_dispatch_ptr 0
		.amdhsa_user_sgpr_queue_ptr 0
		.amdhsa_user_sgpr_kernarg_segment_ptr 1
		.amdhsa_user_sgpr_dispatch_id 0
		.amdhsa_user_sgpr_kernarg_preload_length 0
		.amdhsa_user_sgpr_kernarg_preload_offset 0
		.amdhsa_user_sgpr_private_segment_size 0
		.amdhsa_uses_dynamic_stack 0
		.amdhsa_enable_private_segment 0
		.amdhsa_system_sgpr_workgroup_id_x 1
		.amdhsa_system_sgpr_workgroup_id_y 0
		.amdhsa_system_sgpr_workgroup_id_z 0
		.amdhsa_system_sgpr_workgroup_info 0
		.amdhsa_system_vgpr_workitem_id 0
		.amdhsa_next_free_vgpr 1
		.amdhsa_next_free_sgpr 0
		.amdhsa_accum_offset 4
		.amdhsa_reserve_vcc 0
		.amdhsa_float_round_mode_32 0
		.amdhsa_float_round_mode_16_64 0
		.amdhsa_float_denorm_mode_32 3
		.amdhsa_float_denorm_mode_16_64 3
		.amdhsa_dx10_clamp 1
		.amdhsa_ieee_mode 1
		.amdhsa_fp16_overflow 0
		.amdhsa_tg_split 0
		.amdhsa_exception_fp_ieee_invalid_op 0
		.amdhsa_exception_fp_denorm_src 0
		.amdhsa_exception_fp_ieee_div_zero 0
		.amdhsa_exception_fp_ieee_overflow 0
		.amdhsa_exception_fp_ieee_underflow 0
		.amdhsa_exception_fp_ieee_inexact 0
		.amdhsa_exception_int_div_zero 0
	.end_amdhsa_kernel
	.section	.text._ZN7rocprim17ROCPRIM_400000_NS6detail17trampoline_kernelINS0_14default_configENS1_25partition_config_selectorILNS1_17partition_subalgoE8EaNS0_10empty_typeEbEEZZNS1_14partition_implILS5_8ELb0ES3_jPKaPS6_PKS6_NS0_5tupleIJPaS6_EEENSE_IJSB_SB_EEENS0_18inequality_wrapperIN6hipcub16HIPCUB_304000_NS8EqualityEEEPlJS6_EEE10hipError_tPvRmT3_T4_T5_T6_T7_T9_mT8_P12ihipStream_tbDpT10_ENKUlT_T0_E_clISt17integral_constantIbLb0EES17_EEDaS12_S13_EUlS12_E_NS1_11comp_targetILNS1_3genE8ELNS1_11target_archE1030ELNS1_3gpuE2ELNS1_3repE0EEENS1_30default_config_static_selectorELNS0_4arch9wavefront6targetE1EEEvT1_,"axG",@progbits,_ZN7rocprim17ROCPRIM_400000_NS6detail17trampoline_kernelINS0_14default_configENS1_25partition_config_selectorILNS1_17partition_subalgoE8EaNS0_10empty_typeEbEEZZNS1_14partition_implILS5_8ELb0ES3_jPKaPS6_PKS6_NS0_5tupleIJPaS6_EEENSE_IJSB_SB_EEENS0_18inequality_wrapperIN6hipcub16HIPCUB_304000_NS8EqualityEEEPlJS6_EEE10hipError_tPvRmT3_T4_T5_T6_T7_T9_mT8_P12ihipStream_tbDpT10_ENKUlT_T0_E_clISt17integral_constantIbLb0EES17_EEDaS12_S13_EUlS12_E_NS1_11comp_targetILNS1_3genE8ELNS1_11target_archE1030ELNS1_3gpuE2ELNS1_3repE0EEENS1_30default_config_static_selectorELNS0_4arch9wavefront6targetE1EEEvT1_,comdat
.Lfunc_end210:
	.size	_ZN7rocprim17ROCPRIM_400000_NS6detail17trampoline_kernelINS0_14default_configENS1_25partition_config_selectorILNS1_17partition_subalgoE8EaNS0_10empty_typeEbEEZZNS1_14partition_implILS5_8ELb0ES3_jPKaPS6_PKS6_NS0_5tupleIJPaS6_EEENSE_IJSB_SB_EEENS0_18inequality_wrapperIN6hipcub16HIPCUB_304000_NS8EqualityEEEPlJS6_EEE10hipError_tPvRmT3_T4_T5_T6_T7_T9_mT8_P12ihipStream_tbDpT10_ENKUlT_T0_E_clISt17integral_constantIbLb0EES17_EEDaS12_S13_EUlS12_E_NS1_11comp_targetILNS1_3genE8ELNS1_11target_archE1030ELNS1_3gpuE2ELNS1_3repE0EEENS1_30default_config_static_selectorELNS0_4arch9wavefront6targetE1EEEvT1_, .Lfunc_end210-_ZN7rocprim17ROCPRIM_400000_NS6detail17trampoline_kernelINS0_14default_configENS1_25partition_config_selectorILNS1_17partition_subalgoE8EaNS0_10empty_typeEbEEZZNS1_14partition_implILS5_8ELb0ES3_jPKaPS6_PKS6_NS0_5tupleIJPaS6_EEENSE_IJSB_SB_EEENS0_18inequality_wrapperIN6hipcub16HIPCUB_304000_NS8EqualityEEEPlJS6_EEE10hipError_tPvRmT3_T4_T5_T6_T7_T9_mT8_P12ihipStream_tbDpT10_ENKUlT_T0_E_clISt17integral_constantIbLb0EES17_EEDaS12_S13_EUlS12_E_NS1_11comp_targetILNS1_3genE8ELNS1_11target_archE1030ELNS1_3gpuE2ELNS1_3repE0EEENS1_30default_config_static_selectorELNS0_4arch9wavefront6targetE1EEEvT1_
                                        ; -- End function
	.section	.AMDGPU.csdata,"",@progbits
; Kernel info:
; codeLenInByte = 0
; NumSgprs: 6
; NumVgprs: 0
; NumAgprs: 0
; TotalNumVgprs: 0
; ScratchSize: 0
; MemoryBound: 0
; FloatMode: 240
; IeeeMode: 1
; LDSByteSize: 0 bytes/workgroup (compile time only)
; SGPRBlocks: 0
; VGPRBlocks: 0
; NumSGPRsForWavesPerEU: 6
; NumVGPRsForWavesPerEU: 1
; AccumOffset: 4
; Occupancy: 8
; WaveLimiterHint : 0
; COMPUTE_PGM_RSRC2:SCRATCH_EN: 0
; COMPUTE_PGM_RSRC2:USER_SGPR: 2
; COMPUTE_PGM_RSRC2:TRAP_HANDLER: 0
; COMPUTE_PGM_RSRC2:TGID_X_EN: 1
; COMPUTE_PGM_RSRC2:TGID_Y_EN: 0
; COMPUTE_PGM_RSRC2:TGID_Z_EN: 0
; COMPUTE_PGM_RSRC2:TIDIG_COMP_CNT: 0
; COMPUTE_PGM_RSRC3_GFX90A:ACCUM_OFFSET: 0
; COMPUTE_PGM_RSRC3_GFX90A:TG_SPLIT: 0
	.section	.text._ZN7rocprim17ROCPRIM_400000_NS6detail17trampoline_kernelINS0_14default_configENS1_25partition_config_selectorILNS1_17partition_subalgoE8EaNS0_10empty_typeEbEEZZNS1_14partition_implILS5_8ELb0ES3_jPKaPS6_PKS6_NS0_5tupleIJPaS6_EEENSE_IJSB_SB_EEENS0_18inequality_wrapperIN6hipcub16HIPCUB_304000_NS8EqualityEEEPlJS6_EEE10hipError_tPvRmT3_T4_T5_T6_T7_T9_mT8_P12ihipStream_tbDpT10_ENKUlT_T0_E_clISt17integral_constantIbLb1EES17_EEDaS12_S13_EUlS12_E_NS1_11comp_targetILNS1_3genE0ELNS1_11target_archE4294967295ELNS1_3gpuE0ELNS1_3repE0EEENS1_30default_config_static_selectorELNS0_4arch9wavefront6targetE1EEEvT1_,"axG",@progbits,_ZN7rocprim17ROCPRIM_400000_NS6detail17trampoline_kernelINS0_14default_configENS1_25partition_config_selectorILNS1_17partition_subalgoE8EaNS0_10empty_typeEbEEZZNS1_14partition_implILS5_8ELb0ES3_jPKaPS6_PKS6_NS0_5tupleIJPaS6_EEENSE_IJSB_SB_EEENS0_18inequality_wrapperIN6hipcub16HIPCUB_304000_NS8EqualityEEEPlJS6_EEE10hipError_tPvRmT3_T4_T5_T6_T7_T9_mT8_P12ihipStream_tbDpT10_ENKUlT_T0_E_clISt17integral_constantIbLb1EES17_EEDaS12_S13_EUlS12_E_NS1_11comp_targetILNS1_3genE0ELNS1_11target_archE4294967295ELNS1_3gpuE0ELNS1_3repE0EEENS1_30default_config_static_selectorELNS0_4arch9wavefront6targetE1EEEvT1_,comdat
	.protected	_ZN7rocprim17ROCPRIM_400000_NS6detail17trampoline_kernelINS0_14default_configENS1_25partition_config_selectorILNS1_17partition_subalgoE8EaNS0_10empty_typeEbEEZZNS1_14partition_implILS5_8ELb0ES3_jPKaPS6_PKS6_NS0_5tupleIJPaS6_EEENSE_IJSB_SB_EEENS0_18inequality_wrapperIN6hipcub16HIPCUB_304000_NS8EqualityEEEPlJS6_EEE10hipError_tPvRmT3_T4_T5_T6_T7_T9_mT8_P12ihipStream_tbDpT10_ENKUlT_T0_E_clISt17integral_constantIbLb1EES17_EEDaS12_S13_EUlS12_E_NS1_11comp_targetILNS1_3genE0ELNS1_11target_archE4294967295ELNS1_3gpuE0ELNS1_3repE0EEENS1_30default_config_static_selectorELNS0_4arch9wavefront6targetE1EEEvT1_ ; -- Begin function _ZN7rocprim17ROCPRIM_400000_NS6detail17trampoline_kernelINS0_14default_configENS1_25partition_config_selectorILNS1_17partition_subalgoE8EaNS0_10empty_typeEbEEZZNS1_14partition_implILS5_8ELb0ES3_jPKaPS6_PKS6_NS0_5tupleIJPaS6_EEENSE_IJSB_SB_EEENS0_18inequality_wrapperIN6hipcub16HIPCUB_304000_NS8EqualityEEEPlJS6_EEE10hipError_tPvRmT3_T4_T5_T6_T7_T9_mT8_P12ihipStream_tbDpT10_ENKUlT_T0_E_clISt17integral_constantIbLb1EES17_EEDaS12_S13_EUlS12_E_NS1_11comp_targetILNS1_3genE0ELNS1_11target_archE4294967295ELNS1_3gpuE0ELNS1_3repE0EEENS1_30default_config_static_selectorELNS0_4arch9wavefront6targetE1EEEvT1_
	.globl	_ZN7rocprim17ROCPRIM_400000_NS6detail17trampoline_kernelINS0_14default_configENS1_25partition_config_selectorILNS1_17partition_subalgoE8EaNS0_10empty_typeEbEEZZNS1_14partition_implILS5_8ELb0ES3_jPKaPS6_PKS6_NS0_5tupleIJPaS6_EEENSE_IJSB_SB_EEENS0_18inequality_wrapperIN6hipcub16HIPCUB_304000_NS8EqualityEEEPlJS6_EEE10hipError_tPvRmT3_T4_T5_T6_T7_T9_mT8_P12ihipStream_tbDpT10_ENKUlT_T0_E_clISt17integral_constantIbLb1EES17_EEDaS12_S13_EUlS12_E_NS1_11comp_targetILNS1_3genE0ELNS1_11target_archE4294967295ELNS1_3gpuE0ELNS1_3repE0EEENS1_30default_config_static_selectorELNS0_4arch9wavefront6targetE1EEEvT1_
	.p2align	8
	.type	_ZN7rocprim17ROCPRIM_400000_NS6detail17trampoline_kernelINS0_14default_configENS1_25partition_config_selectorILNS1_17partition_subalgoE8EaNS0_10empty_typeEbEEZZNS1_14partition_implILS5_8ELb0ES3_jPKaPS6_PKS6_NS0_5tupleIJPaS6_EEENSE_IJSB_SB_EEENS0_18inequality_wrapperIN6hipcub16HIPCUB_304000_NS8EqualityEEEPlJS6_EEE10hipError_tPvRmT3_T4_T5_T6_T7_T9_mT8_P12ihipStream_tbDpT10_ENKUlT_T0_E_clISt17integral_constantIbLb1EES17_EEDaS12_S13_EUlS12_E_NS1_11comp_targetILNS1_3genE0ELNS1_11target_archE4294967295ELNS1_3gpuE0ELNS1_3repE0EEENS1_30default_config_static_selectorELNS0_4arch9wavefront6targetE1EEEvT1_,@function
_ZN7rocprim17ROCPRIM_400000_NS6detail17trampoline_kernelINS0_14default_configENS1_25partition_config_selectorILNS1_17partition_subalgoE8EaNS0_10empty_typeEbEEZZNS1_14partition_implILS5_8ELb0ES3_jPKaPS6_PKS6_NS0_5tupleIJPaS6_EEENSE_IJSB_SB_EEENS0_18inequality_wrapperIN6hipcub16HIPCUB_304000_NS8EqualityEEEPlJS6_EEE10hipError_tPvRmT3_T4_T5_T6_T7_T9_mT8_P12ihipStream_tbDpT10_ENKUlT_T0_E_clISt17integral_constantIbLb1EES17_EEDaS12_S13_EUlS12_E_NS1_11comp_targetILNS1_3genE0ELNS1_11target_archE4294967295ELNS1_3gpuE0ELNS1_3repE0EEENS1_30default_config_static_selectorELNS0_4arch9wavefront6targetE1EEEvT1_: ; @_ZN7rocprim17ROCPRIM_400000_NS6detail17trampoline_kernelINS0_14default_configENS1_25partition_config_selectorILNS1_17partition_subalgoE8EaNS0_10empty_typeEbEEZZNS1_14partition_implILS5_8ELb0ES3_jPKaPS6_PKS6_NS0_5tupleIJPaS6_EEENSE_IJSB_SB_EEENS0_18inequality_wrapperIN6hipcub16HIPCUB_304000_NS8EqualityEEEPlJS6_EEE10hipError_tPvRmT3_T4_T5_T6_T7_T9_mT8_P12ihipStream_tbDpT10_ENKUlT_T0_E_clISt17integral_constantIbLb1EES17_EEDaS12_S13_EUlS12_E_NS1_11comp_targetILNS1_3genE0ELNS1_11target_archE4294967295ELNS1_3gpuE0ELNS1_3repE0EEENS1_30default_config_static_selectorELNS0_4arch9wavefront6targetE1EEEvT1_
; %bb.0:
	.section	.rodata,"a",@progbits
	.p2align	6, 0x0
	.amdhsa_kernel _ZN7rocprim17ROCPRIM_400000_NS6detail17trampoline_kernelINS0_14default_configENS1_25partition_config_selectorILNS1_17partition_subalgoE8EaNS0_10empty_typeEbEEZZNS1_14partition_implILS5_8ELb0ES3_jPKaPS6_PKS6_NS0_5tupleIJPaS6_EEENSE_IJSB_SB_EEENS0_18inequality_wrapperIN6hipcub16HIPCUB_304000_NS8EqualityEEEPlJS6_EEE10hipError_tPvRmT3_T4_T5_T6_T7_T9_mT8_P12ihipStream_tbDpT10_ENKUlT_T0_E_clISt17integral_constantIbLb1EES17_EEDaS12_S13_EUlS12_E_NS1_11comp_targetILNS1_3genE0ELNS1_11target_archE4294967295ELNS1_3gpuE0ELNS1_3repE0EEENS1_30default_config_static_selectorELNS0_4arch9wavefront6targetE1EEEvT1_
		.amdhsa_group_segment_fixed_size 0
		.amdhsa_private_segment_fixed_size 0
		.amdhsa_kernarg_size 128
		.amdhsa_user_sgpr_count 2
		.amdhsa_user_sgpr_dispatch_ptr 0
		.amdhsa_user_sgpr_queue_ptr 0
		.amdhsa_user_sgpr_kernarg_segment_ptr 1
		.amdhsa_user_sgpr_dispatch_id 0
		.amdhsa_user_sgpr_kernarg_preload_length 0
		.amdhsa_user_sgpr_kernarg_preload_offset 0
		.amdhsa_user_sgpr_private_segment_size 0
		.amdhsa_uses_dynamic_stack 0
		.amdhsa_enable_private_segment 0
		.amdhsa_system_sgpr_workgroup_id_x 1
		.amdhsa_system_sgpr_workgroup_id_y 0
		.amdhsa_system_sgpr_workgroup_id_z 0
		.amdhsa_system_sgpr_workgroup_info 0
		.amdhsa_system_vgpr_workitem_id 0
		.amdhsa_next_free_vgpr 1
		.amdhsa_next_free_sgpr 0
		.amdhsa_accum_offset 4
		.amdhsa_reserve_vcc 0
		.amdhsa_float_round_mode_32 0
		.amdhsa_float_round_mode_16_64 0
		.amdhsa_float_denorm_mode_32 3
		.amdhsa_float_denorm_mode_16_64 3
		.amdhsa_dx10_clamp 1
		.amdhsa_ieee_mode 1
		.amdhsa_fp16_overflow 0
		.amdhsa_tg_split 0
		.amdhsa_exception_fp_ieee_invalid_op 0
		.amdhsa_exception_fp_denorm_src 0
		.amdhsa_exception_fp_ieee_div_zero 0
		.amdhsa_exception_fp_ieee_overflow 0
		.amdhsa_exception_fp_ieee_underflow 0
		.amdhsa_exception_fp_ieee_inexact 0
		.amdhsa_exception_int_div_zero 0
	.end_amdhsa_kernel
	.section	.text._ZN7rocprim17ROCPRIM_400000_NS6detail17trampoline_kernelINS0_14default_configENS1_25partition_config_selectorILNS1_17partition_subalgoE8EaNS0_10empty_typeEbEEZZNS1_14partition_implILS5_8ELb0ES3_jPKaPS6_PKS6_NS0_5tupleIJPaS6_EEENSE_IJSB_SB_EEENS0_18inequality_wrapperIN6hipcub16HIPCUB_304000_NS8EqualityEEEPlJS6_EEE10hipError_tPvRmT3_T4_T5_T6_T7_T9_mT8_P12ihipStream_tbDpT10_ENKUlT_T0_E_clISt17integral_constantIbLb1EES17_EEDaS12_S13_EUlS12_E_NS1_11comp_targetILNS1_3genE0ELNS1_11target_archE4294967295ELNS1_3gpuE0ELNS1_3repE0EEENS1_30default_config_static_selectorELNS0_4arch9wavefront6targetE1EEEvT1_,"axG",@progbits,_ZN7rocprim17ROCPRIM_400000_NS6detail17trampoline_kernelINS0_14default_configENS1_25partition_config_selectorILNS1_17partition_subalgoE8EaNS0_10empty_typeEbEEZZNS1_14partition_implILS5_8ELb0ES3_jPKaPS6_PKS6_NS0_5tupleIJPaS6_EEENSE_IJSB_SB_EEENS0_18inequality_wrapperIN6hipcub16HIPCUB_304000_NS8EqualityEEEPlJS6_EEE10hipError_tPvRmT3_T4_T5_T6_T7_T9_mT8_P12ihipStream_tbDpT10_ENKUlT_T0_E_clISt17integral_constantIbLb1EES17_EEDaS12_S13_EUlS12_E_NS1_11comp_targetILNS1_3genE0ELNS1_11target_archE4294967295ELNS1_3gpuE0ELNS1_3repE0EEENS1_30default_config_static_selectorELNS0_4arch9wavefront6targetE1EEEvT1_,comdat
.Lfunc_end211:
	.size	_ZN7rocprim17ROCPRIM_400000_NS6detail17trampoline_kernelINS0_14default_configENS1_25partition_config_selectorILNS1_17partition_subalgoE8EaNS0_10empty_typeEbEEZZNS1_14partition_implILS5_8ELb0ES3_jPKaPS6_PKS6_NS0_5tupleIJPaS6_EEENSE_IJSB_SB_EEENS0_18inequality_wrapperIN6hipcub16HIPCUB_304000_NS8EqualityEEEPlJS6_EEE10hipError_tPvRmT3_T4_T5_T6_T7_T9_mT8_P12ihipStream_tbDpT10_ENKUlT_T0_E_clISt17integral_constantIbLb1EES17_EEDaS12_S13_EUlS12_E_NS1_11comp_targetILNS1_3genE0ELNS1_11target_archE4294967295ELNS1_3gpuE0ELNS1_3repE0EEENS1_30default_config_static_selectorELNS0_4arch9wavefront6targetE1EEEvT1_, .Lfunc_end211-_ZN7rocprim17ROCPRIM_400000_NS6detail17trampoline_kernelINS0_14default_configENS1_25partition_config_selectorILNS1_17partition_subalgoE8EaNS0_10empty_typeEbEEZZNS1_14partition_implILS5_8ELb0ES3_jPKaPS6_PKS6_NS0_5tupleIJPaS6_EEENSE_IJSB_SB_EEENS0_18inequality_wrapperIN6hipcub16HIPCUB_304000_NS8EqualityEEEPlJS6_EEE10hipError_tPvRmT3_T4_T5_T6_T7_T9_mT8_P12ihipStream_tbDpT10_ENKUlT_T0_E_clISt17integral_constantIbLb1EES17_EEDaS12_S13_EUlS12_E_NS1_11comp_targetILNS1_3genE0ELNS1_11target_archE4294967295ELNS1_3gpuE0ELNS1_3repE0EEENS1_30default_config_static_selectorELNS0_4arch9wavefront6targetE1EEEvT1_
                                        ; -- End function
	.section	.AMDGPU.csdata,"",@progbits
; Kernel info:
; codeLenInByte = 0
; NumSgprs: 6
; NumVgprs: 0
; NumAgprs: 0
; TotalNumVgprs: 0
; ScratchSize: 0
; MemoryBound: 0
; FloatMode: 240
; IeeeMode: 1
; LDSByteSize: 0 bytes/workgroup (compile time only)
; SGPRBlocks: 0
; VGPRBlocks: 0
; NumSGPRsForWavesPerEU: 6
; NumVGPRsForWavesPerEU: 1
; AccumOffset: 4
; Occupancy: 8
; WaveLimiterHint : 0
; COMPUTE_PGM_RSRC2:SCRATCH_EN: 0
; COMPUTE_PGM_RSRC2:USER_SGPR: 2
; COMPUTE_PGM_RSRC2:TRAP_HANDLER: 0
; COMPUTE_PGM_RSRC2:TGID_X_EN: 1
; COMPUTE_PGM_RSRC2:TGID_Y_EN: 0
; COMPUTE_PGM_RSRC2:TGID_Z_EN: 0
; COMPUTE_PGM_RSRC2:TIDIG_COMP_CNT: 0
; COMPUTE_PGM_RSRC3_GFX90A:ACCUM_OFFSET: 0
; COMPUTE_PGM_RSRC3_GFX90A:TG_SPLIT: 0
	.section	.text._ZN7rocprim17ROCPRIM_400000_NS6detail17trampoline_kernelINS0_14default_configENS1_25partition_config_selectorILNS1_17partition_subalgoE8EaNS0_10empty_typeEbEEZZNS1_14partition_implILS5_8ELb0ES3_jPKaPS6_PKS6_NS0_5tupleIJPaS6_EEENSE_IJSB_SB_EEENS0_18inequality_wrapperIN6hipcub16HIPCUB_304000_NS8EqualityEEEPlJS6_EEE10hipError_tPvRmT3_T4_T5_T6_T7_T9_mT8_P12ihipStream_tbDpT10_ENKUlT_T0_E_clISt17integral_constantIbLb1EES17_EEDaS12_S13_EUlS12_E_NS1_11comp_targetILNS1_3genE5ELNS1_11target_archE942ELNS1_3gpuE9ELNS1_3repE0EEENS1_30default_config_static_selectorELNS0_4arch9wavefront6targetE1EEEvT1_,"axG",@progbits,_ZN7rocprim17ROCPRIM_400000_NS6detail17trampoline_kernelINS0_14default_configENS1_25partition_config_selectorILNS1_17partition_subalgoE8EaNS0_10empty_typeEbEEZZNS1_14partition_implILS5_8ELb0ES3_jPKaPS6_PKS6_NS0_5tupleIJPaS6_EEENSE_IJSB_SB_EEENS0_18inequality_wrapperIN6hipcub16HIPCUB_304000_NS8EqualityEEEPlJS6_EEE10hipError_tPvRmT3_T4_T5_T6_T7_T9_mT8_P12ihipStream_tbDpT10_ENKUlT_T0_E_clISt17integral_constantIbLb1EES17_EEDaS12_S13_EUlS12_E_NS1_11comp_targetILNS1_3genE5ELNS1_11target_archE942ELNS1_3gpuE9ELNS1_3repE0EEENS1_30default_config_static_selectorELNS0_4arch9wavefront6targetE1EEEvT1_,comdat
	.protected	_ZN7rocprim17ROCPRIM_400000_NS6detail17trampoline_kernelINS0_14default_configENS1_25partition_config_selectorILNS1_17partition_subalgoE8EaNS0_10empty_typeEbEEZZNS1_14partition_implILS5_8ELb0ES3_jPKaPS6_PKS6_NS0_5tupleIJPaS6_EEENSE_IJSB_SB_EEENS0_18inequality_wrapperIN6hipcub16HIPCUB_304000_NS8EqualityEEEPlJS6_EEE10hipError_tPvRmT3_T4_T5_T6_T7_T9_mT8_P12ihipStream_tbDpT10_ENKUlT_T0_E_clISt17integral_constantIbLb1EES17_EEDaS12_S13_EUlS12_E_NS1_11comp_targetILNS1_3genE5ELNS1_11target_archE942ELNS1_3gpuE9ELNS1_3repE0EEENS1_30default_config_static_selectorELNS0_4arch9wavefront6targetE1EEEvT1_ ; -- Begin function _ZN7rocprim17ROCPRIM_400000_NS6detail17trampoline_kernelINS0_14default_configENS1_25partition_config_selectorILNS1_17partition_subalgoE8EaNS0_10empty_typeEbEEZZNS1_14partition_implILS5_8ELb0ES3_jPKaPS6_PKS6_NS0_5tupleIJPaS6_EEENSE_IJSB_SB_EEENS0_18inequality_wrapperIN6hipcub16HIPCUB_304000_NS8EqualityEEEPlJS6_EEE10hipError_tPvRmT3_T4_T5_T6_T7_T9_mT8_P12ihipStream_tbDpT10_ENKUlT_T0_E_clISt17integral_constantIbLb1EES17_EEDaS12_S13_EUlS12_E_NS1_11comp_targetILNS1_3genE5ELNS1_11target_archE942ELNS1_3gpuE9ELNS1_3repE0EEENS1_30default_config_static_selectorELNS0_4arch9wavefront6targetE1EEEvT1_
	.globl	_ZN7rocprim17ROCPRIM_400000_NS6detail17trampoline_kernelINS0_14default_configENS1_25partition_config_selectorILNS1_17partition_subalgoE8EaNS0_10empty_typeEbEEZZNS1_14partition_implILS5_8ELb0ES3_jPKaPS6_PKS6_NS0_5tupleIJPaS6_EEENSE_IJSB_SB_EEENS0_18inequality_wrapperIN6hipcub16HIPCUB_304000_NS8EqualityEEEPlJS6_EEE10hipError_tPvRmT3_T4_T5_T6_T7_T9_mT8_P12ihipStream_tbDpT10_ENKUlT_T0_E_clISt17integral_constantIbLb1EES17_EEDaS12_S13_EUlS12_E_NS1_11comp_targetILNS1_3genE5ELNS1_11target_archE942ELNS1_3gpuE9ELNS1_3repE0EEENS1_30default_config_static_selectorELNS0_4arch9wavefront6targetE1EEEvT1_
	.p2align	8
	.type	_ZN7rocprim17ROCPRIM_400000_NS6detail17trampoline_kernelINS0_14default_configENS1_25partition_config_selectorILNS1_17partition_subalgoE8EaNS0_10empty_typeEbEEZZNS1_14partition_implILS5_8ELb0ES3_jPKaPS6_PKS6_NS0_5tupleIJPaS6_EEENSE_IJSB_SB_EEENS0_18inequality_wrapperIN6hipcub16HIPCUB_304000_NS8EqualityEEEPlJS6_EEE10hipError_tPvRmT3_T4_T5_T6_T7_T9_mT8_P12ihipStream_tbDpT10_ENKUlT_T0_E_clISt17integral_constantIbLb1EES17_EEDaS12_S13_EUlS12_E_NS1_11comp_targetILNS1_3genE5ELNS1_11target_archE942ELNS1_3gpuE9ELNS1_3repE0EEENS1_30default_config_static_selectorELNS0_4arch9wavefront6targetE1EEEvT1_,@function
_ZN7rocprim17ROCPRIM_400000_NS6detail17trampoline_kernelINS0_14default_configENS1_25partition_config_selectorILNS1_17partition_subalgoE8EaNS0_10empty_typeEbEEZZNS1_14partition_implILS5_8ELb0ES3_jPKaPS6_PKS6_NS0_5tupleIJPaS6_EEENSE_IJSB_SB_EEENS0_18inequality_wrapperIN6hipcub16HIPCUB_304000_NS8EqualityEEEPlJS6_EEE10hipError_tPvRmT3_T4_T5_T6_T7_T9_mT8_P12ihipStream_tbDpT10_ENKUlT_T0_E_clISt17integral_constantIbLb1EES17_EEDaS12_S13_EUlS12_E_NS1_11comp_targetILNS1_3genE5ELNS1_11target_archE942ELNS1_3gpuE9ELNS1_3repE0EEENS1_30default_config_static_selectorELNS0_4arch9wavefront6targetE1EEEvT1_: ; @_ZN7rocprim17ROCPRIM_400000_NS6detail17trampoline_kernelINS0_14default_configENS1_25partition_config_selectorILNS1_17partition_subalgoE8EaNS0_10empty_typeEbEEZZNS1_14partition_implILS5_8ELb0ES3_jPKaPS6_PKS6_NS0_5tupleIJPaS6_EEENSE_IJSB_SB_EEENS0_18inequality_wrapperIN6hipcub16HIPCUB_304000_NS8EqualityEEEPlJS6_EEE10hipError_tPvRmT3_T4_T5_T6_T7_T9_mT8_P12ihipStream_tbDpT10_ENKUlT_T0_E_clISt17integral_constantIbLb1EES17_EEDaS12_S13_EUlS12_E_NS1_11comp_targetILNS1_3genE5ELNS1_11target_archE942ELNS1_3gpuE9ELNS1_3repE0EEENS1_30default_config_static_selectorELNS0_4arch9wavefront6targetE1EEEvT1_
; %bb.0:
	s_load_dwordx2 s[26:27], s[0:1], 0x28
	s_load_dwordx4 s[20:23], s[0:1], 0x40
	s_load_dwordx2 s[8:9], s[0:1], 0x50
	s_load_dwordx2 s[30:31], s[0:1], 0x60
	v_cmp_ne_u32_e64 s[2:3], 0, v0
	v_cmp_eq_u32_e64 s[18:19], 0, v0
	s_and_saveexec_b64 s[4:5], s[18:19]
	s_cbranch_execz .LBB212_4
; %bb.1:
	s_mov_b64 s[10:11], exec
	v_mbcnt_lo_u32_b32 v1, s10, 0
	v_mbcnt_hi_u32_b32 v1, s11, v1
	v_cmp_eq_u32_e32 vcc, 0, v1
                                        ; implicit-def: $vgpr2
	s_and_saveexec_b64 s[6:7], vcc
	s_cbranch_execz .LBB212_3
; %bb.2:
	s_load_dwordx2 s[12:13], s[0:1], 0x70
	s_bcnt1_i32_b64 s10, s[10:11]
	v_mov_b32_e32 v2, 0
	v_mov_b32_e32 v3, s10
	s_waitcnt lgkmcnt(0)
	global_atomic_add v2, v2, v3, s[12:13] sc0
.LBB212_3:
	s_or_b64 exec, exec, s[6:7]
	s_waitcnt vmcnt(0)
	v_readfirstlane_b32 s6, v2
	v_mov_b32_e32 v2, 0
	s_nop 0
	v_add_u32_e32 v1, s6, v1
	ds_write_b32 v2, v1
.LBB212_4:
	s_or_b64 exec, exec, s[4:5]
	v_mov_b32_e32 v3, 0
	s_load_dwordx4 s[4:7], s[0:1], 0x8
	s_load_dword s12, s[0:1], 0x68
	s_waitcnt lgkmcnt(0)
	s_barrier
	ds_read_b32 v1, v3
	s_waitcnt lgkmcnt(0)
	s_barrier
	global_load_dwordx2 v[6:7], v3, s[22:23]
	s_add_u32 s0, s4, s6
	s_addc_u32 s1, s5, s7
	s_add_i32 s5, s12, -1
	s_lshl_b32 s4, s5, 14
	v_mov_b32_e32 v9, s9
	s_lshl_b32 s9, s12, 14
	s_add_i32 s4, s6, s4
	s_add_u32 s12, s6, s9
	s_addc_u32 s13, s7, 0
	v_readfirstlane_b32 s33, v1
	v_mov_b32_e32 v8, s8
	s_cmp_eq_u32 s33, s5
	v_lshlrev_b32_e32 v2, 14, v1
	v_cmp_ge_u64_e32 vcc, s[12:13], v[8:9]
	s_cselect_b64 s[24:25], -1, 0
	v_lshl_add_u64 v[10:11], s[0:1], 0, v[2:3]
	s_and_b64 s[0:1], vcc, s[24:25]
	s_xor_b64 s[28:29], s[0:1], -1
	s_mov_b64 s[10:11], -1
	v_lshrrev_b32_e32 v4, 5, v0
	s_and_b64 vcc, exec, s[28:29]
	s_waitcnt vmcnt(0)
	v_readfirstlane_b32 s22, v6
	v_readfirstlane_b32 s23, v7
	s_cbranch_vccz .LBB212_6
; %bb.5:
	v_readfirstlane_b32 s10, v10
	v_readfirstlane_b32 s11, v11
	s_nop 4
	global_load_ubyte v5, v0, s[10:11]
	global_load_ubyte v12, v0, s[10:11] offset:512
	global_load_ubyte v13, v0, s[10:11] offset:1024
	;; [unrolled: 1-line block ×6, first 2 shown]
	v_mov_b32_e32 v1, v3
	v_lshl_add_u64 v[2:3], v[10:11], 0, v[0:1]
	global_load_ubyte v1, v0, s[10:11] offset:3584
	v_add_co_u32_e32 v6, vcc, 0x1000, v2
	v_and_b32_e32 v8, 12, v4
	s_nop 0
	v_addc_co_u32_e32 v7, vcc, 0, v3, vcc
	global_load_ubyte v18, v[6:7], off
	global_load_ubyte v19, v[6:7], off offset:512
	global_load_ubyte v22, v[6:7], off offset:1024
	;; [unrolled: 1-line block ×3, first 2 shown]
	v_or_b32_e32 v9, 0x200, v0
	v_or_b32_e32 v20, 0x400, v0
	;; [unrolled: 1-line block ×4, first 2 shown]
	v_add_u32_e32 v26, v8, v0
	v_lshrrev_b32_e32 v8, 5, v9
	v_lshrrev_b32_e32 v9, 5, v20
	;; [unrolled: 1-line block ×4, first 2 shown]
	global_load_ubyte v23, v[6:7], off offset:2048
	global_load_ubyte v29, v[6:7], off offset:2560
	;; [unrolled: 1-line block ×3, first 2 shown]
	v_and_b32_e32 v28, 28, v8
	global_load_ubyte v6, v[6:7], off offset:3584
	v_and_b32_e32 v9, 44, v9
	v_add_co_u32_e32 v8, vcc, 0x2000, v2
	v_and_b32_e32 v20, 60, v20
	v_add_u32_e32 v31, v9, v0
	v_addc_co_u32_e32 v9, vcc, 0, v3, vcc
	v_add_u32_e32 v7, v20, v0
	global_load_ubyte v20, v[8:9], off
	global_load_ubyte v32, v[8:9], off offset:512
	global_load_ubyte v33, v[8:9], off offset:1024
	;; [unrolled: 1-line block ×7, first 2 shown]
	v_or_b32_e32 v25, 0xc00, v0
	v_or_b32_e32 v24, 0xa00, v0
	v_lshrrev_b32_e32 v25, 5, v25
	v_add_co_u32_e32 v2, vcc, 0x3000, v2
	v_lshrrev_b32_e32 v24, 5, v24
	v_and_b32_e32 v25, 0x6c, v25
	v_addc_co_u32_e32 v3, vcc, 0, v3, vcc
	v_and_b32_e32 v21, 0x4c, v21
	v_and_b32_e32 v24, 0x5c, v24
	global_load_ubyte v8, v[2:3], off
	global_load_ubyte v9, v[2:3], off offset:512
	global_load_ubyte v39, v[2:3], off offset:1024
	;; [unrolled: 1-line block ×7, first 2 shown]
	v_add_u32_e32 v2, v25, v0
	v_add_u32_e32 v28, v28, v0
	;; [unrolled: 1-line block ×4, first 2 shown]
	s_mov_b64 s[10:11], 0
	s_waitcnt vmcnt(31)
	ds_write_b8 v26, v5
	s_waitcnt vmcnt(30)
	ds_write_b8 v28, v12 offset:512
	s_waitcnt vmcnt(29)
	ds_write_b8 v31, v13 offset:1024
	s_waitcnt vmcnt(28)
	ds_write_b8 v7, v14 offset:1536
	s_waitcnt vmcnt(27)
	ds_write_b8 v21, v15 offset:2048
	s_waitcnt vmcnt(26)
	ds_write_b8 v24, v16 offset:2560
	s_waitcnt vmcnt(25)
	ds_write_b8 v2, v17 offset:3072
	v_or_b32_e32 v2, 0xe00, v0
	v_lshrrev_b32_e32 v2, 5, v2
	v_and_b32_e32 v2, 0x7c, v2
	v_add_u32_e32 v2, v2, v0
	s_waitcnt vmcnt(24)
	ds_write_b8 v2, v1 offset:3584
	v_or_b32_e32 v1, 0x1000, v0
	v_lshrrev_b32_e32 v1, 5, v1
	v_and_b32_e32 v1, 0x8c, v1
	v_add_u32_e32 v1, v1, v0
	s_waitcnt vmcnt(23)
	ds_write_b8 v1, v18 offset:4096
	v_or_b32_e32 v1, 0x1200, v0
	v_lshrrev_b32_e32 v1, 5, v1
	v_and_b32_e32 v1, 0x9c, v1
	v_add_u32_e32 v1, v1, v0
	s_waitcnt vmcnt(22)
	ds_write_b8 v1, v19 offset:4608
	v_or_b32_e32 v1, 0x1400, v0
	v_lshrrev_b32_e32 v1, 5, v1
	v_and_b32_e32 v1, 0xac, v1
	v_add_u32_e32 v1, v1, v0
	s_waitcnt vmcnt(21)
	ds_write_b8 v1, v22 offset:5120
	v_or_b32_e32 v1, 0x1600, v0
	v_lshrrev_b32_e32 v1, 5, v1
	v_and_b32_e32 v1, 0xbc, v1
	v_add_u32_e32 v1, v1, v0
	s_waitcnt vmcnt(20)
	ds_write_b8 v1, v27 offset:5632
	v_or_b32_e32 v1, 0x1800, v0
	v_lshrrev_b32_e32 v1, 5, v1
	v_and_b32_e32 v1, 0xcc, v1
	v_add_u32_e32 v1, v1, v0
	s_waitcnt vmcnt(19)
	ds_write_b8 v1, v23 offset:6144
	v_or_b32_e32 v1, 0x1a00, v0
	v_lshrrev_b32_e32 v1, 5, v1
	v_and_b32_e32 v1, 0xdc, v1
	v_add_u32_e32 v1, v1, v0
	s_waitcnt vmcnt(18)
	ds_write_b8 v1, v29 offset:6656
	v_or_b32_e32 v1, 0x1c00, v0
	v_lshrrev_b32_e32 v1, 5, v1
	v_and_b32_e32 v1, 0xec, v1
	v_add_u32_e32 v1, v1, v0
	s_waitcnt vmcnt(17)
	ds_write_b8 v1, v30 offset:7168
	v_or_b32_e32 v1, 0x1e00, v0
	v_lshrrev_b32_e32 v1, 5, v1
	v_and_b32_e32 v1, 0xfc, v1
	v_add_u32_e32 v1, v1, v0
	s_waitcnt vmcnt(16)
	ds_write_b8 v1, v6 offset:7680
	v_or_b32_e32 v1, 0x2000, v0
	v_lshrrev_b32_e32 v1, 5, v1
	v_and_b32_e32 v1, 0x10c, v1
	v_add_u32_e32 v1, v1, v0
	s_waitcnt vmcnt(15)
	ds_write_b8 v1, v20 offset:8192
	v_or_b32_e32 v1, 0x2200, v0
	v_lshrrev_b32_e32 v1, 5, v1
	v_and_b32_e32 v1, 0x11c, v1
	v_add_u32_e32 v1, v1, v0
	s_waitcnt vmcnt(14)
	ds_write_b8 v1, v32 offset:8704
	v_or_b32_e32 v1, 0x2400, v0
	v_lshrrev_b32_e32 v1, 5, v1
	v_and_b32_e32 v1, 0x12c, v1
	v_add_u32_e32 v1, v1, v0
	s_waitcnt vmcnt(13)
	ds_write_b8 v1, v33 offset:9216
	v_or_b32_e32 v1, 0x2600, v0
	v_lshrrev_b32_e32 v1, 5, v1
	v_and_b32_e32 v1, 0x13c, v1
	v_add_u32_e32 v1, v1, v0
	s_waitcnt vmcnt(12)
	ds_write_b8 v1, v34 offset:9728
	v_or_b32_e32 v1, 0x2800, v0
	v_lshrrev_b32_e32 v1, 5, v1
	v_and_b32_e32 v1, 0x14c, v1
	v_add_u32_e32 v1, v1, v0
	s_waitcnt vmcnt(11)
	ds_write_b8 v1, v35 offset:10240
	v_or_b32_e32 v1, 0x2a00, v0
	v_lshrrev_b32_e32 v1, 5, v1
	v_and_b32_e32 v1, 0x15c, v1
	v_add_u32_e32 v1, v1, v0
	s_waitcnt vmcnt(10)
	ds_write_b8 v1, v36 offset:10752
	v_or_b32_e32 v1, 0x2c00, v0
	v_lshrrev_b32_e32 v1, 5, v1
	v_and_b32_e32 v1, 0x16c, v1
	v_add_u32_e32 v1, v1, v0
	s_waitcnt vmcnt(9)
	ds_write_b8 v1, v37 offset:11264
	v_or_b32_e32 v1, 0x2e00, v0
	v_lshrrev_b32_e32 v1, 5, v1
	v_and_b32_e32 v1, 0x17c, v1
	v_add_u32_e32 v1, v1, v0
	s_waitcnt vmcnt(8)
	ds_write_b8 v1, v38 offset:11776
	v_or_b32_e32 v1, 0x3000, v0
	v_lshrrev_b32_e32 v1, 5, v1
	v_and_b32_e32 v1, 0x18c, v1
	v_add_u32_e32 v1, v1, v0
	s_waitcnt vmcnt(7)
	ds_write_b8 v1, v8 offset:12288
	v_or_b32_e32 v1, 0x3200, v0
	v_lshrrev_b32_e32 v1, 5, v1
	v_and_b32_e32 v1, 0x19c, v1
	v_add_u32_e32 v1, v1, v0
	s_waitcnt vmcnt(6)
	ds_write_b8 v1, v9 offset:12800
	v_or_b32_e32 v1, 0x3400, v0
	v_lshrrev_b32_e32 v1, 5, v1
	v_and_b32_e32 v1, 0x1ac, v1
	v_add_u32_e32 v1, v1, v0
	s_waitcnt vmcnt(5)
	ds_write_b8 v1, v39 offset:13312
	v_or_b32_e32 v1, 0x3600, v0
	v_lshrrev_b32_e32 v1, 5, v1
	v_and_b32_e32 v1, 0x1bc, v1
	v_add_u32_e32 v1, v1, v0
	s_waitcnt vmcnt(4)
	ds_write_b8 v1, v40 offset:13824
	v_or_b32_e32 v1, 0x3800, v0
	v_lshrrev_b32_e32 v1, 5, v1
	v_and_b32_e32 v1, 0x1cc, v1
	v_add_u32_e32 v1, v1, v0
	s_waitcnt vmcnt(3)
	ds_write_b8 v1, v41 offset:14336
	v_or_b32_e32 v1, 0x3a00, v0
	v_lshrrev_b32_e32 v1, 5, v1
	v_and_b32_e32 v1, 0x1dc, v1
	v_add_u32_e32 v1, v1, v0
	s_waitcnt vmcnt(2)
	ds_write_b8 v1, v42 offset:14848
	v_or_b32_e32 v1, 0x3c00, v0
	v_lshrrev_b32_e32 v1, 5, v1
	v_and_b32_e32 v1, 0x1ec, v1
	v_add_u32_e32 v1, v1, v0
	s_waitcnt vmcnt(1)
	ds_write_b8 v1, v43 offset:15360
	v_or_b32_e32 v1, 0x3e00, v0
	v_lshrrev_b32_e32 v1, 5, v1
	v_and_b32_e32 v1, 0x1fc, v1
	v_add_u32_e32 v1, v1, v0
	s_waitcnt vmcnt(0)
	ds_write_b8 v1, v44 offset:15872
	s_waitcnt lgkmcnt(0)
	s_barrier
.LBB212_6:
	s_andn2_b64 vcc, exec, s[10:11]
	s_sub_i32 s56, s8, s4
	s_cbranch_vccnz .LBB212_72
; %bb.7:
	v_cmp_gt_u32_e32 vcc, s56, v0
                                        ; implicit-def: $vgpr1
	s_and_saveexec_b64 s[4:5], vcc
	s_cbranch_execz .LBB212_9
; %bb.8:
	v_readfirstlane_b32 s8, v10
	v_readfirstlane_b32 s9, v11
	s_nop 4
	global_load_ubyte v1, v0, s[8:9]
.LBB212_9:
	s_or_b64 exec, exec, s[4:5]
	v_or_b32_e32 v2, 0x200, v0
	v_cmp_gt_u32_e32 vcc, s56, v2
                                        ; implicit-def: $vgpr3
	s_and_saveexec_b64 s[4:5], vcc
	s_cbranch_execz .LBB212_11
; %bb.10:
	v_readfirstlane_b32 s8, v10
	v_readfirstlane_b32 s9, v11
	s_nop 4
	global_load_ubyte v3, v0, s[8:9] offset:512
.LBB212_11:
	s_or_b64 exec, exec, s[4:5]
	v_or_b32_e32 v5, 0x400, v0
	v_cmp_gt_u32_e32 vcc, s56, v5
                                        ; implicit-def: $vgpr6
	s_and_saveexec_b64 s[4:5], vcc
	s_cbranch_execz .LBB212_13
; %bb.12:
	v_readfirstlane_b32 s8, v10
	v_readfirstlane_b32 s9, v11
	s_nop 4
	global_load_ubyte v6, v0, s[8:9] offset:1024
.LBB212_13:
	s_or_b64 exec, exec, s[4:5]
	v_or_b32_e32 v7, 0x600, v0
	v_cmp_gt_u32_e32 vcc, s56, v7
                                        ; implicit-def: $vgpr8
	s_and_saveexec_b64 s[4:5], vcc
	s_cbranch_execz .LBB212_15
; %bb.14:
	v_readfirstlane_b32 s8, v10
	v_readfirstlane_b32 s9, v11
	s_nop 4
	global_load_ubyte v8, v0, s[8:9] offset:1536
.LBB212_15:
	s_or_b64 exec, exec, s[4:5]
	v_or_b32_e32 v9, 0x800, v0
	v_cmp_gt_u32_e32 vcc, s56, v9
                                        ; implicit-def: $vgpr12
	s_and_saveexec_b64 s[4:5], vcc
	s_cbranch_execz .LBB212_17
; %bb.16:
	v_readfirstlane_b32 s8, v10
	v_readfirstlane_b32 s9, v11
	s_nop 4
	global_load_ubyte v12, v0, s[8:9] offset:2048
.LBB212_17:
	s_or_b64 exec, exec, s[4:5]
	v_or_b32_e32 v13, 0xa00, v0
	v_cmp_gt_u32_e32 vcc, s56, v13
                                        ; implicit-def: $vgpr14
	s_and_saveexec_b64 s[4:5], vcc
	s_cbranch_execz .LBB212_19
; %bb.18:
	v_readfirstlane_b32 s8, v10
	v_readfirstlane_b32 s9, v11
	s_nop 4
	global_load_ubyte v14, v0, s[8:9] offset:2560
.LBB212_19:
	s_or_b64 exec, exec, s[4:5]
	v_or_b32_e32 v15, 0xc00, v0
	v_cmp_gt_u32_e32 vcc, s56, v15
                                        ; implicit-def: $vgpr16
	s_and_saveexec_b64 s[4:5], vcc
	s_cbranch_execz .LBB212_21
; %bb.20:
	v_readfirstlane_b32 s8, v10
	v_readfirstlane_b32 s9, v11
	s_nop 4
	global_load_ubyte v16, v0, s[8:9] offset:3072
.LBB212_21:
	s_or_b64 exec, exec, s[4:5]
	v_or_b32_e32 v17, 0xe00, v0
	v_cmp_gt_u32_e32 vcc, s56, v17
                                        ; implicit-def: $vgpr18
	s_and_saveexec_b64 s[4:5], vcc
	s_cbranch_execz .LBB212_23
; %bb.22:
	v_readfirstlane_b32 s8, v10
	v_readfirstlane_b32 s9, v11
	s_nop 4
	global_load_ubyte v18, v0, s[8:9] offset:3584
.LBB212_23:
	s_or_b64 exec, exec, s[4:5]
	v_or_b32_e32 v19, 0x1000, v0
	v_cmp_gt_u32_e32 vcc, s56, v19
                                        ; implicit-def: $vgpr20
	s_and_saveexec_b64 s[4:5], vcc
	s_cbranch_execz .LBB212_25
; %bb.24:
	v_readfirstlane_b32 s8, v10
	v_readfirstlane_b32 s9, v11
	s_nop 4
	global_load_ubyte v20, v19, s[8:9]
.LBB212_25:
	s_or_b64 exec, exec, s[4:5]
	v_or_b32_e32 v21, 0x1200, v0
	v_cmp_gt_u32_e32 vcc, s56, v21
                                        ; implicit-def: $vgpr22
	s_and_saveexec_b64 s[4:5], vcc
	s_cbranch_execz .LBB212_27
; %bb.26:
	v_readfirstlane_b32 s8, v10
	v_readfirstlane_b32 s9, v11
	s_nop 4
	global_load_ubyte v22, v21, s[8:9]
.LBB212_27:
	s_or_b64 exec, exec, s[4:5]
	v_or_b32_e32 v23, 0x1400, v0
	v_cmp_gt_u32_e32 vcc, s56, v23
                                        ; implicit-def: $vgpr24
	s_and_saveexec_b64 s[4:5], vcc
	s_cbranch_execz .LBB212_29
; %bb.28:
	v_readfirstlane_b32 s8, v10
	v_readfirstlane_b32 s9, v11
	s_nop 4
	global_load_ubyte v24, v23, s[8:9]
.LBB212_29:
	s_or_b64 exec, exec, s[4:5]
	v_or_b32_e32 v25, 0x1600, v0
	v_cmp_gt_u32_e32 vcc, s56, v25
                                        ; implicit-def: $vgpr26
	s_and_saveexec_b64 s[4:5], vcc
	s_cbranch_execz .LBB212_31
; %bb.30:
	v_readfirstlane_b32 s8, v10
	v_readfirstlane_b32 s9, v11
	s_nop 4
	global_load_ubyte v26, v25, s[8:9]
.LBB212_31:
	s_or_b64 exec, exec, s[4:5]
	v_or_b32_e32 v27, 0x1800, v0
	v_cmp_gt_u32_e32 vcc, s56, v27
                                        ; implicit-def: $vgpr28
	s_and_saveexec_b64 s[4:5], vcc
	s_cbranch_execz .LBB212_33
; %bb.32:
	v_readfirstlane_b32 s8, v10
	v_readfirstlane_b32 s9, v11
	s_nop 4
	global_load_ubyte v28, v27, s[8:9]
.LBB212_33:
	s_or_b64 exec, exec, s[4:5]
	v_or_b32_e32 v29, 0x1a00, v0
	v_cmp_gt_u32_e32 vcc, s56, v29
                                        ; implicit-def: $vgpr30
	s_and_saveexec_b64 s[4:5], vcc
	s_cbranch_execz .LBB212_35
; %bb.34:
	v_readfirstlane_b32 s8, v10
	v_readfirstlane_b32 s9, v11
	s_nop 4
	global_load_ubyte v30, v29, s[8:9]
.LBB212_35:
	s_or_b64 exec, exec, s[4:5]
	v_or_b32_e32 v31, 0x1c00, v0
	v_cmp_gt_u32_e32 vcc, s56, v31
                                        ; implicit-def: $vgpr32
	s_and_saveexec_b64 s[4:5], vcc
	s_cbranch_execz .LBB212_37
; %bb.36:
	v_readfirstlane_b32 s8, v10
	v_readfirstlane_b32 s9, v11
	s_nop 4
	global_load_ubyte v32, v31, s[8:9]
.LBB212_37:
	s_or_b64 exec, exec, s[4:5]
	v_or_b32_e32 v33, 0x1e00, v0
	v_cmp_gt_u32_e32 vcc, s56, v33
                                        ; implicit-def: $vgpr34
	s_and_saveexec_b64 s[4:5], vcc
	s_cbranch_execz .LBB212_39
; %bb.38:
	v_readfirstlane_b32 s8, v10
	v_readfirstlane_b32 s9, v11
	s_nop 4
	global_load_ubyte v34, v33, s[8:9]
.LBB212_39:
	s_or_b64 exec, exec, s[4:5]
	v_or_b32_e32 v35, 0x2000, v0
	v_cmp_gt_u32_e32 vcc, s56, v35
                                        ; implicit-def: $vgpr36
	s_and_saveexec_b64 s[4:5], vcc
	s_cbranch_execz .LBB212_41
; %bb.40:
	v_readfirstlane_b32 s8, v10
	v_readfirstlane_b32 s9, v11
	s_nop 4
	global_load_ubyte v36, v35, s[8:9]
.LBB212_41:
	s_or_b64 exec, exec, s[4:5]
	v_or_b32_e32 v37, 0x2200, v0
	v_cmp_gt_u32_e32 vcc, s56, v37
                                        ; implicit-def: $vgpr38
	s_and_saveexec_b64 s[4:5], vcc
	s_cbranch_execz .LBB212_43
; %bb.42:
	v_readfirstlane_b32 s8, v10
	v_readfirstlane_b32 s9, v11
	s_nop 4
	global_load_ubyte v38, v37, s[8:9]
.LBB212_43:
	s_or_b64 exec, exec, s[4:5]
	v_or_b32_e32 v39, 0x2400, v0
	v_cmp_gt_u32_e32 vcc, s56, v39
                                        ; implicit-def: $vgpr40
	s_and_saveexec_b64 s[4:5], vcc
	s_cbranch_execz .LBB212_45
; %bb.44:
	v_readfirstlane_b32 s8, v10
	v_readfirstlane_b32 s9, v11
	s_nop 4
	global_load_ubyte v40, v39, s[8:9]
.LBB212_45:
	s_or_b64 exec, exec, s[4:5]
	v_or_b32_e32 v41, 0x2600, v0
	v_cmp_gt_u32_e32 vcc, s56, v41
                                        ; implicit-def: $vgpr42
	s_and_saveexec_b64 s[4:5], vcc
	s_cbranch_execz .LBB212_47
; %bb.46:
	v_readfirstlane_b32 s8, v10
	v_readfirstlane_b32 s9, v11
	s_nop 4
	global_load_ubyte v42, v41, s[8:9]
.LBB212_47:
	s_or_b64 exec, exec, s[4:5]
	v_or_b32_e32 v43, 0x2800, v0
	v_cmp_gt_u32_e32 vcc, s56, v43
                                        ; implicit-def: $vgpr44
	s_and_saveexec_b64 s[4:5], vcc
	s_cbranch_execz .LBB212_49
; %bb.48:
	v_readfirstlane_b32 s8, v10
	v_readfirstlane_b32 s9, v11
	s_nop 4
	global_load_ubyte v44, v43, s[8:9]
.LBB212_49:
	s_or_b64 exec, exec, s[4:5]
	v_or_b32_e32 v45, 0x2a00, v0
	v_cmp_gt_u32_e32 vcc, s56, v45
                                        ; implicit-def: $vgpr46
	s_and_saveexec_b64 s[4:5], vcc
	s_cbranch_execz .LBB212_51
; %bb.50:
	v_readfirstlane_b32 s8, v10
	v_readfirstlane_b32 s9, v11
	s_nop 4
	global_load_ubyte v46, v45, s[8:9]
.LBB212_51:
	s_or_b64 exec, exec, s[4:5]
	v_or_b32_e32 v47, 0x2c00, v0
	v_cmp_gt_u32_e32 vcc, s56, v47
                                        ; implicit-def: $vgpr48
	s_and_saveexec_b64 s[4:5], vcc
	s_cbranch_execz .LBB212_53
; %bb.52:
	v_readfirstlane_b32 s8, v10
	v_readfirstlane_b32 s9, v11
	s_nop 4
	global_load_ubyte v48, v47, s[8:9]
.LBB212_53:
	s_or_b64 exec, exec, s[4:5]
	v_or_b32_e32 v49, 0x2e00, v0
	v_cmp_gt_u32_e32 vcc, s56, v49
                                        ; implicit-def: $vgpr50
	s_and_saveexec_b64 s[4:5], vcc
	s_cbranch_execz .LBB212_55
; %bb.54:
	v_readfirstlane_b32 s8, v10
	v_readfirstlane_b32 s9, v11
	s_nop 4
	global_load_ubyte v50, v49, s[8:9]
.LBB212_55:
	s_or_b64 exec, exec, s[4:5]
	v_or_b32_e32 v51, 0x3000, v0
	v_cmp_gt_u32_e32 vcc, s56, v51
                                        ; implicit-def: $vgpr52
	s_and_saveexec_b64 s[4:5], vcc
	s_cbranch_execz .LBB212_57
; %bb.56:
	v_readfirstlane_b32 s8, v10
	v_readfirstlane_b32 s9, v11
	s_nop 4
	global_load_ubyte v52, v51, s[8:9]
.LBB212_57:
	s_or_b64 exec, exec, s[4:5]
	v_or_b32_e32 v53, 0x3200, v0
	v_cmp_gt_u32_e32 vcc, s56, v53
                                        ; implicit-def: $vgpr54
	s_and_saveexec_b64 s[4:5], vcc
	s_cbranch_execz .LBB212_59
; %bb.58:
	v_readfirstlane_b32 s8, v10
	v_readfirstlane_b32 s9, v11
	s_nop 4
	global_load_ubyte v54, v53, s[8:9]
.LBB212_59:
	s_or_b64 exec, exec, s[4:5]
	v_or_b32_e32 v55, 0x3400, v0
	v_cmp_gt_u32_e32 vcc, s56, v55
                                        ; implicit-def: $vgpr56
	s_and_saveexec_b64 s[4:5], vcc
	s_cbranch_execz .LBB212_61
; %bb.60:
	v_readfirstlane_b32 s8, v10
	v_readfirstlane_b32 s9, v11
	s_nop 4
	global_load_ubyte v56, v55, s[8:9]
.LBB212_61:
	s_or_b64 exec, exec, s[4:5]
	v_or_b32_e32 v57, 0x3600, v0
	v_cmp_gt_u32_e32 vcc, s56, v57
                                        ; implicit-def: $vgpr58
	s_and_saveexec_b64 s[4:5], vcc
	s_cbranch_execz .LBB212_63
; %bb.62:
	v_readfirstlane_b32 s8, v10
	v_readfirstlane_b32 s9, v11
	s_nop 4
	global_load_ubyte v58, v57, s[8:9]
.LBB212_63:
	s_or_b64 exec, exec, s[4:5]
	v_or_b32_e32 v59, 0x3800, v0
	v_cmp_gt_u32_e32 vcc, s56, v59
                                        ; implicit-def: $vgpr60
	s_and_saveexec_b64 s[4:5], vcc
	s_cbranch_execz .LBB212_65
; %bb.64:
	v_readfirstlane_b32 s8, v10
	v_readfirstlane_b32 s9, v11
	s_nop 4
	global_load_ubyte v60, v59, s[8:9]
.LBB212_65:
	s_or_b64 exec, exec, s[4:5]
	v_or_b32_e32 v61, 0x3a00, v0
	v_cmp_gt_u32_e32 vcc, s56, v61
                                        ; implicit-def: $vgpr62
	s_and_saveexec_b64 s[4:5], vcc
	s_cbranch_execz .LBB212_67
; %bb.66:
	v_readfirstlane_b32 s8, v10
	v_readfirstlane_b32 s9, v11
	s_nop 4
	global_load_ubyte v62, v61, s[8:9]
.LBB212_67:
	s_or_b64 exec, exec, s[4:5]
	v_or_b32_e32 v63, 0x3c00, v0
	v_cmp_gt_u32_e32 vcc, s56, v63
                                        ; implicit-def: $vgpr64
	s_and_saveexec_b64 s[4:5], vcc
	s_cbranch_execz .LBB212_69
; %bb.68:
	v_readfirstlane_b32 s8, v10
	v_readfirstlane_b32 s9, v11
	s_nop 4
	global_load_ubyte v64, v63, s[8:9]
.LBB212_69:
	s_or_b64 exec, exec, s[4:5]
	v_or_b32_e32 v65, 0x3e00, v0
	v_cmp_gt_u32_e32 vcc, s56, v65
                                        ; implicit-def: $vgpr66
	s_and_saveexec_b64 s[4:5], vcc
	s_cbranch_execz .LBB212_71
; %bb.70:
	v_readfirstlane_b32 s8, v10
	v_readfirstlane_b32 s9, v11
	s_nop 4
	global_load_ubyte v66, v65, s[8:9]
.LBB212_71:
	s_or_b64 exec, exec, s[4:5]
	v_and_b32_e32 v4, 12, v4
	v_add_u32_e32 v4, v4, v0
	s_waitcnt vmcnt(0)
	ds_write_b8 v4, v1
	v_lshrrev_b32_e32 v1, 5, v2
	v_and_b32_e32 v1, 28, v1
	v_add_u32_e32 v1, v1, v0
	ds_write_b8 v1, v3 offset:512
	v_lshrrev_b32_e32 v1, 5, v5
	v_and_b32_e32 v1, 60, v1
	v_add_u32_e32 v1, v1, v0
	ds_write_b8 v1, v6 offset:1024
	;; [unrolled: 4-line block ×31, first 2 shown]
	s_waitcnt lgkmcnt(0)
	s_barrier
.LBB212_72:
	v_lshlrev_b32_e32 v12, 5, v0
	v_and_b32_e32 v1, 0x1fc, v0
	v_add_u32_e32 v1, v1, v12
	ds_read2_b32 v[2:3], v1 offset0:6 offset1:7
	ds_read2_b32 v[8:9], v1 offset1:1
	ds_read2_b32 v[6:7], v1 offset0:2 offset1:3
	ds_read2_b32 v[4:5], v1 offset0:4 offset1:5
	s_cmp_lg_u32 s33, 0
	s_cselect_b64 s[16:17], -1, 0
	s_cmp_lg_u64 s[6:7], 0
	s_cselect_b64 s[6:7], -1, 0
	s_or_b64 s[6:7], s[6:7], s[16:17]
	s_waitcnt lgkmcnt(3)
	v_lshrrev_b32_e32 v24, 8, v2
	v_lshrrev_b32_e32 v23, 16, v2
	v_lshrrev_b32_e32 v22, 24, v2
	v_lshrrev_b32_e32 v21, 8, v3
	v_lshrrev_b32_e32 v20, 16, v3
	v_lshrrev_b32_e32 v1, 24, v3
	s_waitcnt lgkmcnt(2)
	v_lshrrev_b32_e32 v49, 8, v8
	v_lshrrev_b32_e32 v47, 16, v8
	v_lshrrev_b32_e32 v46, 24, v8
	v_lshrrev_b32_e32 v44, 8, v9
	v_lshrrev_b32_e32 v42, 16, v9
	v_lshrrev_b32_e32 v41, 24, v9
	s_waitcnt lgkmcnt(1)
	v_lshrrev_b32_e32 v39, 8, v6
	v_lshrrev_b32_e32 v37, 16, v6
	v_lshrrev_b32_e32 v36, 24, v6
	v_lshrrev_b32_e32 v34, 8, v7
	v_lshrrev_b32_e32 v32, 16, v7
	v_lshrrev_b32_e32 v31, 24, v7
	s_waitcnt lgkmcnt(0)
	v_lshrrev_b32_e32 v30, 8, v4
	v_lshrrev_b32_e32 v29, 16, v4
	v_lshrrev_b32_e32 v28, 24, v4
	v_lshrrev_b32_e32 v27, 8, v5
	v_lshrrev_b32_e32 v26, 16, v5
	v_lshrrev_b32_e32 v25, 24, v5
	s_mov_b64 s[4:5], 0
	s_and_b64 vcc, exec, s[6:7]
	s_barrier
	s_cbranch_vccz .LBB212_77
; %bb.73:
	global_load_ubyte v10, v[10:11], off offset:-1
	s_and_b64 vcc, exec, s[28:29]
	ds_write_b8 v0, v1
	s_cbranch_vccz .LBB212_79
; %bb.74:
	s_waitcnt vmcnt(0)
	v_mov_b32_e32 v11, v10
	s_waitcnt lgkmcnt(0)
	s_barrier
	s_and_saveexec_b64 s[4:5], s[2:3]
	s_cbranch_execz .LBB212_76
; %bb.75:
	v_add_u32_e32 v11, -1, v0
	ds_read_u8 v11, v11
.LBB212_76:
	s_or_b64 exec, exec, s[4:5]
	v_cmp_ne_u16_sdwa s[4:5], v20, v1 src0_sel:BYTE_0 src1_sel:DWORD
	s_waitcnt lgkmcnt(0)
	v_cmp_ne_u16_sdwa s[6:7], v11, v8 src0_sel:BYTE_0 src1_sel:BYTE_0
	v_cndmask_b32_e64 v33, 0, 1, s[4:5]
	v_cmp_ne_u16_sdwa s[4:5], v21, v20 src0_sel:BYTE_0 src1_sel:BYTE_0
	s_nop 1
	v_cndmask_b32_e64 v35, 0, 1, s[4:5]
	v_cmp_ne_u16_sdwa s[4:5], v3, v21 src0_sel:BYTE_0 src1_sel:BYTE_0
	s_nop 1
	v_cndmask_b32_e64 v38, 0, 1, s[4:5]
	v_cmp_ne_u16_sdwa s[4:5], v22, v3 src0_sel:DWORD src1_sel:BYTE_0
	s_nop 1
	v_cndmask_b32_e64 v40, 0, 1, s[4:5]
	v_cmp_ne_u16_sdwa s[4:5], v23, v22 src0_sel:BYTE_0 src1_sel:DWORD
	s_nop 1
	v_cndmask_b32_e64 v43, 0, 1, s[4:5]
	v_cmp_ne_u16_sdwa s[4:5], v24, v23 src0_sel:BYTE_0 src1_sel:BYTE_0
	s_nop 1
	v_cndmask_b32_e64 v45, 0, 1, s[4:5]
	v_cmp_ne_u16_sdwa s[4:5], v2, v24 src0_sel:BYTE_0 src1_sel:BYTE_0
	s_nop 1
	v_cndmask_b32_e64 v48, 0, 1, s[4:5]
	v_cmp_ne_u16_sdwa s[4:5], v25, v2 src0_sel:DWORD src1_sel:BYTE_0
	s_nop 1
	v_cndmask_b32_e64 v50, 0, 1, s[4:5]
	v_cmp_ne_u16_sdwa s[4:5], v26, v25 src0_sel:BYTE_0 src1_sel:DWORD
	s_nop 1
	;; [unrolled: 12-line block ×7, first 2 shown]
	v_cndmask_b32_e64 v71, 0, 1, s[4:5]
	v_cmp_ne_u16_sdwa s[4:5], v49, v47 src0_sel:BYTE_0 src1_sel:BYTE_0
	s_nop 1
	v_cndmask_b32_e64 v72, 0, 1, s[4:5]
	v_cmp_ne_u16_sdwa s[4:5], v8, v49 src0_sel:BYTE_0 src1_sel:BYTE_0
	s_nop 1
	v_cndmask_b32_e64 v73, 0, 1, s[4:5]
	s_branch .LBB212_83
.LBB212_77:
                                        ; implicit-def: $sgpr6_sgpr7
                                        ; implicit-def: $vgpr73
                                        ; implicit-def: $vgpr72
                                        ; implicit-def: $vgpr71
                                        ; implicit-def: $vgpr70
                                        ; implicit-def: $vgpr69
                                        ; implicit-def: $vgpr68
                                        ; implicit-def: $vgpr67
                                        ; implicit-def: $vgpr66
                                        ; implicit-def: $vgpr65
                                        ; implicit-def: $vgpr64
                                        ; implicit-def: $vgpr63
                                        ; implicit-def: $vgpr62
                                        ; implicit-def: $vgpr61
                                        ; implicit-def: $vgpr60
                                        ; implicit-def: $vgpr59
                                        ; implicit-def: $vgpr58
                                        ; implicit-def: $vgpr57
                                        ; implicit-def: $vgpr56
                                        ; implicit-def: $vgpr55
                                        ; implicit-def: $vgpr54
                                        ; implicit-def: $vgpr53
                                        ; implicit-def: $vgpr52
                                        ; implicit-def: $vgpr51
                                        ; implicit-def: $vgpr50
                                        ; implicit-def: $vgpr48
                                        ; implicit-def: $vgpr45
                                        ; implicit-def: $vgpr43
                                        ; implicit-def: $vgpr40
                                        ; implicit-def: $vgpr38
                                        ; implicit-def: $vgpr35
                                        ; implicit-def: $vgpr33
	s_branch .LBB212_84
.LBB212_78:
                                        ; implicit-def: $sgpr10
	v_mov_b32_e32 v74, s10
	s_and_saveexec_b64 s[2:3], s[4:5]
	s_cbranch_execnz .LBB212_92
	s_branch .LBB212_93
.LBB212_79:
                                        ; implicit-def: $sgpr6_sgpr7
                                        ; implicit-def: $vgpr73
                                        ; implicit-def: $vgpr72
                                        ; implicit-def: $vgpr71
                                        ; implicit-def: $vgpr70
                                        ; implicit-def: $vgpr69
                                        ; implicit-def: $vgpr68
                                        ; implicit-def: $vgpr67
                                        ; implicit-def: $vgpr66
                                        ; implicit-def: $vgpr65
                                        ; implicit-def: $vgpr64
                                        ; implicit-def: $vgpr63
                                        ; implicit-def: $vgpr62
                                        ; implicit-def: $vgpr61
                                        ; implicit-def: $vgpr60
                                        ; implicit-def: $vgpr59
                                        ; implicit-def: $vgpr58
                                        ; implicit-def: $vgpr57
                                        ; implicit-def: $vgpr56
                                        ; implicit-def: $vgpr55
                                        ; implicit-def: $vgpr54
                                        ; implicit-def: $vgpr53
                                        ; implicit-def: $vgpr52
                                        ; implicit-def: $vgpr51
                                        ; implicit-def: $vgpr50
                                        ; implicit-def: $vgpr48
                                        ; implicit-def: $vgpr45
                                        ; implicit-def: $vgpr43
                                        ; implicit-def: $vgpr40
                                        ; implicit-def: $vgpr38
                                        ; implicit-def: $vgpr35
                                        ; implicit-def: $vgpr33
	s_cbranch_execz .LBB212_83
; %bb.80:
	s_waitcnt lgkmcnt(0)
	s_barrier
	s_and_saveexec_b64 s[4:5], s[2:3]
	s_cbranch_execz .LBB212_82
; %bb.81:
	s_waitcnt vmcnt(0)
	v_add_u32_e32 v10, -1, v0
	ds_read_u8 v10, v10
.LBB212_82:
	s_or_b64 exec, exec, s[4:5]
	v_or_b32_e32 v11, 31, v12
	v_cmp_gt_u32_e32 vcc, s56, v11
	v_cmp_ne_u16_sdwa s[4:5], v20, v1 src0_sel:BYTE_0 src1_sel:BYTE_0
	s_and_b64 s[4:5], vcc, s[4:5]
	v_or_b32_e32 v11, 30, v12
	v_cndmask_b32_e64 v33, 0, 1, s[4:5]
	v_cmp_gt_u32_e32 vcc, s56, v11
	v_cmp_ne_u16_sdwa s[4:5], v21, v20 src0_sel:BYTE_0 src1_sel:BYTE_0
	s_and_b64 s[4:5], vcc, s[4:5]
	v_or_b32_e32 v11, 29, v12
	v_cndmask_b32_e64 v35, 0, 1, s[4:5]
	;; [unrolled: 5-line block ×30, first 2 shown]
	v_cmp_gt_u32_e32 vcc, s56, v11
	v_cmp_ne_u16_sdwa s[4:5], v8, v49 src0_sel:BYTE_0 src1_sel:BYTE_0
	s_and_b64 s[4:5], vcc, s[4:5]
	v_cmp_gt_u32_e32 vcc, s56, v12
	v_cndmask_b32_e64 v73, 0, 1, s[4:5]
	s_waitcnt vmcnt(0) lgkmcnt(0)
	v_cmp_ne_u16_sdwa s[4:5], v10, v8 src0_sel:BYTE_0 src1_sel:BYTE_0
	s_and_b64 s[6:7], vcc, s[4:5]
.LBB212_83:
	s_mov_b64 s[4:5], -1
	s_cbranch_execnz .LBB212_78
.LBB212_84:
	s_and_b64 vcc, exec, s[28:29]
	v_cmp_ne_u16_sdwa s[52:53], v21, v20 src0_sel:BYTE_0 src1_sel:BYTE_0
	v_cmp_ne_u16_sdwa s[54:55], v3, v21 src0_sel:BYTE_0 src1_sel:BYTE_0
	;; [unrolled: 1-line block ×16, first 2 shown]
	ds_write_b8 v0, v1
	s_cbranch_vccz .LBB212_88
; %bb.85:
	v_cndmask_b32_e64 v35, 0, 1, s[52:53]
	v_cmp_ne_u16_sdwa s[52:53], v22, v3 src0_sel:DWORD src1_sel:BYTE_0
	v_cndmask_b32_e64 v45, 0, 1, s[48:49]
	v_cmp_ne_u16_sdwa s[48:49], v25, v2 src0_sel:DWORD src1_sel:BYTE_0
	;; [unrolled: 2-line block ×7, first 2 shown]
	v_cmp_ne_u16_sdwa s[58:59], v20, v1 src0_sel:BYTE_0 src1_sel:DWORD
	v_cndmask_b32_e64 v40, 0, 1, s[52:53]
	v_cmp_ne_u16_sdwa s[52:53], v23, v22 src0_sel:BYTE_0 src1_sel:DWORD
	v_cndmask_b32_e64 v50, 0, 1, s[48:49]
	;; [unrolled: 2-line block ×8, first 2 shown]
	v_cndmask_b32_e64 v38, 0, 1, s[54:55]
	v_cndmask_b32_e64 v43, 0, 1, s[52:53]
	;; [unrolled: 1-line block ×16, first 2 shown]
	s_waitcnt lgkmcnt(0)
	s_barrier
	s_waitcnt lgkmcnt(0)
                                        ; implicit-def: $sgpr6_sgpr7
	s_and_saveexec_b64 s[8:9], s[2:3]
	s_xor_b64 s[8:9], exec, s[8:9]
	s_cbranch_execz .LBB212_87
; %bb.86:
	s_waitcnt vmcnt(0)
	v_add_u32_e32 v10, -1, v0
	ds_read_u8 v10, v10
	s_or_b64 s[4:5], s[4:5], exec
	s_waitcnt lgkmcnt(0)
	v_cmp_ne_u16_sdwa s[6:7], v10, v8 src0_sel:DWORD src1_sel:BYTE_0
	s_and_b64 s[6:7], s[6:7], exec
.LBB212_87:
	s_or_b64 exec, exec, s[8:9]
	s_mov_b32 s10, 1
	s_branch .LBB212_91
.LBB212_88:
                                        ; implicit-def: $sgpr6_sgpr7
                                        ; implicit-def: $vgpr73
                                        ; implicit-def: $vgpr72
                                        ; implicit-def: $vgpr71
                                        ; implicit-def: $vgpr70
                                        ; implicit-def: $vgpr69
                                        ; implicit-def: $vgpr68
                                        ; implicit-def: $vgpr67
                                        ; implicit-def: $vgpr66
                                        ; implicit-def: $vgpr65
                                        ; implicit-def: $vgpr64
                                        ; implicit-def: $vgpr63
                                        ; implicit-def: $vgpr62
                                        ; implicit-def: $vgpr61
                                        ; implicit-def: $vgpr60
                                        ; implicit-def: $vgpr59
                                        ; implicit-def: $vgpr58
                                        ; implicit-def: $vgpr57
                                        ; implicit-def: $vgpr56
                                        ; implicit-def: $vgpr55
                                        ; implicit-def: $vgpr54
                                        ; implicit-def: $vgpr53
                                        ; implicit-def: $vgpr52
                                        ; implicit-def: $vgpr51
                                        ; implicit-def: $vgpr50
                                        ; implicit-def: $vgpr48
                                        ; implicit-def: $vgpr45
                                        ; implicit-def: $vgpr43
                                        ; implicit-def: $vgpr40
                                        ; implicit-def: $vgpr38
                                        ; implicit-def: $vgpr35
                                        ; implicit-def: $vgpr33
                                        ; implicit-def: $sgpr10
	s_cbranch_execz .LBB212_91
; %bb.89:
	s_waitcnt vmcnt(0)
	v_or_b32_e32 v10, 31, v12
	v_cmp_gt_u32_e32 vcc, s56, v10
	v_cmp_ne_u16_sdwa s[6:7], v20, v1 src0_sel:BYTE_0 src1_sel:BYTE_0
	s_and_b64 s[6:7], vcc, s[6:7]
	v_or_b32_e32 v10, 30, v12
	v_cndmask_b32_e64 v33, 0, 1, s[6:7]
	v_cmp_gt_u32_e32 vcc, s56, v10
	v_cmp_ne_u16_sdwa s[6:7], v21, v20 src0_sel:BYTE_0 src1_sel:BYTE_0
	s_and_b64 s[6:7], vcc, s[6:7]
	v_or_b32_e32 v10, 29, v12
	v_cndmask_b32_e64 v35, 0, 1, s[6:7]
	;; [unrolled: 5-line block ×30, first 2 shown]
	v_cmp_gt_u32_e32 vcc, s56, v10
	v_cmp_ne_u16_sdwa s[6:7], v8, v49 src0_sel:BYTE_0 src1_sel:BYTE_0
	s_and_b64 s[6:7], vcc, s[6:7]
	s_mov_b32 s10, 1
	v_cndmask_b32_e64 v73, 0, 1, s[6:7]
	s_waitcnt lgkmcnt(0)
	s_barrier
	s_waitcnt lgkmcnt(0)
                                        ; implicit-def: $sgpr6_sgpr7
	s_and_saveexec_b64 s[8:9], s[2:3]
	s_cbranch_execz .LBB212_315
; %bb.90:
	v_add_u32_e32 v10, -1, v0
	ds_read_u8 v10, v10
	v_cmp_gt_u32_e32 vcc, s56, v12
	s_or_b64 s[4:5], s[4:5], exec
	s_waitcnt lgkmcnt(0)
	v_and_b32_e32 v10, 0xff, v10
	v_cmp_ne_u16_sdwa s[2:3], v10, v8 src0_sel:DWORD src1_sel:BYTE_0
	s_and_b64 s[2:3], vcc, s[2:3]
	s_and_b64 s[6:7], s[2:3], exec
	s_or_b64 exec, exec, s[8:9]
.LBB212_91:
	v_mov_b32_e32 v74, s10
	s_and_saveexec_b64 s[2:3], s[4:5]
.LBB212_92:
	v_cndmask_b32_e64 v74, 0, 1, s[6:7]
.LBB212_93:
	s_or_b64 exec, exec, s[2:3]
	s_andn2_b64 vcc, exec, s[0:1]
	s_cbranch_vccnz .LBB212_95
; %bb.94:
	v_cmp_gt_u32_e32 vcc, s56, v12
	s_waitcnt vmcnt(0)
	v_or_b32_e32 v10, 1, v12
	v_cndmask_b32_e32 v74, 0, v74, vcc
	v_cmp_gt_u32_e32 vcc, s56, v10
	v_or_b32_e32 v10, 2, v12
	s_nop 0
	v_cndmask_b32_e32 v73, 0, v73, vcc
	v_cmp_gt_u32_e32 vcc, s56, v10
	v_or_b32_e32 v10, 3, v12
	s_nop 0
	;; [unrolled: 4-line block ×30, first 2 shown]
	v_cndmask_b32_e32 v35, 0, v35, vcc
	v_cmp_gt_u32_e32 vcc, s56, v10
	s_nop 1
	v_cndmask_b32_e32 v33, 0, v33, vcc
.LBB212_95:
	v_and_b32_e32 v115, 0xff, v40
	v_and_b32_e32 v116, 0xff, v38
	s_waitcnt vmcnt(0)
	v_add_u32_sdwa v10, v35, v33 dst_sel:DWORD dst_unused:UNUSED_PAD src0_sel:BYTE_0 src1_sel:BYTE_0
	v_and_b32_e32 v113, 0xff, v45
	v_and_b32_e32 v114, 0xff, v43
	v_add3_u32 v10, v10, v116, v115
	v_and_b32_e32 v111, 0xff, v50
	v_and_b32_e32 v112, 0xff, v48
	v_add3_u32 v10, v10, v114, v113
	;; [unrolled: 3-line block ×14, first 2 shown]
	v_add3_u32 v89, v10, v76, v75
	v_mbcnt_lo_u32_b32 v10, -1, 0
	v_mbcnt_hi_u32_b32 v87, -1, v10
	v_and_b32_e32 v10, 15, v87
	v_cmp_eq_u32_e64 s[14:15], 0, v10
	v_cmp_lt_u32_e64 s[12:13], 1, v10
	v_cmp_lt_u32_e64 s[10:11], 3, v10
	;; [unrolled: 1-line block ×3, first 2 shown]
	v_and_b32_e32 v10, 16, v87
	v_cmp_eq_u32_e64 s[6:7], 0, v10
	v_or_b32_e32 v10, 63, v0
	v_cmp_lt_u32_e64 s[2:3], 31, v87
	v_lshrrev_b32_e32 v88, 6, v0
	v_cmp_eq_u32_e64 s[4:5], v10, v0
	s_and_b64 vcc, exec, s[16:17]
	s_waitcnt lgkmcnt(0)
	s_barrier
	s_cbranch_vccz .LBB212_126
; %bb.96:
	v_mov_b32_dpp v10, v89 row_shr:1 row_mask:0xf bank_mask:0xf
	v_cndmask_b32_e64 v10, v10, 0, s[14:15]
	v_add_u32_e32 v10, v10, v89
	s_nop 1
	v_mov_b32_dpp v11, v10 row_shr:2 row_mask:0xf bank_mask:0xf
	v_cndmask_b32_e64 v11, 0, v11, s[12:13]
	v_add_u32_e32 v10, v10, v11
	s_nop 1
	;; [unrolled: 4-line block ×4, first 2 shown]
	v_mov_b32_dpp v11, v10 row_bcast:15 row_mask:0xf bank_mask:0xf
	v_cndmask_b32_e64 v11, v11, 0, s[6:7]
	v_add_u32_e32 v10, v10, v11
	s_nop 1
	v_mov_b32_dpp v11, v10 row_bcast:31 row_mask:0xf bank_mask:0xf
	v_cndmask_b32_e64 v11, 0, v11, s[2:3]
	v_add_u32_e32 v10, v10, v11
	s_and_saveexec_b64 s[0:1], s[4:5]
	s_cbranch_execz .LBB212_98
; %bb.97:
	v_lshlrev_b32_e32 v11, 2, v88
	ds_write_b32 v11, v10
.LBB212_98:
	s_or_b64 exec, exec, s[0:1]
	v_cmp_gt_u32_e32 vcc, 8, v0
	s_waitcnt lgkmcnt(0)
	s_barrier
	s_and_saveexec_b64 s[0:1], vcc
	s_cbranch_execz .LBB212_100
; %bb.99:
	v_lshlrev_b32_e32 v11, 2, v0
	ds_read_b32 v12, v11
	v_and_b32_e32 v13, 7, v87
	v_cmp_ne_u32_e32 vcc, 0, v13
	s_waitcnt lgkmcnt(0)
	v_mov_b32_dpp v14, v12 row_shr:1 row_mask:0xf bank_mask:0xf
	v_cndmask_b32_e32 v14, 0, v14, vcc
	v_add_u32_e32 v12, v14, v12
	v_cmp_lt_u32_e32 vcc, 1, v13
	s_nop 0
	v_mov_b32_dpp v14, v12 row_shr:2 row_mask:0xf bank_mask:0xf
	v_cndmask_b32_e32 v14, 0, v14, vcc
	v_add_u32_e32 v12, v12, v14
	v_cmp_lt_u32_e32 vcc, 3, v13
	s_nop 0
	v_mov_b32_dpp v14, v12 row_shr:4 row_mask:0xf bank_mask:0xf
	v_cndmask_b32_e32 v13, 0, v14, vcc
	v_add_u32_e32 v12, v12, v13
	ds_write_b32 v11, v12
.LBB212_100:
	s_or_b64 exec, exec, s[0:1]
	v_cmp_gt_u32_e32 vcc, 64, v0
	v_cmp_lt_u32_e64 s[0:1], 63, v0
	s_waitcnt lgkmcnt(0)
	s_barrier
	s_waitcnt lgkmcnt(0)
                                        ; implicit-def: $vgpr90
	s_and_saveexec_b64 s[16:17], s[0:1]
	s_cbranch_execz .LBB212_102
; %bb.101:
	v_lshl_add_u32 v11, v88, 2, -4
	ds_read_b32 v90, v11
	s_waitcnt lgkmcnt(0)
	v_add_u32_e32 v10, v90, v10
.LBB212_102:
	s_or_b64 exec, exec, s[16:17]
	v_add_u32_e32 v11, -1, v87
	v_and_b32_e32 v12, 64, v87
	v_cmp_lt_i32_e64 s[0:1], v11, v12
	v_cmp_eq_u32_e64 s[16:17], 0, v87
	s_nop 0
	v_cndmask_b32_e64 v11, v11, v87, s[0:1]
	v_lshlrev_b32_e32 v11, 2, v11
	ds_bpermute_b32 v91, v11, v10
	s_and_saveexec_b64 s[0:1], vcc
	s_cbranch_execz .LBB212_125
; %bb.103:
	v_mov_b32_e32 v19, 0
	ds_read_b32 v10, v19 offset:28
	s_and_saveexec_b64 s[34:35], s[16:17]
	s_cbranch_execz .LBB212_105
; %bb.104:
	s_add_i32 s36, s33, 64
	s_mov_b32 s37, 0
	s_lshl_b64 s[36:37], s[36:37], 3
	s_add_u32 s36, s30, s36
	v_mov_b32_e32 v11, 1
	s_addc_u32 s37, s31, s37
	s_waitcnt lgkmcnt(0)
	global_store_dwordx2 v19, v[10:11], s[36:37] sc1
.LBB212_105:
	s_or_b64 exec, exec, s[34:35]
	v_xad_u32 v12, v87, -1, s33
	v_add_u32_e32 v18, 64, v12
	v_lshl_add_u64 v[14:15], v[18:19], 3, s[30:31]
	global_load_dwordx2 v[16:17], v[14:15], off sc1
	s_waitcnt vmcnt(0)
	v_cmp_eq_u16_sdwa s[36:37], v17, v19 src0_sel:BYTE_0 src1_sel:DWORD
	s_and_saveexec_b64 s[34:35], s[36:37]
	s_cbranch_execz .LBB212_111
; %bb.106:
	s_mov_b32 s38, 1
	s_mov_b64 s[36:37], 0
	v_mov_b32_e32 v11, 0
.LBB212_107:                            ; =>This Loop Header: Depth=1
                                        ;     Child Loop BB212_108 Depth 2
	s_max_u32 s39, s38, 1
.LBB212_108:                            ;   Parent Loop BB212_107 Depth=1
                                        ; =>  This Inner Loop Header: Depth=2
	s_add_i32 s39, s39, -1
	s_cmp_eq_u32 s39, 0
	s_sleep 1
	s_cbranch_scc0 .LBB212_108
; %bb.109:                              ;   in Loop: Header=BB212_107 Depth=1
	global_load_dwordx2 v[16:17], v[14:15], off sc1
	s_cmp_lt_u32 s38, 32
	s_cselect_b64 s[40:41], -1, 0
	s_cmp_lg_u64 s[40:41], 0
	s_addc_u32 s38, s38, 0
	s_waitcnt vmcnt(0)
	v_cmp_ne_u16_sdwa s[40:41], v17, v11 src0_sel:BYTE_0 src1_sel:DWORD
	s_or_b64 s[36:37], s[40:41], s[36:37]
	s_andn2_b64 exec, exec, s[36:37]
	s_cbranch_execnz .LBB212_107
; %bb.110:
	s_or_b64 exec, exec, s[36:37]
.LBB212_111:
	s_or_b64 exec, exec, s[34:35]
	v_and_b32_e32 v93, 63, v87
	v_mov_b32_e32 v92, 2
	v_cmp_ne_u32_e32 vcc, 63, v93
	v_cmp_eq_u16_sdwa s[34:35], v17, v92 src0_sel:BYTE_0 src1_sel:DWORD
	v_lshlrev_b64 v[14:15], v87, -1
	v_addc_co_u32_e32 v18, vcc, 0, v87, vcc
	v_and_b32_e32 v11, s35, v15
	v_lshlrev_b32_e32 v94, 2, v18
	v_or_b32_e32 v11, 0x80000000, v11
	ds_bpermute_b32 v18, v94, v16
	v_and_b32_e32 v13, s34, v14
	v_ffbl_b32_e32 v11, v11
	v_add_u32_e32 v11, 32, v11
	v_ffbl_b32_e32 v13, v13
	v_min_u32_e32 v11, v13, v11
	v_cmp_lt_u32_e32 vcc, v93, v11
	v_add_u32_e32 v96, 2, v93
	v_add_u32_e32 v98, 4, v93
	s_waitcnt lgkmcnt(0)
	v_cndmask_b32_e32 v13, 0, v18, vcc
	v_cmp_gt_u32_e32 vcc, 62, v93
	v_add_u32_e32 v13, v13, v16
	v_add_u32_e32 v118, 8, v93
	v_cndmask_b32_e64 v16, 0, 1, vcc
	v_lshlrev_b32_e32 v16, 1, v16
	v_add_lshl_u32 v95, v16, v87, 2
	ds_bpermute_b32 v16, v95, v13
	v_cmp_le_u32_e32 vcc, v96, v11
	v_add_u32_e32 v120, 16, v93
	v_add_u32_e32 v122, 32, v93
	s_waitcnt lgkmcnt(0)
	v_cndmask_b32_e32 v16, 0, v16, vcc
	v_cmp_gt_u32_e32 vcc, 60, v93
	v_add_u32_e32 v13, v13, v16
	s_nop 0
	v_cndmask_b32_e64 v16, 0, 1, vcc
	v_lshlrev_b32_e32 v16, 2, v16
	v_add_lshl_u32 v97, v16, v87, 2
	ds_bpermute_b32 v16, v97, v13
	v_cmp_le_u32_e32 vcc, v98, v11
	s_waitcnt lgkmcnt(0)
	s_nop 0
	v_cndmask_b32_e32 v16, 0, v16, vcc
	v_cmp_gt_u32_e32 vcc, 56, v93
	v_add_u32_e32 v13, v13, v16
	s_nop 0
	v_cndmask_b32_e64 v16, 0, 1, vcc
	v_lshlrev_b32_e32 v16, 3, v16
	v_add_lshl_u32 v117, v16, v87, 2
	ds_bpermute_b32 v16, v117, v13
	v_cmp_le_u32_e32 vcc, v118, v11
	s_waitcnt lgkmcnt(0)
	s_nop 0
	;; [unrolled: 11-line block ×4, first 2 shown]
	v_cndmask_b32_e32 v11, 0, v16, vcc
	v_add_u32_e32 v16, v13, v11
	v_mov_b32_e32 v13, 0
	s_branch .LBB212_113
.LBB212_112:                            ;   in Loop: Header=BB212_113 Depth=1
	s_or_b64 exec, exec, s[34:35]
	v_cmp_eq_u16_sdwa s[34:35], v17, v92 src0_sel:BYTE_0 src1_sel:DWORD
	ds_bpermute_b32 v123, v94, v16
	v_subrev_u32_e32 v12, 64, v12
	v_and_b32_e32 v18, s35, v15
	v_or_b32_e32 v18, 0x80000000, v18
	v_and_b32_e32 v19, s34, v14
	v_ffbl_b32_e32 v18, v18
	v_add_u32_e32 v18, 32, v18
	v_ffbl_b32_e32 v19, v19
	v_min_u32_e32 v18, v19, v18
	v_cmp_lt_u32_e32 vcc, v93, v18
	s_waitcnt lgkmcnt(0)
	s_nop 0
	v_cndmask_b32_e32 v19, 0, v123, vcc
	v_add_u32_e32 v16, v19, v16
	ds_bpermute_b32 v19, v95, v16
	v_cmp_le_u32_e32 vcc, v96, v18
	s_waitcnt lgkmcnt(0)
	s_nop 0
	v_cndmask_b32_e32 v19, 0, v19, vcc
	v_add_u32_e32 v16, v16, v19
	ds_bpermute_b32 v19, v97, v16
	v_cmp_le_u32_e32 vcc, v98, v18
	;; [unrolled: 6-line block ×5, first 2 shown]
	s_waitcnt lgkmcnt(0)
	s_nop 0
	v_cndmask_b32_e32 v18, 0, v19, vcc
	v_add3_u32 v16, v18, v11, v16
.LBB212_113:                            ; =>This Loop Header: Depth=1
                                        ;     Child Loop BB212_116 Depth 2
                                        ;       Child Loop BB212_117 Depth 3
	v_cmp_ne_u16_sdwa s[34:35], v17, v92 src0_sel:BYTE_0 src1_sel:DWORD
	s_nop 1
	v_cndmask_b32_e64 v11, 0, 1, s[34:35]
	;;#ASMSTART
	;;#ASMEND
	s_nop 0
	v_cmp_ne_u32_e32 vcc, 0, v11
	s_cmp_lg_u64 vcc, exec
	v_mov_b32_e32 v11, v16
	s_cbranch_scc1 .LBB212_120
; %bb.114:                              ;   in Loop: Header=BB212_113 Depth=1
	v_lshl_add_u64 v[18:19], v[12:13], 3, s[30:31]
	global_load_dwordx2 v[16:17], v[18:19], off sc1
	s_waitcnt vmcnt(0)
	v_cmp_eq_u16_sdwa s[36:37], v17, v13 src0_sel:BYTE_0 src1_sel:DWORD
	s_and_saveexec_b64 s[34:35], s[36:37]
	s_cbranch_execz .LBB212_112
; %bb.115:                              ;   in Loop: Header=BB212_113 Depth=1
	s_mov_b32 s38, 1
	s_mov_b64 s[36:37], 0
.LBB212_116:                            ;   Parent Loop BB212_113 Depth=1
                                        ; =>  This Loop Header: Depth=2
                                        ;       Child Loop BB212_117 Depth 3
	s_max_u32 s39, s38, 1
.LBB212_117:                            ;   Parent Loop BB212_113 Depth=1
                                        ;     Parent Loop BB212_116 Depth=2
                                        ; =>    This Inner Loop Header: Depth=3
	s_add_i32 s39, s39, -1
	s_cmp_eq_u32 s39, 0
	s_sleep 1
	s_cbranch_scc0 .LBB212_117
; %bb.118:                              ;   in Loop: Header=BB212_116 Depth=2
	global_load_dwordx2 v[16:17], v[18:19], off sc1
	s_cmp_lt_u32 s38, 32
	s_cselect_b64 s[40:41], -1, 0
	s_cmp_lg_u64 s[40:41], 0
	s_addc_u32 s38, s38, 0
	s_waitcnt vmcnt(0)
	v_cmp_ne_u16_sdwa s[40:41], v17, v13 src0_sel:BYTE_0 src1_sel:DWORD
	s_or_b64 s[36:37], s[40:41], s[36:37]
	s_andn2_b64 exec, exec, s[36:37]
	s_cbranch_execnz .LBB212_116
; %bb.119:                              ;   in Loop: Header=BB212_113 Depth=1
	s_or_b64 exec, exec, s[36:37]
	s_branch .LBB212_112
.LBB212_120:                            ;   in Loop: Header=BB212_113 Depth=1
                                        ; implicit-def: $vgpr16
                                        ; implicit-def: $vgpr17
	s_cbranch_execz .LBB212_113
; %bb.121:
	s_and_saveexec_b64 s[34:35], s[16:17]
	s_cbranch_execz .LBB212_123
; %bb.122:
	s_add_i32 s36, s33, 64
	s_mov_b32 s37, 0
	s_lshl_b64 s[36:37], s[36:37], 3
	s_add_u32 s36, s30, s36
	v_add_u32_e32 v12, v11, v10
	v_mov_b32_e32 v13, 2
	s_addc_u32 s37, s31, s37
	v_mov_b32_e32 v14, 0
	global_store_dwordx2 v14, v[12:13], s[36:37] sc1
	ds_write_b64 v14, v[10:11] offset:16896
.LBB212_123:
	s_or_b64 exec, exec, s[34:35]
	s_and_b64 exec, exec, s[18:19]
	s_cbranch_execz .LBB212_125
; %bb.124:
	v_mov_b32_e32 v10, 0
	ds_write_b32 v10, v11 offset:28
.LBB212_125:
	s_or_b64 exec, exec, s[0:1]
	v_mov_b32_e32 v10, 0
	s_waitcnt lgkmcnt(0)
	s_barrier
	ds_read_b32 v11, v10 offset:28
	s_waitcnt lgkmcnt(0)
	s_barrier
	ds_read_b64 v[16:17], v10 offset:16896
	v_cndmask_b32_e64 v10, v91, v90, s[16:17]
	v_cndmask_b32_e64 v10, v10, 0, s[18:19]
	v_add_u32_e32 v95, v11, v10
	s_waitcnt lgkmcnt(0)
	v_mov_b32_e32 v18, v17
	s_branch .LBB212_136
.LBB212_126:
                                        ; implicit-def: $vgpr18
                                        ; implicit-def: $vgpr16
                                        ; implicit-def: $vgpr95
	s_cbranch_execz .LBB212_136
; %bb.127:
	v_mov_b32_dpp v10, v89 row_shr:1 row_mask:0xf bank_mask:0xf
	v_cndmask_b32_e64 v10, v10, 0, s[14:15]
	v_add_u32_e32 v10, v10, v89
	s_nop 1
	v_mov_b32_dpp v11, v10 row_shr:2 row_mask:0xf bank_mask:0xf
	v_cndmask_b32_e64 v11, 0, v11, s[12:13]
	v_add_u32_e32 v10, v10, v11
	s_nop 1
	;; [unrolled: 4-line block ×4, first 2 shown]
	v_mov_b32_dpp v11, v10 row_bcast:15 row_mask:0xf bank_mask:0xf
	v_cndmask_b32_e64 v11, v11, 0, s[6:7]
	v_add_u32_e32 v10, v10, v11
	s_nop 1
	v_mov_b32_dpp v11, v10 row_bcast:31 row_mask:0xf bank_mask:0xf
	v_cndmask_b32_e64 v11, 0, v11, s[2:3]
	v_add_u32_e32 v10, v10, v11
	s_and_saveexec_b64 s[0:1], s[4:5]
	s_cbranch_execz .LBB212_129
; %bb.128:
	v_lshlrev_b32_e32 v11, 2, v88
	ds_write_b32 v11, v10
.LBB212_129:
	s_or_b64 exec, exec, s[0:1]
	v_cmp_gt_u32_e32 vcc, 8, v0
	s_waitcnt lgkmcnt(0)
	s_barrier
	s_and_saveexec_b64 s[0:1], vcc
	s_cbranch_execz .LBB212_131
; %bb.130:
	v_lshlrev_b32_e32 v11, 2, v0
	ds_read_b32 v12, v11
	v_and_b32_e32 v13, 7, v87
	v_cmp_ne_u32_e32 vcc, 0, v13
	s_waitcnt lgkmcnt(0)
	v_mov_b32_dpp v14, v12 row_shr:1 row_mask:0xf bank_mask:0xf
	v_cndmask_b32_e32 v14, 0, v14, vcc
	v_add_u32_e32 v12, v14, v12
	v_cmp_lt_u32_e32 vcc, 1, v13
	s_nop 0
	v_mov_b32_dpp v14, v12 row_shr:2 row_mask:0xf bank_mask:0xf
	v_cndmask_b32_e32 v14, 0, v14, vcc
	v_add_u32_e32 v12, v12, v14
	v_cmp_lt_u32_e32 vcc, 3, v13
	s_nop 0
	v_mov_b32_dpp v14, v12 row_shr:4 row_mask:0xf bank_mask:0xf
	v_cndmask_b32_e32 v13, 0, v14, vcc
	v_add_u32_e32 v12, v12, v13
	ds_write_b32 v11, v12
.LBB212_131:
	s_or_b64 exec, exec, s[0:1]
	v_cmp_lt_u32_e32 vcc, 63, v0
	v_mov_b32_e32 v12, 0
	v_mov_b32_e32 v11, 0
	s_waitcnt lgkmcnt(0)
	s_barrier
	s_and_saveexec_b64 s[0:1], vcc
	s_cbranch_execz .LBB212_133
; %bb.132:
	v_lshl_add_u32 v11, v88, 2, -4
	ds_read_b32 v11, v11
.LBB212_133:
	s_or_b64 exec, exec, s[0:1]
	v_add_u32_e32 v13, -1, v87
	v_and_b32_e32 v14, 64, v87
	v_cmp_lt_i32_e32 vcc, v13, v14
	s_waitcnt lgkmcnt(0)
	v_add_u32_e32 v10, v11, v10
	ds_read_b32 v16, v12 offset:28
	v_cndmask_b32_e32 v13, v13, v87, vcc
	v_lshlrev_b32_e32 v13, 2, v13
	ds_bpermute_b32 v10, v13, v10
	s_and_saveexec_b64 s[0:1], s[18:19]
	s_cbranch_execz .LBB212_135
; %bb.134:
	v_mov_b32_e32 v12, 0
	v_mov_b32_e32 v17, 2
	s_waitcnt lgkmcnt(1)
	global_store_dwordx2 v12, v[16:17], s[30:31] offset:512 sc1
.LBB212_135:
	s_or_b64 exec, exec, s[0:1]
	v_cmp_eq_u32_e32 vcc, 0, v87
	v_mov_b32_e32 v18, 0
	s_waitcnt lgkmcnt(0)
	v_cndmask_b32_e32 v10, v10, v11, vcc
	v_cndmask_b32_e64 v95, v10, 0, s[18:19]
	s_barrier
.LBB212_136:
	v_add_u32_e32 v98, v95, v75
	v_add_u32_e32 v97, v98, v76
	;; [unrolled: 1-line block ×29, first 2 shown]
	s_movk_i32 s0, 0x201
	v_add_u32_e32 v11, v12, v116
	v_cmp_gt_u32_e32 vcc, s0, v16
	v_add_u32_sdwa v10, v11, v35 dst_sel:DWORD dst_unused:UNUSED_PAD src0_sel:DWORD src1_sel:BYTE_0
	s_mov_b64 s[0:1], -1
	s_cbranch_vccnz .LBB212_140
; %bb.137:
	s_and_b64 vcc, exec, s[0:1]
	s_cbranch_vccnz .LBB212_237
.LBB212_138:
	s_and_b64 s[0:1], s[18:19], s[24:25]
	s_and_saveexec_b64 s[2:3], s[0:1]
	s_cbranch_execnz .LBB212_314
.LBB212_139:
	s_endpgm
.LBB212_140:
	v_add_u32_e32 v99, v18, v16
	v_cmp_lt_u32_e32 vcc, v95, v99
	s_or_b64 s[2:3], s[28:29], vcc
	s_and_saveexec_b64 s[0:1], s[2:3]
	s_cbranch_execz .LBB212_143
; %bb.141:
	v_and_b32_e32 v100, 1, v74
	v_cmp_eq_u32_e32 vcc, 1, v100
	s_and_b64 exec, exec, vcc
	s_cbranch_execz .LBB212_143
; %bb.142:
	s_add_u32 s2, s26, s22
	s_addc_u32 s3, s27, s23
	global_store_byte v95, v8, s[2:3]
.LBB212_143:
	s_or_b64 exec, exec, s[0:1]
	v_cmp_lt_u32_e32 vcc, v98, v99
	s_or_b64 s[2:3], s[28:29], vcc
	s_and_saveexec_b64 s[0:1], s[2:3]
	s_cbranch_execz .LBB212_146
; %bb.144:
	v_and_b32_e32 v100, 1, v73
	v_cmp_eq_u32_e32 vcc, 1, v100
	s_and_b64 exec, exec, vcc
	s_cbranch_execz .LBB212_146
; %bb.145:
	s_add_u32 s2, s26, s22
	s_addc_u32 s3, s27, s23
	global_store_byte v98, v49, s[2:3]
.LBB212_146:
	s_or_b64 exec, exec, s[0:1]
	;; [unrolled: 15-line block ×32, first 2 shown]
	s_branch .LBB212_138
.LBB212_237:
	v_and_b32_e32 v74, 1, v74
	v_cmp_eq_u32_e32 vcc, 1, v74
	s_and_saveexec_b64 s[0:1], vcc
	s_cbranch_execz .LBB212_239
; %bb.238:
	v_sub_u32_e32 v74, v95, v18
	ds_write_b8 v74, v8
.LBB212_239:
	s_or_b64 exec, exec, s[0:1]
	v_and_b32_e32 v8, 1, v73
	v_cmp_eq_u32_e32 vcc, 1, v8
	s_and_saveexec_b64 s[0:1], vcc
	s_cbranch_execz .LBB212_241
; %bb.240:
	v_sub_u32_e32 v8, v98, v18
	ds_write_b8 v8, v49
.LBB212_241:
	s_or_b64 exec, exec, s[0:1]
	;; [unrolled: 9-line block ×32, first 2 shown]
	v_cmp_lt_u32_e32 vcc, v0, v16
	s_waitcnt lgkmcnt(0)
	s_barrier
	s_and_saveexec_b64 s[0:1], vcc
	s_cbranch_execz .LBB212_313
; %bb.302:
	v_mov_b32_e32 v19, 0
	v_lshl_add_u64 v[2:3], s[26:27], 0, v[18:19]
	v_xad_u32 v1, v0, -1, v16
	s_movk_i32 s2, 0xdff
	v_lshl_add_u64 v[20:21], v[2:3], 0, s[22:23]
	v_cmp_lt_u32_e32 vcc, s2, v1
	s_mov_b64 s[4:5], -1
	s_and_saveexec_b64 s[2:3], vcc
	s_cbranch_execz .LBB212_310
; %bb.303:
	v_lshrrev_b32_e32 v17, 9, v1
	v_or_b32_e32 v7, 0xe00, v0
	v_or_b32_e32 v6, 0xc00, v0
	;; [unrolled: 1-line block ×7, first 2 shown]
	v_add_u32_e32 v24, -7, v17
	v_mov_b64_e32 v[14:15], v[6:7]
	v_cmp_lt_u32_e32 vcc, 7, v24
	v_mov_b64_e32 v[12:13], v[4:5]
	v_mov_b64_e32 v[10:11], v[2:3]
	v_mov_b64_e32 v[8:9], v[0:1]
	s_and_saveexec_b64 s[4:5], vcc
	s_cbranch_execz .LBB212_307
; %bb.304:
	v_lshrrev_b32_e32 v8, 3, v24
	v_add_u32_e32 v8, 1, v8
	v_and_b32_e32 v19, 0x3ffffffe, v8
	v_mov_b64_e32 v[14:15], v[6:7]
	s_mov_b32 s8, 0
	s_mov_b64 s[6:7], 0
	v_mov_b32_e32 v23, 0
	v_mov_b32_e32 v25, v0
	v_mov_b64_e32 v[12:13], v[4:5]
	v_mov_b64_e32 v[10:11], v[2:3]
	;; [unrolled: 1-line block ×3, first 2 shown]
.LBB212_305:                            ; =>This Inner Loop Header: Depth=1
	v_mov_b32_e32 v22, v8
	v_lshl_add_u64 v[34:35], v[20:21], 0, v[22:23]
	v_mov_b32_e32 v22, v9
	v_lshl_add_u64 v[36:37], v[20:21], 0, v[22:23]
	;; [unrolled: 2-line block ×3, first 2 shown]
	v_mov_b32_e32 v22, v11
	ds_read_u8 v44, v25
	ds_read_u8 v45, v25 offset:512
	ds_read_u8 v46, v25 offset:1024
	;; [unrolled: 1-line block ×7, first 2 shown]
	v_lshl_add_u64 v[40:41], v[20:21], 0, v[22:23]
	v_mov_b32_e32 v22, v12
	ds_read_u8 v52, v25 offset:4096
	ds_read_u8 v53, v25 offset:4608
	;; [unrolled: 1-line block ×8, first 2 shown]
	v_lshl_add_u64 v[42:43], v[20:21], 0, v[22:23]
	v_mov_b32_e32 v22, v13
	s_waitcnt lgkmcnt(14)
	global_store_byte v[34:35], v44, off
	global_store_byte v[36:37], v45, off
	s_waitcnt lgkmcnt(13)
	global_store_byte v[38:39], v46, off
	s_waitcnt lgkmcnt(12)
	global_store_byte v[40:41], v47, off
	v_lshl_add_u64 v[34:35], v[20:21], 0, v[22:23]
	v_mov_b32_e32 v22, v14
	v_add_u32_e32 v19, -2, v19
	v_lshl_add_u64 v[36:37], v[20:21], 0, v[22:23]
	v_mov_b32_e32 v22, v15
	s_add_i32 s8, s8, 16
	v_cmp_eq_u32_e32 vcc, 0, v19
	s_waitcnt lgkmcnt(11)
	global_store_byte v[42:43], v48, off
	s_waitcnt lgkmcnt(10)
	global_store_byte v[34:35], v49, off
	v_lshl_add_u64 v[34:35], v[20:21], 0, v[22:23]
	v_add_u32_e32 v22, 0x1000, v8
	v_add_u32_e32 v2, 0x1000, v15
	;; [unrolled: 1-line block ×8, first 2 shown]
	v_mov_b32_e32 v33, v23
	v_mov_b32_e32 v31, v23
	;; [unrolled: 1-line block ×7, first 2 shown]
	v_add_u32_e32 v25, 0x2000, v25
	v_add_u32_e32 v9, 0x2000, v9
	v_mov_b32_e32 v1, s8
	v_add_u32_e32 v10, 0x2000, v10
	s_or_b64 s[6:7], vcc, s[6:7]
	v_add_u32_e32 v11, 0x2000, v11
	v_add_u32_e32 v12, 0x2000, v12
	;; [unrolled: 1-line block ×5, first 2 shown]
	s_waitcnt lgkmcnt(9)
	global_store_byte v[36:37], v50, off
	v_add_u32_e32 v8, 0x2000, v8
	s_waitcnt lgkmcnt(8)
	global_store_byte v[34:35], v51, off
	v_lshl_add_u64 v[34:35], v[20:21], 0, v[22:23]
	v_lshl_add_u64 v[32:33], v[20:21], 0, v[32:33]
	;; [unrolled: 1-line block ×8, first 2 shown]
	s_waitcnt lgkmcnt(7)
	global_store_byte v[34:35], v52, off
	s_waitcnt lgkmcnt(6)
	global_store_byte v[32:33], v53, off
	;; [unrolled: 2-line block ×8, first 2 shown]
	s_andn2_b64 exec, exec, s[6:7]
	s_cbranch_execnz .LBB212_305
; %bb.306:
	s_or_b64 exec, exec, s[6:7]
	v_lshlrev_b32_e32 v19, 9, v1
.LBB212_307:
	s_or_b64 exec, exec, s[4:5]
	v_and_b32_e32 v1, 8, v24
	v_cmp_eq_u32_e32 vcc, 0, v1
	s_and_saveexec_b64 s[4:5], vcc
	s_cbranch_execz .LBB212_309
; %bb.308:
	v_mov_b32_e32 v3, 0
	v_mov_b32_e32 v2, v8
	v_lshl_add_u64 v[4:5], v[20:21], 0, v[2:3]
	v_mov_b32_e32 v2, v9
	v_or_b32_e32 v1, v0, v19
	v_lshl_add_u64 v[6:7], v[20:21], 0, v[2:3]
	v_mov_b32_e32 v2, v10
	ds_read_u8 v19, v1
	ds_read_u8 v26, v1 offset:512
	ds_read_u8 v27, v1 offset:1024
	;; [unrolled: 1-line block ×7, first 2 shown]
	v_lshl_add_u64 v[8:9], v[20:21], 0, v[2:3]
	v_mov_b32_e32 v2, v11
	v_lshl_add_u64 v[10:11], v[20:21], 0, v[2:3]
	v_mov_b32_e32 v2, v12
	;; [unrolled: 2-line block ×5, first 2 shown]
	v_lshl_add_u64 v[2:3], v[20:21], 0, v[2:3]
	s_waitcnt lgkmcnt(7)
	global_store_byte v[4:5], v19, off
	s_waitcnt lgkmcnt(6)
	global_store_byte v[6:7], v26, off
	;; [unrolled: 2-line block ×8, first 2 shown]
.LBB212_309:
	s_or_b64 exec, exec, s[4:5]
	v_add_u32_e32 v1, 1, v17
	v_and_b32_e32 v2, 0xfffff8, v1
	v_cmp_ne_u32_e32 vcc, v1, v2
	v_lshl_or_b32 v0, v2, 9, v0
	s_orn2_b64 s[4:5], vcc, exec
.LBB212_310:
	s_or_b64 exec, exec, s[2:3]
	s_and_b64 exec, exec, s[4:5]
	s_cbranch_execz .LBB212_313
; %bb.311:
	s_mov_b64 s[2:3], 0
.LBB212_312:                            ; =>This Inner Loop Header: Depth=1
	ds_read_u8 v1, v0
	v_readfirstlane_b32 s4, v20
	v_readfirstlane_b32 s5, v21
	s_waitcnt lgkmcnt(0)
	s_nop 3
	global_store_byte v0, v1, s[4:5]
	v_add_u32_e32 v0, 0x200, v0
	v_cmp_ge_u32_e32 vcc, v0, v16
	s_or_b64 s[2:3], vcc, s[2:3]
	s_andn2_b64 exec, exec, s[2:3]
	s_cbranch_execnz .LBB212_312
.LBB212_313:
	s_or_b64 exec, exec, s[0:1]
	s_and_b64 s[0:1], s[18:19], s[24:25]
	s_and_saveexec_b64 s[2:3], s[0:1]
	s_cbranch_execz .LBB212_139
.LBB212_314:
	v_mov_b32_e32 v17, 0
	v_lshl_add_u64 v[0:1], s[22:23], 0, v[16:17]
	v_mov_b32_e32 v19, v17
	v_lshl_add_u64 v[0:1], v[0:1], 0, v[18:19]
	global_store_dwordx2 v17, v[0:1], s[20:21]
	s_endpgm
.LBB212_315:
	s_or_b64 exec, exec, s[8:9]
	v_mov_b32_e32 v74, s10
	s_and_saveexec_b64 s[2:3], s[4:5]
	s_cbranch_execnz .LBB212_92
	s_branch .LBB212_93
	.section	.rodata,"a",@progbits
	.p2align	6, 0x0
	.amdhsa_kernel _ZN7rocprim17ROCPRIM_400000_NS6detail17trampoline_kernelINS0_14default_configENS1_25partition_config_selectorILNS1_17partition_subalgoE8EaNS0_10empty_typeEbEEZZNS1_14partition_implILS5_8ELb0ES3_jPKaPS6_PKS6_NS0_5tupleIJPaS6_EEENSE_IJSB_SB_EEENS0_18inequality_wrapperIN6hipcub16HIPCUB_304000_NS8EqualityEEEPlJS6_EEE10hipError_tPvRmT3_T4_T5_T6_T7_T9_mT8_P12ihipStream_tbDpT10_ENKUlT_T0_E_clISt17integral_constantIbLb1EES17_EEDaS12_S13_EUlS12_E_NS1_11comp_targetILNS1_3genE5ELNS1_11target_archE942ELNS1_3gpuE9ELNS1_3repE0EEENS1_30default_config_static_selectorELNS0_4arch9wavefront6targetE1EEEvT1_
		.amdhsa_group_segment_fixed_size 16904
		.amdhsa_private_segment_fixed_size 0
		.amdhsa_kernarg_size 128
		.amdhsa_user_sgpr_count 2
		.amdhsa_user_sgpr_dispatch_ptr 0
		.amdhsa_user_sgpr_queue_ptr 0
		.amdhsa_user_sgpr_kernarg_segment_ptr 1
		.amdhsa_user_sgpr_dispatch_id 0
		.amdhsa_user_sgpr_kernarg_preload_length 0
		.amdhsa_user_sgpr_kernarg_preload_offset 0
		.amdhsa_user_sgpr_private_segment_size 0
		.amdhsa_uses_dynamic_stack 0
		.amdhsa_enable_private_segment 0
		.amdhsa_system_sgpr_workgroup_id_x 1
		.amdhsa_system_sgpr_workgroup_id_y 0
		.amdhsa_system_sgpr_workgroup_id_z 0
		.amdhsa_system_sgpr_workgroup_info 0
		.amdhsa_system_vgpr_workitem_id 0
		.amdhsa_next_free_vgpr 124
		.amdhsa_next_free_sgpr 60
		.amdhsa_accum_offset 124
		.amdhsa_reserve_vcc 1
		.amdhsa_float_round_mode_32 0
		.amdhsa_float_round_mode_16_64 0
		.amdhsa_float_denorm_mode_32 3
		.amdhsa_float_denorm_mode_16_64 3
		.amdhsa_dx10_clamp 1
		.amdhsa_ieee_mode 1
		.amdhsa_fp16_overflow 0
		.amdhsa_tg_split 0
		.amdhsa_exception_fp_ieee_invalid_op 0
		.amdhsa_exception_fp_denorm_src 0
		.amdhsa_exception_fp_ieee_div_zero 0
		.amdhsa_exception_fp_ieee_overflow 0
		.amdhsa_exception_fp_ieee_underflow 0
		.amdhsa_exception_fp_ieee_inexact 0
		.amdhsa_exception_int_div_zero 0
	.end_amdhsa_kernel
	.section	.text._ZN7rocprim17ROCPRIM_400000_NS6detail17trampoline_kernelINS0_14default_configENS1_25partition_config_selectorILNS1_17partition_subalgoE8EaNS0_10empty_typeEbEEZZNS1_14partition_implILS5_8ELb0ES3_jPKaPS6_PKS6_NS0_5tupleIJPaS6_EEENSE_IJSB_SB_EEENS0_18inequality_wrapperIN6hipcub16HIPCUB_304000_NS8EqualityEEEPlJS6_EEE10hipError_tPvRmT3_T4_T5_T6_T7_T9_mT8_P12ihipStream_tbDpT10_ENKUlT_T0_E_clISt17integral_constantIbLb1EES17_EEDaS12_S13_EUlS12_E_NS1_11comp_targetILNS1_3genE5ELNS1_11target_archE942ELNS1_3gpuE9ELNS1_3repE0EEENS1_30default_config_static_selectorELNS0_4arch9wavefront6targetE1EEEvT1_,"axG",@progbits,_ZN7rocprim17ROCPRIM_400000_NS6detail17trampoline_kernelINS0_14default_configENS1_25partition_config_selectorILNS1_17partition_subalgoE8EaNS0_10empty_typeEbEEZZNS1_14partition_implILS5_8ELb0ES3_jPKaPS6_PKS6_NS0_5tupleIJPaS6_EEENSE_IJSB_SB_EEENS0_18inequality_wrapperIN6hipcub16HIPCUB_304000_NS8EqualityEEEPlJS6_EEE10hipError_tPvRmT3_T4_T5_T6_T7_T9_mT8_P12ihipStream_tbDpT10_ENKUlT_T0_E_clISt17integral_constantIbLb1EES17_EEDaS12_S13_EUlS12_E_NS1_11comp_targetILNS1_3genE5ELNS1_11target_archE942ELNS1_3gpuE9ELNS1_3repE0EEENS1_30default_config_static_selectorELNS0_4arch9wavefront6targetE1EEEvT1_,comdat
.Lfunc_end212:
	.size	_ZN7rocprim17ROCPRIM_400000_NS6detail17trampoline_kernelINS0_14default_configENS1_25partition_config_selectorILNS1_17partition_subalgoE8EaNS0_10empty_typeEbEEZZNS1_14partition_implILS5_8ELb0ES3_jPKaPS6_PKS6_NS0_5tupleIJPaS6_EEENSE_IJSB_SB_EEENS0_18inequality_wrapperIN6hipcub16HIPCUB_304000_NS8EqualityEEEPlJS6_EEE10hipError_tPvRmT3_T4_T5_T6_T7_T9_mT8_P12ihipStream_tbDpT10_ENKUlT_T0_E_clISt17integral_constantIbLb1EES17_EEDaS12_S13_EUlS12_E_NS1_11comp_targetILNS1_3genE5ELNS1_11target_archE942ELNS1_3gpuE9ELNS1_3repE0EEENS1_30default_config_static_selectorELNS0_4arch9wavefront6targetE1EEEvT1_, .Lfunc_end212-_ZN7rocprim17ROCPRIM_400000_NS6detail17trampoline_kernelINS0_14default_configENS1_25partition_config_selectorILNS1_17partition_subalgoE8EaNS0_10empty_typeEbEEZZNS1_14partition_implILS5_8ELb0ES3_jPKaPS6_PKS6_NS0_5tupleIJPaS6_EEENSE_IJSB_SB_EEENS0_18inequality_wrapperIN6hipcub16HIPCUB_304000_NS8EqualityEEEPlJS6_EEE10hipError_tPvRmT3_T4_T5_T6_T7_T9_mT8_P12ihipStream_tbDpT10_ENKUlT_T0_E_clISt17integral_constantIbLb1EES17_EEDaS12_S13_EUlS12_E_NS1_11comp_targetILNS1_3genE5ELNS1_11target_archE942ELNS1_3gpuE9ELNS1_3repE0EEENS1_30default_config_static_selectorELNS0_4arch9wavefront6targetE1EEEvT1_
                                        ; -- End function
	.section	.AMDGPU.csdata,"",@progbits
; Kernel info:
; codeLenInByte = 14508
; NumSgprs: 66
; NumVgprs: 124
; NumAgprs: 0
; TotalNumVgprs: 124
; ScratchSize: 0
; MemoryBound: 0
; FloatMode: 240
; IeeeMode: 1
; LDSByteSize: 16904 bytes/workgroup (compile time only)
; SGPRBlocks: 8
; VGPRBlocks: 15
; NumSGPRsForWavesPerEU: 66
; NumVGPRsForWavesPerEU: 124
; AccumOffset: 124
; Occupancy: 4
; WaveLimiterHint : 1
; COMPUTE_PGM_RSRC2:SCRATCH_EN: 0
; COMPUTE_PGM_RSRC2:USER_SGPR: 2
; COMPUTE_PGM_RSRC2:TRAP_HANDLER: 0
; COMPUTE_PGM_RSRC2:TGID_X_EN: 1
; COMPUTE_PGM_RSRC2:TGID_Y_EN: 0
; COMPUTE_PGM_RSRC2:TGID_Z_EN: 0
; COMPUTE_PGM_RSRC2:TIDIG_COMP_CNT: 0
; COMPUTE_PGM_RSRC3_GFX90A:ACCUM_OFFSET: 30
; COMPUTE_PGM_RSRC3_GFX90A:TG_SPLIT: 0
	.section	.text._ZN7rocprim17ROCPRIM_400000_NS6detail17trampoline_kernelINS0_14default_configENS1_25partition_config_selectorILNS1_17partition_subalgoE8EaNS0_10empty_typeEbEEZZNS1_14partition_implILS5_8ELb0ES3_jPKaPS6_PKS6_NS0_5tupleIJPaS6_EEENSE_IJSB_SB_EEENS0_18inequality_wrapperIN6hipcub16HIPCUB_304000_NS8EqualityEEEPlJS6_EEE10hipError_tPvRmT3_T4_T5_T6_T7_T9_mT8_P12ihipStream_tbDpT10_ENKUlT_T0_E_clISt17integral_constantIbLb1EES17_EEDaS12_S13_EUlS12_E_NS1_11comp_targetILNS1_3genE4ELNS1_11target_archE910ELNS1_3gpuE8ELNS1_3repE0EEENS1_30default_config_static_selectorELNS0_4arch9wavefront6targetE1EEEvT1_,"axG",@progbits,_ZN7rocprim17ROCPRIM_400000_NS6detail17trampoline_kernelINS0_14default_configENS1_25partition_config_selectorILNS1_17partition_subalgoE8EaNS0_10empty_typeEbEEZZNS1_14partition_implILS5_8ELb0ES3_jPKaPS6_PKS6_NS0_5tupleIJPaS6_EEENSE_IJSB_SB_EEENS0_18inequality_wrapperIN6hipcub16HIPCUB_304000_NS8EqualityEEEPlJS6_EEE10hipError_tPvRmT3_T4_T5_T6_T7_T9_mT8_P12ihipStream_tbDpT10_ENKUlT_T0_E_clISt17integral_constantIbLb1EES17_EEDaS12_S13_EUlS12_E_NS1_11comp_targetILNS1_3genE4ELNS1_11target_archE910ELNS1_3gpuE8ELNS1_3repE0EEENS1_30default_config_static_selectorELNS0_4arch9wavefront6targetE1EEEvT1_,comdat
	.protected	_ZN7rocprim17ROCPRIM_400000_NS6detail17trampoline_kernelINS0_14default_configENS1_25partition_config_selectorILNS1_17partition_subalgoE8EaNS0_10empty_typeEbEEZZNS1_14partition_implILS5_8ELb0ES3_jPKaPS6_PKS6_NS0_5tupleIJPaS6_EEENSE_IJSB_SB_EEENS0_18inequality_wrapperIN6hipcub16HIPCUB_304000_NS8EqualityEEEPlJS6_EEE10hipError_tPvRmT3_T4_T5_T6_T7_T9_mT8_P12ihipStream_tbDpT10_ENKUlT_T0_E_clISt17integral_constantIbLb1EES17_EEDaS12_S13_EUlS12_E_NS1_11comp_targetILNS1_3genE4ELNS1_11target_archE910ELNS1_3gpuE8ELNS1_3repE0EEENS1_30default_config_static_selectorELNS0_4arch9wavefront6targetE1EEEvT1_ ; -- Begin function _ZN7rocprim17ROCPRIM_400000_NS6detail17trampoline_kernelINS0_14default_configENS1_25partition_config_selectorILNS1_17partition_subalgoE8EaNS0_10empty_typeEbEEZZNS1_14partition_implILS5_8ELb0ES3_jPKaPS6_PKS6_NS0_5tupleIJPaS6_EEENSE_IJSB_SB_EEENS0_18inequality_wrapperIN6hipcub16HIPCUB_304000_NS8EqualityEEEPlJS6_EEE10hipError_tPvRmT3_T4_T5_T6_T7_T9_mT8_P12ihipStream_tbDpT10_ENKUlT_T0_E_clISt17integral_constantIbLb1EES17_EEDaS12_S13_EUlS12_E_NS1_11comp_targetILNS1_3genE4ELNS1_11target_archE910ELNS1_3gpuE8ELNS1_3repE0EEENS1_30default_config_static_selectorELNS0_4arch9wavefront6targetE1EEEvT1_
	.globl	_ZN7rocprim17ROCPRIM_400000_NS6detail17trampoline_kernelINS0_14default_configENS1_25partition_config_selectorILNS1_17partition_subalgoE8EaNS0_10empty_typeEbEEZZNS1_14partition_implILS5_8ELb0ES3_jPKaPS6_PKS6_NS0_5tupleIJPaS6_EEENSE_IJSB_SB_EEENS0_18inequality_wrapperIN6hipcub16HIPCUB_304000_NS8EqualityEEEPlJS6_EEE10hipError_tPvRmT3_T4_T5_T6_T7_T9_mT8_P12ihipStream_tbDpT10_ENKUlT_T0_E_clISt17integral_constantIbLb1EES17_EEDaS12_S13_EUlS12_E_NS1_11comp_targetILNS1_3genE4ELNS1_11target_archE910ELNS1_3gpuE8ELNS1_3repE0EEENS1_30default_config_static_selectorELNS0_4arch9wavefront6targetE1EEEvT1_
	.p2align	8
	.type	_ZN7rocprim17ROCPRIM_400000_NS6detail17trampoline_kernelINS0_14default_configENS1_25partition_config_selectorILNS1_17partition_subalgoE8EaNS0_10empty_typeEbEEZZNS1_14partition_implILS5_8ELb0ES3_jPKaPS6_PKS6_NS0_5tupleIJPaS6_EEENSE_IJSB_SB_EEENS0_18inequality_wrapperIN6hipcub16HIPCUB_304000_NS8EqualityEEEPlJS6_EEE10hipError_tPvRmT3_T4_T5_T6_T7_T9_mT8_P12ihipStream_tbDpT10_ENKUlT_T0_E_clISt17integral_constantIbLb1EES17_EEDaS12_S13_EUlS12_E_NS1_11comp_targetILNS1_3genE4ELNS1_11target_archE910ELNS1_3gpuE8ELNS1_3repE0EEENS1_30default_config_static_selectorELNS0_4arch9wavefront6targetE1EEEvT1_,@function
_ZN7rocprim17ROCPRIM_400000_NS6detail17trampoline_kernelINS0_14default_configENS1_25partition_config_selectorILNS1_17partition_subalgoE8EaNS0_10empty_typeEbEEZZNS1_14partition_implILS5_8ELb0ES3_jPKaPS6_PKS6_NS0_5tupleIJPaS6_EEENSE_IJSB_SB_EEENS0_18inequality_wrapperIN6hipcub16HIPCUB_304000_NS8EqualityEEEPlJS6_EEE10hipError_tPvRmT3_T4_T5_T6_T7_T9_mT8_P12ihipStream_tbDpT10_ENKUlT_T0_E_clISt17integral_constantIbLb1EES17_EEDaS12_S13_EUlS12_E_NS1_11comp_targetILNS1_3genE4ELNS1_11target_archE910ELNS1_3gpuE8ELNS1_3repE0EEENS1_30default_config_static_selectorELNS0_4arch9wavefront6targetE1EEEvT1_: ; @_ZN7rocprim17ROCPRIM_400000_NS6detail17trampoline_kernelINS0_14default_configENS1_25partition_config_selectorILNS1_17partition_subalgoE8EaNS0_10empty_typeEbEEZZNS1_14partition_implILS5_8ELb0ES3_jPKaPS6_PKS6_NS0_5tupleIJPaS6_EEENSE_IJSB_SB_EEENS0_18inequality_wrapperIN6hipcub16HIPCUB_304000_NS8EqualityEEEPlJS6_EEE10hipError_tPvRmT3_T4_T5_T6_T7_T9_mT8_P12ihipStream_tbDpT10_ENKUlT_T0_E_clISt17integral_constantIbLb1EES17_EEDaS12_S13_EUlS12_E_NS1_11comp_targetILNS1_3genE4ELNS1_11target_archE910ELNS1_3gpuE8ELNS1_3repE0EEENS1_30default_config_static_selectorELNS0_4arch9wavefront6targetE1EEEvT1_
; %bb.0:
	.section	.rodata,"a",@progbits
	.p2align	6, 0x0
	.amdhsa_kernel _ZN7rocprim17ROCPRIM_400000_NS6detail17trampoline_kernelINS0_14default_configENS1_25partition_config_selectorILNS1_17partition_subalgoE8EaNS0_10empty_typeEbEEZZNS1_14partition_implILS5_8ELb0ES3_jPKaPS6_PKS6_NS0_5tupleIJPaS6_EEENSE_IJSB_SB_EEENS0_18inequality_wrapperIN6hipcub16HIPCUB_304000_NS8EqualityEEEPlJS6_EEE10hipError_tPvRmT3_T4_T5_T6_T7_T9_mT8_P12ihipStream_tbDpT10_ENKUlT_T0_E_clISt17integral_constantIbLb1EES17_EEDaS12_S13_EUlS12_E_NS1_11comp_targetILNS1_3genE4ELNS1_11target_archE910ELNS1_3gpuE8ELNS1_3repE0EEENS1_30default_config_static_selectorELNS0_4arch9wavefront6targetE1EEEvT1_
		.amdhsa_group_segment_fixed_size 0
		.amdhsa_private_segment_fixed_size 0
		.amdhsa_kernarg_size 128
		.amdhsa_user_sgpr_count 2
		.amdhsa_user_sgpr_dispatch_ptr 0
		.amdhsa_user_sgpr_queue_ptr 0
		.amdhsa_user_sgpr_kernarg_segment_ptr 1
		.amdhsa_user_sgpr_dispatch_id 0
		.amdhsa_user_sgpr_kernarg_preload_length 0
		.amdhsa_user_sgpr_kernarg_preload_offset 0
		.amdhsa_user_sgpr_private_segment_size 0
		.amdhsa_uses_dynamic_stack 0
		.amdhsa_enable_private_segment 0
		.amdhsa_system_sgpr_workgroup_id_x 1
		.amdhsa_system_sgpr_workgroup_id_y 0
		.amdhsa_system_sgpr_workgroup_id_z 0
		.amdhsa_system_sgpr_workgroup_info 0
		.amdhsa_system_vgpr_workitem_id 0
		.amdhsa_next_free_vgpr 1
		.amdhsa_next_free_sgpr 0
		.amdhsa_accum_offset 4
		.amdhsa_reserve_vcc 0
		.amdhsa_float_round_mode_32 0
		.amdhsa_float_round_mode_16_64 0
		.amdhsa_float_denorm_mode_32 3
		.amdhsa_float_denorm_mode_16_64 3
		.amdhsa_dx10_clamp 1
		.amdhsa_ieee_mode 1
		.amdhsa_fp16_overflow 0
		.amdhsa_tg_split 0
		.amdhsa_exception_fp_ieee_invalid_op 0
		.amdhsa_exception_fp_denorm_src 0
		.amdhsa_exception_fp_ieee_div_zero 0
		.amdhsa_exception_fp_ieee_overflow 0
		.amdhsa_exception_fp_ieee_underflow 0
		.amdhsa_exception_fp_ieee_inexact 0
		.amdhsa_exception_int_div_zero 0
	.end_amdhsa_kernel
	.section	.text._ZN7rocprim17ROCPRIM_400000_NS6detail17trampoline_kernelINS0_14default_configENS1_25partition_config_selectorILNS1_17partition_subalgoE8EaNS0_10empty_typeEbEEZZNS1_14partition_implILS5_8ELb0ES3_jPKaPS6_PKS6_NS0_5tupleIJPaS6_EEENSE_IJSB_SB_EEENS0_18inequality_wrapperIN6hipcub16HIPCUB_304000_NS8EqualityEEEPlJS6_EEE10hipError_tPvRmT3_T4_T5_T6_T7_T9_mT8_P12ihipStream_tbDpT10_ENKUlT_T0_E_clISt17integral_constantIbLb1EES17_EEDaS12_S13_EUlS12_E_NS1_11comp_targetILNS1_3genE4ELNS1_11target_archE910ELNS1_3gpuE8ELNS1_3repE0EEENS1_30default_config_static_selectorELNS0_4arch9wavefront6targetE1EEEvT1_,"axG",@progbits,_ZN7rocprim17ROCPRIM_400000_NS6detail17trampoline_kernelINS0_14default_configENS1_25partition_config_selectorILNS1_17partition_subalgoE8EaNS0_10empty_typeEbEEZZNS1_14partition_implILS5_8ELb0ES3_jPKaPS6_PKS6_NS0_5tupleIJPaS6_EEENSE_IJSB_SB_EEENS0_18inequality_wrapperIN6hipcub16HIPCUB_304000_NS8EqualityEEEPlJS6_EEE10hipError_tPvRmT3_T4_T5_T6_T7_T9_mT8_P12ihipStream_tbDpT10_ENKUlT_T0_E_clISt17integral_constantIbLb1EES17_EEDaS12_S13_EUlS12_E_NS1_11comp_targetILNS1_3genE4ELNS1_11target_archE910ELNS1_3gpuE8ELNS1_3repE0EEENS1_30default_config_static_selectorELNS0_4arch9wavefront6targetE1EEEvT1_,comdat
.Lfunc_end213:
	.size	_ZN7rocprim17ROCPRIM_400000_NS6detail17trampoline_kernelINS0_14default_configENS1_25partition_config_selectorILNS1_17partition_subalgoE8EaNS0_10empty_typeEbEEZZNS1_14partition_implILS5_8ELb0ES3_jPKaPS6_PKS6_NS0_5tupleIJPaS6_EEENSE_IJSB_SB_EEENS0_18inequality_wrapperIN6hipcub16HIPCUB_304000_NS8EqualityEEEPlJS6_EEE10hipError_tPvRmT3_T4_T5_T6_T7_T9_mT8_P12ihipStream_tbDpT10_ENKUlT_T0_E_clISt17integral_constantIbLb1EES17_EEDaS12_S13_EUlS12_E_NS1_11comp_targetILNS1_3genE4ELNS1_11target_archE910ELNS1_3gpuE8ELNS1_3repE0EEENS1_30default_config_static_selectorELNS0_4arch9wavefront6targetE1EEEvT1_, .Lfunc_end213-_ZN7rocprim17ROCPRIM_400000_NS6detail17trampoline_kernelINS0_14default_configENS1_25partition_config_selectorILNS1_17partition_subalgoE8EaNS0_10empty_typeEbEEZZNS1_14partition_implILS5_8ELb0ES3_jPKaPS6_PKS6_NS0_5tupleIJPaS6_EEENSE_IJSB_SB_EEENS0_18inequality_wrapperIN6hipcub16HIPCUB_304000_NS8EqualityEEEPlJS6_EEE10hipError_tPvRmT3_T4_T5_T6_T7_T9_mT8_P12ihipStream_tbDpT10_ENKUlT_T0_E_clISt17integral_constantIbLb1EES17_EEDaS12_S13_EUlS12_E_NS1_11comp_targetILNS1_3genE4ELNS1_11target_archE910ELNS1_3gpuE8ELNS1_3repE0EEENS1_30default_config_static_selectorELNS0_4arch9wavefront6targetE1EEEvT1_
                                        ; -- End function
	.section	.AMDGPU.csdata,"",@progbits
; Kernel info:
; codeLenInByte = 0
; NumSgprs: 6
; NumVgprs: 0
; NumAgprs: 0
; TotalNumVgprs: 0
; ScratchSize: 0
; MemoryBound: 0
; FloatMode: 240
; IeeeMode: 1
; LDSByteSize: 0 bytes/workgroup (compile time only)
; SGPRBlocks: 0
; VGPRBlocks: 0
; NumSGPRsForWavesPerEU: 6
; NumVGPRsForWavesPerEU: 1
; AccumOffset: 4
; Occupancy: 8
; WaveLimiterHint : 0
; COMPUTE_PGM_RSRC2:SCRATCH_EN: 0
; COMPUTE_PGM_RSRC2:USER_SGPR: 2
; COMPUTE_PGM_RSRC2:TRAP_HANDLER: 0
; COMPUTE_PGM_RSRC2:TGID_X_EN: 1
; COMPUTE_PGM_RSRC2:TGID_Y_EN: 0
; COMPUTE_PGM_RSRC2:TGID_Z_EN: 0
; COMPUTE_PGM_RSRC2:TIDIG_COMP_CNT: 0
; COMPUTE_PGM_RSRC3_GFX90A:ACCUM_OFFSET: 0
; COMPUTE_PGM_RSRC3_GFX90A:TG_SPLIT: 0
	.section	.text._ZN7rocprim17ROCPRIM_400000_NS6detail17trampoline_kernelINS0_14default_configENS1_25partition_config_selectorILNS1_17partition_subalgoE8EaNS0_10empty_typeEbEEZZNS1_14partition_implILS5_8ELb0ES3_jPKaPS6_PKS6_NS0_5tupleIJPaS6_EEENSE_IJSB_SB_EEENS0_18inequality_wrapperIN6hipcub16HIPCUB_304000_NS8EqualityEEEPlJS6_EEE10hipError_tPvRmT3_T4_T5_T6_T7_T9_mT8_P12ihipStream_tbDpT10_ENKUlT_T0_E_clISt17integral_constantIbLb1EES17_EEDaS12_S13_EUlS12_E_NS1_11comp_targetILNS1_3genE3ELNS1_11target_archE908ELNS1_3gpuE7ELNS1_3repE0EEENS1_30default_config_static_selectorELNS0_4arch9wavefront6targetE1EEEvT1_,"axG",@progbits,_ZN7rocprim17ROCPRIM_400000_NS6detail17trampoline_kernelINS0_14default_configENS1_25partition_config_selectorILNS1_17partition_subalgoE8EaNS0_10empty_typeEbEEZZNS1_14partition_implILS5_8ELb0ES3_jPKaPS6_PKS6_NS0_5tupleIJPaS6_EEENSE_IJSB_SB_EEENS0_18inequality_wrapperIN6hipcub16HIPCUB_304000_NS8EqualityEEEPlJS6_EEE10hipError_tPvRmT3_T4_T5_T6_T7_T9_mT8_P12ihipStream_tbDpT10_ENKUlT_T0_E_clISt17integral_constantIbLb1EES17_EEDaS12_S13_EUlS12_E_NS1_11comp_targetILNS1_3genE3ELNS1_11target_archE908ELNS1_3gpuE7ELNS1_3repE0EEENS1_30default_config_static_selectorELNS0_4arch9wavefront6targetE1EEEvT1_,comdat
	.protected	_ZN7rocprim17ROCPRIM_400000_NS6detail17trampoline_kernelINS0_14default_configENS1_25partition_config_selectorILNS1_17partition_subalgoE8EaNS0_10empty_typeEbEEZZNS1_14partition_implILS5_8ELb0ES3_jPKaPS6_PKS6_NS0_5tupleIJPaS6_EEENSE_IJSB_SB_EEENS0_18inequality_wrapperIN6hipcub16HIPCUB_304000_NS8EqualityEEEPlJS6_EEE10hipError_tPvRmT3_T4_T5_T6_T7_T9_mT8_P12ihipStream_tbDpT10_ENKUlT_T0_E_clISt17integral_constantIbLb1EES17_EEDaS12_S13_EUlS12_E_NS1_11comp_targetILNS1_3genE3ELNS1_11target_archE908ELNS1_3gpuE7ELNS1_3repE0EEENS1_30default_config_static_selectorELNS0_4arch9wavefront6targetE1EEEvT1_ ; -- Begin function _ZN7rocprim17ROCPRIM_400000_NS6detail17trampoline_kernelINS0_14default_configENS1_25partition_config_selectorILNS1_17partition_subalgoE8EaNS0_10empty_typeEbEEZZNS1_14partition_implILS5_8ELb0ES3_jPKaPS6_PKS6_NS0_5tupleIJPaS6_EEENSE_IJSB_SB_EEENS0_18inequality_wrapperIN6hipcub16HIPCUB_304000_NS8EqualityEEEPlJS6_EEE10hipError_tPvRmT3_T4_T5_T6_T7_T9_mT8_P12ihipStream_tbDpT10_ENKUlT_T0_E_clISt17integral_constantIbLb1EES17_EEDaS12_S13_EUlS12_E_NS1_11comp_targetILNS1_3genE3ELNS1_11target_archE908ELNS1_3gpuE7ELNS1_3repE0EEENS1_30default_config_static_selectorELNS0_4arch9wavefront6targetE1EEEvT1_
	.globl	_ZN7rocprim17ROCPRIM_400000_NS6detail17trampoline_kernelINS0_14default_configENS1_25partition_config_selectorILNS1_17partition_subalgoE8EaNS0_10empty_typeEbEEZZNS1_14partition_implILS5_8ELb0ES3_jPKaPS6_PKS6_NS0_5tupleIJPaS6_EEENSE_IJSB_SB_EEENS0_18inequality_wrapperIN6hipcub16HIPCUB_304000_NS8EqualityEEEPlJS6_EEE10hipError_tPvRmT3_T4_T5_T6_T7_T9_mT8_P12ihipStream_tbDpT10_ENKUlT_T0_E_clISt17integral_constantIbLb1EES17_EEDaS12_S13_EUlS12_E_NS1_11comp_targetILNS1_3genE3ELNS1_11target_archE908ELNS1_3gpuE7ELNS1_3repE0EEENS1_30default_config_static_selectorELNS0_4arch9wavefront6targetE1EEEvT1_
	.p2align	8
	.type	_ZN7rocprim17ROCPRIM_400000_NS6detail17trampoline_kernelINS0_14default_configENS1_25partition_config_selectorILNS1_17partition_subalgoE8EaNS0_10empty_typeEbEEZZNS1_14partition_implILS5_8ELb0ES3_jPKaPS6_PKS6_NS0_5tupleIJPaS6_EEENSE_IJSB_SB_EEENS0_18inequality_wrapperIN6hipcub16HIPCUB_304000_NS8EqualityEEEPlJS6_EEE10hipError_tPvRmT3_T4_T5_T6_T7_T9_mT8_P12ihipStream_tbDpT10_ENKUlT_T0_E_clISt17integral_constantIbLb1EES17_EEDaS12_S13_EUlS12_E_NS1_11comp_targetILNS1_3genE3ELNS1_11target_archE908ELNS1_3gpuE7ELNS1_3repE0EEENS1_30default_config_static_selectorELNS0_4arch9wavefront6targetE1EEEvT1_,@function
_ZN7rocprim17ROCPRIM_400000_NS6detail17trampoline_kernelINS0_14default_configENS1_25partition_config_selectorILNS1_17partition_subalgoE8EaNS0_10empty_typeEbEEZZNS1_14partition_implILS5_8ELb0ES3_jPKaPS6_PKS6_NS0_5tupleIJPaS6_EEENSE_IJSB_SB_EEENS0_18inequality_wrapperIN6hipcub16HIPCUB_304000_NS8EqualityEEEPlJS6_EEE10hipError_tPvRmT3_T4_T5_T6_T7_T9_mT8_P12ihipStream_tbDpT10_ENKUlT_T0_E_clISt17integral_constantIbLb1EES17_EEDaS12_S13_EUlS12_E_NS1_11comp_targetILNS1_3genE3ELNS1_11target_archE908ELNS1_3gpuE7ELNS1_3repE0EEENS1_30default_config_static_selectorELNS0_4arch9wavefront6targetE1EEEvT1_: ; @_ZN7rocprim17ROCPRIM_400000_NS6detail17trampoline_kernelINS0_14default_configENS1_25partition_config_selectorILNS1_17partition_subalgoE8EaNS0_10empty_typeEbEEZZNS1_14partition_implILS5_8ELb0ES3_jPKaPS6_PKS6_NS0_5tupleIJPaS6_EEENSE_IJSB_SB_EEENS0_18inequality_wrapperIN6hipcub16HIPCUB_304000_NS8EqualityEEEPlJS6_EEE10hipError_tPvRmT3_T4_T5_T6_T7_T9_mT8_P12ihipStream_tbDpT10_ENKUlT_T0_E_clISt17integral_constantIbLb1EES17_EEDaS12_S13_EUlS12_E_NS1_11comp_targetILNS1_3genE3ELNS1_11target_archE908ELNS1_3gpuE7ELNS1_3repE0EEENS1_30default_config_static_selectorELNS0_4arch9wavefront6targetE1EEEvT1_
; %bb.0:
	.section	.rodata,"a",@progbits
	.p2align	6, 0x0
	.amdhsa_kernel _ZN7rocprim17ROCPRIM_400000_NS6detail17trampoline_kernelINS0_14default_configENS1_25partition_config_selectorILNS1_17partition_subalgoE8EaNS0_10empty_typeEbEEZZNS1_14partition_implILS5_8ELb0ES3_jPKaPS6_PKS6_NS0_5tupleIJPaS6_EEENSE_IJSB_SB_EEENS0_18inequality_wrapperIN6hipcub16HIPCUB_304000_NS8EqualityEEEPlJS6_EEE10hipError_tPvRmT3_T4_T5_T6_T7_T9_mT8_P12ihipStream_tbDpT10_ENKUlT_T0_E_clISt17integral_constantIbLb1EES17_EEDaS12_S13_EUlS12_E_NS1_11comp_targetILNS1_3genE3ELNS1_11target_archE908ELNS1_3gpuE7ELNS1_3repE0EEENS1_30default_config_static_selectorELNS0_4arch9wavefront6targetE1EEEvT1_
		.amdhsa_group_segment_fixed_size 0
		.amdhsa_private_segment_fixed_size 0
		.amdhsa_kernarg_size 128
		.amdhsa_user_sgpr_count 2
		.amdhsa_user_sgpr_dispatch_ptr 0
		.amdhsa_user_sgpr_queue_ptr 0
		.amdhsa_user_sgpr_kernarg_segment_ptr 1
		.amdhsa_user_sgpr_dispatch_id 0
		.amdhsa_user_sgpr_kernarg_preload_length 0
		.amdhsa_user_sgpr_kernarg_preload_offset 0
		.amdhsa_user_sgpr_private_segment_size 0
		.amdhsa_uses_dynamic_stack 0
		.amdhsa_enable_private_segment 0
		.amdhsa_system_sgpr_workgroup_id_x 1
		.amdhsa_system_sgpr_workgroup_id_y 0
		.amdhsa_system_sgpr_workgroup_id_z 0
		.amdhsa_system_sgpr_workgroup_info 0
		.amdhsa_system_vgpr_workitem_id 0
		.amdhsa_next_free_vgpr 1
		.amdhsa_next_free_sgpr 0
		.amdhsa_accum_offset 4
		.amdhsa_reserve_vcc 0
		.amdhsa_float_round_mode_32 0
		.amdhsa_float_round_mode_16_64 0
		.amdhsa_float_denorm_mode_32 3
		.amdhsa_float_denorm_mode_16_64 3
		.amdhsa_dx10_clamp 1
		.amdhsa_ieee_mode 1
		.amdhsa_fp16_overflow 0
		.amdhsa_tg_split 0
		.amdhsa_exception_fp_ieee_invalid_op 0
		.amdhsa_exception_fp_denorm_src 0
		.amdhsa_exception_fp_ieee_div_zero 0
		.amdhsa_exception_fp_ieee_overflow 0
		.amdhsa_exception_fp_ieee_underflow 0
		.amdhsa_exception_fp_ieee_inexact 0
		.amdhsa_exception_int_div_zero 0
	.end_amdhsa_kernel
	.section	.text._ZN7rocprim17ROCPRIM_400000_NS6detail17trampoline_kernelINS0_14default_configENS1_25partition_config_selectorILNS1_17partition_subalgoE8EaNS0_10empty_typeEbEEZZNS1_14partition_implILS5_8ELb0ES3_jPKaPS6_PKS6_NS0_5tupleIJPaS6_EEENSE_IJSB_SB_EEENS0_18inequality_wrapperIN6hipcub16HIPCUB_304000_NS8EqualityEEEPlJS6_EEE10hipError_tPvRmT3_T4_T5_T6_T7_T9_mT8_P12ihipStream_tbDpT10_ENKUlT_T0_E_clISt17integral_constantIbLb1EES17_EEDaS12_S13_EUlS12_E_NS1_11comp_targetILNS1_3genE3ELNS1_11target_archE908ELNS1_3gpuE7ELNS1_3repE0EEENS1_30default_config_static_selectorELNS0_4arch9wavefront6targetE1EEEvT1_,"axG",@progbits,_ZN7rocprim17ROCPRIM_400000_NS6detail17trampoline_kernelINS0_14default_configENS1_25partition_config_selectorILNS1_17partition_subalgoE8EaNS0_10empty_typeEbEEZZNS1_14partition_implILS5_8ELb0ES3_jPKaPS6_PKS6_NS0_5tupleIJPaS6_EEENSE_IJSB_SB_EEENS0_18inequality_wrapperIN6hipcub16HIPCUB_304000_NS8EqualityEEEPlJS6_EEE10hipError_tPvRmT3_T4_T5_T6_T7_T9_mT8_P12ihipStream_tbDpT10_ENKUlT_T0_E_clISt17integral_constantIbLb1EES17_EEDaS12_S13_EUlS12_E_NS1_11comp_targetILNS1_3genE3ELNS1_11target_archE908ELNS1_3gpuE7ELNS1_3repE0EEENS1_30default_config_static_selectorELNS0_4arch9wavefront6targetE1EEEvT1_,comdat
.Lfunc_end214:
	.size	_ZN7rocprim17ROCPRIM_400000_NS6detail17trampoline_kernelINS0_14default_configENS1_25partition_config_selectorILNS1_17partition_subalgoE8EaNS0_10empty_typeEbEEZZNS1_14partition_implILS5_8ELb0ES3_jPKaPS6_PKS6_NS0_5tupleIJPaS6_EEENSE_IJSB_SB_EEENS0_18inequality_wrapperIN6hipcub16HIPCUB_304000_NS8EqualityEEEPlJS6_EEE10hipError_tPvRmT3_T4_T5_T6_T7_T9_mT8_P12ihipStream_tbDpT10_ENKUlT_T0_E_clISt17integral_constantIbLb1EES17_EEDaS12_S13_EUlS12_E_NS1_11comp_targetILNS1_3genE3ELNS1_11target_archE908ELNS1_3gpuE7ELNS1_3repE0EEENS1_30default_config_static_selectorELNS0_4arch9wavefront6targetE1EEEvT1_, .Lfunc_end214-_ZN7rocprim17ROCPRIM_400000_NS6detail17trampoline_kernelINS0_14default_configENS1_25partition_config_selectorILNS1_17partition_subalgoE8EaNS0_10empty_typeEbEEZZNS1_14partition_implILS5_8ELb0ES3_jPKaPS6_PKS6_NS0_5tupleIJPaS6_EEENSE_IJSB_SB_EEENS0_18inequality_wrapperIN6hipcub16HIPCUB_304000_NS8EqualityEEEPlJS6_EEE10hipError_tPvRmT3_T4_T5_T6_T7_T9_mT8_P12ihipStream_tbDpT10_ENKUlT_T0_E_clISt17integral_constantIbLb1EES17_EEDaS12_S13_EUlS12_E_NS1_11comp_targetILNS1_3genE3ELNS1_11target_archE908ELNS1_3gpuE7ELNS1_3repE0EEENS1_30default_config_static_selectorELNS0_4arch9wavefront6targetE1EEEvT1_
                                        ; -- End function
	.section	.AMDGPU.csdata,"",@progbits
; Kernel info:
; codeLenInByte = 0
; NumSgprs: 6
; NumVgprs: 0
; NumAgprs: 0
; TotalNumVgprs: 0
; ScratchSize: 0
; MemoryBound: 0
; FloatMode: 240
; IeeeMode: 1
; LDSByteSize: 0 bytes/workgroup (compile time only)
; SGPRBlocks: 0
; VGPRBlocks: 0
; NumSGPRsForWavesPerEU: 6
; NumVGPRsForWavesPerEU: 1
; AccumOffset: 4
; Occupancy: 8
; WaveLimiterHint : 0
; COMPUTE_PGM_RSRC2:SCRATCH_EN: 0
; COMPUTE_PGM_RSRC2:USER_SGPR: 2
; COMPUTE_PGM_RSRC2:TRAP_HANDLER: 0
; COMPUTE_PGM_RSRC2:TGID_X_EN: 1
; COMPUTE_PGM_RSRC2:TGID_Y_EN: 0
; COMPUTE_PGM_RSRC2:TGID_Z_EN: 0
; COMPUTE_PGM_RSRC2:TIDIG_COMP_CNT: 0
; COMPUTE_PGM_RSRC3_GFX90A:ACCUM_OFFSET: 0
; COMPUTE_PGM_RSRC3_GFX90A:TG_SPLIT: 0
	.section	.text._ZN7rocprim17ROCPRIM_400000_NS6detail17trampoline_kernelINS0_14default_configENS1_25partition_config_selectorILNS1_17partition_subalgoE8EaNS0_10empty_typeEbEEZZNS1_14partition_implILS5_8ELb0ES3_jPKaPS6_PKS6_NS0_5tupleIJPaS6_EEENSE_IJSB_SB_EEENS0_18inequality_wrapperIN6hipcub16HIPCUB_304000_NS8EqualityEEEPlJS6_EEE10hipError_tPvRmT3_T4_T5_T6_T7_T9_mT8_P12ihipStream_tbDpT10_ENKUlT_T0_E_clISt17integral_constantIbLb1EES17_EEDaS12_S13_EUlS12_E_NS1_11comp_targetILNS1_3genE2ELNS1_11target_archE906ELNS1_3gpuE6ELNS1_3repE0EEENS1_30default_config_static_selectorELNS0_4arch9wavefront6targetE1EEEvT1_,"axG",@progbits,_ZN7rocprim17ROCPRIM_400000_NS6detail17trampoline_kernelINS0_14default_configENS1_25partition_config_selectorILNS1_17partition_subalgoE8EaNS0_10empty_typeEbEEZZNS1_14partition_implILS5_8ELb0ES3_jPKaPS6_PKS6_NS0_5tupleIJPaS6_EEENSE_IJSB_SB_EEENS0_18inequality_wrapperIN6hipcub16HIPCUB_304000_NS8EqualityEEEPlJS6_EEE10hipError_tPvRmT3_T4_T5_T6_T7_T9_mT8_P12ihipStream_tbDpT10_ENKUlT_T0_E_clISt17integral_constantIbLb1EES17_EEDaS12_S13_EUlS12_E_NS1_11comp_targetILNS1_3genE2ELNS1_11target_archE906ELNS1_3gpuE6ELNS1_3repE0EEENS1_30default_config_static_selectorELNS0_4arch9wavefront6targetE1EEEvT1_,comdat
	.protected	_ZN7rocprim17ROCPRIM_400000_NS6detail17trampoline_kernelINS0_14default_configENS1_25partition_config_selectorILNS1_17partition_subalgoE8EaNS0_10empty_typeEbEEZZNS1_14partition_implILS5_8ELb0ES3_jPKaPS6_PKS6_NS0_5tupleIJPaS6_EEENSE_IJSB_SB_EEENS0_18inequality_wrapperIN6hipcub16HIPCUB_304000_NS8EqualityEEEPlJS6_EEE10hipError_tPvRmT3_T4_T5_T6_T7_T9_mT8_P12ihipStream_tbDpT10_ENKUlT_T0_E_clISt17integral_constantIbLb1EES17_EEDaS12_S13_EUlS12_E_NS1_11comp_targetILNS1_3genE2ELNS1_11target_archE906ELNS1_3gpuE6ELNS1_3repE0EEENS1_30default_config_static_selectorELNS0_4arch9wavefront6targetE1EEEvT1_ ; -- Begin function _ZN7rocprim17ROCPRIM_400000_NS6detail17trampoline_kernelINS0_14default_configENS1_25partition_config_selectorILNS1_17partition_subalgoE8EaNS0_10empty_typeEbEEZZNS1_14partition_implILS5_8ELb0ES3_jPKaPS6_PKS6_NS0_5tupleIJPaS6_EEENSE_IJSB_SB_EEENS0_18inequality_wrapperIN6hipcub16HIPCUB_304000_NS8EqualityEEEPlJS6_EEE10hipError_tPvRmT3_T4_T5_T6_T7_T9_mT8_P12ihipStream_tbDpT10_ENKUlT_T0_E_clISt17integral_constantIbLb1EES17_EEDaS12_S13_EUlS12_E_NS1_11comp_targetILNS1_3genE2ELNS1_11target_archE906ELNS1_3gpuE6ELNS1_3repE0EEENS1_30default_config_static_selectorELNS0_4arch9wavefront6targetE1EEEvT1_
	.globl	_ZN7rocprim17ROCPRIM_400000_NS6detail17trampoline_kernelINS0_14default_configENS1_25partition_config_selectorILNS1_17partition_subalgoE8EaNS0_10empty_typeEbEEZZNS1_14partition_implILS5_8ELb0ES3_jPKaPS6_PKS6_NS0_5tupleIJPaS6_EEENSE_IJSB_SB_EEENS0_18inequality_wrapperIN6hipcub16HIPCUB_304000_NS8EqualityEEEPlJS6_EEE10hipError_tPvRmT3_T4_T5_T6_T7_T9_mT8_P12ihipStream_tbDpT10_ENKUlT_T0_E_clISt17integral_constantIbLb1EES17_EEDaS12_S13_EUlS12_E_NS1_11comp_targetILNS1_3genE2ELNS1_11target_archE906ELNS1_3gpuE6ELNS1_3repE0EEENS1_30default_config_static_selectorELNS0_4arch9wavefront6targetE1EEEvT1_
	.p2align	8
	.type	_ZN7rocprim17ROCPRIM_400000_NS6detail17trampoline_kernelINS0_14default_configENS1_25partition_config_selectorILNS1_17partition_subalgoE8EaNS0_10empty_typeEbEEZZNS1_14partition_implILS5_8ELb0ES3_jPKaPS6_PKS6_NS0_5tupleIJPaS6_EEENSE_IJSB_SB_EEENS0_18inequality_wrapperIN6hipcub16HIPCUB_304000_NS8EqualityEEEPlJS6_EEE10hipError_tPvRmT3_T4_T5_T6_T7_T9_mT8_P12ihipStream_tbDpT10_ENKUlT_T0_E_clISt17integral_constantIbLb1EES17_EEDaS12_S13_EUlS12_E_NS1_11comp_targetILNS1_3genE2ELNS1_11target_archE906ELNS1_3gpuE6ELNS1_3repE0EEENS1_30default_config_static_selectorELNS0_4arch9wavefront6targetE1EEEvT1_,@function
_ZN7rocprim17ROCPRIM_400000_NS6detail17trampoline_kernelINS0_14default_configENS1_25partition_config_selectorILNS1_17partition_subalgoE8EaNS0_10empty_typeEbEEZZNS1_14partition_implILS5_8ELb0ES3_jPKaPS6_PKS6_NS0_5tupleIJPaS6_EEENSE_IJSB_SB_EEENS0_18inequality_wrapperIN6hipcub16HIPCUB_304000_NS8EqualityEEEPlJS6_EEE10hipError_tPvRmT3_T4_T5_T6_T7_T9_mT8_P12ihipStream_tbDpT10_ENKUlT_T0_E_clISt17integral_constantIbLb1EES17_EEDaS12_S13_EUlS12_E_NS1_11comp_targetILNS1_3genE2ELNS1_11target_archE906ELNS1_3gpuE6ELNS1_3repE0EEENS1_30default_config_static_selectorELNS0_4arch9wavefront6targetE1EEEvT1_: ; @_ZN7rocprim17ROCPRIM_400000_NS6detail17trampoline_kernelINS0_14default_configENS1_25partition_config_selectorILNS1_17partition_subalgoE8EaNS0_10empty_typeEbEEZZNS1_14partition_implILS5_8ELb0ES3_jPKaPS6_PKS6_NS0_5tupleIJPaS6_EEENSE_IJSB_SB_EEENS0_18inequality_wrapperIN6hipcub16HIPCUB_304000_NS8EqualityEEEPlJS6_EEE10hipError_tPvRmT3_T4_T5_T6_T7_T9_mT8_P12ihipStream_tbDpT10_ENKUlT_T0_E_clISt17integral_constantIbLb1EES17_EEDaS12_S13_EUlS12_E_NS1_11comp_targetILNS1_3genE2ELNS1_11target_archE906ELNS1_3gpuE6ELNS1_3repE0EEENS1_30default_config_static_selectorELNS0_4arch9wavefront6targetE1EEEvT1_
; %bb.0:
	.section	.rodata,"a",@progbits
	.p2align	6, 0x0
	.amdhsa_kernel _ZN7rocprim17ROCPRIM_400000_NS6detail17trampoline_kernelINS0_14default_configENS1_25partition_config_selectorILNS1_17partition_subalgoE8EaNS0_10empty_typeEbEEZZNS1_14partition_implILS5_8ELb0ES3_jPKaPS6_PKS6_NS0_5tupleIJPaS6_EEENSE_IJSB_SB_EEENS0_18inequality_wrapperIN6hipcub16HIPCUB_304000_NS8EqualityEEEPlJS6_EEE10hipError_tPvRmT3_T4_T5_T6_T7_T9_mT8_P12ihipStream_tbDpT10_ENKUlT_T0_E_clISt17integral_constantIbLb1EES17_EEDaS12_S13_EUlS12_E_NS1_11comp_targetILNS1_3genE2ELNS1_11target_archE906ELNS1_3gpuE6ELNS1_3repE0EEENS1_30default_config_static_selectorELNS0_4arch9wavefront6targetE1EEEvT1_
		.amdhsa_group_segment_fixed_size 0
		.amdhsa_private_segment_fixed_size 0
		.amdhsa_kernarg_size 128
		.amdhsa_user_sgpr_count 2
		.amdhsa_user_sgpr_dispatch_ptr 0
		.amdhsa_user_sgpr_queue_ptr 0
		.amdhsa_user_sgpr_kernarg_segment_ptr 1
		.amdhsa_user_sgpr_dispatch_id 0
		.amdhsa_user_sgpr_kernarg_preload_length 0
		.amdhsa_user_sgpr_kernarg_preload_offset 0
		.amdhsa_user_sgpr_private_segment_size 0
		.amdhsa_uses_dynamic_stack 0
		.amdhsa_enable_private_segment 0
		.amdhsa_system_sgpr_workgroup_id_x 1
		.amdhsa_system_sgpr_workgroup_id_y 0
		.amdhsa_system_sgpr_workgroup_id_z 0
		.amdhsa_system_sgpr_workgroup_info 0
		.amdhsa_system_vgpr_workitem_id 0
		.amdhsa_next_free_vgpr 1
		.amdhsa_next_free_sgpr 0
		.amdhsa_accum_offset 4
		.amdhsa_reserve_vcc 0
		.amdhsa_float_round_mode_32 0
		.amdhsa_float_round_mode_16_64 0
		.amdhsa_float_denorm_mode_32 3
		.amdhsa_float_denorm_mode_16_64 3
		.amdhsa_dx10_clamp 1
		.amdhsa_ieee_mode 1
		.amdhsa_fp16_overflow 0
		.amdhsa_tg_split 0
		.amdhsa_exception_fp_ieee_invalid_op 0
		.amdhsa_exception_fp_denorm_src 0
		.amdhsa_exception_fp_ieee_div_zero 0
		.amdhsa_exception_fp_ieee_overflow 0
		.amdhsa_exception_fp_ieee_underflow 0
		.amdhsa_exception_fp_ieee_inexact 0
		.amdhsa_exception_int_div_zero 0
	.end_amdhsa_kernel
	.section	.text._ZN7rocprim17ROCPRIM_400000_NS6detail17trampoline_kernelINS0_14default_configENS1_25partition_config_selectorILNS1_17partition_subalgoE8EaNS0_10empty_typeEbEEZZNS1_14partition_implILS5_8ELb0ES3_jPKaPS6_PKS6_NS0_5tupleIJPaS6_EEENSE_IJSB_SB_EEENS0_18inequality_wrapperIN6hipcub16HIPCUB_304000_NS8EqualityEEEPlJS6_EEE10hipError_tPvRmT3_T4_T5_T6_T7_T9_mT8_P12ihipStream_tbDpT10_ENKUlT_T0_E_clISt17integral_constantIbLb1EES17_EEDaS12_S13_EUlS12_E_NS1_11comp_targetILNS1_3genE2ELNS1_11target_archE906ELNS1_3gpuE6ELNS1_3repE0EEENS1_30default_config_static_selectorELNS0_4arch9wavefront6targetE1EEEvT1_,"axG",@progbits,_ZN7rocprim17ROCPRIM_400000_NS6detail17trampoline_kernelINS0_14default_configENS1_25partition_config_selectorILNS1_17partition_subalgoE8EaNS0_10empty_typeEbEEZZNS1_14partition_implILS5_8ELb0ES3_jPKaPS6_PKS6_NS0_5tupleIJPaS6_EEENSE_IJSB_SB_EEENS0_18inequality_wrapperIN6hipcub16HIPCUB_304000_NS8EqualityEEEPlJS6_EEE10hipError_tPvRmT3_T4_T5_T6_T7_T9_mT8_P12ihipStream_tbDpT10_ENKUlT_T0_E_clISt17integral_constantIbLb1EES17_EEDaS12_S13_EUlS12_E_NS1_11comp_targetILNS1_3genE2ELNS1_11target_archE906ELNS1_3gpuE6ELNS1_3repE0EEENS1_30default_config_static_selectorELNS0_4arch9wavefront6targetE1EEEvT1_,comdat
.Lfunc_end215:
	.size	_ZN7rocprim17ROCPRIM_400000_NS6detail17trampoline_kernelINS0_14default_configENS1_25partition_config_selectorILNS1_17partition_subalgoE8EaNS0_10empty_typeEbEEZZNS1_14partition_implILS5_8ELb0ES3_jPKaPS6_PKS6_NS0_5tupleIJPaS6_EEENSE_IJSB_SB_EEENS0_18inequality_wrapperIN6hipcub16HIPCUB_304000_NS8EqualityEEEPlJS6_EEE10hipError_tPvRmT3_T4_T5_T6_T7_T9_mT8_P12ihipStream_tbDpT10_ENKUlT_T0_E_clISt17integral_constantIbLb1EES17_EEDaS12_S13_EUlS12_E_NS1_11comp_targetILNS1_3genE2ELNS1_11target_archE906ELNS1_3gpuE6ELNS1_3repE0EEENS1_30default_config_static_selectorELNS0_4arch9wavefront6targetE1EEEvT1_, .Lfunc_end215-_ZN7rocprim17ROCPRIM_400000_NS6detail17trampoline_kernelINS0_14default_configENS1_25partition_config_selectorILNS1_17partition_subalgoE8EaNS0_10empty_typeEbEEZZNS1_14partition_implILS5_8ELb0ES3_jPKaPS6_PKS6_NS0_5tupleIJPaS6_EEENSE_IJSB_SB_EEENS0_18inequality_wrapperIN6hipcub16HIPCUB_304000_NS8EqualityEEEPlJS6_EEE10hipError_tPvRmT3_T4_T5_T6_T7_T9_mT8_P12ihipStream_tbDpT10_ENKUlT_T0_E_clISt17integral_constantIbLb1EES17_EEDaS12_S13_EUlS12_E_NS1_11comp_targetILNS1_3genE2ELNS1_11target_archE906ELNS1_3gpuE6ELNS1_3repE0EEENS1_30default_config_static_selectorELNS0_4arch9wavefront6targetE1EEEvT1_
                                        ; -- End function
	.section	.AMDGPU.csdata,"",@progbits
; Kernel info:
; codeLenInByte = 0
; NumSgprs: 6
; NumVgprs: 0
; NumAgprs: 0
; TotalNumVgprs: 0
; ScratchSize: 0
; MemoryBound: 0
; FloatMode: 240
; IeeeMode: 1
; LDSByteSize: 0 bytes/workgroup (compile time only)
; SGPRBlocks: 0
; VGPRBlocks: 0
; NumSGPRsForWavesPerEU: 6
; NumVGPRsForWavesPerEU: 1
; AccumOffset: 4
; Occupancy: 8
; WaveLimiterHint : 0
; COMPUTE_PGM_RSRC2:SCRATCH_EN: 0
; COMPUTE_PGM_RSRC2:USER_SGPR: 2
; COMPUTE_PGM_RSRC2:TRAP_HANDLER: 0
; COMPUTE_PGM_RSRC2:TGID_X_EN: 1
; COMPUTE_PGM_RSRC2:TGID_Y_EN: 0
; COMPUTE_PGM_RSRC2:TGID_Z_EN: 0
; COMPUTE_PGM_RSRC2:TIDIG_COMP_CNT: 0
; COMPUTE_PGM_RSRC3_GFX90A:ACCUM_OFFSET: 0
; COMPUTE_PGM_RSRC3_GFX90A:TG_SPLIT: 0
	.section	.text._ZN7rocprim17ROCPRIM_400000_NS6detail17trampoline_kernelINS0_14default_configENS1_25partition_config_selectorILNS1_17partition_subalgoE8EaNS0_10empty_typeEbEEZZNS1_14partition_implILS5_8ELb0ES3_jPKaPS6_PKS6_NS0_5tupleIJPaS6_EEENSE_IJSB_SB_EEENS0_18inequality_wrapperIN6hipcub16HIPCUB_304000_NS8EqualityEEEPlJS6_EEE10hipError_tPvRmT3_T4_T5_T6_T7_T9_mT8_P12ihipStream_tbDpT10_ENKUlT_T0_E_clISt17integral_constantIbLb1EES17_EEDaS12_S13_EUlS12_E_NS1_11comp_targetILNS1_3genE10ELNS1_11target_archE1200ELNS1_3gpuE4ELNS1_3repE0EEENS1_30default_config_static_selectorELNS0_4arch9wavefront6targetE1EEEvT1_,"axG",@progbits,_ZN7rocprim17ROCPRIM_400000_NS6detail17trampoline_kernelINS0_14default_configENS1_25partition_config_selectorILNS1_17partition_subalgoE8EaNS0_10empty_typeEbEEZZNS1_14partition_implILS5_8ELb0ES3_jPKaPS6_PKS6_NS0_5tupleIJPaS6_EEENSE_IJSB_SB_EEENS0_18inequality_wrapperIN6hipcub16HIPCUB_304000_NS8EqualityEEEPlJS6_EEE10hipError_tPvRmT3_T4_T5_T6_T7_T9_mT8_P12ihipStream_tbDpT10_ENKUlT_T0_E_clISt17integral_constantIbLb1EES17_EEDaS12_S13_EUlS12_E_NS1_11comp_targetILNS1_3genE10ELNS1_11target_archE1200ELNS1_3gpuE4ELNS1_3repE0EEENS1_30default_config_static_selectorELNS0_4arch9wavefront6targetE1EEEvT1_,comdat
	.protected	_ZN7rocprim17ROCPRIM_400000_NS6detail17trampoline_kernelINS0_14default_configENS1_25partition_config_selectorILNS1_17partition_subalgoE8EaNS0_10empty_typeEbEEZZNS1_14partition_implILS5_8ELb0ES3_jPKaPS6_PKS6_NS0_5tupleIJPaS6_EEENSE_IJSB_SB_EEENS0_18inequality_wrapperIN6hipcub16HIPCUB_304000_NS8EqualityEEEPlJS6_EEE10hipError_tPvRmT3_T4_T5_T6_T7_T9_mT8_P12ihipStream_tbDpT10_ENKUlT_T0_E_clISt17integral_constantIbLb1EES17_EEDaS12_S13_EUlS12_E_NS1_11comp_targetILNS1_3genE10ELNS1_11target_archE1200ELNS1_3gpuE4ELNS1_3repE0EEENS1_30default_config_static_selectorELNS0_4arch9wavefront6targetE1EEEvT1_ ; -- Begin function _ZN7rocprim17ROCPRIM_400000_NS6detail17trampoline_kernelINS0_14default_configENS1_25partition_config_selectorILNS1_17partition_subalgoE8EaNS0_10empty_typeEbEEZZNS1_14partition_implILS5_8ELb0ES3_jPKaPS6_PKS6_NS0_5tupleIJPaS6_EEENSE_IJSB_SB_EEENS0_18inequality_wrapperIN6hipcub16HIPCUB_304000_NS8EqualityEEEPlJS6_EEE10hipError_tPvRmT3_T4_T5_T6_T7_T9_mT8_P12ihipStream_tbDpT10_ENKUlT_T0_E_clISt17integral_constantIbLb1EES17_EEDaS12_S13_EUlS12_E_NS1_11comp_targetILNS1_3genE10ELNS1_11target_archE1200ELNS1_3gpuE4ELNS1_3repE0EEENS1_30default_config_static_selectorELNS0_4arch9wavefront6targetE1EEEvT1_
	.globl	_ZN7rocprim17ROCPRIM_400000_NS6detail17trampoline_kernelINS0_14default_configENS1_25partition_config_selectorILNS1_17partition_subalgoE8EaNS0_10empty_typeEbEEZZNS1_14partition_implILS5_8ELb0ES3_jPKaPS6_PKS6_NS0_5tupleIJPaS6_EEENSE_IJSB_SB_EEENS0_18inequality_wrapperIN6hipcub16HIPCUB_304000_NS8EqualityEEEPlJS6_EEE10hipError_tPvRmT3_T4_T5_T6_T7_T9_mT8_P12ihipStream_tbDpT10_ENKUlT_T0_E_clISt17integral_constantIbLb1EES17_EEDaS12_S13_EUlS12_E_NS1_11comp_targetILNS1_3genE10ELNS1_11target_archE1200ELNS1_3gpuE4ELNS1_3repE0EEENS1_30default_config_static_selectorELNS0_4arch9wavefront6targetE1EEEvT1_
	.p2align	8
	.type	_ZN7rocprim17ROCPRIM_400000_NS6detail17trampoline_kernelINS0_14default_configENS1_25partition_config_selectorILNS1_17partition_subalgoE8EaNS0_10empty_typeEbEEZZNS1_14partition_implILS5_8ELb0ES3_jPKaPS6_PKS6_NS0_5tupleIJPaS6_EEENSE_IJSB_SB_EEENS0_18inequality_wrapperIN6hipcub16HIPCUB_304000_NS8EqualityEEEPlJS6_EEE10hipError_tPvRmT3_T4_T5_T6_T7_T9_mT8_P12ihipStream_tbDpT10_ENKUlT_T0_E_clISt17integral_constantIbLb1EES17_EEDaS12_S13_EUlS12_E_NS1_11comp_targetILNS1_3genE10ELNS1_11target_archE1200ELNS1_3gpuE4ELNS1_3repE0EEENS1_30default_config_static_selectorELNS0_4arch9wavefront6targetE1EEEvT1_,@function
_ZN7rocprim17ROCPRIM_400000_NS6detail17trampoline_kernelINS0_14default_configENS1_25partition_config_selectorILNS1_17partition_subalgoE8EaNS0_10empty_typeEbEEZZNS1_14partition_implILS5_8ELb0ES3_jPKaPS6_PKS6_NS0_5tupleIJPaS6_EEENSE_IJSB_SB_EEENS0_18inequality_wrapperIN6hipcub16HIPCUB_304000_NS8EqualityEEEPlJS6_EEE10hipError_tPvRmT3_T4_T5_T6_T7_T9_mT8_P12ihipStream_tbDpT10_ENKUlT_T0_E_clISt17integral_constantIbLb1EES17_EEDaS12_S13_EUlS12_E_NS1_11comp_targetILNS1_3genE10ELNS1_11target_archE1200ELNS1_3gpuE4ELNS1_3repE0EEENS1_30default_config_static_selectorELNS0_4arch9wavefront6targetE1EEEvT1_: ; @_ZN7rocprim17ROCPRIM_400000_NS6detail17trampoline_kernelINS0_14default_configENS1_25partition_config_selectorILNS1_17partition_subalgoE8EaNS0_10empty_typeEbEEZZNS1_14partition_implILS5_8ELb0ES3_jPKaPS6_PKS6_NS0_5tupleIJPaS6_EEENSE_IJSB_SB_EEENS0_18inequality_wrapperIN6hipcub16HIPCUB_304000_NS8EqualityEEEPlJS6_EEE10hipError_tPvRmT3_T4_T5_T6_T7_T9_mT8_P12ihipStream_tbDpT10_ENKUlT_T0_E_clISt17integral_constantIbLb1EES17_EEDaS12_S13_EUlS12_E_NS1_11comp_targetILNS1_3genE10ELNS1_11target_archE1200ELNS1_3gpuE4ELNS1_3repE0EEENS1_30default_config_static_selectorELNS0_4arch9wavefront6targetE1EEEvT1_
; %bb.0:
	.section	.rodata,"a",@progbits
	.p2align	6, 0x0
	.amdhsa_kernel _ZN7rocprim17ROCPRIM_400000_NS6detail17trampoline_kernelINS0_14default_configENS1_25partition_config_selectorILNS1_17partition_subalgoE8EaNS0_10empty_typeEbEEZZNS1_14partition_implILS5_8ELb0ES3_jPKaPS6_PKS6_NS0_5tupleIJPaS6_EEENSE_IJSB_SB_EEENS0_18inequality_wrapperIN6hipcub16HIPCUB_304000_NS8EqualityEEEPlJS6_EEE10hipError_tPvRmT3_T4_T5_T6_T7_T9_mT8_P12ihipStream_tbDpT10_ENKUlT_T0_E_clISt17integral_constantIbLb1EES17_EEDaS12_S13_EUlS12_E_NS1_11comp_targetILNS1_3genE10ELNS1_11target_archE1200ELNS1_3gpuE4ELNS1_3repE0EEENS1_30default_config_static_selectorELNS0_4arch9wavefront6targetE1EEEvT1_
		.amdhsa_group_segment_fixed_size 0
		.amdhsa_private_segment_fixed_size 0
		.amdhsa_kernarg_size 128
		.amdhsa_user_sgpr_count 2
		.amdhsa_user_sgpr_dispatch_ptr 0
		.amdhsa_user_sgpr_queue_ptr 0
		.amdhsa_user_sgpr_kernarg_segment_ptr 1
		.amdhsa_user_sgpr_dispatch_id 0
		.amdhsa_user_sgpr_kernarg_preload_length 0
		.amdhsa_user_sgpr_kernarg_preload_offset 0
		.amdhsa_user_sgpr_private_segment_size 0
		.amdhsa_uses_dynamic_stack 0
		.amdhsa_enable_private_segment 0
		.amdhsa_system_sgpr_workgroup_id_x 1
		.amdhsa_system_sgpr_workgroup_id_y 0
		.amdhsa_system_sgpr_workgroup_id_z 0
		.amdhsa_system_sgpr_workgroup_info 0
		.amdhsa_system_vgpr_workitem_id 0
		.amdhsa_next_free_vgpr 1
		.amdhsa_next_free_sgpr 0
		.amdhsa_accum_offset 4
		.amdhsa_reserve_vcc 0
		.amdhsa_float_round_mode_32 0
		.amdhsa_float_round_mode_16_64 0
		.amdhsa_float_denorm_mode_32 3
		.amdhsa_float_denorm_mode_16_64 3
		.amdhsa_dx10_clamp 1
		.amdhsa_ieee_mode 1
		.amdhsa_fp16_overflow 0
		.amdhsa_tg_split 0
		.amdhsa_exception_fp_ieee_invalid_op 0
		.amdhsa_exception_fp_denorm_src 0
		.amdhsa_exception_fp_ieee_div_zero 0
		.amdhsa_exception_fp_ieee_overflow 0
		.amdhsa_exception_fp_ieee_underflow 0
		.amdhsa_exception_fp_ieee_inexact 0
		.amdhsa_exception_int_div_zero 0
	.end_amdhsa_kernel
	.section	.text._ZN7rocprim17ROCPRIM_400000_NS6detail17trampoline_kernelINS0_14default_configENS1_25partition_config_selectorILNS1_17partition_subalgoE8EaNS0_10empty_typeEbEEZZNS1_14partition_implILS5_8ELb0ES3_jPKaPS6_PKS6_NS0_5tupleIJPaS6_EEENSE_IJSB_SB_EEENS0_18inequality_wrapperIN6hipcub16HIPCUB_304000_NS8EqualityEEEPlJS6_EEE10hipError_tPvRmT3_T4_T5_T6_T7_T9_mT8_P12ihipStream_tbDpT10_ENKUlT_T0_E_clISt17integral_constantIbLb1EES17_EEDaS12_S13_EUlS12_E_NS1_11comp_targetILNS1_3genE10ELNS1_11target_archE1200ELNS1_3gpuE4ELNS1_3repE0EEENS1_30default_config_static_selectorELNS0_4arch9wavefront6targetE1EEEvT1_,"axG",@progbits,_ZN7rocprim17ROCPRIM_400000_NS6detail17trampoline_kernelINS0_14default_configENS1_25partition_config_selectorILNS1_17partition_subalgoE8EaNS0_10empty_typeEbEEZZNS1_14partition_implILS5_8ELb0ES3_jPKaPS6_PKS6_NS0_5tupleIJPaS6_EEENSE_IJSB_SB_EEENS0_18inequality_wrapperIN6hipcub16HIPCUB_304000_NS8EqualityEEEPlJS6_EEE10hipError_tPvRmT3_T4_T5_T6_T7_T9_mT8_P12ihipStream_tbDpT10_ENKUlT_T0_E_clISt17integral_constantIbLb1EES17_EEDaS12_S13_EUlS12_E_NS1_11comp_targetILNS1_3genE10ELNS1_11target_archE1200ELNS1_3gpuE4ELNS1_3repE0EEENS1_30default_config_static_selectorELNS0_4arch9wavefront6targetE1EEEvT1_,comdat
.Lfunc_end216:
	.size	_ZN7rocprim17ROCPRIM_400000_NS6detail17trampoline_kernelINS0_14default_configENS1_25partition_config_selectorILNS1_17partition_subalgoE8EaNS0_10empty_typeEbEEZZNS1_14partition_implILS5_8ELb0ES3_jPKaPS6_PKS6_NS0_5tupleIJPaS6_EEENSE_IJSB_SB_EEENS0_18inequality_wrapperIN6hipcub16HIPCUB_304000_NS8EqualityEEEPlJS6_EEE10hipError_tPvRmT3_T4_T5_T6_T7_T9_mT8_P12ihipStream_tbDpT10_ENKUlT_T0_E_clISt17integral_constantIbLb1EES17_EEDaS12_S13_EUlS12_E_NS1_11comp_targetILNS1_3genE10ELNS1_11target_archE1200ELNS1_3gpuE4ELNS1_3repE0EEENS1_30default_config_static_selectorELNS0_4arch9wavefront6targetE1EEEvT1_, .Lfunc_end216-_ZN7rocprim17ROCPRIM_400000_NS6detail17trampoline_kernelINS0_14default_configENS1_25partition_config_selectorILNS1_17partition_subalgoE8EaNS0_10empty_typeEbEEZZNS1_14partition_implILS5_8ELb0ES3_jPKaPS6_PKS6_NS0_5tupleIJPaS6_EEENSE_IJSB_SB_EEENS0_18inequality_wrapperIN6hipcub16HIPCUB_304000_NS8EqualityEEEPlJS6_EEE10hipError_tPvRmT3_T4_T5_T6_T7_T9_mT8_P12ihipStream_tbDpT10_ENKUlT_T0_E_clISt17integral_constantIbLb1EES17_EEDaS12_S13_EUlS12_E_NS1_11comp_targetILNS1_3genE10ELNS1_11target_archE1200ELNS1_3gpuE4ELNS1_3repE0EEENS1_30default_config_static_selectorELNS0_4arch9wavefront6targetE1EEEvT1_
                                        ; -- End function
	.section	.AMDGPU.csdata,"",@progbits
; Kernel info:
; codeLenInByte = 0
; NumSgprs: 6
; NumVgprs: 0
; NumAgprs: 0
; TotalNumVgprs: 0
; ScratchSize: 0
; MemoryBound: 0
; FloatMode: 240
; IeeeMode: 1
; LDSByteSize: 0 bytes/workgroup (compile time only)
; SGPRBlocks: 0
; VGPRBlocks: 0
; NumSGPRsForWavesPerEU: 6
; NumVGPRsForWavesPerEU: 1
; AccumOffset: 4
; Occupancy: 8
; WaveLimiterHint : 0
; COMPUTE_PGM_RSRC2:SCRATCH_EN: 0
; COMPUTE_PGM_RSRC2:USER_SGPR: 2
; COMPUTE_PGM_RSRC2:TRAP_HANDLER: 0
; COMPUTE_PGM_RSRC2:TGID_X_EN: 1
; COMPUTE_PGM_RSRC2:TGID_Y_EN: 0
; COMPUTE_PGM_RSRC2:TGID_Z_EN: 0
; COMPUTE_PGM_RSRC2:TIDIG_COMP_CNT: 0
; COMPUTE_PGM_RSRC3_GFX90A:ACCUM_OFFSET: 0
; COMPUTE_PGM_RSRC3_GFX90A:TG_SPLIT: 0
	.section	.text._ZN7rocprim17ROCPRIM_400000_NS6detail17trampoline_kernelINS0_14default_configENS1_25partition_config_selectorILNS1_17partition_subalgoE8EaNS0_10empty_typeEbEEZZNS1_14partition_implILS5_8ELb0ES3_jPKaPS6_PKS6_NS0_5tupleIJPaS6_EEENSE_IJSB_SB_EEENS0_18inequality_wrapperIN6hipcub16HIPCUB_304000_NS8EqualityEEEPlJS6_EEE10hipError_tPvRmT3_T4_T5_T6_T7_T9_mT8_P12ihipStream_tbDpT10_ENKUlT_T0_E_clISt17integral_constantIbLb1EES17_EEDaS12_S13_EUlS12_E_NS1_11comp_targetILNS1_3genE9ELNS1_11target_archE1100ELNS1_3gpuE3ELNS1_3repE0EEENS1_30default_config_static_selectorELNS0_4arch9wavefront6targetE1EEEvT1_,"axG",@progbits,_ZN7rocprim17ROCPRIM_400000_NS6detail17trampoline_kernelINS0_14default_configENS1_25partition_config_selectorILNS1_17partition_subalgoE8EaNS0_10empty_typeEbEEZZNS1_14partition_implILS5_8ELb0ES3_jPKaPS6_PKS6_NS0_5tupleIJPaS6_EEENSE_IJSB_SB_EEENS0_18inequality_wrapperIN6hipcub16HIPCUB_304000_NS8EqualityEEEPlJS6_EEE10hipError_tPvRmT3_T4_T5_T6_T7_T9_mT8_P12ihipStream_tbDpT10_ENKUlT_T0_E_clISt17integral_constantIbLb1EES17_EEDaS12_S13_EUlS12_E_NS1_11comp_targetILNS1_3genE9ELNS1_11target_archE1100ELNS1_3gpuE3ELNS1_3repE0EEENS1_30default_config_static_selectorELNS0_4arch9wavefront6targetE1EEEvT1_,comdat
	.protected	_ZN7rocprim17ROCPRIM_400000_NS6detail17trampoline_kernelINS0_14default_configENS1_25partition_config_selectorILNS1_17partition_subalgoE8EaNS0_10empty_typeEbEEZZNS1_14partition_implILS5_8ELb0ES3_jPKaPS6_PKS6_NS0_5tupleIJPaS6_EEENSE_IJSB_SB_EEENS0_18inequality_wrapperIN6hipcub16HIPCUB_304000_NS8EqualityEEEPlJS6_EEE10hipError_tPvRmT3_T4_T5_T6_T7_T9_mT8_P12ihipStream_tbDpT10_ENKUlT_T0_E_clISt17integral_constantIbLb1EES17_EEDaS12_S13_EUlS12_E_NS1_11comp_targetILNS1_3genE9ELNS1_11target_archE1100ELNS1_3gpuE3ELNS1_3repE0EEENS1_30default_config_static_selectorELNS0_4arch9wavefront6targetE1EEEvT1_ ; -- Begin function _ZN7rocprim17ROCPRIM_400000_NS6detail17trampoline_kernelINS0_14default_configENS1_25partition_config_selectorILNS1_17partition_subalgoE8EaNS0_10empty_typeEbEEZZNS1_14partition_implILS5_8ELb0ES3_jPKaPS6_PKS6_NS0_5tupleIJPaS6_EEENSE_IJSB_SB_EEENS0_18inequality_wrapperIN6hipcub16HIPCUB_304000_NS8EqualityEEEPlJS6_EEE10hipError_tPvRmT3_T4_T5_T6_T7_T9_mT8_P12ihipStream_tbDpT10_ENKUlT_T0_E_clISt17integral_constantIbLb1EES17_EEDaS12_S13_EUlS12_E_NS1_11comp_targetILNS1_3genE9ELNS1_11target_archE1100ELNS1_3gpuE3ELNS1_3repE0EEENS1_30default_config_static_selectorELNS0_4arch9wavefront6targetE1EEEvT1_
	.globl	_ZN7rocprim17ROCPRIM_400000_NS6detail17trampoline_kernelINS0_14default_configENS1_25partition_config_selectorILNS1_17partition_subalgoE8EaNS0_10empty_typeEbEEZZNS1_14partition_implILS5_8ELb0ES3_jPKaPS6_PKS6_NS0_5tupleIJPaS6_EEENSE_IJSB_SB_EEENS0_18inequality_wrapperIN6hipcub16HIPCUB_304000_NS8EqualityEEEPlJS6_EEE10hipError_tPvRmT3_T4_T5_T6_T7_T9_mT8_P12ihipStream_tbDpT10_ENKUlT_T0_E_clISt17integral_constantIbLb1EES17_EEDaS12_S13_EUlS12_E_NS1_11comp_targetILNS1_3genE9ELNS1_11target_archE1100ELNS1_3gpuE3ELNS1_3repE0EEENS1_30default_config_static_selectorELNS0_4arch9wavefront6targetE1EEEvT1_
	.p2align	8
	.type	_ZN7rocprim17ROCPRIM_400000_NS6detail17trampoline_kernelINS0_14default_configENS1_25partition_config_selectorILNS1_17partition_subalgoE8EaNS0_10empty_typeEbEEZZNS1_14partition_implILS5_8ELb0ES3_jPKaPS6_PKS6_NS0_5tupleIJPaS6_EEENSE_IJSB_SB_EEENS0_18inequality_wrapperIN6hipcub16HIPCUB_304000_NS8EqualityEEEPlJS6_EEE10hipError_tPvRmT3_T4_T5_T6_T7_T9_mT8_P12ihipStream_tbDpT10_ENKUlT_T0_E_clISt17integral_constantIbLb1EES17_EEDaS12_S13_EUlS12_E_NS1_11comp_targetILNS1_3genE9ELNS1_11target_archE1100ELNS1_3gpuE3ELNS1_3repE0EEENS1_30default_config_static_selectorELNS0_4arch9wavefront6targetE1EEEvT1_,@function
_ZN7rocprim17ROCPRIM_400000_NS6detail17trampoline_kernelINS0_14default_configENS1_25partition_config_selectorILNS1_17partition_subalgoE8EaNS0_10empty_typeEbEEZZNS1_14partition_implILS5_8ELb0ES3_jPKaPS6_PKS6_NS0_5tupleIJPaS6_EEENSE_IJSB_SB_EEENS0_18inequality_wrapperIN6hipcub16HIPCUB_304000_NS8EqualityEEEPlJS6_EEE10hipError_tPvRmT3_T4_T5_T6_T7_T9_mT8_P12ihipStream_tbDpT10_ENKUlT_T0_E_clISt17integral_constantIbLb1EES17_EEDaS12_S13_EUlS12_E_NS1_11comp_targetILNS1_3genE9ELNS1_11target_archE1100ELNS1_3gpuE3ELNS1_3repE0EEENS1_30default_config_static_selectorELNS0_4arch9wavefront6targetE1EEEvT1_: ; @_ZN7rocprim17ROCPRIM_400000_NS6detail17trampoline_kernelINS0_14default_configENS1_25partition_config_selectorILNS1_17partition_subalgoE8EaNS0_10empty_typeEbEEZZNS1_14partition_implILS5_8ELb0ES3_jPKaPS6_PKS6_NS0_5tupleIJPaS6_EEENSE_IJSB_SB_EEENS0_18inequality_wrapperIN6hipcub16HIPCUB_304000_NS8EqualityEEEPlJS6_EEE10hipError_tPvRmT3_T4_T5_T6_T7_T9_mT8_P12ihipStream_tbDpT10_ENKUlT_T0_E_clISt17integral_constantIbLb1EES17_EEDaS12_S13_EUlS12_E_NS1_11comp_targetILNS1_3genE9ELNS1_11target_archE1100ELNS1_3gpuE3ELNS1_3repE0EEENS1_30default_config_static_selectorELNS0_4arch9wavefront6targetE1EEEvT1_
; %bb.0:
	.section	.rodata,"a",@progbits
	.p2align	6, 0x0
	.amdhsa_kernel _ZN7rocprim17ROCPRIM_400000_NS6detail17trampoline_kernelINS0_14default_configENS1_25partition_config_selectorILNS1_17partition_subalgoE8EaNS0_10empty_typeEbEEZZNS1_14partition_implILS5_8ELb0ES3_jPKaPS6_PKS6_NS0_5tupleIJPaS6_EEENSE_IJSB_SB_EEENS0_18inequality_wrapperIN6hipcub16HIPCUB_304000_NS8EqualityEEEPlJS6_EEE10hipError_tPvRmT3_T4_T5_T6_T7_T9_mT8_P12ihipStream_tbDpT10_ENKUlT_T0_E_clISt17integral_constantIbLb1EES17_EEDaS12_S13_EUlS12_E_NS1_11comp_targetILNS1_3genE9ELNS1_11target_archE1100ELNS1_3gpuE3ELNS1_3repE0EEENS1_30default_config_static_selectorELNS0_4arch9wavefront6targetE1EEEvT1_
		.amdhsa_group_segment_fixed_size 0
		.amdhsa_private_segment_fixed_size 0
		.amdhsa_kernarg_size 128
		.amdhsa_user_sgpr_count 2
		.amdhsa_user_sgpr_dispatch_ptr 0
		.amdhsa_user_sgpr_queue_ptr 0
		.amdhsa_user_sgpr_kernarg_segment_ptr 1
		.amdhsa_user_sgpr_dispatch_id 0
		.amdhsa_user_sgpr_kernarg_preload_length 0
		.amdhsa_user_sgpr_kernarg_preload_offset 0
		.amdhsa_user_sgpr_private_segment_size 0
		.amdhsa_uses_dynamic_stack 0
		.amdhsa_enable_private_segment 0
		.amdhsa_system_sgpr_workgroup_id_x 1
		.amdhsa_system_sgpr_workgroup_id_y 0
		.amdhsa_system_sgpr_workgroup_id_z 0
		.amdhsa_system_sgpr_workgroup_info 0
		.amdhsa_system_vgpr_workitem_id 0
		.amdhsa_next_free_vgpr 1
		.amdhsa_next_free_sgpr 0
		.amdhsa_accum_offset 4
		.amdhsa_reserve_vcc 0
		.amdhsa_float_round_mode_32 0
		.amdhsa_float_round_mode_16_64 0
		.amdhsa_float_denorm_mode_32 3
		.amdhsa_float_denorm_mode_16_64 3
		.amdhsa_dx10_clamp 1
		.amdhsa_ieee_mode 1
		.amdhsa_fp16_overflow 0
		.amdhsa_tg_split 0
		.amdhsa_exception_fp_ieee_invalid_op 0
		.amdhsa_exception_fp_denorm_src 0
		.amdhsa_exception_fp_ieee_div_zero 0
		.amdhsa_exception_fp_ieee_overflow 0
		.amdhsa_exception_fp_ieee_underflow 0
		.amdhsa_exception_fp_ieee_inexact 0
		.amdhsa_exception_int_div_zero 0
	.end_amdhsa_kernel
	.section	.text._ZN7rocprim17ROCPRIM_400000_NS6detail17trampoline_kernelINS0_14default_configENS1_25partition_config_selectorILNS1_17partition_subalgoE8EaNS0_10empty_typeEbEEZZNS1_14partition_implILS5_8ELb0ES3_jPKaPS6_PKS6_NS0_5tupleIJPaS6_EEENSE_IJSB_SB_EEENS0_18inequality_wrapperIN6hipcub16HIPCUB_304000_NS8EqualityEEEPlJS6_EEE10hipError_tPvRmT3_T4_T5_T6_T7_T9_mT8_P12ihipStream_tbDpT10_ENKUlT_T0_E_clISt17integral_constantIbLb1EES17_EEDaS12_S13_EUlS12_E_NS1_11comp_targetILNS1_3genE9ELNS1_11target_archE1100ELNS1_3gpuE3ELNS1_3repE0EEENS1_30default_config_static_selectorELNS0_4arch9wavefront6targetE1EEEvT1_,"axG",@progbits,_ZN7rocprim17ROCPRIM_400000_NS6detail17trampoline_kernelINS0_14default_configENS1_25partition_config_selectorILNS1_17partition_subalgoE8EaNS0_10empty_typeEbEEZZNS1_14partition_implILS5_8ELb0ES3_jPKaPS6_PKS6_NS0_5tupleIJPaS6_EEENSE_IJSB_SB_EEENS0_18inequality_wrapperIN6hipcub16HIPCUB_304000_NS8EqualityEEEPlJS6_EEE10hipError_tPvRmT3_T4_T5_T6_T7_T9_mT8_P12ihipStream_tbDpT10_ENKUlT_T0_E_clISt17integral_constantIbLb1EES17_EEDaS12_S13_EUlS12_E_NS1_11comp_targetILNS1_3genE9ELNS1_11target_archE1100ELNS1_3gpuE3ELNS1_3repE0EEENS1_30default_config_static_selectorELNS0_4arch9wavefront6targetE1EEEvT1_,comdat
.Lfunc_end217:
	.size	_ZN7rocprim17ROCPRIM_400000_NS6detail17trampoline_kernelINS0_14default_configENS1_25partition_config_selectorILNS1_17partition_subalgoE8EaNS0_10empty_typeEbEEZZNS1_14partition_implILS5_8ELb0ES3_jPKaPS6_PKS6_NS0_5tupleIJPaS6_EEENSE_IJSB_SB_EEENS0_18inequality_wrapperIN6hipcub16HIPCUB_304000_NS8EqualityEEEPlJS6_EEE10hipError_tPvRmT3_T4_T5_T6_T7_T9_mT8_P12ihipStream_tbDpT10_ENKUlT_T0_E_clISt17integral_constantIbLb1EES17_EEDaS12_S13_EUlS12_E_NS1_11comp_targetILNS1_3genE9ELNS1_11target_archE1100ELNS1_3gpuE3ELNS1_3repE0EEENS1_30default_config_static_selectorELNS0_4arch9wavefront6targetE1EEEvT1_, .Lfunc_end217-_ZN7rocprim17ROCPRIM_400000_NS6detail17trampoline_kernelINS0_14default_configENS1_25partition_config_selectorILNS1_17partition_subalgoE8EaNS0_10empty_typeEbEEZZNS1_14partition_implILS5_8ELb0ES3_jPKaPS6_PKS6_NS0_5tupleIJPaS6_EEENSE_IJSB_SB_EEENS0_18inequality_wrapperIN6hipcub16HIPCUB_304000_NS8EqualityEEEPlJS6_EEE10hipError_tPvRmT3_T4_T5_T6_T7_T9_mT8_P12ihipStream_tbDpT10_ENKUlT_T0_E_clISt17integral_constantIbLb1EES17_EEDaS12_S13_EUlS12_E_NS1_11comp_targetILNS1_3genE9ELNS1_11target_archE1100ELNS1_3gpuE3ELNS1_3repE0EEENS1_30default_config_static_selectorELNS0_4arch9wavefront6targetE1EEEvT1_
                                        ; -- End function
	.section	.AMDGPU.csdata,"",@progbits
; Kernel info:
; codeLenInByte = 0
; NumSgprs: 6
; NumVgprs: 0
; NumAgprs: 0
; TotalNumVgprs: 0
; ScratchSize: 0
; MemoryBound: 0
; FloatMode: 240
; IeeeMode: 1
; LDSByteSize: 0 bytes/workgroup (compile time only)
; SGPRBlocks: 0
; VGPRBlocks: 0
; NumSGPRsForWavesPerEU: 6
; NumVGPRsForWavesPerEU: 1
; AccumOffset: 4
; Occupancy: 8
; WaveLimiterHint : 0
; COMPUTE_PGM_RSRC2:SCRATCH_EN: 0
; COMPUTE_PGM_RSRC2:USER_SGPR: 2
; COMPUTE_PGM_RSRC2:TRAP_HANDLER: 0
; COMPUTE_PGM_RSRC2:TGID_X_EN: 1
; COMPUTE_PGM_RSRC2:TGID_Y_EN: 0
; COMPUTE_PGM_RSRC2:TGID_Z_EN: 0
; COMPUTE_PGM_RSRC2:TIDIG_COMP_CNT: 0
; COMPUTE_PGM_RSRC3_GFX90A:ACCUM_OFFSET: 0
; COMPUTE_PGM_RSRC3_GFX90A:TG_SPLIT: 0
	.section	.text._ZN7rocprim17ROCPRIM_400000_NS6detail17trampoline_kernelINS0_14default_configENS1_25partition_config_selectorILNS1_17partition_subalgoE8EaNS0_10empty_typeEbEEZZNS1_14partition_implILS5_8ELb0ES3_jPKaPS6_PKS6_NS0_5tupleIJPaS6_EEENSE_IJSB_SB_EEENS0_18inequality_wrapperIN6hipcub16HIPCUB_304000_NS8EqualityEEEPlJS6_EEE10hipError_tPvRmT3_T4_T5_T6_T7_T9_mT8_P12ihipStream_tbDpT10_ENKUlT_T0_E_clISt17integral_constantIbLb1EES17_EEDaS12_S13_EUlS12_E_NS1_11comp_targetILNS1_3genE8ELNS1_11target_archE1030ELNS1_3gpuE2ELNS1_3repE0EEENS1_30default_config_static_selectorELNS0_4arch9wavefront6targetE1EEEvT1_,"axG",@progbits,_ZN7rocprim17ROCPRIM_400000_NS6detail17trampoline_kernelINS0_14default_configENS1_25partition_config_selectorILNS1_17partition_subalgoE8EaNS0_10empty_typeEbEEZZNS1_14partition_implILS5_8ELb0ES3_jPKaPS6_PKS6_NS0_5tupleIJPaS6_EEENSE_IJSB_SB_EEENS0_18inequality_wrapperIN6hipcub16HIPCUB_304000_NS8EqualityEEEPlJS6_EEE10hipError_tPvRmT3_T4_T5_T6_T7_T9_mT8_P12ihipStream_tbDpT10_ENKUlT_T0_E_clISt17integral_constantIbLb1EES17_EEDaS12_S13_EUlS12_E_NS1_11comp_targetILNS1_3genE8ELNS1_11target_archE1030ELNS1_3gpuE2ELNS1_3repE0EEENS1_30default_config_static_selectorELNS0_4arch9wavefront6targetE1EEEvT1_,comdat
	.protected	_ZN7rocprim17ROCPRIM_400000_NS6detail17trampoline_kernelINS0_14default_configENS1_25partition_config_selectorILNS1_17partition_subalgoE8EaNS0_10empty_typeEbEEZZNS1_14partition_implILS5_8ELb0ES3_jPKaPS6_PKS6_NS0_5tupleIJPaS6_EEENSE_IJSB_SB_EEENS0_18inequality_wrapperIN6hipcub16HIPCUB_304000_NS8EqualityEEEPlJS6_EEE10hipError_tPvRmT3_T4_T5_T6_T7_T9_mT8_P12ihipStream_tbDpT10_ENKUlT_T0_E_clISt17integral_constantIbLb1EES17_EEDaS12_S13_EUlS12_E_NS1_11comp_targetILNS1_3genE8ELNS1_11target_archE1030ELNS1_3gpuE2ELNS1_3repE0EEENS1_30default_config_static_selectorELNS0_4arch9wavefront6targetE1EEEvT1_ ; -- Begin function _ZN7rocprim17ROCPRIM_400000_NS6detail17trampoline_kernelINS0_14default_configENS1_25partition_config_selectorILNS1_17partition_subalgoE8EaNS0_10empty_typeEbEEZZNS1_14partition_implILS5_8ELb0ES3_jPKaPS6_PKS6_NS0_5tupleIJPaS6_EEENSE_IJSB_SB_EEENS0_18inequality_wrapperIN6hipcub16HIPCUB_304000_NS8EqualityEEEPlJS6_EEE10hipError_tPvRmT3_T4_T5_T6_T7_T9_mT8_P12ihipStream_tbDpT10_ENKUlT_T0_E_clISt17integral_constantIbLb1EES17_EEDaS12_S13_EUlS12_E_NS1_11comp_targetILNS1_3genE8ELNS1_11target_archE1030ELNS1_3gpuE2ELNS1_3repE0EEENS1_30default_config_static_selectorELNS0_4arch9wavefront6targetE1EEEvT1_
	.globl	_ZN7rocprim17ROCPRIM_400000_NS6detail17trampoline_kernelINS0_14default_configENS1_25partition_config_selectorILNS1_17partition_subalgoE8EaNS0_10empty_typeEbEEZZNS1_14partition_implILS5_8ELb0ES3_jPKaPS6_PKS6_NS0_5tupleIJPaS6_EEENSE_IJSB_SB_EEENS0_18inequality_wrapperIN6hipcub16HIPCUB_304000_NS8EqualityEEEPlJS6_EEE10hipError_tPvRmT3_T4_T5_T6_T7_T9_mT8_P12ihipStream_tbDpT10_ENKUlT_T0_E_clISt17integral_constantIbLb1EES17_EEDaS12_S13_EUlS12_E_NS1_11comp_targetILNS1_3genE8ELNS1_11target_archE1030ELNS1_3gpuE2ELNS1_3repE0EEENS1_30default_config_static_selectorELNS0_4arch9wavefront6targetE1EEEvT1_
	.p2align	8
	.type	_ZN7rocprim17ROCPRIM_400000_NS6detail17trampoline_kernelINS0_14default_configENS1_25partition_config_selectorILNS1_17partition_subalgoE8EaNS0_10empty_typeEbEEZZNS1_14partition_implILS5_8ELb0ES3_jPKaPS6_PKS6_NS0_5tupleIJPaS6_EEENSE_IJSB_SB_EEENS0_18inequality_wrapperIN6hipcub16HIPCUB_304000_NS8EqualityEEEPlJS6_EEE10hipError_tPvRmT3_T4_T5_T6_T7_T9_mT8_P12ihipStream_tbDpT10_ENKUlT_T0_E_clISt17integral_constantIbLb1EES17_EEDaS12_S13_EUlS12_E_NS1_11comp_targetILNS1_3genE8ELNS1_11target_archE1030ELNS1_3gpuE2ELNS1_3repE0EEENS1_30default_config_static_selectorELNS0_4arch9wavefront6targetE1EEEvT1_,@function
_ZN7rocprim17ROCPRIM_400000_NS6detail17trampoline_kernelINS0_14default_configENS1_25partition_config_selectorILNS1_17partition_subalgoE8EaNS0_10empty_typeEbEEZZNS1_14partition_implILS5_8ELb0ES3_jPKaPS6_PKS6_NS0_5tupleIJPaS6_EEENSE_IJSB_SB_EEENS0_18inequality_wrapperIN6hipcub16HIPCUB_304000_NS8EqualityEEEPlJS6_EEE10hipError_tPvRmT3_T4_T5_T6_T7_T9_mT8_P12ihipStream_tbDpT10_ENKUlT_T0_E_clISt17integral_constantIbLb1EES17_EEDaS12_S13_EUlS12_E_NS1_11comp_targetILNS1_3genE8ELNS1_11target_archE1030ELNS1_3gpuE2ELNS1_3repE0EEENS1_30default_config_static_selectorELNS0_4arch9wavefront6targetE1EEEvT1_: ; @_ZN7rocprim17ROCPRIM_400000_NS6detail17trampoline_kernelINS0_14default_configENS1_25partition_config_selectorILNS1_17partition_subalgoE8EaNS0_10empty_typeEbEEZZNS1_14partition_implILS5_8ELb0ES3_jPKaPS6_PKS6_NS0_5tupleIJPaS6_EEENSE_IJSB_SB_EEENS0_18inequality_wrapperIN6hipcub16HIPCUB_304000_NS8EqualityEEEPlJS6_EEE10hipError_tPvRmT3_T4_T5_T6_T7_T9_mT8_P12ihipStream_tbDpT10_ENKUlT_T0_E_clISt17integral_constantIbLb1EES17_EEDaS12_S13_EUlS12_E_NS1_11comp_targetILNS1_3genE8ELNS1_11target_archE1030ELNS1_3gpuE2ELNS1_3repE0EEENS1_30default_config_static_selectorELNS0_4arch9wavefront6targetE1EEEvT1_
; %bb.0:
	.section	.rodata,"a",@progbits
	.p2align	6, 0x0
	.amdhsa_kernel _ZN7rocprim17ROCPRIM_400000_NS6detail17trampoline_kernelINS0_14default_configENS1_25partition_config_selectorILNS1_17partition_subalgoE8EaNS0_10empty_typeEbEEZZNS1_14partition_implILS5_8ELb0ES3_jPKaPS6_PKS6_NS0_5tupleIJPaS6_EEENSE_IJSB_SB_EEENS0_18inequality_wrapperIN6hipcub16HIPCUB_304000_NS8EqualityEEEPlJS6_EEE10hipError_tPvRmT3_T4_T5_T6_T7_T9_mT8_P12ihipStream_tbDpT10_ENKUlT_T0_E_clISt17integral_constantIbLb1EES17_EEDaS12_S13_EUlS12_E_NS1_11comp_targetILNS1_3genE8ELNS1_11target_archE1030ELNS1_3gpuE2ELNS1_3repE0EEENS1_30default_config_static_selectorELNS0_4arch9wavefront6targetE1EEEvT1_
		.amdhsa_group_segment_fixed_size 0
		.amdhsa_private_segment_fixed_size 0
		.amdhsa_kernarg_size 128
		.amdhsa_user_sgpr_count 2
		.amdhsa_user_sgpr_dispatch_ptr 0
		.amdhsa_user_sgpr_queue_ptr 0
		.amdhsa_user_sgpr_kernarg_segment_ptr 1
		.amdhsa_user_sgpr_dispatch_id 0
		.amdhsa_user_sgpr_kernarg_preload_length 0
		.amdhsa_user_sgpr_kernarg_preload_offset 0
		.amdhsa_user_sgpr_private_segment_size 0
		.amdhsa_uses_dynamic_stack 0
		.amdhsa_enable_private_segment 0
		.amdhsa_system_sgpr_workgroup_id_x 1
		.amdhsa_system_sgpr_workgroup_id_y 0
		.amdhsa_system_sgpr_workgroup_id_z 0
		.amdhsa_system_sgpr_workgroup_info 0
		.amdhsa_system_vgpr_workitem_id 0
		.amdhsa_next_free_vgpr 1
		.amdhsa_next_free_sgpr 0
		.amdhsa_accum_offset 4
		.amdhsa_reserve_vcc 0
		.amdhsa_float_round_mode_32 0
		.amdhsa_float_round_mode_16_64 0
		.amdhsa_float_denorm_mode_32 3
		.amdhsa_float_denorm_mode_16_64 3
		.amdhsa_dx10_clamp 1
		.amdhsa_ieee_mode 1
		.amdhsa_fp16_overflow 0
		.amdhsa_tg_split 0
		.amdhsa_exception_fp_ieee_invalid_op 0
		.amdhsa_exception_fp_denorm_src 0
		.amdhsa_exception_fp_ieee_div_zero 0
		.amdhsa_exception_fp_ieee_overflow 0
		.amdhsa_exception_fp_ieee_underflow 0
		.amdhsa_exception_fp_ieee_inexact 0
		.amdhsa_exception_int_div_zero 0
	.end_amdhsa_kernel
	.section	.text._ZN7rocprim17ROCPRIM_400000_NS6detail17trampoline_kernelINS0_14default_configENS1_25partition_config_selectorILNS1_17partition_subalgoE8EaNS0_10empty_typeEbEEZZNS1_14partition_implILS5_8ELb0ES3_jPKaPS6_PKS6_NS0_5tupleIJPaS6_EEENSE_IJSB_SB_EEENS0_18inequality_wrapperIN6hipcub16HIPCUB_304000_NS8EqualityEEEPlJS6_EEE10hipError_tPvRmT3_T4_T5_T6_T7_T9_mT8_P12ihipStream_tbDpT10_ENKUlT_T0_E_clISt17integral_constantIbLb1EES17_EEDaS12_S13_EUlS12_E_NS1_11comp_targetILNS1_3genE8ELNS1_11target_archE1030ELNS1_3gpuE2ELNS1_3repE0EEENS1_30default_config_static_selectorELNS0_4arch9wavefront6targetE1EEEvT1_,"axG",@progbits,_ZN7rocprim17ROCPRIM_400000_NS6detail17trampoline_kernelINS0_14default_configENS1_25partition_config_selectorILNS1_17partition_subalgoE8EaNS0_10empty_typeEbEEZZNS1_14partition_implILS5_8ELb0ES3_jPKaPS6_PKS6_NS0_5tupleIJPaS6_EEENSE_IJSB_SB_EEENS0_18inequality_wrapperIN6hipcub16HIPCUB_304000_NS8EqualityEEEPlJS6_EEE10hipError_tPvRmT3_T4_T5_T6_T7_T9_mT8_P12ihipStream_tbDpT10_ENKUlT_T0_E_clISt17integral_constantIbLb1EES17_EEDaS12_S13_EUlS12_E_NS1_11comp_targetILNS1_3genE8ELNS1_11target_archE1030ELNS1_3gpuE2ELNS1_3repE0EEENS1_30default_config_static_selectorELNS0_4arch9wavefront6targetE1EEEvT1_,comdat
.Lfunc_end218:
	.size	_ZN7rocprim17ROCPRIM_400000_NS6detail17trampoline_kernelINS0_14default_configENS1_25partition_config_selectorILNS1_17partition_subalgoE8EaNS0_10empty_typeEbEEZZNS1_14partition_implILS5_8ELb0ES3_jPKaPS6_PKS6_NS0_5tupleIJPaS6_EEENSE_IJSB_SB_EEENS0_18inequality_wrapperIN6hipcub16HIPCUB_304000_NS8EqualityEEEPlJS6_EEE10hipError_tPvRmT3_T4_T5_T6_T7_T9_mT8_P12ihipStream_tbDpT10_ENKUlT_T0_E_clISt17integral_constantIbLb1EES17_EEDaS12_S13_EUlS12_E_NS1_11comp_targetILNS1_3genE8ELNS1_11target_archE1030ELNS1_3gpuE2ELNS1_3repE0EEENS1_30default_config_static_selectorELNS0_4arch9wavefront6targetE1EEEvT1_, .Lfunc_end218-_ZN7rocprim17ROCPRIM_400000_NS6detail17trampoline_kernelINS0_14default_configENS1_25partition_config_selectorILNS1_17partition_subalgoE8EaNS0_10empty_typeEbEEZZNS1_14partition_implILS5_8ELb0ES3_jPKaPS6_PKS6_NS0_5tupleIJPaS6_EEENSE_IJSB_SB_EEENS0_18inequality_wrapperIN6hipcub16HIPCUB_304000_NS8EqualityEEEPlJS6_EEE10hipError_tPvRmT3_T4_T5_T6_T7_T9_mT8_P12ihipStream_tbDpT10_ENKUlT_T0_E_clISt17integral_constantIbLb1EES17_EEDaS12_S13_EUlS12_E_NS1_11comp_targetILNS1_3genE8ELNS1_11target_archE1030ELNS1_3gpuE2ELNS1_3repE0EEENS1_30default_config_static_selectorELNS0_4arch9wavefront6targetE1EEEvT1_
                                        ; -- End function
	.section	.AMDGPU.csdata,"",@progbits
; Kernel info:
; codeLenInByte = 0
; NumSgprs: 6
; NumVgprs: 0
; NumAgprs: 0
; TotalNumVgprs: 0
; ScratchSize: 0
; MemoryBound: 0
; FloatMode: 240
; IeeeMode: 1
; LDSByteSize: 0 bytes/workgroup (compile time only)
; SGPRBlocks: 0
; VGPRBlocks: 0
; NumSGPRsForWavesPerEU: 6
; NumVGPRsForWavesPerEU: 1
; AccumOffset: 4
; Occupancy: 8
; WaveLimiterHint : 0
; COMPUTE_PGM_RSRC2:SCRATCH_EN: 0
; COMPUTE_PGM_RSRC2:USER_SGPR: 2
; COMPUTE_PGM_RSRC2:TRAP_HANDLER: 0
; COMPUTE_PGM_RSRC2:TGID_X_EN: 1
; COMPUTE_PGM_RSRC2:TGID_Y_EN: 0
; COMPUTE_PGM_RSRC2:TGID_Z_EN: 0
; COMPUTE_PGM_RSRC2:TIDIG_COMP_CNT: 0
; COMPUTE_PGM_RSRC3_GFX90A:ACCUM_OFFSET: 0
; COMPUTE_PGM_RSRC3_GFX90A:TG_SPLIT: 0
	.section	.text._ZN7rocprim17ROCPRIM_400000_NS6detail17trampoline_kernelINS0_14default_configENS1_25partition_config_selectorILNS1_17partition_subalgoE8EaNS0_10empty_typeEbEEZZNS1_14partition_implILS5_8ELb0ES3_jPKaPS6_PKS6_NS0_5tupleIJPaS6_EEENSE_IJSB_SB_EEENS0_18inequality_wrapperIN6hipcub16HIPCUB_304000_NS8EqualityEEEPlJS6_EEE10hipError_tPvRmT3_T4_T5_T6_T7_T9_mT8_P12ihipStream_tbDpT10_ENKUlT_T0_E_clISt17integral_constantIbLb1EES16_IbLb0EEEEDaS12_S13_EUlS12_E_NS1_11comp_targetILNS1_3genE0ELNS1_11target_archE4294967295ELNS1_3gpuE0ELNS1_3repE0EEENS1_30default_config_static_selectorELNS0_4arch9wavefront6targetE1EEEvT1_,"axG",@progbits,_ZN7rocprim17ROCPRIM_400000_NS6detail17trampoline_kernelINS0_14default_configENS1_25partition_config_selectorILNS1_17partition_subalgoE8EaNS0_10empty_typeEbEEZZNS1_14partition_implILS5_8ELb0ES3_jPKaPS6_PKS6_NS0_5tupleIJPaS6_EEENSE_IJSB_SB_EEENS0_18inequality_wrapperIN6hipcub16HIPCUB_304000_NS8EqualityEEEPlJS6_EEE10hipError_tPvRmT3_T4_T5_T6_T7_T9_mT8_P12ihipStream_tbDpT10_ENKUlT_T0_E_clISt17integral_constantIbLb1EES16_IbLb0EEEEDaS12_S13_EUlS12_E_NS1_11comp_targetILNS1_3genE0ELNS1_11target_archE4294967295ELNS1_3gpuE0ELNS1_3repE0EEENS1_30default_config_static_selectorELNS0_4arch9wavefront6targetE1EEEvT1_,comdat
	.protected	_ZN7rocprim17ROCPRIM_400000_NS6detail17trampoline_kernelINS0_14default_configENS1_25partition_config_selectorILNS1_17partition_subalgoE8EaNS0_10empty_typeEbEEZZNS1_14partition_implILS5_8ELb0ES3_jPKaPS6_PKS6_NS0_5tupleIJPaS6_EEENSE_IJSB_SB_EEENS0_18inequality_wrapperIN6hipcub16HIPCUB_304000_NS8EqualityEEEPlJS6_EEE10hipError_tPvRmT3_T4_T5_T6_T7_T9_mT8_P12ihipStream_tbDpT10_ENKUlT_T0_E_clISt17integral_constantIbLb1EES16_IbLb0EEEEDaS12_S13_EUlS12_E_NS1_11comp_targetILNS1_3genE0ELNS1_11target_archE4294967295ELNS1_3gpuE0ELNS1_3repE0EEENS1_30default_config_static_selectorELNS0_4arch9wavefront6targetE1EEEvT1_ ; -- Begin function _ZN7rocprim17ROCPRIM_400000_NS6detail17trampoline_kernelINS0_14default_configENS1_25partition_config_selectorILNS1_17partition_subalgoE8EaNS0_10empty_typeEbEEZZNS1_14partition_implILS5_8ELb0ES3_jPKaPS6_PKS6_NS0_5tupleIJPaS6_EEENSE_IJSB_SB_EEENS0_18inequality_wrapperIN6hipcub16HIPCUB_304000_NS8EqualityEEEPlJS6_EEE10hipError_tPvRmT3_T4_T5_T6_T7_T9_mT8_P12ihipStream_tbDpT10_ENKUlT_T0_E_clISt17integral_constantIbLb1EES16_IbLb0EEEEDaS12_S13_EUlS12_E_NS1_11comp_targetILNS1_3genE0ELNS1_11target_archE4294967295ELNS1_3gpuE0ELNS1_3repE0EEENS1_30default_config_static_selectorELNS0_4arch9wavefront6targetE1EEEvT1_
	.globl	_ZN7rocprim17ROCPRIM_400000_NS6detail17trampoline_kernelINS0_14default_configENS1_25partition_config_selectorILNS1_17partition_subalgoE8EaNS0_10empty_typeEbEEZZNS1_14partition_implILS5_8ELb0ES3_jPKaPS6_PKS6_NS0_5tupleIJPaS6_EEENSE_IJSB_SB_EEENS0_18inequality_wrapperIN6hipcub16HIPCUB_304000_NS8EqualityEEEPlJS6_EEE10hipError_tPvRmT3_T4_T5_T6_T7_T9_mT8_P12ihipStream_tbDpT10_ENKUlT_T0_E_clISt17integral_constantIbLb1EES16_IbLb0EEEEDaS12_S13_EUlS12_E_NS1_11comp_targetILNS1_3genE0ELNS1_11target_archE4294967295ELNS1_3gpuE0ELNS1_3repE0EEENS1_30default_config_static_selectorELNS0_4arch9wavefront6targetE1EEEvT1_
	.p2align	8
	.type	_ZN7rocprim17ROCPRIM_400000_NS6detail17trampoline_kernelINS0_14default_configENS1_25partition_config_selectorILNS1_17partition_subalgoE8EaNS0_10empty_typeEbEEZZNS1_14partition_implILS5_8ELb0ES3_jPKaPS6_PKS6_NS0_5tupleIJPaS6_EEENSE_IJSB_SB_EEENS0_18inequality_wrapperIN6hipcub16HIPCUB_304000_NS8EqualityEEEPlJS6_EEE10hipError_tPvRmT3_T4_T5_T6_T7_T9_mT8_P12ihipStream_tbDpT10_ENKUlT_T0_E_clISt17integral_constantIbLb1EES16_IbLb0EEEEDaS12_S13_EUlS12_E_NS1_11comp_targetILNS1_3genE0ELNS1_11target_archE4294967295ELNS1_3gpuE0ELNS1_3repE0EEENS1_30default_config_static_selectorELNS0_4arch9wavefront6targetE1EEEvT1_,@function
_ZN7rocprim17ROCPRIM_400000_NS6detail17trampoline_kernelINS0_14default_configENS1_25partition_config_selectorILNS1_17partition_subalgoE8EaNS0_10empty_typeEbEEZZNS1_14partition_implILS5_8ELb0ES3_jPKaPS6_PKS6_NS0_5tupleIJPaS6_EEENSE_IJSB_SB_EEENS0_18inequality_wrapperIN6hipcub16HIPCUB_304000_NS8EqualityEEEPlJS6_EEE10hipError_tPvRmT3_T4_T5_T6_T7_T9_mT8_P12ihipStream_tbDpT10_ENKUlT_T0_E_clISt17integral_constantIbLb1EES16_IbLb0EEEEDaS12_S13_EUlS12_E_NS1_11comp_targetILNS1_3genE0ELNS1_11target_archE4294967295ELNS1_3gpuE0ELNS1_3repE0EEENS1_30default_config_static_selectorELNS0_4arch9wavefront6targetE1EEEvT1_: ; @_ZN7rocprim17ROCPRIM_400000_NS6detail17trampoline_kernelINS0_14default_configENS1_25partition_config_selectorILNS1_17partition_subalgoE8EaNS0_10empty_typeEbEEZZNS1_14partition_implILS5_8ELb0ES3_jPKaPS6_PKS6_NS0_5tupleIJPaS6_EEENSE_IJSB_SB_EEENS0_18inequality_wrapperIN6hipcub16HIPCUB_304000_NS8EqualityEEEPlJS6_EEE10hipError_tPvRmT3_T4_T5_T6_T7_T9_mT8_P12ihipStream_tbDpT10_ENKUlT_T0_E_clISt17integral_constantIbLb1EES16_IbLb0EEEEDaS12_S13_EUlS12_E_NS1_11comp_targetILNS1_3genE0ELNS1_11target_archE4294967295ELNS1_3gpuE0ELNS1_3repE0EEENS1_30default_config_static_selectorELNS0_4arch9wavefront6targetE1EEEvT1_
; %bb.0:
	.section	.rodata,"a",@progbits
	.p2align	6, 0x0
	.amdhsa_kernel _ZN7rocprim17ROCPRIM_400000_NS6detail17trampoline_kernelINS0_14default_configENS1_25partition_config_selectorILNS1_17partition_subalgoE8EaNS0_10empty_typeEbEEZZNS1_14partition_implILS5_8ELb0ES3_jPKaPS6_PKS6_NS0_5tupleIJPaS6_EEENSE_IJSB_SB_EEENS0_18inequality_wrapperIN6hipcub16HIPCUB_304000_NS8EqualityEEEPlJS6_EEE10hipError_tPvRmT3_T4_T5_T6_T7_T9_mT8_P12ihipStream_tbDpT10_ENKUlT_T0_E_clISt17integral_constantIbLb1EES16_IbLb0EEEEDaS12_S13_EUlS12_E_NS1_11comp_targetILNS1_3genE0ELNS1_11target_archE4294967295ELNS1_3gpuE0ELNS1_3repE0EEENS1_30default_config_static_selectorELNS0_4arch9wavefront6targetE1EEEvT1_
		.amdhsa_group_segment_fixed_size 0
		.amdhsa_private_segment_fixed_size 0
		.amdhsa_kernarg_size 112
		.amdhsa_user_sgpr_count 2
		.amdhsa_user_sgpr_dispatch_ptr 0
		.amdhsa_user_sgpr_queue_ptr 0
		.amdhsa_user_sgpr_kernarg_segment_ptr 1
		.amdhsa_user_sgpr_dispatch_id 0
		.amdhsa_user_sgpr_kernarg_preload_length 0
		.amdhsa_user_sgpr_kernarg_preload_offset 0
		.amdhsa_user_sgpr_private_segment_size 0
		.amdhsa_uses_dynamic_stack 0
		.amdhsa_enable_private_segment 0
		.amdhsa_system_sgpr_workgroup_id_x 1
		.amdhsa_system_sgpr_workgroup_id_y 0
		.amdhsa_system_sgpr_workgroup_id_z 0
		.amdhsa_system_sgpr_workgroup_info 0
		.amdhsa_system_vgpr_workitem_id 0
		.amdhsa_next_free_vgpr 1
		.amdhsa_next_free_sgpr 0
		.amdhsa_accum_offset 4
		.amdhsa_reserve_vcc 0
		.amdhsa_float_round_mode_32 0
		.amdhsa_float_round_mode_16_64 0
		.amdhsa_float_denorm_mode_32 3
		.amdhsa_float_denorm_mode_16_64 3
		.amdhsa_dx10_clamp 1
		.amdhsa_ieee_mode 1
		.amdhsa_fp16_overflow 0
		.amdhsa_tg_split 0
		.amdhsa_exception_fp_ieee_invalid_op 0
		.amdhsa_exception_fp_denorm_src 0
		.amdhsa_exception_fp_ieee_div_zero 0
		.amdhsa_exception_fp_ieee_overflow 0
		.amdhsa_exception_fp_ieee_underflow 0
		.amdhsa_exception_fp_ieee_inexact 0
		.amdhsa_exception_int_div_zero 0
	.end_amdhsa_kernel
	.section	.text._ZN7rocprim17ROCPRIM_400000_NS6detail17trampoline_kernelINS0_14default_configENS1_25partition_config_selectorILNS1_17partition_subalgoE8EaNS0_10empty_typeEbEEZZNS1_14partition_implILS5_8ELb0ES3_jPKaPS6_PKS6_NS0_5tupleIJPaS6_EEENSE_IJSB_SB_EEENS0_18inequality_wrapperIN6hipcub16HIPCUB_304000_NS8EqualityEEEPlJS6_EEE10hipError_tPvRmT3_T4_T5_T6_T7_T9_mT8_P12ihipStream_tbDpT10_ENKUlT_T0_E_clISt17integral_constantIbLb1EES16_IbLb0EEEEDaS12_S13_EUlS12_E_NS1_11comp_targetILNS1_3genE0ELNS1_11target_archE4294967295ELNS1_3gpuE0ELNS1_3repE0EEENS1_30default_config_static_selectorELNS0_4arch9wavefront6targetE1EEEvT1_,"axG",@progbits,_ZN7rocprim17ROCPRIM_400000_NS6detail17trampoline_kernelINS0_14default_configENS1_25partition_config_selectorILNS1_17partition_subalgoE8EaNS0_10empty_typeEbEEZZNS1_14partition_implILS5_8ELb0ES3_jPKaPS6_PKS6_NS0_5tupleIJPaS6_EEENSE_IJSB_SB_EEENS0_18inequality_wrapperIN6hipcub16HIPCUB_304000_NS8EqualityEEEPlJS6_EEE10hipError_tPvRmT3_T4_T5_T6_T7_T9_mT8_P12ihipStream_tbDpT10_ENKUlT_T0_E_clISt17integral_constantIbLb1EES16_IbLb0EEEEDaS12_S13_EUlS12_E_NS1_11comp_targetILNS1_3genE0ELNS1_11target_archE4294967295ELNS1_3gpuE0ELNS1_3repE0EEENS1_30default_config_static_selectorELNS0_4arch9wavefront6targetE1EEEvT1_,comdat
.Lfunc_end219:
	.size	_ZN7rocprim17ROCPRIM_400000_NS6detail17trampoline_kernelINS0_14default_configENS1_25partition_config_selectorILNS1_17partition_subalgoE8EaNS0_10empty_typeEbEEZZNS1_14partition_implILS5_8ELb0ES3_jPKaPS6_PKS6_NS0_5tupleIJPaS6_EEENSE_IJSB_SB_EEENS0_18inequality_wrapperIN6hipcub16HIPCUB_304000_NS8EqualityEEEPlJS6_EEE10hipError_tPvRmT3_T4_T5_T6_T7_T9_mT8_P12ihipStream_tbDpT10_ENKUlT_T0_E_clISt17integral_constantIbLb1EES16_IbLb0EEEEDaS12_S13_EUlS12_E_NS1_11comp_targetILNS1_3genE0ELNS1_11target_archE4294967295ELNS1_3gpuE0ELNS1_3repE0EEENS1_30default_config_static_selectorELNS0_4arch9wavefront6targetE1EEEvT1_, .Lfunc_end219-_ZN7rocprim17ROCPRIM_400000_NS6detail17trampoline_kernelINS0_14default_configENS1_25partition_config_selectorILNS1_17partition_subalgoE8EaNS0_10empty_typeEbEEZZNS1_14partition_implILS5_8ELb0ES3_jPKaPS6_PKS6_NS0_5tupleIJPaS6_EEENSE_IJSB_SB_EEENS0_18inequality_wrapperIN6hipcub16HIPCUB_304000_NS8EqualityEEEPlJS6_EEE10hipError_tPvRmT3_T4_T5_T6_T7_T9_mT8_P12ihipStream_tbDpT10_ENKUlT_T0_E_clISt17integral_constantIbLb1EES16_IbLb0EEEEDaS12_S13_EUlS12_E_NS1_11comp_targetILNS1_3genE0ELNS1_11target_archE4294967295ELNS1_3gpuE0ELNS1_3repE0EEENS1_30default_config_static_selectorELNS0_4arch9wavefront6targetE1EEEvT1_
                                        ; -- End function
	.section	.AMDGPU.csdata,"",@progbits
; Kernel info:
; codeLenInByte = 0
; NumSgprs: 6
; NumVgprs: 0
; NumAgprs: 0
; TotalNumVgprs: 0
; ScratchSize: 0
; MemoryBound: 0
; FloatMode: 240
; IeeeMode: 1
; LDSByteSize: 0 bytes/workgroup (compile time only)
; SGPRBlocks: 0
; VGPRBlocks: 0
; NumSGPRsForWavesPerEU: 6
; NumVGPRsForWavesPerEU: 1
; AccumOffset: 4
; Occupancy: 8
; WaveLimiterHint : 0
; COMPUTE_PGM_RSRC2:SCRATCH_EN: 0
; COMPUTE_PGM_RSRC2:USER_SGPR: 2
; COMPUTE_PGM_RSRC2:TRAP_HANDLER: 0
; COMPUTE_PGM_RSRC2:TGID_X_EN: 1
; COMPUTE_PGM_RSRC2:TGID_Y_EN: 0
; COMPUTE_PGM_RSRC2:TGID_Z_EN: 0
; COMPUTE_PGM_RSRC2:TIDIG_COMP_CNT: 0
; COMPUTE_PGM_RSRC3_GFX90A:ACCUM_OFFSET: 0
; COMPUTE_PGM_RSRC3_GFX90A:TG_SPLIT: 0
	.section	.text._ZN7rocprim17ROCPRIM_400000_NS6detail17trampoline_kernelINS0_14default_configENS1_25partition_config_selectorILNS1_17partition_subalgoE8EaNS0_10empty_typeEbEEZZNS1_14partition_implILS5_8ELb0ES3_jPKaPS6_PKS6_NS0_5tupleIJPaS6_EEENSE_IJSB_SB_EEENS0_18inequality_wrapperIN6hipcub16HIPCUB_304000_NS8EqualityEEEPlJS6_EEE10hipError_tPvRmT3_T4_T5_T6_T7_T9_mT8_P12ihipStream_tbDpT10_ENKUlT_T0_E_clISt17integral_constantIbLb1EES16_IbLb0EEEEDaS12_S13_EUlS12_E_NS1_11comp_targetILNS1_3genE5ELNS1_11target_archE942ELNS1_3gpuE9ELNS1_3repE0EEENS1_30default_config_static_selectorELNS0_4arch9wavefront6targetE1EEEvT1_,"axG",@progbits,_ZN7rocprim17ROCPRIM_400000_NS6detail17trampoline_kernelINS0_14default_configENS1_25partition_config_selectorILNS1_17partition_subalgoE8EaNS0_10empty_typeEbEEZZNS1_14partition_implILS5_8ELb0ES3_jPKaPS6_PKS6_NS0_5tupleIJPaS6_EEENSE_IJSB_SB_EEENS0_18inequality_wrapperIN6hipcub16HIPCUB_304000_NS8EqualityEEEPlJS6_EEE10hipError_tPvRmT3_T4_T5_T6_T7_T9_mT8_P12ihipStream_tbDpT10_ENKUlT_T0_E_clISt17integral_constantIbLb1EES16_IbLb0EEEEDaS12_S13_EUlS12_E_NS1_11comp_targetILNS1_3genE5ELNS1_11target_archE942ELNS1_3gpuE9ELNS1_3repE0EEENS1_30default_config_static_selectorELNS0_4arch9wavefront6targetE1EEEvT1_,comdat
	.protected	_ZN7rocprim17ROCPRIM_400000_NS6detail17trampoline_kernelINS0_14default_configENS1_25partition_config_selectorILNS1_17partition_subalgoE8EaNS0_10empty_typeEbEEZZNS1_14partition_implILS5_8ELb0ES3_jPKaPS6_PKS6_NS0_5tupleIJPaS6_EEENSE_IJSB_SB_EEENS0_18inequality_wrapperIN6hipcub16HIPCUB_304000_NS8EqualityEEEPlJS6_EEE10hipError_tPvRmT3_T4_T5_T6_T7_T9_mT8_P12ihipStream_tbDpT10_ENKUlT_T0_E_clISt17integral_constantIbLb1EES16_IbLb0EEEEDaS12_S13_EUlS12_E_NS1_11comp_targetILNS1_3genE5ELNS1_11target_archE942ELNS1_3gpuE9ELNS1_3repE0EEENS1_30default_config_static_selectorELNS0_4arch9wavefront6targetE1EEEvT1_ ; -- Begin function _ZN7rocprim17ROCPRIM_400000_NS6detail17trampoline_kernelINS0_14default_configENS1_25partition_config_selectorILNS1_17partition_subalgoE8EaNS0_10empty_typeEbEEZZNS1_14partition_implILS5_8ELb0ES3_jPKaPS6_PKS6_NS0_5tupleIJPaS6_EEENSE_IJSB_SB_EEENS0_18inequality_wrapperIN6hipcub16HIPCUB_304000_NS8EqualityEEEPlJS6_EEE10hipError_tPvRmT3_T4_T5_T6_T7_T9_mT8_P12ihipStream_tbDpT10_ENKUlT_T0_E_clISt17integral_constantIbLb1EES16_IbLb0EEEEDaS12_S13_EUlS12_E_NS1_11comp_targetILNS1_3genE5ELNS1_11target_archE942ELNS1_3gpuE9ELNS1_3repE0EEENS1_30default_config_static_selectorELNS0_4arch9wavefront6targetE1EEEvT1_
	.globl	_ZN7rocprim17ROCPRIM_400000_NS6detail17trampoline_kernelINS0_14default_configENS1_25partition_config_selectorILNS1_17partition_subalgoE8EaNS0_10empty_typeEbEEZZNS1_14partition_implILS5_8ELb0ES3_jPKaPS6_PKS6_NS0_5tupleIJPaS6_EEENSE_IJSB_SB_EEENS0_18inequality_wrapperIN6hipcub16HIPCUB_304000_NS8EqualityEEEPlJS6_EEE10hipError_tPvRmT3_T4_T5_T6_T7_T9_mT8_P12ihipStream_tbDpT10_ENKUlT_T0_E_clISt17integral_constantIbLb1EES16_IbLb0EEEEDaS12_S13_EUlS12_E_NS1_11comp_targetILNS1_3genE5ELNS1_11target_archE942ELNS1_3gpuE9ELNS1_3repE0EEENS1_30default_config_static_selectorELNS0_4arch9wavefront6targetE1EEEvT1_
	.p2align	8
	.type	_ZN7rocprim17ROCPRIM_400000_NS6detail17trampoline_kernelINS0_14default_configENS1_25partition_config_selectorILNS1_17partition_subalgoE8EaNS0_10empty_typeEbEEZZNS1_14partition_implILS5_8ELb0ES3_jPKaPS6_PKS6_NS0_5tupleIJPaS6_EEENSE_IJSB_SB_EEENS0_18inequality_wrapperIN6hipcub16HIPCUB_304000_NS8EqualityEEEPlJS6_EEE10hipError_tPvRmT3_T4_T5_T6_T7_T9_mT8_P12ihipStream_tbDpT10_ENKUlT_T0_E_clISt17integral_constantIbLb1EES16_IbLb0EEEEDaS12_S13_EUlS12_E_NS1_11comp_targetILNS1_3genE5ELNS1_11target_archE942ELNS1_3gpuE9ELNS1_3repE0EEENS1_30default_config_static_selectorELNS0_4arch9wavefront6targetE1EEEvT1_,@function
_ZN7rocprim17ROCPRIM_400000_NS6detail17trampoline_kernelINS0_14default_configENS1_25partition_config_selectorILNS1_17partition_subalgoE8EaNS0_10empty_typeEbEEZZNS1_14partition_implILS5_8ELb0ES3_jPKaPS6_PKS6_NS0_5tupleIJPaS6_EEENSE_IJSB_SB_EEENS0_18inequality_wrapperIN6hipcub16HIPCUB_304000_NS8EqualityEEEPlJS6_EEE10hipError_tPvRmT3_T4_T5_T6_T7_T9_mT8_P12ihipStream_tbDpT10_ENKUlT_T0_E_clISt17integral_constantIbLb1EES16_IbLb0EEEEDaS12_S13_EUlS12_E_NS1_11comp_targetILNS1_3genE5ELNS1_11target_archE942ELNS1_3gpuE9ELNS1_3repE0EEENS1_30default_config_static_selectorELNS0_4arch9wavefront6targetE1EEEvT1_: ; @_ZN7rocprim17ROCPRIM_400000_NS6detail17trampoline_kernelINS0_14default_configENS1_25partition_config_selectorILNS1_17partition_subalgoE8EaNS0_10empty_typeEbEEZZNS1_14partition_implILS5_8ELb0ES3_jPKaPS6_PKS6_NS0_5tupleIJPaS6_EEENSE_IJSB_SB_EEENS0_18inequality_wrapperIN6hipcub16HIPCUB_304000_NS8EqualityEEEPlJS6_EEE10hipError_tPvRmT3_T4_T5_T6_T7_T9_mT8_P12ihipStream_tbDpT10_ENKUlT_T0_E_clISt17integral_constantIbLb1EES16_IbLb0EEEEDaS12_S13_EUlS12_E_NS1_11comp_targetILNS1_3genE5ELNS1_11target_archE942ELNS1_3gpuE9ELNS1_3repE0EEENS1_30default_config_static_selectorELNS0_4arch9wavefront6targetE1EEEvT1_
; %bb.0:
	s_load_dwordx2 s[8:9], s[0:1], 0x50
	s_load_dwordx4 s[4:7], s[0:1], 0x8
	s_load_dwordx4 s[20:23], s[0:1], 0x40
	s_load_dword s10, s[0:1], 0x68
	v_mov_b32_e32 v22, v0
	s_waitcnt lgkmcnt(0)
	v_mov_b32_e32 v3, s9
	s_add_u32 s9, s4, s6
	s_addc_u32 s11, s5, s7
	s_add_i32 s12, s10, -1
	s_lshl_b32 s3, s12, 14
	s_lshl_b32 s14, s2, 14
	s_add_i32 s3, s6, s3
	s_lshl_b32 s4, s10, 14
	s_add_u32 s4, s6, s4
	s_addc_u32 s5, s7, 0
	v_mov_b32_e32 v2, s8
	s_cmp_eq_u32 s2, s12
	s_load_dwordx2 s[22:23], s[22:23], 0x0
	v_cmp_ge_u64_e32 vcc, s[4:5], v[2:3]
	s_cselect_b64 s[24:25], -1, 0
	s_and_b64 s[4:5], s[24:25], vcc
	s_xor_b64 s[26:27], s[4:5], -1
	s_add_u32 s10, s9, s14
	s_mov_b64 s[12:13], -1
	s_addc_u32 s11, s11, 0
	s_and_b64 vcc, exec, s[26:27]
	v_lshrrev_b32_e32 v2, 5, v0
	s_cbranch_vccz .LBB220_2
; %bb.1:
	global_load_ubyte v3, v0, s[10:11]
	global_load_ubyte v10, v0, s[10:11] offset:512
	global_load_ubyte v11, v0, s[10:11] offset:1024
	;; [unrolled: 1-line block ×7, first 2 shown]
	v_mov_b32_e32 v1, 0
	v_lshl_add_u64 v[4:5], s[10:11], 0, v[0:1]
	v_add_co_u32_e32 v6, vcc, 0x1000, v4
	v_and_b32_e32 v8, 12, v2
	s_nop 0
	v_addc_co_u32_e32 v7, vcc, 0, v5, vcc
	global_load_ubyte v1, v[6:7], off
	global_load_ubyte v17, v[6:7], off offset:512
	global_load_ubyte v20, v[6:7], off offset:1024
	;; [unrolled: 1-line block ×3, first 2 shown]
	v_or_b32_e32 v9, 0x200, v0
	v_or_b32_e32 v18, 0x400, v0
	;; [unrolled: 1-line block ×4, first 2 shown]
	v_add_u32_e32 v25, v8, v0
	v_lshrrev_b32_e32 v8, 5, v9
	v_lshrrev_b32_e32 v9, 5, v18
	;; [unrolled: 1-line block ×4, first 2 shown]
	global_load_ubyte v21, v[6:7], off offset:2048
	global_load_ubyte v28, v[6:7], off offset:2560
	;; [unrolled: 1-line block ×3, first 2 shown]
	v_and_b32_e32 v27, 28, v8
	v_and_b32_e32 v9, 44, v9
	v_add_co_u32_e32 v8, vcc, 0x2000, v4
	v_add_u32_e32 v30, v9, v0
	s_nop 0
	v_addc_co_u32_e32 v9, vcc, 0, v5, vcc
	global_load_ubyte v31, v[8:9], off offset:512
	v_and_b32_e32 v18, 60, v18
	global_load_ubyte v6, v[6:7], off offset:3584
	v_add_u32_e32 v7, v18, v0
	global_load_ubyte v18, v[8:9], off
	global_load_ubyte v32, v[8:9], off offset:1024
	global_load_ubyte v33, v[8:9], off offset:1536
	;; [unrolled: 1-line block ×6, first 2 shown]
	v_or_b32_e32 v23, 0xa00, v0
	v_or_b32_e32 v24, 0xc00, v0
	v_add_co_u32_e32 v4, vcc, 0x3000, v4
	v_lshrrev_b32_e32 v23, 5, v23
	v_lshrrev_b32_e32 v24, 5, v24
	v_addc_co_u32_e32 v5, vcc, 0, v5, vcc
	v_and_b32_e32 v19, 0x4c, v19
	v_and_b32_e32 v23, 0x5c, v23
	;; [unrolled: 1-line block ×3, first 2 shown]
	global_load_ubyte v8, v[4:5], off
	global_load_ubyte v9, v[4:5], off offset:512
	global_load_ubyte v38, v[4:5], off offset:1024
	;; [unrolled: 1-line block ×7, first 2 shown]
	v_add_u32_e32 v27, v27, v0
	v_add_u32_e32 v19, v19, v0
	;; [unrolled: 1-line block ×4, first 2 shown]
	s_mov_b64 s[12:13], 0
	s_waitcnt vmcnt(31)
	ds_write_b8 v25, v3
	s_waitcnt vmcnt(30)
	ds_write_b8 v27, v10 offset:512
	s_waitcnt vmcnt(29)
	ds_write_b8 v30, v11 offset:1024
	;; [unrolled: 2-line block ×6, first 2 shown]
	v_or_b32_e32 v3, 0xe00, v0
	v_lshrrev_b32_e32 v3, 5, v3
	v_and_b32_e32 v3, 0x7c, v3
	v_add_u32_e32 v3, v3, v0
	s_waitcnt vmcnt(24)
	ds_write_b8 v3, v16 offset:3584
	v_or_b32_e32 v3, 0x1000, v0
	v_lshrrev_b32_e32 v3, 5, v3
	v_and_b32_e32 v3, 0x8c, v3
	v_add_u32_e32 v3, v3, v0
	s_waitcnt vmcnt(23)
	ds_write_b8 v3, v1 offset:4096
	;; [unrolled: 6-line block ×10, first 2 shown]
	v_or_b32_e32 v1, 0x2200, v0
	v_lshrrev_b32_e32 v1, 5, v1
	v_and_b32_e32 v1, 0x11c, v1
	v_add_u32_e32 v1, v1, v0
	ds_write_b8 v1, v31 offset:8704
	v_or_b32_e32 v1, 0x2400, v0
	v_lshrrev_b32_e32 v1, 5, v1
	v_and_b32_e32 v1, 0x12c, v1
	v_add_u32_e32 v1, v1, v0
	s_waitcnt vmcnt(13)
	ds_write_b8 v1, v32 offset:9216
	v_or_b32_e32 v1, 0x2600, v0
	v_lshrrev_b32_e32 v1, 5, v1
	v_and_b32_e32 v1, 0x13c, v1
	v_add_u32_e32 v1, v1, v0
	s_waitcnt vmcnt(12)
	;; [unrolled: 6-line block ×14, first 2 shown]
	ds_write_b8 v1, v43 offset:15872
	s_waitcnt lgkmcnt(0)
	s_barrier
.LBB220_2:
	s_andn2_b64 vcc, exec, s[12:13]
	s_sub_i32 s3, s8, s3
	s_cbranch_vccnz .LBB220_68
; %bb.3:
	v_cmp_gt_u32_e32 vcc, s3, v0
                                        ; implicit-def: $vgpr1
	s_and_saveexec_b64 s[8:9], vcc
	s_cbranch_execz .LBB220_5
; %bb.4:
	global_load_ubyte v1, v0, s[10:11]
.LBB220_5:
	s_or_b64 exec, exec, s[8:9]
	v_or_b32_e32 v3, 0x200, v0
	v_cmp_gt_u32_e32 vcc, s3, v3
                                        ; implicit-def: $vgpr4
	s_and_saveexec_b64 s[8:9], vcc
	s_cbranch_execz .LBB220_7
; %bb.6:
	global_load_ubyte v4, v0, s[10:11] offset:512
.LBB220_7:
	s_or_b64 exec, exec, s[8:9]
	v_or_b32_e32 v5, 0x400, v0
	v_cmp_gt_u32_e32 vcc, s3, v5
                                        ; implicit-def: $vgpr6
	s_and_saveexec_b64 s[8:9], vcc
	s_cbranch_execz .LBB220_9
; %bb.8:
	global_load_ubyte v6, v0, s[10:11] offset:1024
.LBB220_9:
	s_or_b64 exec, exec, s[8:9]
	v_or_b32_e32 v7, 0x600, v0
	v_cmp_gt_u32_e32 vcc, s3, v7
                                        ; implicit-def: $vgpr8
	s_and_saveexec_b64 s[8:9], vcc
	s_cbranch_execz .LBB220_11
; %bb.10:
	global_load_ubyte v8, v0, s[10:11] offset:1536
.LBB220_11:
	s_or_b64 exec, exec, s[8:9]
	v_or_b32_e32 v9, 0x800, v0
	v_cmp_gt_u32_e32 vcc, s3, v9
                                        ; implicit-def: $vgpr10
	s_and_saveexec_b64 s[8:9], vcc
	s_cbranch_execz .LBB220_13
; %bb.12:
	global_load_ubyte v10, v0, s[10:11] offset:2048
.LBB220_13:
	s_or_b64 exec, exec, s[8:9]
	v_or_b32_e32 v11, 0xa00, v0
	v_cmp_gt_u32_e32 vcc, s3, v11
                                        ; implicit-def: $vgpr12
	s_and_saveexec_b64 s[8:9], vcc
	s_cbranch_execz .LBB220_15
; %bb.14:
	global_load_ubyte v12, v0, s[10:11] offset:2560
.LBB220_15:
	s_or_b64 exec, exec, s[8:9]
	v_or_b32_e32 v13, 0xc00, v0
	v_cmp_gt_u32_e32 vcc, s3, v13
                                        ; implicit-def: $vgpr14
	s_and_saveexec_b64 s[8:9], vcc
	s_cbranch_execz .LBB220_17
; %bb.16:
	global_load_ubyte v14, v0, s[10:11] offset:3072
.LBB220_17:
	s_or_b64 exec, exec, s[8:9]
	v_or_b32_e32 v15, 0xe00, v0
	v_cmp_gt_u32_e32 vcc, s3, v15
                                        ; implicit-def: $vgpr16
	s_and_saveexec_b64 s[8:9], vcc
	s_cbranch_execz .LBB220_19
; %bb.18:
	global_load_ubyte v16, v0, s[10:11] offset:3584
.LBB220_19:
	s_or_b64 exec, exec, s[8:9]
	v_or_b32_e32 v17, 0x1000, v0
	v_cmp_gt_u32_e32 vcc, s3, v17
                                        ; implicit-def: $vgpr18
	s_and_saveexec_b64 s[8:9], vcc
	s_cbranch_execz .LBB220_21
; %bb.20:
	global_load_ubyte v18, v17, s[10:11]
.LBB220_21:
	s_or_b64 exec, exec, s[8:9]
	v_or_b32_e32 v19, 0x1200, v0
	v_cmp_gt_u32_e32 vcc, s3, v19
                                        ; implicit-def: $vgpr20
	s_and_saveexec_b64 s[8:9], vcc
	s_cbranch_execz .LBB220_23
; %bb.22:
	global_load_ubyte v20, v19, s[10:11]
.LBB220_23:
	s_or_b64 exec, exec, s[8:9]
	v_or_b32_e32 v21, 0x1400, v0
	v_cmp_gt_u32_e32 vcc, s3, v21
                                        ; implicit-def: $vgpr23
	s_and_saveexec_b64 s[8:9], vcc
	s_cbranch_execz .LBB220_25
; %bb.24:
	global_load_ubyte v23, v21, s[10:11]
.LBB220_25:
	s_or_b64 exec, exec, s[8:9]
	v_or_b32_e32 v24, 0x1600, v0
	v_cmp_gt_u32_e32 vcc, s3, v24
                                        ; implicit-def: $vgpr25
	s_and_saveexec_b64 s[8:9], vcc
	s_cbranch_execz .LBB220_27
; %bb.26:
	global_load_ubyte v25, v24, s[10:11]
.LBB220_27:
	s_or_b64 exec, exec, s[8:9]
	v_or_b32_e32 v26, 0x1800, v0
	v_cmp_gt_u32_e32 vcc, s3, v26
                                        ; implicit-def: $vgpr27
	s_and_saveexec_b64 s[8:9], vcc
	s_cbranch_execz .LBB220_29
; %bb.28:
	global_load_ubyte v27, v26, s[10:11]
.LBB220_29:
	s_or_b64 exec, exec, s[8:9]
	v_or_b32_e32 v28, 0x1a00, v0
	v_cmp_gt_u32_e32 vcc, s3, v28
                                        ; implicit-def: $vgpr29
	s_and_saveexec_b64 s[8:9], vcc
	s_cbranch_execz .LBB220_31
; %bb.30:
	global_load_ubyte v29, v28, s[10:11]
.LBB220_31:
	s_or_b64 exec, exec, s[8:9]
	v_or_b32_e32 v30, 0x1c00, v0
	v_cmp_gt_u32_e32 vcc, s3, v30
                                        ; implicit-def: $vgpr31
	s_and_saveexec_b64 s[8:9], vcc
	s_cbranch_execz .LBB220_33
; %bb.32:
	global_load_ubyte v31, v30, s[10:11]
.LBB220_33:
	s_or_b64 exec, exec, s[8:9]
	v_or_b32_e32 v32, 0x1e00, v0
	v_cmp_gt_u32_e32 vcc, s3, v32
                                        ; implicit-def: $vgpr33
	s_and_saveexec_b64 s[8:9], vcc
	s_cbranch_execz .LBB220_35
; %bb.34:
	global_load_ubyte v33, v32, s[10:11]
.LBB220_35:
	s_or_b64 exec, exec, s[8:9]
	v_or_b32_e32 v34, 0x2000, v0
	v_cmp_gt_u32_e32 vcc, s3, v34
                                        ; implicit-def: $vgpr35
	s_and_saveexec_b64 s[8:9], vcc
	s_cbranch_execz .LBB220_37
; %bb.36:
	global_load_ubyte v35, v34, s[10:11]
.LBB220_37:
	s_or_b64 exec, exec, s[8:9]
	v_or_b32_e32 v36, 0x2200, v0
	v_cmp_gt_u32_e32 vcc, s3, v36
                                        ; implicit-def: $vgpr37
	s_and_saveexec_b64 s[8:9], vcc
	s_cbranch_execz .LBB220_39
; %bb.38:
	global_load_ubyte v37, v36, s[10:11]
.LBB220_39:
	s_or_b64 exec, exec, s[8:9]
	v_or_b32_e32 v38, 0x2400, v0
	v_cmp_gt_u32_e32 vcc, s3, v38
                                        ; implicit-def: $vgpr39
	s_and_saveexec_b64 s[8:9], vcc
	s_cbranch_execz .LBB220_41
; %bb.40:
	global_load_ubyte v39, v38, s[10:11]
.LBB220_41:
	s_or_b64 exec, exec, s[8:9]
	v_or_b32_e32 v40, 0x2600, v0
	v_cmp_gt_u32_e32 vcc, s3, v40
                                        ; implicit-def: $vgpr41
	s_and_saveexec_b64 s[8:9], vcc
	s_cbranch_execz .LBB220_43
; %bb.42:
	global_load_ubyte v41, v40, s[10:11]
.LBB220_43:
	s_or_b64 exec, exec, s[8:9]
	v_or_b32_e32 v42, 0x2800, v0
	v_cmp_gt_u32_e32 vcc, s3, v42
                                        ; implicit-def: $vgpr43
	s_and_saveexec_b64 s[8:9], vcc
	s_cbranch_execz .LBB220_45
; %bb.44:
	global_load_ubyte v43, v42, s[10:11]
.LBB220_45:
	s_or_b64 exec, exec, s[8:9]
	v_or_b32_e32 v44, 0x2a00, v0
	v_cmp_gt_u32_e32 vcc, s3, v44
                                        ; implicit-def: $vgpr45
	s_and_saveexec_b64 s[8:9], vcc
	s_cbranch_execz .LBB220_47
; %bb.46:
	global_load_ubyte v45, v44, s[10:11]
.LBB220_47:
	s_or_b64 exec, exec, s[8:9]
	v_or_b32_e32 v46, 0x2c00, v0
	v_cmp_gt_u32_e32 vcc, s3, v46
                                        ; implicit-def: $vgpr47
	s_and_saveexec_b64 s[8:9], vcc
	s_cbranch_execz .LBB220_49
; %bb.48:
	global_load_ubyte v47, v46, s[10:11]
.LBB220_49:
	s_or_b64 exec, exec, s[8:9]
	v_or_b32_e32 v48, 0x2e00, v0
	v_cmp_gt_u32_e32 vcc, s3, v48
                                        ; implicit-def: $vgpr49
	s_and_saveexec_b64 s[8:9], vcc
	s_cbranch_execz .LBB220_51
; %bb.50:
	global_load_ubyte v49, v48, s[10:11]
.LBB220_51:
	s_or_b64 exec, exec, s[8:9]
	v_or_b32_e32 v50, 0x3000, v0
	v_cmp_gt_u32_e32 vcc, s3, v50
                                        ; implicit-def: $vgpr51
	s_and_saveexec_b64 s[8:9], vcc
	s_cbranch_execz .LBB220_53
; %bb.52:
	global_load_ubyte v51, v50, s[10:11]
.LBB220_53:
	s_or_b64 exec, exec, s[8:9]
	v_or_b32_e32 v52, 0x3200, v0
	v_cmp_gt_u32_e32 vcc, s3, v52
                                        ; implicit-def: $vgpr53
	s_and_saveexec_b64 s[8:9], vcc
	s_cbranch_execz .LBB220_55
; %bb.54:
	global_load_ubyte v53, v52, s[10:11]
.LBB220_55:
	s_or_b64 exec, exec, s[8:9]
	v_or_b32_e32 v54, 0x3400, v0
	v_cmp_gt_u32_e32 vcc, s3, v54
                                        ; implicit-def: $vgpr55
	s_and_saveexec_b64 s[8:9], vcc
	s_cbranch_execz .LBB220_57
; %bb.56:
	global_load_ubyte v55, v54, s[10:11]
.LBB220_57:
	s_or_b64 exec, exec, s[8:9]
	v_or_b32_e32 v56, 0x3600, v0
	v_cmp_gt_u32_e32 vcc, s3, v56
                                        ; implicit-def: $vgpr57
	s_and_saveexec_b64 s[8:9], vcc
	s_cbranch_execz .LBB220_59
; %bb.58:
	global_load_ubyte v57, v56, s[10:11]
.LBB220_59:
	s_or_b64 exec, exec, s[8:9]
	v_or_b32_e32 v58, 0x3800, v0
	v_cmp_gt_u32_e32 vcc, s3, v58
                                        ; implicit-def: $vgpr59
	s_and_saveexec_b64 s[8:9], vcc
	s_cbranch_execz .LBB220_61
; %bb.60:
	global_load_ubyte v59, v58, s[10:11]
.LBB220_61:
	s_or_b64 exec, exec, s[8:9]
	v_or_b32_e32 v60, 0x3a00, v0
	v_cmp_gt_u32_e32 vcc, s3, v60
                                        ; implicit-def: $vgpr61
	s_and_saveexec_b64 s[8:9], vcc
	s_cbranch_execz .LBB220_63
; %bb.62:
	global_load_ubyte v61, v60, s[10:11]
.LBB220_63:
	s_or_b64 exec, exec, s[8:9]
	v_or_b32_e32 v62, 0x3c00, v0
	v_cmp_gt_u32_e32 vcc, s3, v62
                                        ; implicit-def: $vgpr63
	s_and_saveexec_b64 s[8:9], vcc
	s_cbranch_execz .LBB220_65
; %bb.64:
	global_load_ubyte v63, v62, s[10:11]
.LBB220_65:
	s_or_b64 exec, exec, s[8:9]
	v_or_b32_e32 v64, 0x3e00, v0
	v_cmp_gt_u32_e32 vcc, s3, v64
                                        ; implicit-def: $vgpr65
	s_and_saveexec_b64 s[8:9], vcc
	s_cbranch_execz .LBB220_67
; %bb.66:
	global_load_ubyte v65, v64, s[10:11]
.LBB220_67:
	s_or_b64 exec, exec, s[8:9]
	v_and_b32_e32 v2, 12, v2
	v_add_u32_e32 v2, v2, v0
	s_waitcnt vmcnt(0)
	ds_write_b8 v2, v1
	v_lshrrev_b32_e32 v1, 5, v3
	v_and_b32_e32 v1, 28, v1
	v_add_u32_e32 v1, v1, v0
	ds_write_b8 v1, v4 offset:512
	v_lshrrev_b32_e32 v1, 5, v5
	v_and_b32_e32 v1, 60, v1
	v_add_u32_e32 v1, v1, v0
	ds_write_b8 v1, v6 offset:1024
	;; [unrolled: 4-line block ×31, first 2 shown]
	s_waitcnt lgkmcnt(0)
	s_barrier
.LBB220_68:
	v_lshlrev_b32_e32 v10, 5, v0
	v_and_b32_e32 v1, 0x1fc, v0
	v_add_u32_e32 v1, v1, v10
	s_waitcnt lgkmcnt(0)
	ds_read2_b32 v[2:3], v1 offset0:6 offset1:7
	ds_read2_b32 v[8:9], v1 offset1:1
	ds_read2_b32 v[6:7], v1 offset0:2 offset1:3
	ds_read2_b32 v[4:5], v1 offset0:4 offset1:5
	s_cmp_lg_u32 s2, 0
	s_cselect_b64 s[16:17], -1, 0
	s_cmp_lg_u64 s[6:7], 0
	s_cselect_b64 s[6:7], -1, 0
	s_or_b64 s[6:7], s[16:17], s[6:7]
	s_waitcnt lgkmcnt(3)
	v_lshrrev_b32_e32 v25, 8, v2
	v_lshrrev_b32_e32 v24, 16, v2
	v_lshrrev_b32_e32 v23, 24, v2
	v_lshrrev_b32_e32 v21, 8, v3
	v_lshrrev_b32_e32 v20, 16, v3
	v_lshrrev_b32_e32 v1, 24, v3
	s_waitcnt lgkmcnt(2)
	v_lshrrev_b32_e32 v50, 8, v8
	v_lshrrev_b32_e32 v48, 16, v8
	v_lshrrev_b32_e32 v47, 24, v8
	v_lshrrev_b32_e32 v45, 8, v9
	v_lshrrev_b32_e32 v43, 16, v9
	v_lshrrev_b32_e32 v42, 24, v9
	;; [unrolled: 7-line block ×4, first 2 shown]
	s_mov_b64 s[8:9], 0
	s_and_b64 vcc, exec, s[6:7]
	s_barrier
	s_cbranch_vccz .LBB220_73
; %bb.69:
	v_mov_b32_e32 v11, 0
	global_load_ubyte v11, v11, s[10:11] offset:-1
	s_and_b64 vcc, exec, s[26:27]
	ds_write_b8 v0, v1
	s_cbranch_vccz .LBB220_75
; %bb.70:
	v_cmp_ne_u32_e32 vcc, 0, v0
	s_waitcnt vmcnt(0)
	v_mov_b32_e32 v12, v11
	s_waitcnt lgkmcnt(0)
	s_barrier
	s_and_saveexec_b64 s[6:7], vcc
	s_cbranch_execz .LBB220_72
; %bb.71:
	v_add_u32_e32 v12, -1, v0
	ds_read_u8 v12, v12
.LBB220_72:
	s_or_b64 exec, exec, s[6:7]
	v_cmp_ne_u16_sdwa s[6:7], v20, v1 src0_sel:BYTE_0 src1_sel:DWORD
	s_nop 1
	v_cndmask_b32_e64 v34, 0, 1, s[6:7]
	v_cmp_ne_u16_sdwa s[6:7], v21, v20 src0_sel:BYTE_0 src1_sel:BYTE_0
	s_nop 1
	v_cndmask_b32_e64 v36, 0, 1, s[6:7]
	v_cmp_ne_u16_sdwa s[6:7], v3, v21 src0_sel:BYTE_0 src1_sel:BYTE_0
	s_nop 1
	v_cndmask_b32_e64 v39, 0, 1, s[6:7]
	v_cmp_ne_u16_sdwa s[6:7], v23, v3 src0_sel:DWORD src1_sel:BYTE_0
	s_nop 1
	v_cndmask_b32_e64 v41, 0, 1, s[6:7]
	v_cmp_ne_u16_sdwa s[6:7], v24, v23 src0_sel:BYTE_0 src1_sel:DWORD
	s_nop 1
	v_cndmask_b32_e64 v44, 0, 1, s[6:7]
	v_cmp_ne_u16_sdwa s[6:7], v25, v24 src0_sel:BYTE_0 src1_sel:BYTE_0
	s_nop 1
	v_cndmask_b32_e64 v46, 0, 1, s[6:7]
	v_cmp_ne_u16_sdwa s[6:7], v2, v25 src0_sel:BYTE_0 src1_sel:BYTE_0
	s_nop 1
	v_cndmask_b32_e64 v49, 0, 1, s[6:7]
	v_cmp_ne_u16_sdwa s[6:7], v26, v2 src0_sel:DWORD src1_sel:BYTE_0
	s_nop 1
	v_cndmask_b32_e64 v51, 0, 1, s[6:7]
	;; [unrolled: 12-line block ×7, first 2 shown]
	v_cmp_ne_u16_sdwa s[6:7], v48, v47 src0_sel:BYTE_0 src1_sel:DWORD
	s_nop 1
	v_cndmask_b32_e64 v72, 0, 1, s[6:7]
	v_cmp_ne_u16_sdwa s[6:7], v50, v48 src0_sel:BYTE_0 src1_sel:BYTE_0
	s_nop 1
	v_cndmask_b32_e64 v73, 0, 1, s[6:7]
	v_cmp_ne_u16_sdwa s[6:7], v8, v50 src0_sel:BYTE_0 src1_sel:BYTE_0
	s_nop 1
	v_cndmask_b32_e64 v74, 0, 1, s[6:7]
	s_waitcnt lgkmcnt(0)
	v_cmp_ne_u16_sdwa s[6:7], v12, v8 src0_sel:BYTE_0 src1_sel:BYTE_0
	s_and_b64 vcc, exec, s[8:9]
	s_cbranch_vccnz .LBB220_76
	s_branch .LBB220_79
.LBB220_73:
                                        ; implicit-def: $sgpr6_sgpr7
                                        ; implicit-def: $vgpr74
                                        ; implicit-def: $vgpr73
                                        ; implicit-def: $vgpr72
                                        ; implicit-def: $vgpr71
                                        ; implicit-def: $vgpr70
                                        ; implicit-def: $vgpr69
                                        ; implicit-def: $vgpr68
                                        ; implicit-def: $vgpr67
                                        ; implicit-def: $vgpr66
                                        ; implicit-def: $vgpr65
                                        ; implicit-def: $vgpr64
                                        ; implicit-def: $vgpr63
                                        ; implicit-def: $vgpr62
                                        ; implicit-def: $vgpr61
                                        ; implicit-def: $vgpr60
                                        ; implicit-def: $vgpr59
                                        ; implicit-def: $vgpr58
                                        ; implicit-def: $vgpr57
                                        ; implicit-def: $vgpr56
                                        ; implicit-def: $vgpr55
                                        ; implicit-def: $vgpr54
                                        ; implicit-def: $vgpr53
                                        ; implicit-def: $vgpr52
                                        ; implicit-def: $vgpr51
                                        ; implicit-def: $vgpr49
                                        ; implicit-def: $vgpr46
                                        ; implicit-def: $vgpr44
                                        ; implicit-def: $vgpr41
                                        ; implicit-def: $vgpr39
                                        ; implicit-def: $vgpr36
                                        ; implicit-def: $vgpr34
	s_branch .LBB220_80
.LBB220_74:
                                        ; implicit-def: $sgpr12
	v_mov_b32_e32 v75, s12
	s_and_saveexec_b64 s[10:11], s[8:9]
	s_cbranch_execnz .LBB220_88
	s_branch .LBB220_89
.LBB220_75:
                                        ; implicit-def: $sgpr6_sgpr7
                                        ; implicit-def: $vgpr74
                                        ; implicit-def: $vgpr73
                                        ; implicit-def: $vgpr72
                                        ; implicit-def: $vgpr71
                                        ; implicit-def: $vgpr70
                                        ; implicit-def: $vgpr69
                                        ; implicit-def: $vgpr68
                                        ; implicit-def: $vgpr67
                                        ; implicit-def: $vgpr66
                                        ; implicit-def: $vgpr65
                                        ; implicit-def: $vgpr64
                                        ; implicit-def: $vgpr63
                                        ; implicit-def: $vgpr62
                                        ; implicit-def: $vgpr61
                                        ; implicit-def: $vgpr60
                                        ; implicit-def: $vgpr59
                                        ; implicit-def: $vgpr58
                                        ; implicit-def: $vgpr57
                                        ; implicit-def: $vgpr56
                                        ; implicit-def: $vgpr55
                                        ; implicit-def: $vgpr54
                                        ; implicit-def: $vgpr53
                                        ; implicit-def: $vgpr52
                                        ; implicit-def: $vgpr51
                                        ; implicit-def: $vgpr49
                                        ; implicit-def: $vgpr46
                                        ; implicit-def: $vgpr44
                                        ; implicit-def: $vgpr41
                                        ; implicit-def: $vgpr39
                                        ; implicit-def: $vgpr36
                                        ; implicit-def: $vgpr34
	s_cbranch_execz .LBB220_79
.LBB220_76:
	v_cmp_ne_u32_e32 vcc, 0, v0
	s_waitcnt lgkmcnt(0)
	s_barrier
	s_and_saveexec_b64 s[6:7], vcc
	s_cbranch_execz .LBB220_78
; %bb.77:
	s_waitcnt vmcnt(0)
	v_add_u32_e32 v11, -1, v0
	ds_read_u8 v11, v11
.LBB220_78:
	s_or_b64 exec, exec, s[6:7]
	v_or_b32_e32 v12, 31, v10
	v_cmp_gt_u32_e32 vcc, s3, v12
	v_cmp_ne_u16_sdwa s[6:7], v20, v1 src0_sel:BYTE_0 src1_sel:BYTE_0
	s_and_b64 s[6:7], vcc, s[6:7]
	v_or_b32_e32 v12, 30, v10
	v_cndmask_b32_e64 v34, 0, 1, s[6:7]
	v_cmp_gt_u32_e32 vcc, s3, v12
	v_cmp_ne_u16_sdwa s[6:7], v21, v20 src0_sel:BYTE_0 src1_sel:BYTE_0
	s_and_b64 s[6:7], vcc, s[6:7]
	v_or_b32_e32 v12, 29, v10
	v_cndmask_b32_e64 v36, 0, 1, s[6:7]
	;; [unrolled: 5-line block ×30, first 2 shown]
	v_cmp_gt_u32_e32 vcc, s3, v12
	v_cmp_ne_u16_sdwa s[6:7], v8, v50 src0_sel:BYTE_0 src1_sel:BYTE_0
	s_and_b64 s[6:7], vcc, s[6:7]
	v_cmp_gt_u32_e32 vcc, s3, v10
	v_cndmask_b32_e64 v74, 0, 1, s[6:7]
	s_waitcnt vmcnt(0) lgkmcnt(0)
	v_cmp_ne_u16_sdwa s[6:7], v11, v8 src0_sel:BYTE_0 src1_sel:BYTE_0
	s_and_b64 s[6:7], vcc, s[6:7]
.LBB220_79:
	s_mov_b64 s[8:9], -1
	s_cbranch_execnz .LBB220_74
.LBB220_80:
	s_and_b64 vcc, exec, s[26:27]
	v_cmp_ne_u16_sdwa s[48:49], v21, v20 src0_sel:BYTE_0 src1_sel:BYTE_0
	v_cmp_ne_u16_sdwa s[50:51], v3, v21 src0_sel:BYTE_0 src1_sel:BYTE_0
	;; [unrolled: 1-line block ×16, first 2 shown]
	ds_write_b8 v0, v1
	s_cbranch_vccz .LBB220_84
; %bb.81:
	v_cndmask_b32_e64 v36, 0, 1, s[48:49]
	v_cmp_ne_u16_sdwa s[48:49], v23, v3 src0_sel:DWORD src1_sel:BYTE_0
	v_cndmask_b32_e64 v46, 0, 1, s[44:45]
	v_cmp_ne_u16_sdwa s[44:45], v26, v2 src0_sel:DWORD src1_sel:BYTE_0
	;; [unrolled: 2-line block ×7, first 2 shown]
	v_cmp_ne_u16_sdwa s[52:53], v20, v1 src0_sel:BYTE_0 src1_sel:DWORD
	v_cndmask_b32_e64 v41, 0, 1, s[48:49]
	v_cmp_ne_u16_sdwa s[48:49], v24, v23 src0_sel:BYTE_0 src1_sel:DWORD
	v_cndmask_b32_e64 v51, 0, 1, s[44:45]
	;; [unrolled: 2-line block ×8, first 2 shown]
	v_cndmask_b32_e64 v39, 0, 1, s[50:51]
	v_cndmask_b32_e64 v44, 0, 1, s[48:49]
	;; [unrolled: 1-line block ×16, first 2 shown]
	v_cmp_ne_u32_e32 vcc, 0, v0
	s_waitcnt lgkmcnt(0)
	s_barrier
	s_waitcnt lgkmcnt(0)
                                        ; implicit-def: $sgpr6_sgpr7
	s_and_saveexec_b64 s[10:11], vcc
	s_xor_b64 s[10:11], exec, s[10:11]
	s_cbranch_execz .LBB220_83
; %bb.82:
	s_waitcnt vmcnt(0)
	v_add_u32_e32 v11, -1, v0
	ds_read_u8 v11, v11
	s_or_b64 s[8:9], s[8:9], exec
	s_waitcnt lgkmcnt(0)
	v_cmp_ne_u16_sdwa s[6:7], v11, v8 src0_sel:DWORD src1_sel:BYTE_0
	s_and_b64 s[6:7], s[6:7], exec
.LBB220_83:
	s_or_b64 exec, exec, s[10:11]
	s_mov_b32 s12, 1
	s_branch .LBB220_87
.LBB220_84:
                                        ; implicit-def: $sgpr6_sgpr7
                                        ; implicit-def: $vgpr74
                                        ; implicit-def: $vgpr73
                                        ; implicit-def: $vgpr72
                                        ; implicit-def: $vgpr71
                                        ; implicit-def: $vgpr70
                                        ; implicit-def: $vgpr69
                                        ; implicit-def: $vgpr68
                                        ; implicit-def: $vgpr67
                                        ; implicit-def: $vgpr66
                                        ; implicit-def: $vgpr65
                                        ; implicit-def: $vgpr64
                                        ; implicit-def: $vgpr63
                                        ; implicit-def: $vgpr62
                                        ; implicit-def: $vgpr61
                                        ; implicit-def: $vgpr60
                                        ; implicit-def: $vgpr59
                                        ; implicit-def: $vgpr58
                                        ; implicit-def: $vgpr57
                                        ; implicit-def: $vgpr56
                                        ; implicit-def: $vgpr55
                                        ; implicit-def: $vgpr54
                                        ; implicit-def: $vgpr53
                                        ; implicit-def: $vgpr52
                                        ; implicit-def: $vgpr51
                                        ; implicit-def: $vgpr49
                                        ; implicit-def: $vgpr46
                                        ; implicit-def: $vgpr44
                                        ; implicit-def: $vgpr41
                                        ; implicit-def: $vgpr39
                                        ; implicit-def: $vgpr36
                                        ; implicit-def: $vgpr34
                                        ; implicit-def: $sgpr12
	s_cbranch_execz .LBB220_87
; %bb.85:
	s_waitcnt vmcnt(0)
	v_or_b32_e32 v11, 31, v10
	v_cmp_gt_u32_e32 vcc, s3, v11
	v_cmp_ne_u16_sdwa s[6:7], v20, v1 src0_sel:BYTE_0 src1_sel:BYTE_0
	s_and_b64 s[6:7], vcc, s[6:7]
	v_or_b32_e32 v11, 30, v10
	v_cndmask_b32_e64 v34, 0, 1, s[6:7]
	v_cmp_gt_u32_e32 vcc, s3, v11
	v_cmp_ne_u16_sdwa s[6:7], v21, v20 src0_sel:BYTE_0 src1_sel:BYTE_0
	s_and_b64 s[6:7], vcc, s[6:7]
	v_or_b32_e32 v11, 29, v10
	v_cndmask_b32_e64 v36, 0, 1, s[6:7]
	;; [unrolled: 5-line block ×30, first 2 shown]
	v_cmp_gt_u32_e32 vcc, s3, v11
	v_cmp_ne_u16_sdwa s[6:7], v8, v50 src0_sel:BYTE_0 src1_sel:BYTE_0
	s_and_b64 s[6:7], vcc, s[6:7]
	s_mov_b32 s12, 1
	v_cndmask_b32_e64 v74, 0, 1, s[6:7]
	v_cmp_ne_u32_e32 vcc, 0, v0
	s_waitcnt lgkmcnt(0)
	s_barrier
	s_waitcnt lgkmcnt(0)
                                        ; implicit-def: $sgpr6_sgpr7
	s_and_saveexec_b64 s[10:11], vcc
	s_cbranch_execz .LBB220_311
; %bb.86:
	v_add_u32_e32 v11, -1, v0
	ds_read_u8 v11, v11
	v_cmp_gt_u32_e32 vcc, s3, v10
	s_or_b64 s[8:9], s[8:9], exec
	s_waitcnt lgkmcnt(0)
	v_and_b32_e32 v11, 0xff, v11
	v_cmp_ne_u16_sdwa s[6:7], v11, v8 src0_sel:DWORD src1_sel:BYTE_0
	s_and_b64 s[6:7], vcc, s[6:7]
	s_and_b64 s[6:7], s[6:7], exec
	s_or_b64 exec, exec, s[10:11]
.LBB220_87:
	v_mov_b32_e32 v75, s12
	s_and_saveexec_b64 s[10:11], s[8:9]
.LBB220_88:
	v_cndmask_b32_e64 v75, 0, 1, s[6:7]
.LBB220_89:
	s_or_b64 exec, exec, s[10:11]
	s_load_dwordx2 s[28:29], s[0:1], 0x60
	s_andn2_b64 vcc, exec, s[4:5]
	s_cbranch_vccnz .LBB220_91
; %bb.90:
	v_cmp_gt_u32_e32 vcc, s3, v10
	s_waitcnt vmcnt(0)
	v_or_b32_e32 v11, 1, v10
	v_cndmask_b32_e32 v75, 0, v75, vcc
	v_cmp_gt_u32_e32 vcc, s3, v11
	v_or_b32_e32 v11, 2, v10
	s_nop 0
	v_cndmask_b32_e32 v74, 0, v74, vcc
	v_cmp_gt_u32_e32 vcc, s3, v11
	v_or_b32_e32 v11, 3, v10
	s_nop 0
	;; [unrolled: 4-line block ×28, first 2 shown]
	v_cndmask_b32_e32 v41, 0, v41, vcc
	v_cmp_gt_u32_e32 vcc, s3, v11
	v_or_b32_e32 v11, 30, v10
	v_or_b32_e32 v10, 31, v10
	v_cndmask_b32_e32 v39, 0, v39, vcc
	v_cmp_gt_u32_e32 vcc, s3, v11
	s_nop 1
	v_cndmask_b32_e32 v36, 0, v36, vcc
	v_cmp_gt_u32_e32 vcc, s3, v10
	s_nop 1
	v_cndmask_b32_e32 v34, 0, v34, vcc
.LBB220_91:
	v_and_b32_e32 v116, 0xff, v41
	v_and_b32_e32 v117, 0xff, v39
	v_add_u32_sdwa v10, v36, v34 dst_sel:DWORD dst_unused:UNUSED_PAD src0_sel:BYTE_0 src1_sel:BYTE_0
	v_and_b32_e32 v114, 0xff, v46
	v_and_b32_e32 v115, 0xff, v44
	v_add3_u32 v10, v10, v117, v116
	v_and_b32_e32 v112, 0xff, v51
	v_and_b32_e32 v113, 0xff, v49
	v_add3_u32 v10, v10, v115, v114
	;; [unrolled: 3-line block ×14, first 2 shown]
	v_add3_u32 v90, v10, v77, v76
	v_mbcnt_lo_u32_b32 v10, -1, 0
	v_mbcnt_hi_u32_b32 v88, -1, v10
	v_and_b32_e32 v10, 15, v88
	v_cmp_eq_u32_e64 s[14:15], 0, v10
	v_cmp_lt_u32_e64 s[12:13], 1, v10
	v_cmp_lt_u32_e64 s[10:11], 3, v10
	;; [unrolled: 1-line block ×3, first 2 shown]
	v_and_b32_e32 v10, 16, v88
	v_cmp_eq_u32_e64 s[6:7], 0, v10
	v_or_b32_e32 v10, 63, v0
	v_cmp_lt_u32_e64 s[18:19], 31, v88
	v_lshrrev_b32_e32 v89, 6, v0
	v_cmp_eq_u32_e64 s[4:5], v10, v0
	s_and_b64 vcc, exec, s[16:17]
	s_waitcnt lgkmcnt(0)
	s_barrier
	s_cbranch_vccz .LBB220_122
; %bb.92:
	v_mov_b32_dpp v10, v90 row_shr:1 row_mask:0xf bank_mask:0xf
	v_cndmask_b32_e64 v10, v10, 0, s[14:15]
	v_add_u32_e32 v10, v10, v90
	s_waitcnt vmcnt(0)
	s_nop 0
	v_mov_b32_dpp v11, v10 row_shr:2 row_mask:0xf bank_mask:0xf
	v_cndmask_b32_e64 v11, 0, v11, s[12:13]
	v_add_u32_e32 v10, v10, v11
	s_nop 1
	v_mov_b32_dpp v11, v10 row_shr:4 row_mask:0xf bank_mask:0xf
	v_cndmask_b32_e64 v11, 0, v11, s[10:11]
	v_add_u32_e32 v10, v10, v11
	;; [unrolled: 4-line block ×3, first 2 shown]
	s_nop 1
	v_mov_b32_dpp v11, v10 row_bcast:15 row_mask:0xf bank_mask:0xf
	v_cndmask_b32_e64 v11, v11, 0, s[6:7]
	v_add_u32_e32 v10, v10, v11
	s_nop 1
	v_mov_b32_dpp v11, v10 row_bcast:31 row_mask:0xf bank_mask:0xf
	v_cndmask_b32_e64 v11, 0, v11, s[18:19]
	v_add_u32_e32 v10, v10, v11
	s_and_saveexec_b64 s[16:17], s[4:5]
	s_cbranch_execz .LBB220_94
; %bb.93:
	v_lshlrev_b32_e32 v11, 2, v89
	ds_write_b32 v11, v10
.LBB220_94:
	s_or_b64 exec, exec, s[16:17]
	v_cmp_gt_u32_e32 vcc, 8, v0
	s_waitcnt lgkmcnt(0)
	s_barrier
	s_and_saveexec_b64 s[16:17], vcc
	s_cbranch_execz .LBB220_96
; %bb.95:
	v_lshlrev_b32_e32 v11, 2, v0
	ds_read_b32 v12, v11
	v_and_b32_e32 v13, 7, v88
	v_cmp_ne_u32_e32 vcc, 0, v13
	s_waitcnt lgkmcnt(0)
	v_mov_b32_dpp v14, v12 row_shr:1 row_mask:0xf bank_mask:0xf
	v_cndmask_b32_e32 v14, 0, v14, vcc
	v_add_u32_e32 v12, v14, v12
	v_cmp_lt_u32_e32 vcc, 1, v13
	s_nop 0
	v_mov_b32_dpp v14, v12 row_shr:2 row_mask:0xf bank_mask:0xf
	v_cndmask_b32_e32 v14, 0, v14, vcc
	v_add_u32_e32 v12, v12, v14
	v_cmp_lt_u32_e32 vcc, 3, v13
	s_nop 0
	v_mov_b32_dpp v14, v12 row_shr:4 row_mask:0xf bank_mask:0xf
	v_cndmask_b32_e32 v13, 0, v14, vcc
	v_add_u32_e32 v12, v12, v13
	ds_write_b32 v11, v12
.LBB220_96:
	s_or_b64 exec, exec, s[16:17]
	v_cmp_gt_u32_e32 vcc, 64, v0
	v_cmp_lt_u32_e64 s[16:17], 63, v0
	s_waitcnt lgkmcnt(0)
	s_barrier
	s_waitcnt lgkmcnt(0)
                                        ; implicit-def: $vgpr91
	s_and_saveexec_b64 s[30:31], s[16:17]
	s_cbranch_execz .LBB220_98
; %bb.97:
	v_lshl_add_u32 v11, v89, 2, -4
	ds_read_b32 v91, v11
	s_waitcnt lgkmcnt(0)
	v_add_u32_e32 v10, v91, v10
.LBB220_98:
	s_or_b64 exec, exec, s[30:31]
	v_add_u32_e32 v11, -1, v88
	v_and_b32_e32 v12, 64, v88
	v_cmp_lt_i32_e64 s[16:17], v11, v12
	s_nop 1
	v_cndmask_b32_e64 v11, v11, v88, s[16:17]
	v_lshlrev_b32_e32 v11, 2, v11
	ds_bpermute_b32 v92, v11, v10
	v_cmp_eq_u32_e64 s[16:17], 0, v88
	s_and_saveexec_b64 s[30:31], vcc
	s_cbranch_execz .LBB220_121
; %bb.99:
	v_mov_b32_e32 v19, 0
	ds_read_b32 v10, v19 offset:28
	s_and_saveexec_b64 s[34:35], s[16:17]
	s_cbranch_execz .LBB220_101
; %bb.100:
	s_add_i32 s36, s2, 64
	s_mov_b32 s37, 0
	s_lshl_b64 s[36:37], s[36:37], 3
	s_add_u32 s36, s28, s36
	v_mov_b32_e32 v11, 1
	s_addc_u32 s37, s29, s37
	s_waitcnt lgkmcnt(0)
	global_store_dwordx2 v19, v[10:11], s[36:37] sc1
.LBB220_101:
	s_or_b64 exec, exec, s[34:35]
	v_xad_u32 v12, v88, -1, s2
	v_add_u32_e32 v18, 64, v12
	v_lshl_add_u64 v[14:15], v[18:19], 3, s[28:29]
	global_load_dwordx2 v[16:17], v[14:15], off sc1
	s_waitcnt vmcnt(0)
	v_cmp_eq_u16_sdwa s[36:37], v17, v19 src0_sel:BYTE_0 src1_sel:DWORD
	s_and_saveexec_b64 s[34:35], s[36:37]
	s_cbranch_execz .LBB220_107
; %bb.102:
	s_mov_b32 s3, 1
	s_mov_b64 s[36:37], 0
	v_mov_b32_e32 v11, 0
.LBB220_103:                            ; =>This Loop Header: Depth=1
                                        ;     Child Loop BB220_104 Depth 2
	s_max_u32 s33, s3, 1
.LBB220_104:                            ;   Parent Loop BB220_103 Depth=1
                                        ; =>  This Inner Loop Header: Depth=2
	s_add_i32 s33, s33, -1
	s_cmp_eq_u32 s33, 0
	s_sleep 1
	s_cbranch_scc0 .LBB220_104
; %bb.105:                              ;   in Loop: Header=BB220_103 Depth=1
	global_load_dwordx2 v[16:17], v[14:15], off sc1
	s_cmp_lt_u32 s3, 32
	s_cselect_b64 s[38:39], -1, 0
	s_cmp_lg_u64 s[38:39], 0
	s_addc_u32 s3, s3, 0
	s_waitcnt vmcnt(0)
	v_cmp_ne_u16_sdwa s[38:39], v17, v11 src0_sel:BYTE_0 src1_sel:DWORD
	s_or_b64 s[36:37], s[38:39], s[36:37]
	s_andn2_b64 exec, exec, s[36:37]
	s_cbranch_execnz .LBB220_103
; %bb.106:
	s_or_b64 exec, exec, s[36:37]
.LBB220_107:
	s_or_b64 exec, exec, s[34:35]
	v_and_b32_e32 v94, 63, v88
	v_mov_b32_e32 v93, 2
	v_cmp_ne_u32_e32 vcc, 63, v94
	v_cmp_eq_u16_sdwa s[34:35], v17, v93 src0_sel:BYTE_0 src1_sel:DWORD
	v_lshlrev_b64 v[14:15], v88, -1
	v_addc_co_u32_e32 v18, vcc, 0, v88, vcc
	v_and_b32_e32 v11, s35, v15
	v_lshlrev_b32_e32 v95, 2, v18
	v_or_b32_e32 v11, 0x80000000, v11
	ds_bpermute_b32 v18, v95, v16
	v_and_b32_e32 v13, s34, v14
	v_ffbl_b32_e32 v11, v11
	v_add_u32_e32 v11, 32, v11
	v_ffbl_b32_e32 v13, v13
	v_min_u32_e32 v11, v13, v11
	v_cmp_lt_u32_e32 vcc, v94, v11
	v_add_u32_e32 v97, 2, v94
	v_add_u32_e32 v99, 4, v94
	s_waitcnt lgkmcnt(0)
	v_cndmask_b32_e32 v13, 0, v18, vcc
	v_cmp_gt_u32_e32 vcc, 62, v94
	v_add_u32_e32 v13, v13, v16
	v_add_u32_e32 v119, 8, v94
	v_cndmask_b32_e64 v16, 0, 1, vcc
	v_lshlrev_b32_e32 v16, 1, v16
	v_add_lshl_u32 v96, v16, v88, 2
	ds_bpermute_b32 v16, v96, v13
	v_cmp_le_u32_e32 vcc, v97, v11
	v_add_u32_e32 v121, 16, v94
	v_add_u32_e32 v123, 32, v94
	s_waitcnt lgkmcnt(0)
	v_cndmask_b32_e32 v16, 0, v16, vcc
	v_cmp_gt_u32_e32 vcc, 60, v94
	v_add_u32_e32 v13, v13, v16
	s_nop 0
	v_cndmask_b32_e64 v16, 0, 1, vcc
	v_lshlrev_b32_e32 v16, 2, v16
	v_add_lshl_u32 v98, v16, v88, 2
	ds_bpermute_b32 v16, v98, v13
	v_cmp_le_u32_e32 vcc, v99, v11
	s_waitcnt lgkmcnt(0)
	s_nop 0
	v_cndmask_b32_e32 v16, 0, v16, vcc
	v_cmp_gt_u32_e32 vcc, 56, v94
	v_add_u32_e32 v13, v13, v16
	s_nop 0
	v_cndmask_b32_e64 v16, 0, 1, vcc
	v_lshlrev_b32_e32 v16, 3, v16
	v_add_lshl_u32 v118, v16, v88, 2
	ds_bpermute_b32 v16, v118, v13
	v_cmp_le_u32_e32 vcc, v119, v11
	s_waitcnt lgkmcnt(0)
	s_nop 0
	;; [unrolled: 11-line block ×4, first 2 shown]
	v_cndmask_b32_e32 v11, 0, v16, vcc
	v_add_u32_e32 v16, v13, v11
	v_mov_b32_e32 v13, 0
	s_branch .LBB220_109
.LBB220_108:                            ;   in Loop: Header=BB220_109 Depth=1
	s_or_b64 exec, exec, s[34:35]
	v_cmp_eq_u16_sdwa s[34:35], v17, v93 src0_sel:BYTE_0 src1_sel:DWORD
	ds_bpermute_b32 v124, v95, v16
	v_subrev_u32_e32 v12, 64, v12
	v_and_b32_e32 v18, s35, v15
	v_or_b32_e32 v18, 0x80000000, v18
	v_and_b32_e32 v19, s34, v14
	v_ffbl_b32_e32 v18, v18
	v_add_u32_e32 v18, 32, v18
	v_ffbl_b32_e32 v19, v19
	v_min_u32_e32 v18, v19, v18
	v_cmp_lt_u32_e32 vcc, v94, v18
	s_waitcnt lgkmcnt(0)
	s_nop 0
	v_cndmask_b32_e32 v19, 0, v124, vcc
	v_add_u32_e32 v16, v19, v16
	ds_bpermute_b32 v19, v96, v16
	v_cmp_le_u32_e32 vcc, v97, v18
	s_waitcnt lgkmcnt(0)
	s_nop 0
	v_cndmask_b32_e32 v19, 0, v19, vcc
	v_add_u32_e32 v16, v16, v19
	ds_bpermute_b32 v19, v98, v16
	v_cmp_le_u32_e32 vcc, v99, v18
	;; [unrolled: 6-line block ×5, first 2 shown]
	s_waitcnt lgkmcnt(0)
	s_nop 0
	v_cndmask_b32_e32 v18, 0, v19, vcc
	v_add3_u32 v16, v18, v11, v16
.LBB220_109:                            ; =>This Loop Header: Depth=1
                                        ;     Child Loop BB220_112 Depth 2
                                        ;       Child Loop BB220_113 Depth 3
	v_cmp_ne_u16_sdwa s[34:35], v17, v93 src0_sel:BYTE_0 src1_sel:DWORD
	s_nop 1
	v_cndmask_b32_e64 v11, 0, 1, s[34:35]
	;;#ASMSTART
	;;#ASMEND
	s_nop 0
	v_cmp_ne_u32_e32 vcc, 0, v11
	s_cmp_lg_u64 vcc, exec
	v_mov_b32_e32 v11, v16
	s_cbranch_scc1 .LBB220_116
; %bb.110:                              ;   in Loop: Header=BB220_109 Depth=1
	v_lshl_add_u64 v[18:19], v[12:13], 3, s[28:29]
	global_load_dwordx2 v[16:17], v[18:19], off sc1
	s_waitcnt vmcnt(0)
	v_cmp_eq_u16_sdwa s[36:37], v17, v13 src0_sel:BYTE_0 src1_sel:DWORD
	s_and_saveexec_b64 s[34:35], s[36:37]
	s_cbranch_execz .LBB220_108
; %bb.111:                              ;   in Loop: Header=BB220_109 Depth=1
	s_mov_b32 s3, 1
	s_mov_b64 s[36:37], 0
.LBB220_112:                            ;   Parent Loop BB220_109 Depth=1
                                        ; =>  This Loop Header: Depth=2
                                        ;       Child Loop BB220_113 Depth 3
	s_max_u32 s33, s3, 1
.LBB220_113:                            ;   Parent Loop BB220_109 Depth=1
                                        ;     Parent Loop BB220_112 Depth=2
                                        ; =>    This Inner Loop Header: Depth=3
	s_add_i32 s33, s33, -1
	s_cmp_eq_u32 s33, 0
	s_sleep 1
	s_cbranch_scc0 .LBB220_113
; %bb.114:                              ;   in Loop: Header=BB220_112 Depth=2
	global_load_dwordx2 v[16:17], v[18:19], off sc1
	s_cmp_lt_u32 s3, 32
	s_cselect_b64 s[38:39], -1, 0
	s_cmp_lg_u64 s[38:39], 0
	s_addc_u32 s3, s3, 0
	s_waitcnt vmcnt(0)
	v_cmp_ne_u16_sdwa s[38:39], v17, v13 src0_sel:BYTE_0 src1_sel:DWORD
	s_or_b64 s[36:37], s[38:39], s[36:37]
	s_andn2_b64 exec, exec, s[36:37]
	s_cbranch_execnz .LBB220_112
; %bb.115:                              ;   in Loop: Header=BB220_109 Depth=1
	s_or_b64 exec, exec, s[36:37]
	s_branch .LBB220_108
.LBB220_116:                            ;   in Loop: Header=BB220_109 Depth=1
                                        ; implicit-def: $vgpr16
                                        ; implicit-def: $vgpr17
	s_cbranch_execz .LBB220_109
; %bb.117:
	s_and_saveexec_b64 s[34:35], s[16:17]
	s_cbranch_execz .LBB220_119
; %bb.118:
	s_add_i32 s2, s2, 64
	s_mov_b32 s3, 0
	s_lshl_b64 s[2:3], s[2:3], 3
	s_add_u32 s2, s28, s2
	v_add_u32_e32 v12, v11, v10
	v_mov_b32_e32 v13, 2
	s_addc_u32 s3, s29, s3
	v_mov_b32_e32 v14, 0
	global_store_dwordx2 v14, v[12:13], s[2:3] sc1
	ds_write_b64 v14, v[10:11] offset:16896
.LBB220_119:
	s_or_b64 exec, exec, s[34:35]
	v_cmp_eq_u32_e32 vcc, 0, v0
	s_and_b64 exec, exec, vcc
	s_cbranch_execz .LBB220_121
; %bb.120:
	v_mov_b32_e32 v10, 0
	ds_write_b32 v10, v11 offset:28
.LBB220_121:
	s_or_b64 exec, exec, s[30:31]
	v_mov_b32_e32 v11, 0
	s_waitcnt lgkmcnt(0)
	s_barrier
	ds_read_b32 v12, v11 offset:28
	s_waitcnt lgkmcnt(0)
	s_barrier
	ds_read_b64 v[16:17], v11 offset:16896
	v_cndmask_b32_e64 v10, v92, v91, s[16:17]
	v_cmp_ne_u32_e32 vcc, 0, v0
	s_waitcnt lgkmcnt(0)
	v_mov_b32_e32 v18, v17
	v_cndmask_b32_e32 v10, 0, v10, vcc
	v_add_u32_e32 v96, v12, v10
	s_load_dwordx2 s[2:3], s[0:1], 0x28
	s_branch .LBB220_132
.LBB220_122:
                                        ; implicit-def: $vgpr18
                                        ; implicit-def: $vgpr16
                                        ; implicit-def: $vgpr96
	s_load_dwordx2 s[2:3], s[0:1], 0x28
	s_cbranch_execz .LBB220_132
; %bb.123:
	v_mov_b32_dpp v10, v90 row_shr:1 row_mask:0xf bank_mask:0xf
	v_cndmask_b32_e64 v10, v10, 0, s[14:15]
	v_add_u32_e32 v10, v10, v90
	s_waitcnt vmcnt(0)
	s_nop 0
	v_mov_b32_dpp v11, v10 row_shr:2 row_mask:0xf bank_mask:0xf
	v_cndmask_b32_e64 v11, 0, v11, s[12:13]
	v_add_u32_e32 v10, v10, v11
	s_nop 1
	v_mov_b32_dpp v11, v10 row_shr:4 row_mask:0xf bank_mask:0xf
	v_cndmask_b32_e64 v11, 0, v11, s[10:11]
	v_add_u32_e32 v10, v10, v11
	;; [unrolled: 4-line block ×3, first 2 shown]
	s_nop 1
	v_mov_b32_dpp v11, v10 row_bcast:15 row_mask:0xf bank_mask:0xf
	v_cndmask_b32_e64 v11, v11, 0, s[6:7]
	v_add_u32_e32 v10, v10, v11
	s_nop 1
	v_mov_b32_dpp v11, v10 row_bcast:31 row_mask:0xf bank_mask:0xf
	v_cndmask_b32_e64 v11, 0, v11, s[18:19]
	v_add_u32_e32 v10, v10, v11
	s_and_saveexec_b64 s[0:1], s[4:5]
	s_cbranch_execz .LBB220_125
; %bb.124:
	v_lshlrev_b32_e32 v11, 2, v89
	ds_write_b32 v11, v10
.LBB220_125:
	s_or_b64 exec, exec, s[0:1]
	v_cmp_gt_u32_e32 vcc, 8, v0
	s_waitcnt lgkmcnt(0)
	s_barrier
	s_and_saveexec_b64 s[0:1], vcc
	s_cbranch_execz .LBB220_127
; %bb.126:
	v_lshlrev_b32_e32 v11, 2, v0
	ds_read_b32 v12, v11
	v_and_b32_e32 v13, 7, v88
	v_cmp_ne_u32_e32 vcc, 0, v13
	s_waitcnt lgkmcnt(0)
	v_mov_b32_dpp v14, v12 row_shr:1 row_mask:0xf bank_mask:0xf
	v_cndmask_b32_e32 v14, 0, v14, vcc
	v_add_u32_e32 v12, v14, v12
	v_cmp_lt_u32_e32 vcc, 1, v13
	s_nop 0
	v_mov_b32_dpp v14, v12 row_shr:2 row_mask:0xf bank_mask:0xf
	v_cndmask_b32_e32 v14, 0, v14, vcc
	v_add_u32_e32 v12, v12, v14
	v_cmp_lt_u32_e32 vcc, 3, v13
	s_nop 0
	v_mov_b32_dpp v14, v12 row_shr:4 row_mask:0xf bank_mask:0xf
	v_cndmask_b32_e32 v13, 0, v14, vcc
	v_add_u32_e32 v12, v12, v13
	ds_write_b32 v11, v12
.LBB220_127:
	s_or_b64 exec, exec, s[0:1]
	v_cmp_lt_u32_e32 vcc, 63, v0
	v_mov_b32_e32 v12, 0
	v_mov_b32_e32 v11, 0
	s_waitcnt lgkmcnt(0)
	s_barrier
	s_and_saveexec_b64 s[0:1], vcc
	s_cbranch_execz .LBB220_129
; %bb.128:
	v_lshl_add_u32 v11, v89, 2, -4
	ds_read_b32 v11, v11
.LBB220_129:
	s_or_b64 exec, exec, s[0:1]
	v_add_u32_e32 v13, -1, v88
	v_and_b32_e32 v14, 64, v88
	v_cmp_lt_i32_e32 vcc, v13, v14
	s_waitcnt lgkmcnt(0)
	v_add_u32_e32 v10, v11, v10
	ds_read_b32 v16, v12 offset:28
	v_cndmask_b32_e32 v13, v13, v88, vcc
	v_lshlrev_b32_e32 v13, 2, v13
	ds_bpermute_b32 v10, v13, v10
	v_cmp_eq_u32_e32 vcc, 0, v0
	s_and_saveexec_b64 s[0:1], vcc
	s_cbranch_execz .LBB220_131
; %bb.130:
	v_mov_b32_e32 v12, 0
	v_mov_b32_e32 v17, 2
	s_waitcnt lgkmcnt(1)
	global_store_dwordx2 v12, v[16:17], s[28:29] offset:512 sc1
.LBB220_131:
	s_or_b64 exec, exec, s[0:1]
	v_cmp_eq_u32_e64 s[0:1], 0, v88
	v_mov_b32_e32 v18, 0
	s_waitcnt lgkmcnt(0)
	v_cndmask_b32_e64 v10, v10, v11, s[0:1]
	v_cndmask_b32_e64 v96, v10, 0, vcc
	s_barrier
.LBB220_132:
	v_add_u32_e32 v99, v96, v76
	v_add_u32_e32 v98, v99, v77
	;; [unrolled: 1-line block ×29, first 2 shown]
	s_movk_i32 s0, 0x201
	s_waitcnt vmcnt(0)
	v_add_u32_e32 v11, v12, v117
	v_cmp_gt_u32_e32 vcc, s0, v16
	v_add_u32_sdwa v10, v11, v36 dst_sel:DWORD dst_unused:UNUSED_PAD src0_sel:DWORD src1_sel:BYTE_0
	s_mov_b64 s[0:1], -1
	s_cbranch_vccnz .LBB220_136
; %bb.133:
	s_and_b64 vcc, exec, s[0:1]
	s_cbranch_vccnz .LBB220_233
.LBB220_134:
	v_cmp_eq_u32_e32 vcc, 0, v0
	s_and_b64 s[0:1], vcc, s[24:25]
	s_waitcnt lgkmcnt(0)
	s_and_saveexec_b64 s[2:3], s[0:1]
	s_cbranch_execnz .LBB220_310
.LBB220_135:
	s_endpgm
.LBB220_136:
	v_add_u32_e32 v100, v18, v16
	v_cmp_lt_u32_e32 vcc, v96, v100
	s_or_b64 s[4:5], s[26:27], vcc
	s_and_saveexec_b64 s[0:1], s[4:5]
	s_cbranch_execz .LBB220_139
; %bb.137:
	v_and_b32_e32 v101, 1, v75
	v_cmp_eq_u32_e32 vcc, 1, v101
	s_and_b64 exec, exec, vcc
	s_cbranch_execz .LBB220_139
; %bb.138:
	s_waitcnt lgkmcnt(0)
	s_add_u32 s4, s2, s22
	s_addc_u32 s5, s3, s23
	global_store_byte v96, v8, s[4:5]
.LBB220_139:
	s_or_b64 exec, exec, s[0:1]
	v_cmp_lt_u32_e32 vcc, v99, v100
	s_or_b64 s[4:5], s[26:27], vcc
	s_and_saveexec_b64 s[0:1], s[4:5]
	s_cbranch_execz .LBB220_142
; %bb.140:
	v_and_b32_e32 v101, 1, v74
	v_cmp_eq_u32_e32 vcc, 1, v101
	s_and_b64 exec, exec, vcc
	s_cbranch_execz .LBB220_142
; %bb.141:
	s_waitcnt lgkmcnt(0)
	s_add_u32 s4, s2, s22
	s_addc_u32 s5, s3, s23
	global_store_byte v99, v50, s[4:5]
.LBB220_142:
	s_or_b64 exec, exec, s[0:1]
	;; [unrolled: 16-line block ×32, first 2 shown]
	s_branch .LBB220_134
.LBB220_233:
	v_and_b32_e32 v75, 1, v75
	v_cmp_eq_u32_e32 vcc, 1, v75
	s_and_saveexec_b64 s[0:1], vcc
	s_cbranch_execz .LBB220_235
; %bb.234:
	v_sub_u32_e32 v75, v96, v18
	ds_write_b8 v75, v8
.LBB220_235:
	s_or_b64 exec, exec, s[0:1]
	v_and_b32_e32 v8, 1, v74
	v_cmp_eq_u32_e32 vcc, 1, v8
	s_and_saveexec_b64 s[0:1], vcc
	s_cbranch_execz .LBB220_237
; %bb.236:
	v_sub_u32_e32 v8, v99, v18
	ds_write_b8 v8, v50
.LBB220_237:
	s_or_b64 exec, exec, s[0:1]
	;; [unrolled: 9-line block ×32, first 2 shown]
	v_cmp_lt_u32_e32 vcc, v0, v16
	s_waitcnt lgkmcnt(0)
	s_barrier
	s_and_saveexec_b64 s[0:1], vcc
	s_cbranch_execz .LBB220_309
; %bb.298:
	v_mov_b32_e32 v19, 0
	v_lshl_add_u64 v[2:3], s[2:3], 0, v[18:19]
	v_xad_u32 v1, v0, -1, v16
	s_movk_i32 s2, 0xdff
	v_lshl_add_u64 v[20:21], v[2:3], 0, s[22:23]
	v_cmp_lt_u32_e32 vcc, s2, v1
	s_mov_b64 s[4:5], -1
	s_and_saveexec_b64 s[2:3], vcc
	s_cbranch_execz .LBB220_306
; %bb.299:
	v_lshrrev_b32_e32 v17, 9, v1
	v_or_b32_e32 v7, 0xe00, v0
	v_or_b32_e32 v6, 0xc00, v0
	;; [unrolled: 1-line block ×7, first 2 shown]
	v_add_u32_e32 v24, -7, v17
	v_mov_b64_e32 v[14:15], v[6:7]
	v_cmp_lt_u32_e32 vcc, 7, v24
	v_mov_b64_e32 v[12:13], v[4:5]
	v_mov_b64_e32 v[10:11], v[2:3]
	;; [unrolled: 1-line block ×3, first 2 shown]
	s_and_saveexec_b64 s[4:5], vcc
	s_cbranch_execz .LBB220_303
; %bb.300:
	v_lshrrev_b32_e32 v8, 3, v24
	v_add_u32_e32 v8, 1, v8
	v_and_b32_e32 v19, 0x3ffffffe, v8
	v_mov_b64_e32 v[14:15], v[6:7]
	s_mov_b32 s8, 0
	s_mov_b64 s[6:7], 0
	v_mov_b32_e32 v23, 0
	v_mov_b32_e32 v25, v0
	v_mov_b64_e32 v[12:13], v[4:5]
	v_mov_b64_e32 v[10:11], v[2:3]
	v_mov_b64_e32 v[8:9], v[0:1]
.LBB220_301:                            ; =>This Inner Loop Header: Depth=1
	v_mov_b32_e32 v22, v8
	v_lshl_add_u64 v[34:35], v[20:21], 0, v[22:23]
	v_mov_b32_e32 v22, v9
	v_lshl_add_u64 v[36:37], v[20:21], 0, v[22:23]
	;; [unrolled: 2-line block ×3, first 2 shown]
	v_mov_b32_e32 v22, v11
	ds_read_u8 v44, v25
	ds_read_u8 v45, v25 offset:512
	ds_read_u8 v46, v25 offset:1024
	;; [unrolled: 1-line block ×7, first 2 shown]
	v_lshl_add_u64 v[40:41], v[20:21], 0, v[22:23]
	v_mov_b32_e32 v22, v12
	ds_read_u8 v52, v25 offset:4096
	ds_read_u8 v53, v25 offset:4608
	;; [unrolled: 1-line block ×8, first 2 shown]
	v_lshl_add_u64 v[42:43], v[20:21], 0, v[22:23]
	v_mov_b32_e32 v22, v13
	s_waitcnt lgkmcnt(14)
	global_store_byte v[34:35], v44, off
	global_store_byte v[36:37], v45, off
	s_waitcnt lgkmcnt(13)
	global_store_byte v[38:39], v46, off
	s_waitcnt lgkmcnt(12)
	global_store_byte v[40:41], v47, off
	v_lshl_add_u64 v[34:35], v[20:21], 0, v[22:23]
	v_mov_b32_e32 v22, v14
	v_add_u32_e32 v19, -2, v19
	v_lshl_add_u64 v[36:37], v[20:21], 0, v[22:23]
	v_mov_b32_e32 v22, v15
	s_add_i32 s8, s8, 16
	v_cmp_eq_u32_e32 vcc, 0, v19
	s_waitcnt lgkmcnt(11)
	global_store_byte v[42:43], v48, off
	s_waitcnt lgkmcnt(10)
	global_store_byte v[34:35], v49, off
	v_lshl_add_u64 v[34:35], v[20:21], 0, v[22:23]
	v_add_u32_e32 v22, 0x1000, v8
	v_add_u32_e32 v2, 0x1000, v15
	;; [unrolled: 1-line block ×8, first 2 shown]
	v_mov_b32_e32 v33, v23
	v_mov_b32_e32 v31, v23
	;; [unrolled: 1-line block ×7, first 2 shown]
	v_add_u32_e32 v25, 0x2000, v25
	v_add_u32_e32 v9, 0x2000, v9
	v_mov_b32_e32 v1, s8
	v_add_u32_e32 v10, 0x2000, v10
	s_or_b64 s[6:7], vcc, s[6:7]
	v_add_u32_e32 v11, 0x2000, v11
	v_add_u32_e32 v12, 0x2000, v12
	;; [unrolled: 1-line block ×5, first 2 shown]
	s_waitcnt lgkmcnt(9)
	global_store_byte v[36:37], v50, off
	v_add_u32_e32 v8, 0x2000, v8
	s_waitcnt lgkmcnt(8)
	global_store_byte v[34:35], v51, off
	v_lshl_add_u64 v[34:35], v[20:21], 0, v[22:23]
	v_lshl_add_u64 v[32:33], v[20:21], 0, v[32:33]
	;; [unrolled: 1-line block ×8, first 2 shown]
	s_waitcnt lgkmcnt(7)
	global_store_byte v[34:35], v52, off
	s_waitcnt lgkmcnt(6)
	global_store_byte v[32:33], v53, off
	;; [unrolled: 2-line block ×8, first 2 shown]
	s_andn2_b64 exec, exec, s[6:7]
	s_cbranch_execnz .LBB220_301
; %bb.302:
	s_or_b64 exec, exec, s[6:7]
	v_lshlrev_b32_e32 v19, 9, v1
.LBB220_303:
	s_or_b64 exec, exec, s[4:5]
	v_and_b32_e32 v1, 8, v24
	v_cmp_eq_u32_e32 vcc, 0, v1
	s_and_saveexec_b64 s[4:5], vcc
	s_cbranch_execz .LBB220_305
; %bb.304:
	v_mov_b32_e32 v3, 0
	v_mov_b32_e32 v2, v8
	v_lshl_add_u64 v[4:5], v[20:21], 0, v[2:3]
	v_mov_b32_e32 v2, v9
	v_or_b32_e32 v1, v0, v19
	v_lshl_add_u64 v[6:7], v[20:21], 0, v[2:3]
	v_mov_b32_e32 v2, v10
	ds_read_u8 v19, v1
	ds_read_u8 v26, v1 offset:512
	ds_read_u8 v27, v1 offset:1024
	;; [unrolled: 1-line block ×7, first 2 shown]
	v_lshl_add_u64 v[8:9], v[20:21], 0, v[2:3]
	v_mov_b32_e32 v2, v11
	v_lshl_add_u64 v[10:11], v[20:21], 0, v[2:3]
	v_mov_b32_e32 v2, v12
	;; [unrolled: 2-line block ×5, first 2 shown]
	v_lshl_add_u64 v[2:3], v[20:21], 0, v[2:3]
	s_waitcnt lgkmcnt(7)
	global_store_byte v[4:5], v19, off
	s_waitcnt lgkmcnt(6)
	global_store_byte v[6:7], v26, off
	;; [unrolled: 2-line block ×8, first 2 shown]
.LBB220_305:
	s_or_b64 exec, exec, s[4:5]
	v_add_u32_e32 v1, 1, v17
	v_and_b32_e32 v2, 0xfffff8, v1
	v_cmp_ne_u32_e32 vcc, v1, v2
	v_lshl_or_b32 v22, v2, 9, v0
	s_orn2_b64 s[4:5], vcc, exec
.LBB220_306:
	s_or_b64 exec, exec, s[2:3]
	s_and_b64 exec, exec, s[4:5]
	s_cbranch_execz .LBB220_309
; %bb.307:
	s_mov_b64 s[2:3], 0
.LBB220_308:                            ; =>This Inner Loop Header: Depth=1
	ds_read_u8 v1, v22
	v_readfirstlane_b32 s4, v20
	v_readfirstlane_b32 s5, v21
	s_waitcnt lgkmcnt(0)
	s_nop 3
	global_store_byte v22, v1, s[4:5]
	v_add_u32_e32 v22, 0x200, v22
	v_cmp_ge_u32_e32 vcc, v22, v16
	s_or_b64 s[2:3], vcc, s[2:3]
	s_andn2_b64 exec, exec, s[2:3]
	s_cbranch_execnz .LBB220_308
.LBB220_309:
	s_or_b64 exec, exec, s[0:1]
	v_cmp_eq_u32_e32 vcc, 0, v0
	s_and_b64 s[0:1], vcc, s[24:25]
	s_and_saveexec_b64 s[2:3], s[0:1]
	s_cbranch_execz .LBB220_135
.LBB220_310:
	v_mov_b32_e32 v17, 0
	v_lshl_add_u64 v[0:1], s[22:23], 0, v[16:17]
	v_mov_b32_e32 v19, v17
	v_lshl_add_u64 v[0:1], v[0:1], 0, v[18:19]
	global_store_dwordx2 v17, v[0:1], s[20:21]
	s_endpgm
.LBB220_311:
	s_or_b64 exec, exec, s[10:11]
	v_mov_b32_e32 v75, s12
	s_and_saveexec_b64 s[10:11], s[8:9]
	s_cbranch_execnz .LBB220_88
	s_branch .LBB220_89
	.section	.rodata,"a",@progbits
	.p2align	6, 0x0
	.amdhsa_kernel _ZN7rocprim17ROCPRIM_400000_NS6detail17trampoline_kernelINS0_14default_configENS1_25partition_config_selectorILNS1_17partition_subalgoE8EaNS0_10empty_typeEbEEZZNS1_14partition_implILS5_8ELb0ES3_jPKaPS6_PKS6_NS0_5tupleIJPaS6_EEENSE_IJSB_SB_EEENS0_18inequality_wrapperIN6hipcub16HIPCUB_304000_NS8EqualityEEEPlJS6_EEE10hipError_tPvRmT3_T4_T5_T6_T7_T9_mT8_P12ihipStream_tbDpT10_ENKUlT_T0_E_clISt17integral_constantIbLb1EES16_IbLb0EEEEDaS12_S13_EUlS12_E_NS1_11comp_targetILNS1_3genE5ELNS1_11target_archE942ELNS1_3gpuE9ELNS1_3repE0EEENS1_30default_config_static_selectorELNS0_4arch9wavefront6targetE1EEEvT1_
		.amdhsa_group_segment_fixed_size 16904
		.amdhsa_private_segment_fixed_size 0
		.amdhsa_kernarg_size 112
		.amdhsa_user_sgpr_count 2
		.amdhsa_user_sgpr_dispatch_ptr 0
		.amdhsa_user_sgpr_queue_ptr 0
		.amdhsa_user_sgpr_kernarg_segment_ptr 1
		.amdhsa_user_sgpr_dispatch_id 0
		.amdhsa_user_sgpr_kernarg_preload_length 0
		.amdhsa_user_sgpr_kernarg_preload_offset 0
		.amdhsa_user_sgpr_private_segment_size 0
		.amdhsa_uses_dynamic_stack 0
		.amdhsa_enable_private_segment 0
		.amdhsa_system_sgpr_workgroup_id_x 1
		.amdhsa_system_sgpr_workgroup_id_y 0
		.amdhsa_system_sgpr_workgroup_id_z 0
		.amdhsa_system_sgpr_workgroup_info 0
		.amdhsa_system_vgpr_workitem_id 0
		.amdhsa_next_free_vgpr 125
		.amdhsa_next_free_sgpr 54
		.amdhsa_accum_offset 128
		.amdhsa_reserve_vcc 1
		.amdhsa_float_round_mode_32 0
		.amdhsa_float_round_mode_16_64 0
		.amdhsa_float_denorm_mode_32 3
		.amdhsa_float_denorm_mode_16_64 3
		.amdhsa_dx10_clamp 1
		.amdhsa_ieee_mode 1
		.amdhsa_fp16_overflow 0
		.amdhsa_tg_split 0
		.amdhsa_exception_fp_ieee_invalid_op 0
		.amdhsa_exception_fp_denorm_src 0
		.amdhsa_exception_fp_ieee_div_zero 0
		.amdhsa_exception_fp_ieee_overflow 0
		.amdhsa_exception_fp_ieee_underflow 0
		.amdhsa_exception_fp_ieee_inexact 0
		.amdhsa_exception_int_div_zero 0
	.end_amdhsa_kernel
	.section	.text._ZN7rocprim17ROCPRIM_400000_NS6detail17trampoline_kernelINS0_14default_configENS1_25partition_config_selectorILNS1_17partition_subalgoE8EaNS0_10empty_typeEbEEZZNS1_14partition_implILS5_8ELb0ES3_jPKaPS6_PKS6_NS0_5tupleIJPaS6_EEENSE_IJSB_SB_EEENS0_18inequality_wrapperIN6hipcub16HIPCUB_304000_NS8EqualityEEEPlJS6_EEE10hipError_tPvRmT3_T4_T5_T6_T7_T9_mT8_P12ihipStream_tbDpT10_ENKUlT_T0_E_clISt17integral_constantIbLb1EES16_IbLb0EEEEDaS12_S13_EUlS12_E_NS1_11comp_targetILNS1_3genE5ELNS1_11target_archE942ELNS1_3gpuE9ELNS1_3repE0EEENS1_30default_config_static_selectorELNS0_4arch9wavefront6targetE1EEEvT1_,"axG",@progbits,_ZN7rocprim17ROCPRIM_400000_NS6detail17trampoline_kernelINS0_14default_configENS1_25partition_config_selectorILNS1_17partition_subalgoE8EaNS0_10empty_typeEbEEZZNS1_14partition_implILS5_8ELb0ES3_jPKaPS6_PKS6_NS0_5tupleIJPaS6_EEENSE_IJSB_SB_EEENS0_18inequality_wrapperIN6hipcub16HIPCUB_304000_NS8EqualityEEEPlJS6_EEE10hipError_tPvRmT3_T4_T5_T6_T7_T9_mT8_P12ihipStream_tbDpT10_ENKUlT_T0_E_clISt17integral_constantIbLb1EES16_IbLb0EEEEDaS12_S13_EUlS12_E_NS1_11comp_targetILNS1_3genE5ELNS1_11target_archE942ELNS1_3gpuE9ELNS1_3repE0EEENS1_30default_config_static_selectorELNS0_4arch9wavefront6targetE1EEEvT1_,comdat
.Lfunc_end220:
	.size	_ZN7rocprim17ROCPRIM_400000_NS6detail17trampoline_kernelINS0_14default_configENS1_25partition_config_selectorILNS1_17partition_subalgoE8EaNS0_10empty_typeEbEEZZNS1_14partition_implILS5_8ELb0ES3_jPKaPS6_PKS6_NS0_5tupleIJPaS6_EEENSE_IJSB_SB_EEENS0_18inequality_wrapperIN6hipcub16HIPCUB_304000_NS8EqualityEEEPlJS6_EEE10hipError_tPvRmT3_T4_T5_T6_T7_T9_mT8_P12ihipStream_tbDpT10_ENKUlT_T0_E_clISt17integral_constantIbLb1EES16_IbLb0EEEEDaS12_S13_EUlS12_E_NS1_11comp_targetILNS1_3genE5ELNS1_11target_archE942ELNS1_3gpuE9ELNS1_3repE0EEENS1_30default_config_static_selectorELNS0_4arch9wavefront6targetE1EEEvT1_, .Lfunc_end220-_ZN7rocprim17ROCPRIM_400000_NS6detail17trampoline_kernelINS0_14default_configENS1_25partition_config_selectorILNS1_17partition_subalgoE8EaNS0_10empty_typeEbEEZZNS1_14partition_implILS5_8ELb0ES3_jPKaPS6_PKS6_NS0_5tupleIJPaS6_EEENSE_IJSB_SB_EEENS0_18inequality_wrapperIN6hipcub16HIPCUB_304000_NS8EqualityEEEPlJS6_EEE10hipError_tPvRmT3_T4_T5_T6_T7_T9_mT8_P12ihipStream_tbDpT10_ENKUlT_T0_E_clISt17integral_constantIbLb1EES16_IbLb0EEEEDaS12_S13_EUlS12_E_NS1_11comp_targetILNS1_3genE5ELNS1_11target_archE942ELNS1_3gpuE9ELNS1_3repE0EEENS1_30default_config_static_selectorELNS0_4arch9wavefront6targetE1EEEvT1_
                                        ; -- End function
	.section	.AMDGPU.csdata,"",@progbits
; Kernel info:
; codeLenInByte = 14156
; NumSgprs: 60
; NumVgprs: 125
; NumAgprs: 0
; TotalNumVgprs: 125
; ScratchSize: 0
; MemoryBound: 0
; FloatMode: 240
; IeeeMode: 1
; LDSByteSize: 16904 bytes/workgroup (compile time only)
; SGPRBlocks: 7
; VGPRBlocks: 15
; NumSGPRsForWavesPerEU: 60
; NumVGPRsForWavesPerEU: 125
; AccumOffset: 128
; Occupancy: 4
; WaveLimiterHint : 1
; COMPUTE_PGM_RSRC2:SCRATCH_EN: 0
; COMPUTE_PGM_RSRC2:USER_SGPR: 2
; COMPUTE_PGM_RSRC2:TRAP_HANDLER: 0
; COMPUTE_PGM_RSRC2:TGID_X_EN: 1
; COMPUTE_PGM_RSRC2:TGID_Y_EN: 0
; COMPUTE_PGM_RSRC2:TGID_Z_EN: 0
; COMPUTE_PGM_RSRC2:TIDIG_COMP_CNT: 0
; COMPUTE_PGM_RSRC3_GFX90A:ACCUM_OFFSET: 31
; COMPUTE_PGM_RSRC3_GFX90A:TG_SPLIT: 0
	.section	.text._ZN7rocprim17ROCPRIM_400000_NS6detail17trampoline_kernelINS0_14default_configENS1_25partition_config_selectorILNS1_17partition_subalgoE8EaNS0_10empty_typeEbEEZZNS1_14partition_implILS5_8ELb0ES3_jPKaPS6_PKS6_NS0_5tupleIJPaS6_EEENSE_IJSB_SB_EEENS0_18inequality_wrapperIN6hipcub16HIPCUB_304000_NS8EqualityEEEPlJS6_EEE10hipError_tPvRmT3_T4_T5_T6_T7_T9_mT8_P12ihipStream_tbDpT10_ENKUlT_T0_E_clISt17integral_constantIbLb1EES16_IbLb0EEEEDaS12_S13_EUlS12_E_NS1_11comp_targetILNS1_3genE4ELNS1_11target_archE910ELNS1_3gpuE8ELNS1_3repE0EEENS1_30default_config_static_selectorELNS0_4arch9wavefront6targetE1EEEvT1_,"axG",@progbits,_ZN7rocprim17ROCPRIM_400000_NS6detail17trampoline_kernelINS0_14default_configENS1_25partition_config_selectorILNS1_17partition_subalgoE8EaNS0_10empty_typeEbEEZZNS1_14partition_implILS5_8ELb0ES3_jPKaPS6_PKS6_NS0_5tupleIJPaS6_EEENSE_IJSB_SB_EEENS0_18inequality_wrapperIN6hipcub16HIPCUB_304000_NS8EqualityEEEPlJS6_EEE10hipError_tPvRmT3_T4_T5_T6_T7_T9_mT8_P12ihipStream_tbDpT10_ENKUlT_T0_E_clISt17integral_constantIbLb1EES16_IbLb0EEEEDaS12_S13_EUlS12_E_NS1_11comp_targetILNS1_3genE4ELNS1_11target_archE910ELNS1_3gpuE8ELNS1_3repE0EEENS1_30default_config_static_selectorELNS0_4arch9wavefront6targetE1EEEvT1_,comdat
	.protected	_ZN7rocprim17ROCPRIM_400000_NS6detail17trampoline_kernelINS0_14default_configENS1_25partition_config_selectorILNS1_17partition_subalgoE8EaNS0_10empty_typeEbEEZZNS1_14partition_implILS5_8ELb0ES3_jPKaPS6_PKS6_NS0_5tupleIJPaS6_EEENSE_IJSB_SB_EEENS0_18inequality_wrapperIN6hipcub16HIPCUB_304000_NS8EqualityEEEPlJS6_EEE10hipError_tPvRmT3_T4_T5_T6_T7_T9_mT8_P12ihipStream_tbDpT10_ENKUlT_T0_E_clISt17integral_constantIbLb1EES16_IbLb0EEEEDaS12_S13_EUlS12_E_NS1_11comp_targetILNS1_3genE4ELNS1_11target_archE910ELNS1_3gpuE8ELNS1_3repE0EEENS1_30default_config_static_selectorELNS0_4arch9wavefront6targetE1EEEvT1_ ; -- Begin function _ZN7rocprim17ROCPRIM_400000_NS6detail17trampoline_kernelINS0_14default_configENS1_25partition_config_selectorILNS1_17partition_subalgoE8EaNS0_10empty_typeEbEEZZNS1_14partition_implILS5_8ELb0ES3_jPKaPS6_PKS6_NS0_5tupleIJPaS6_EEENSE_IJSB_SB_EEENS0_18inequality_wrapperIN6hipcub16HIPCUB_304000_NS8EqualityEEEPlJS6_EEE10hipError_tPvRmT3_T4_T5_T6_T7_T9_mT8_P12ihipStream_tbDpT10_ENKUlT_T0_E_clISt17integral_constantIbLb1EES16_IbLb0EEEEDaS12_S13_EUlS12_E_NS1_11comp_targetILNS1_3genE4ELNS1_11target_archE910ELNS1_3gpuE8ELNS1_3repE0EEENS1_30default_config_static_selectorELNS0_4arch9wavefront6targetE1EEEvT1_
	.globl	_ZN7rocprim17ROCPRIM_400000_NS6detail17trampoline_kernelINS0_14default_configENS1_25partition_config_selectorILNS1_17partition_subalgoE8EaNS0_10empty_typeEbEEZZNS1_14partition_implILS5_8ELb0ES3_jPKaPS6_PKS6_NS0_5tupleIJPaS6_EEENSE_IJSB_SB_EEENS0_18inequality_wrapperIN6hipcub16HIPCUB_304000_NS8EqualityEEEPlJS6_EEE10hipError_tPvRmT3_T4_T5_T6_T7_T9_mT8_P12ihipStream_tbDpT10_ENKUlT_T0_E_clISt17integral_constantIbLb1EES16_IbLb0EEEEDaS12_S13_EUlS12_E_NS1_11comp_targetILNS1_3genE4ELNS1_11target_archE910ELNS1_3gpuE8ELNS1_3repE0EEENS1_30default_config_static_selectorELNS0_4arch9wavefront6targetE1EEEvT1_
	.p2align	8
	.type	_ZN7rocprim17ROCPRIM_400000_NS6detail17trampoline_kernelINS0_14default_configENS1_25partition_config_selectorILNS1_17partition_subalgoE8EaNS0_10empty_typeEbEEZZNS1_14partition_implILS5_8ELb0ES3_jPKaPS6_PKS6_NS0_5tupleIJPaS6_EEENSE_IJSB_SB_EEENS0_18inequality_wrapperIN6hipcub16HIPCUB_304000_NS8EqualityEEEPlJS6_EEE10hipError_tPvRmT3_T4_T5_T6_T7_T9_mT8_P12ihipStream_tbDpT10_ENKUlT_T0_E_clISt17integral_constantIbLb1EES16_IbLb0EEEEDaS12_S13_EUlS12_E_NS1_11comp_targetILNS1_3genE4ELNS1_11target_archE910ELNS1_3gpuE8ELNS1_3repE0EEENS1_30default_config_static_selectorELNS0_4arch9wavefront6targetE1EEEvT1_,@function
_ZN7rocprim17ROCPRIM_400000_NS6detail17trampoline_kernelINS0_14default_configENS1_25partition_config_selectorILNS1_17partition_subalgoE8EaNS0_10empty_typeEbEEZZNS1_14partition_implILS5_8ELb0ES3_jPKaPS6_PKS6_NS0_5tupleIJPaS6_EEENSE_IJSB_SB_EEENS0_18inequality_wrapperIN6hipcub16HIPCUB_304000_NS8EqualityEEEPlJS6_EEE10hipError_tPvRmT3_T4_T5_T6_T7_T9_mT8_P12ihipStream_tbDpT10_ENKUlT_T0_E_clISt17integral_constantIbLb1EES16_IbLb0EEEEDaS12_S13_EUlS12_E_NS1_11comp_targetILNS1_3genE4ELNS1_11target_archE910ELNS1_3gpuE8ELNS1_3repE0EEENS1_30default_config_static_selectorELNS0_4arch9wavefront6targetE1EEEvT1_: ; @_ZN7rocprim17ROCPRIM_400000_NS6detail17trampoline_kernelINS0_14default_configENS1_25partition_config_selectorILNS1_17partition_subalgoE8EaNS0_10empty_typeEbEEZZNS1_14partition_implILS5_8ELb0ES3_jPKaPS6_PKS6_NS0_5tupleIJPaS6_EEENSE_IJSB_SB_EEENS0_18inequality_wrapperIN6hipcub16HIPCUB_304000_NS8EqualityEEEPlJS6_EEE10hipError_tPvRmT3_T4_T5_T6_T7_T9_mT8_P12ihipStream_tbDpT10_ENKUlT_T0_E_clISt17integral_constantIbLb1EES16_IbLb0EEEEDaS12_S13_EUlS12_E_NS1_11comp_targetILNS1_3genE4ELNS1_11target_archE910ELNS1_3gpuE8ELNS1_3repE0EEENS1_30default_config_static_selectorELNS0_4arch9wavefront6targetE1EEEvT1_
; %bb.0:
	.section	.rodata,"a",@progbits
	.p2align	6, 0x0
	.amdhsa_kernel _ZN7rocprim17ROCPRIM_400000_NS6detail17trampoline_kernelINS0_14default_configENS1_25partition_config_selectorILNS1_17partition_subalgoE8EaNS0_10empty_typeEbEEZZNS1_14partition_implILS5_8ELb0ES3_jPKaPS6_PKS6_NS0_5tupleIJPaS6_EEENSE_IJSB_SB_EEENS0_18inequality_wrapperIN6hipcub16HIPCUB_304000_NS8EqualityEEEPlJS6_EEE10hipError_tPvRmT3_T4_T5_T6_T7_T9_mT8_P12ihipStream_tbDpT10_ENKUlT_T0_E_clISt17integral_constantIbLb1EES16_IbLb0EEEEDaS12_S13_EUlS12_E_NS1_11comp_targetILNS1_3genE4ELNS1_11target_archE910ELNS1_3gpuE8ELNS1_3repE0EEENS1_30default_config_static_selectorELNS0_4arch9wavefront6targetE1EEEvT1_
		.amdhsa_group_segment_fixed_size 0
		.amdhsa_private_segment_fixed_size 0
		.amdhsa_kernarg_size 112
		.amdhsa_user_sgpr_count 2
		.amdhsa_user_sgpr_dispatch_ptr 0
		.amdhsa_user_sgpr_queue_ptr 0
		.amdhsa_user_sgpr_kernarg_segment_ptr 1
		.amdhsa_user_sgpr_dispatch_id 0
		.amdhsa_user_sgpr_kernarg_preload_length 0
		.amdhsa_user_sgpr_kernarg_preload_offset 0
		.amdhsa_user_sgpr_private_segment_size 0
		.amdhsa_uses_dynamic_stack 0
		.amdhsa_enable_private_segment 0
		.amdhsa_system_sgpr_workgroup_id_x 1
		.amdhsa_system_sgpr_workgroup_id_y 0
		.amdhsa_system_sgpr_workgroup_id_z 0
		.amdhsa_system_sgpr_workgroup_info 0
		.amdhsa_system_vgpr_workitem_id 0
		.amdhsa_next_free_vgpr 1
		.amdhsa_next_free_sgpr 0
		.amdhsa_accum_offset 4
		.amdhsa_reserve_vcc 0
		.amdhsa_float_round_mode_32 0
		.amdhsa_float_round_mode_16_64 0
		.amdhsa_float_denorm_mode_32 3
		.amdhsa_float_denorm_mode_16_64 3
		.amdhsa_dx10_clamp 1
		.amdhsa_ieee_mode 1
		.amdhsa_fp16_overflow 0
		.amdhsa_tg_split 0
		.amdhsa_exception_fp_ieee_invalid_op 0
		.amdhsa_exception_fp_denorm_src 0
		.amdhsa_exception_fp_ieee_div_zero 0
		.amdhsa_exception_fp_ieee_overflow 0
		.amdhsa_exception_fp_ieee_underflow 0
		.amdhsa_exception_fp_ieee_inexact 0
		.amdhsa_exception_int_div_zero 0
	.end_amdhsa_kernel
	.section	.text._ZN7rocprim17ROCPRIM_400000_NS6detail17trampoline_kernelINS0_14default_configENS1_25partition_config_selectorILNS1_17partition_subalgoE8EaNS0_10empty_typeEbEEZZNS1_14partition_implILS5_8ELb0ES3_jPKaPS6_PKS6_NS0_5tupleIJPaS6_EEENSE_IJSB_SB_EEENS0_18inequality_wrapperIN6hipcub16HIPCUB_304000_NS8EqualityEEEPlJS6_EEE10hipError_tPvRmT3_T4_T5_T6_T7_T9_mT8_P12ihipStream_tbDpT10_ENKUlT_T0_E_clISt17integral_constantIbLb1EES16_IbLb0EEEEDaS12_S13_EUlS12_E_NS1_11comp_targetILNS1_3genE4ELNS1_11target_archE910ELNS1_3gpuE8ELNS1_3repE0EEENS1_30default_config_static_selectorELNS0_4arch9wavefront6targetE1EEEvT1_,"axG",@progbits,_ZN7rocprim17ROCPRIM_400000_NS6detail17trampoline_kernelINS0_14default_configENS1_25partition_config_selectorILNS1_17partition_subalgoE8EaNS0_10empty_typeEbEEZZNS1_14partition_implILS5_8ELb0ES3_jPKaPS6_PKS6_NS0_5tupleIJPaS6_EEENSE_IJSB_SB_EEENS0_18inequality_wrapperIN6hipcub16HIPCUB_304000_NS8EqualityEEEPlJS6_EEE10hipError_tPvRmT3_T4_T5_T6_T7_T9_mT8_P12ihipStream_tbDpT10_ENKUlT_T0_E_clISt17integral_constantIbLb1EES16_IbLb0EEEEDaS12_S13_EUlS12_E_NS1_11comp_targetILNS1_3genE4ELNS1_11target_archE910ELNS1_3gpuE8ELNS1_3repE0EEENS1_30default_config_static_selectorELNS0_4arch9wavefront6targetE1EEEvT1_,comdat
.Lfunc_end221:
	.size	_ZN7rocprim17ROCPRIM_400000_NS6detail17trampoline_kernelINS0_14default_configENS1_25partition_config_selectorILNS1_17partition_subalgoE8EaNS0_10empty_typeEbEEZZNS1_14partition_implILS5_8ELb0ES3_jPKaPS6_PKS6_NS0_5tupleIJPaS6_EEENSE_IJSB_SB_EEENS0_18inequality_wrapperIN6hipcub16HIPCUB_304000_NS8EqualityEEEPlJS6_EEE10hipError_tPvRmT3_T4_T5_T6_T7_T9_mT8_P12ihipStream_tbDpT10_ENKUlT_T0_E_clISt17integral_constantIbLb1EES16_IbLb0EEEEDaS12_S13_EUlS12_E_NS1_11comp_targetILNS1_3genE4ELNS1_11target_archE910ELNS1_3gpuE8ELNS1_3repE0EEENS1_30default_config_static_selectorELNS0_4arch9wavefront6targetE1EEEvT1_, .Lfunc_end221-_ZN7rocprim17ROCPRIM_400000_NS6detail17trampoline_kernelINS0_14default_configENS1_25partition_config_selectorILNS1_17partition_subalgoE8EaNS0_10empty_typeEbEEZZNS1_14partition_implILS5_8ELb0ES3_jPKaPS6_PKS6_NS0_5tupleIJPaS6_EEENSE_IJSB_SB_EEENS0_18inequality_wrapperIN6hipcub16HIPCUB_304000_NS8EqualityEEEPlJS6_EEE10hipError_tPvRmT3_T4_T5_T6_T7_T9_mT8_P12ihipStream_tbDpT10_ENKUlT_T0_E_clISt17integral_constantIbLb1EES16_IbLb0EEEEDaS12_S13_EUlS12_E_NS1_11comp_targetILNS1_3genE4ELNS1_11target_archE910ELNS1_3gpuE8ELNS1_3repE0EEENS1_30default_config_static_selectorELNS0_4arch9wavefront6targetE1EEEvT1_
                                        ; -- End function
	.section	.AMDGPU.csdata,"",@progbits
; Kernel info:
; codeLenInByte = 0
; NumSgprs: 6
; NumVgprs: 0
; NumAgprs: 0
; TotalNumVgprs: 0
; ScratchSize: 0
; MemoryBound: 0
; FloatMode: 240
; IeeeMode: 1
; LDSByteSize: 0 bytes/workgroup (compile time only)
; SGPRBlocks: 0
; VGPRBlocks: 0
; NumSGPRsForWavesPerEU: 6
; NumVGPRsForWavesPerEU: 1
; AccumOffset: 4
; Occupancy: 8
; WaveLimiterHint : 0
; COMPUTE_PGM_RSRC2:SCRATCH_EN: 0
; COMPUTE_PGM_RSRC2:USER_SGPR: 2
; COMPUTE_PGM_RSRC2:TRAP_HANDLER: 0
; COMPUTE_PGM_RSRC2:TGID_X_EN: 1
; COMPUTE_PGM_RSRC2:TGID_Y_EN: 0
; COMPUTE_PGM_RSRC2:TGID_Z_EN: 0
; COMPUTE_PGM_RSRC2:TIDIG_COMP_CNT: 0
; COMPUTE_PGM_RSRC3_GFX90A:ACCUM_OFFSET: 0
; COMPUTE_PGM_RSRC3_GFX90A:TG_SPLIT: 0
	.section	.text._ZN7rocprim17ROCPRIM_400000_NS6detail17trampoline_kernelINS0_14default_configENS1_25partition_config_selectorILNS1_17partition_subalgoE8EaNS0_10empty_typeEbEEZZNS1_14partition_implILS5_8ELb0ES3_jPKaPS6_PKS6_NS0_5tupleIJPaS6_EEENSE_IJSB_SB_EEENS0_18inequality_wrapperIN6hipcub16HIPCUB_304000_NS8EqualityEEEPlJS6_EEE10hipError_tPvRmT3_T4_T5_T6_T7_T9_mT8_P12ihipStream_tbDpT10_ENKUlT_T0_E_clISt17integral_constantIbLb1EES16_IbLb0EEEEDaS12_S13_EUlS12_E_NS1_11comp_targetILNS1_3genE3ELNS1_11target_archE908ELNS1_3gpuE7ELNS1_3repE0EEENS1_30default_config_static_selectorELNS0_4arch9wavefront6targetE1EEEvT1_,"axG",@progbits,_ZN7rocprim17ROCPRIM_400000_NS6detail17trampoline_kernelINS0_14default_configENS1_25partition_config_selectorILNS1_17partition_subalgoE8EaNS0_10empty_typeEbEEZZNS1_14partition_implILS5_8ELb0ES3_jPKaPS6_PKS6_NS0_5tupleIJPaS6_EEENSE_IJSB_SB_EEENS0_18inequality_wrapperIN6hipcub16HIPCUB_304000_NS8EqualityEEEPlJS6_EEE10hipError_tPvRmT3_T4_T5_T6_T7_T9_mT8_P12ihipStream_tbDpT10_ENKUlT_T0_E_clISt17integral_constantIbLb1EES16_IbLb0EEEEDaS12_S13_EUlS12_E_NS1_11comp_targetILNS1_3genE3ELNS1_11target_archE908ELNS1_3gpuE7ELNS1_3repE0EEENS1_30default_config_static_selectorELNS0_4arch9wavefront6targetE1EEEvT1_,comdat
	.protected	_ZN7rocprim17ROCPRIM_400000_NS6detail17trampoline_kernelINS0_14default_configENS1_25partition_config_selectorILNS1_17partition_subalgoE8EaNS0_10empty_typeEbEEZZNS1_14partition_implILS5_8ELb0ES3_jPKaPS6_PKS6_NS0_5tupleIJPaS6_EEENSE_IJSB_SB_EEENS0_18inequality_wrapperIN6hipcub16HIPCUB_304000_NS8EqualityEEEPlJS6_EEE10hipError_tPvRmT3_T4_T5_T6_T7_T9_mT8_P12ihipStream_tbDpT10_ENKUlT_T0_E_clISt17integral_constantIbLb1EES16_IbLb0EEEEDaS12_S13_EUlS12_E_NS1_11comp_targetILNS1_3genE3ELNS1_11target_archE908ELNS1_3gpuE7ELNS1_3repE0EEENS1_30default_config_static_selectorELNS0_4arch9wavefront6targetE1EEEvT1_ ; -- Begin function _ZN7rocprim17ROCPRIM_400000_NS6detail17trampoline_kernelINS0_14default_configENS1_25partition_config_selectorILNS1_17partition_subalgoE8EaNS0_10empty_typeEbEEZZNS1_14partition_implILS5_8ELb0ES3_jPKaPS6_PKS6_NS0_5tupleIJPaS6_EEENSE_IJSB_SB_EEENS0_18inequality_wrapperIN6hipcub16HIPCUB_304000_NS8EqualityEEEPlJS6_EEE10hipError_tPvRmT3_T4_T5_T6_T7_T9_mT8_P12ihipStream_tbDpT10_ENKUlT_T0_E_clISt17integral_constantIbLb1EES16_IbLb0EEEEDaS12_S13_EUlS12_E_NS1_11comp_targetILNS1_3genE3ELNS1_11target_archE908ELNS1_3gpuE7ELNS1_3repE0EEENS1_30default_config_static_selectorELNS0_4arch9wavefront6targetE1EEEvT1_
	.globl	_ZN7rocprim17ROCPRIM_400000_NS6detail17trampoline_kernelINS0_14default_configENS1_25partition_config_selectorILNS1_17partition_subalgoE8EaNS0_10empty_typeEbEEZZNS1_14partition_implILS5_8ELb0ES3_jPKaPS6_PKS6_NS0_5tupleIJPaS6_EEENSE_IJSB_SB_EEENS0_18inequality_wrapperIN6hipcub16HIPCUB_304000_NS8EqualityEEEPlJS6_EEE10hipError_tPvRmT3_T4_T5_T6_T7_T9_mT8_P12ihipStream_tbDpT10_ENKUlT_T0_E_clISt17integral_constantIbLb1EES16_IbLb0EEEEDaS12_S13_EUlS12_E_NS1_11comp_targetILNS1_3genE3ELNS1_11target_archE908ELNS1_3gpuE7ELNS1_3repE0EEENS1_30default_config_static_selectorELNS0_4arch9wavefront6targetE1EEEvT1_
	.p2align	8
	.type	_ZN7rocprim17ROCPRIM_400000_NS6detail17trampoline_kernelINS0_14default_configENS1_25partition_config_selectorILNS1_17partition_subalgoE8EaNS0_10empty_typeEbEEZZNS1_14partition_implILS5_8ELb0ES3_jPKaPS6_PKS6_NS0_5tupleIJPaS6_EEENSE_IJSB_SB_EEENS0_18inequality_wrapperIN6hipcub16HIPCUB_304000_NS8EqualityEEEPlJS6_EEE10hipError_tPvRmT3_T4_T5_T6_T7_T9_mT8_P12ihipStream_tbDpT10_ENKUlT_T0_E_clISt17integral_constantIbLb1EES16_IbLb0EEEEDaS12_S13_EUlS12_E_NS1_11comp_targetILNS1_3genE3ELNS1_11target_archE908ELNS1_3gpuE7ELNS1_3repE0EEENS1_30default_config_static_selectorELNS0_4arch9wavefront6targetE1EEEvT1_,@function
_ZN7rocprim17ROCPRIM_400000_NS6detail17trampoline_kernelINS0_14default_configENS1_25partition_config_selectorILNS1_17partition_subalgoE8EaNS0_10empty_typeEbEEZZNS1_14partition_implILS5_8ELb0ES3_jPKaPS6_PKS6_NS0_5tupleIJPaS6_EEENSE_IJSB_SB_EEENS0_18inequality_wrapperIN6hipcub16HIPCUB_304000_NS8EqualityEEEPlJS6_EEE10hipError_tPvRmT3_T4_T5_T6_T7_T9_mT8_P12ihipStream_tbDpT10_ENKUlT_T0_E_clISt17integral_constantIbLb1EES16_IbLb0EEEEDaS12_S13_EUlS12_E_NS1_11comp_targetILNS1_3genE3ELNS1_11target_archE908ELNS1_3gpuE7ELNS1_3repE0EEENS1_30default_config_static_selectorELNS0_4arch9wavefront6targetE1EEEvT1_: ; @_ZN7rocprim17ROCPRIM_400000_NS6detail17trampoline_kernelINS0_14default_configENS1_25partition_config_selectorILNS1_17partition_subalgoE8EaNS0_10empty_typeEbEEZZNS1_14partition_implILS5_8ELb0ES3_jPKaPS6_PKS6_NS0_5tupleIJPaS6_EEENSE_IJSB_SB_EEENS0_18inequality_wrapperIN6hipcub16HIPCUB_304000_NS8EqualityEEEPlJS6_EEE10hipError_tPvRmT3_T4_T5_T6_T7_T9_mT8_P12ihipStream_tbDpT10_ENKUlT_T0_E_clISt17integral_constantIbLb1EES16_IbLb0EEEEDaS12_S13_EUlS12_E_NS1_11comp_targetILNS1_3genE3ELNS1_11target_archE908ELNS1_3gpuE7ELNS1_3repE0EEENS1_30default_config_static_selectorELNS0_4arch9wavefront6targetE1EEEvT1_
; %bb.0:
	.section	.rodata,"a",@progbits
	.p2align	6, 0x0
	.amdhsa_kernel _ZN7rocprim17ROCPRIM_400000_NS6detail17trampoline_kernelINS0_14default_configENS1_25partition_config_selectorILNS1_17partition_subalgoE8EaNS0_10empty_typeEbEEZZNS1_14partition_implILS5_8ELb0ES3_jPKaPS6_PKS6_NS0_5tupleIJPaS6_EEENSE_IJSB_SB_EEENS0_18inequality_wrapperIN6hipcub16HIPCUB_304000_NS8EqualityEEEPlJS6_EEE10hipError_tPvRmT3_T4_T5_T6_T7_T9_mT8_P12ihipStream_tbDpT10_ENKUlT_T0_E_clISt17integral_constantIbLb1EES16_IbLb0EEEEDaS12_S13_EUlS12_E_NS1_11comp_targetILNS1_3genE3ELNS1_11target_archE908ELNS1_3gpuE7ELNS1_3repE0EEENS1_30default_config_static_selectorELNS0_4arch9wavefront6targetE1EEEvT1_
		.amdhsa_group_segment_fixed_size 0
		.amdhsa_private_segment_fixed_size 0
		.amdhsa_kernarg_size 112
		.amdhsa_user_sgpr_count 2
		.amdhsa_user_sgpr_dispatch_ptr 0
		.amdhsa_user_sgpr_queue_ptr 0
		.amdhsa_user_sgpr_kernarg_segment_ptr 1
		.amdhsa_user_sgpr_dispatch_id 0
		.amdhsa_user_sgpr_kernarg_preload_length 0
		.amdhsa_user_sgpr_kernarg_preload_offset 0
		.amdhsa_user_sgpr_private_segment_size 0
		.amdhsa_uses_dynamic_stack 0
		.amdhsa_enable_private_segment 0
		.amdhsa_system_sgpr_workgroup_id_x 1
		.amdhsa_system_sgpr_workgroup_id_y 0
		.amdhsa_system_sgpr_workgroup_id_z 0
		.amdhsa_system_sgpr_workgroup_info 0
		.amdhsa_system_vgpr_workitem_id 0
		.amdhsa_next_free_vgpr 1
		.amdhsa_next_free_sgpr 0
		.amdhsa_accum_offset 4
		.amdhsa_reserve_vcc 0
		.amdhsa_float_round_mode_32 0
		.amdhsa_float_round_mode_16_64 0
		.amdhsa_float_denorm_mode_32 3
		.amdhsa_float_denorm_mode_16_64 3
		.amdhsa_dx10_clamp 1
		.amdhsa_ieee_mode 1
		.amdhsa_fp16_overflow 0
		.amdhsa_tg_split 0
		.amdhsa_exception_fp_ieee_invalid_op 0
		.amdhsa_exception_fp_denorm_src 0
		.amdhsa_exception_fp_ieee_div_zero 0
		.amdhsa_exception_fp_ieee_overflow 0
		.amdhsa_exception_fp_ieee_underflow 0
		.amdhsa_exception_fp_ieee_inexact 0
		.amdhsa_exception_int_div_zero 0
	.end_amdhsa_kernel
	.section	.text._ZN7rocprim17ROCPRIM_400000_NS6detail17trampoline_kernelINS0_14default_configENS1_25partition_config_selectorILNS1_17partition_subalgoE8EaNS0_10empty_typeEbEEZZNS1_14partition_implILS5_8ELb0ES3_jPKaPS6_PKS6_NS0_5tupleIJPaS6_EEENSE_IJSB_SB_EEENS0_18inequality_wrapperIN6hipcub16HIPCUB_304000_NS8EqualityEEEPlJS6_EEE10hipError_tPvRmT3_T4_T5_T6_T7_T9_mT8_P12ihipStream_tbDpT10_ENKUlT_T0_E_clISt17integral_constantIbLb1EES16_IbLb0EEEEDaS12_S13_EUlS12_E_NS1_11comp_targetILNS1_3genE3ELNS1_11target_archE908ELNS1_3gpuE7ELNS1_3repE0EEENS1_30default_config_static_selectorELNS0_4arch9wavefront6targetE1EEEvT1_,"axG",@progbits,_ZN7rocprim17ROCPRIM_400000_NS6detail17trampoline_kernelINS0_14default_configENS1_25partition_config_selectorILNS1_17partition_subalgoE8EaNS0_10empty_typeEbEEZZNS1_14partition_implILS5_8ELb0ES3_jPKaPS6_PKS6_NS0_5tupleIJPaS6_EEENSE_IJSB_SB_EEENS0_18inequality_wrapperIN6hipcub16HIPCUB_304000_NS8EqualityEEEPlJS6_EEE10hipError_tPvRmT3_T4_T5_T6_T7_T9_mT8_P12ihipStream_tbDpT10_ENKUlT_T0_E_clISt17integral_constantIbLb1EES16_IbLb0EEEEDaS12_S13_EUlS12_E_NS1_11comp_targetILNS1_3genE3ELNS1_11target_archE908ELNS1_3gpuE7ELNS1_3repE0EEENS1_30default_config_static_selectorELNS0_4arch9wavefront6targetE1EEEvT1_,comdat
.Lfunc_end222:
	.size	_ZN7rocprim17ROCPRIM_400000_NS6detail17trampoline_kernelINS0_14default_configENS1_25partition_config_selectorILNS1_17partition_subalgoE8EaNS0_10empty_typeEbEEZZNS1_14partition_implILS5_8ELb0ES3_jPKaPS6_PKS6_NS0_5tupleIJPaS6_EEENSE_IJSB_SB_EEENS0_18inequality_wrapperIN6hipcub16HIPCUB_304000_NS8EqualityEEEPlJS6_EEE10hipError_tPvRmT3_T4_T5_T6_T7_T9_mT8_P12ihipStream_tbDpT10_ENKUlT_T0_E_clISt17integral_constantIbLb1EES16_IbLb0EEEEDaS12_S13_EUlS12_E_NS1_11comp_targetILNS1_3genE3ELNS1_11target_archE908ELNS1_3gpuE7ELNS1_3repE0EEENS1_30default_config_static_selectorELNS0_4arch9wavefront6targetE1EEEvT1_, .Lfunc_end222-_ZN7rocprim17ROCPRIM_400000_NS6detail17trampoline_kernelINS0_14default_configENS1_25partition_config_selectorILNS1_17partition_subalgoE8EaNS0_10empty_typeEbEEZZNS1_14partition_implILS5_8ELb0ES3_jPKaPS6_PKS6_NS0_5tupleIJPaS6_EEENSE_IJSB_SB_EEENS0_18inequality_wrapperIN6hipcub16HIPCUB_304000_NS8EqualityEEEPlJS6_EEE10hipError_tPvRmT3_T4_T5_T6_T7_T9_mT8_P12ihipStream_tbDpT10_ENKUlT_T0_E_clISt17integral_constantIbLb1EES16_IbLb0EEEEDaS12_S13_EUlS12_E_NS1_11comp_targetILNS1_3genE3ELNS1_11target_archE908ELNS1_3gpuE7ELNS1_3repE0EEENS1_30default_config_static_selectorELNS0_4arch9wavefront6targetE1EEEvT1_
                                        ; -- End function
	.section	.AMDGPU.csdata,"",@progbits
; Kernel info:
; codeLenInByte = 0
; NumSgprs: 6
; NumVgprs: 0
; NumAgprs: 0
; TotalNumVgprs: 0
; ScratchSize: 0
; MemoryBound: 0
; FloatMode: 240
; IeeeMode: 1
; LDSByteSize: 0 bytes/workgroup (compile time only)
; SGPRBlocks: 0
; VGPRBlocks: 0
; NumSGPRsForWavesPerEU: 6
; NumVGPRsForWavesPerEU: 1
; AccumOffset: 4
; Occupancy: 8
; WaveLimiterHint : 0
; COMPUTE_PGM_RSRC2:SCRATCH_EN: 0
; COMPUTE_PGM_RSRC2:USER_SGPR: 2
; COMPUTE_PGM_RSRC2:TRAP_HANDLER: 0
; COMPUTE_PGM_RSRC2:TGID_X_EN: 1
; COMPUTE_PGM_RSRC2:TGID_Y_EN: 0
; COMPUTE_PGM_RSRC2:TGID_Z_EN: 0
; COMPUTE_PGM_RSRC2:TIDIG_COMP_CNT: 0
; COMPUTE_PGM_RSRC3_GFX90A:ACCUM_OFFSET: 0
; COMPUTE_PGM_RSRC3_GFX90A:TG_SPLIT: 0
	.section	.text._ZN7rocprim17ROCPRIM_400000_NS6detail17trampoline_kernelINS0_14default_configENS1_25partition_config_selectorILNS1_17partition_subalgoE8EaNS0_10empty_typeEbEEZZNS1_14partition_implILS5_8ELb0ES3_jPKaPS6_PKS6_NS0_5tupleIJPaS6_EEENSE_IJSB_SB_EEENS0_18inequality_wrapperIN6hipcub16HIPCUB_304000_NS8EqualityEEEPlJS6_EEE10hipError_tPvRmT3_T4_T5_T6_T7_T9_mT8_P12ihipStream_tbDpT10_ENKUlT_T0_E_clISt17integral_constantIbLb1EES16_IbLb0EEEEDaS12_S13_EUlS12_E_NS1_11comp_targetILNS1_3genE2ELNS1_11target_archE906ELNS1_3gpuE6ELNS1_3repE0EEENS1_30default_config_static_selectorELNS0_4arch9wavefront6targetE1EEEvT1_,"axG",@progbits,_ZN7rocprim17ROCPRIM_400000_NS6detail17trampoline_kernelINS0_14default_configENS1_25partition_config_selectorILNS1_17partition_subalgoE8EaNS0_10empty_typeEbEEZZNS1_14partition_implILS5_8ELb0ES3_jPKaPS6_PKS6_NS0_5tupleIJPaS6_EEENSE_IJSB_SB_EEENS0_18inequality_wrapperIN6hipcub16HIPCUB_304000_NS8EqualityEEEPlJS6_EEE10hipError_tPvRmT3_T4_T5_T6_T7_T9_mT8_P12ihipStream_tbDpT10_ENKUlT_T0_E_clISt17integral_constantIbLb1EES16_IbLb0EEEEDaS12_S13_EUlS12_E_NS1_11comp_targetILNS1_3genE2ELNS1_11target_archE906ELNS1_3gpuE6ELNS1_3repE0EEENS1_30default_config_static_selectorELNS0_4arch9wavefront6targetE1EEEvT1_,comdat
	.protected	_ZN7rocprim17ROCPRIM_400000_NS6detail17trampoline_kernelINS0_14default_configENS1_25partition_config_selectorILNS1_17partition_subalgoE8EaNS0_10empty_typeEbEEZZNS1_14partition_implILS5_8ELb0ES3_jPKaPS6_PKS6_NS0_5tupleIJPaS6_EEENSE_IJSB_SB_EEENS0_18inequality_wrapperIN6hipcub16HIPCUB_304000_NS8EqualityEEEPlJS6_EEE10hipError_tPvRmT3_T4_T5_T6_T7_T9_mT8_P12ihipStream_tbDpT10_ENKUlT_T0_E_clISt17integral_constantIbLb1EES16_IbLb0EEEEDaS12_S13_EUlS12_E_NS1_11comp_targetILNS1_3genE2ELNS1_11target_archE906ELNS1_3gpuE6ELNS1_3repE0EEENS1_30default_config_static_selectorELNS0_4arch9wavefront6targetE1EEEvT1_ ; -- Begin function _ZN7rocprim17ROCPRIM_400000_NS6detail17trampoline_kernelINS0_14default_configENS1_25partition_config_selectorILNS1_17partition_subalgoE8EaNS0_10empty_typeEbEEZZNS1_14partition_implILS5_8ELb0ES3_jPKaPS6_PKS6_NS0_5tupleIJPaS6_EEENSE_IJSB_SB_EEENS0_18inequality_wrapperIN6hipcub16HIPCUB_304000_NS8EqualityEEEPlJS6_EEE10hipError_tPvRmT3_T4_T5_T6_T7_T9_mT8_P12ihipStream_tbDpT10_ENKUlT_T0_E_clISt17integral_constantIbLb1EES16_IbLb0EEEEDaS12_S13_EUlS12_E_NS1_11comp_targetILNS1_3genE2ELNS1_11target_archE906ELNS1_3gpuE6ELNS1_3repE0EEENS1_30default_config_static_selectorELNS0_4arch9wavefront6targetE1EEEvT1_
	.globl	_ZN7rocprim17ROCPRIM_400000_NS6detail17trampoline_kernelINS0_14default_configENS1_25partition_config_selectorILNS1_17partition_subalgoE8EaNS0_10empty_typeEbEEZZNS1_14partition_implILS5_8ELb0ES3_jPKaPS6_PKS6_NS0_5tupleIJPaS6_EEENSE_IJSB_SB_EEENS0_18inequality_wrapperIN6hipcub16HIPCUB_304000_NS8EqualityEEEPlJS6_EEE10hipError_tPvRmT3_T4_T5_T6_T7_T9_mT8_P12ihipStream_tbDpT10_ENKUlT_T0_E_clISt17integral_constantIbLb1EES16_IbLb0EEEEDaS12_S13_EUlS12_E_NS1_11comp_targetILNS1_3genE2ELNS1_11target_archE906ELNS1_3gpuE6ELNS1_3repE0EEENS1_30default_config_static_selectorELNS0_4arch9wavefront6targetE1EEEvT1_
	.p2align	8
	.type	_ZN7rocprim17ROCPRIM_400000_NS6detail17trampoline_kernelINS0_14default_configENS1_25partition_config_selectorILNS1_17partition_subalgoE8EaNS0_10empty_typeEbEEZZNS1_14partition_implILS5_8ELb0ES3_jPKaPS6_PKS6_NS0_5tupleIJPaS6_EEENSE_IJSB_SB_EEENS0_18inequality_wrapperIN6hipcub16HIPCUB_304000_NS8EqualityEEEPlJS6_EEE10hipError_tPvRmT3_T4_T5_T6_T7_T9_mT8_P12ihipStream_tbDpT10_ENKUlT_T0_E_clISt17integral_constantIbLb1EES16_IbLb0EEEEDaS12_S13_EUlS12_E_NS1_11comp_targetILNS1_3genE2ELNS1_11target_archE906ELNS1_3gpuE6ELNS1_3repE0EEENS1_30default_config_static_selectorELNS0_4arch9wavefront6targetE1EEEvT1_,@function
_ZN7rocprim17ROCPRIM_400000_NS6detail17trampoline_kernelINS0_14default_configENS1_25partition_config_selectorILNS1_17partition_subalgoE8EaNS0_10empty_typeEbEEZZNS1_14partition_implILS5_8ELb0ES3_jPKaPS6_PKS6_NS0_5tupleIJPaS6_EEENSE_IJSB_SB_EEENS0_18inequality_wrapperIN6hipcub16HIPCUB_304000_NS8EqualityEEEPlJS6_EEE10hipError_tPvRmT3_T4_T5_T6_T7_T9_mT8_P12ihipStream_tbDpT10_ENKUlT_T0_E_clISt17integral_constantIbLb1EES16_IbLb0EEEEDaS12_S13_EUlS12_E_NS1_11comp_targetILNS1_3genE2ELNS1_11target_archE906ELNS1_3gpuE6ELNS1_3repE0EEENS1_30default_config_static_selectorELNS0_4arch9wavefront6targetE1EEEvT1_: ; @_ZN7rocprim17ROCPRIM_400000_NS6detail17trampoline_kernelINS0_14default_configENS1_25partition_config_selectorILNS1_17partition_subalgoE8EaNS0_10empty_typeEbEEZZNS1_14partition_implILS5_8ELb0ES3_jPKaPS6_PKS6_NS0_5tupleIJPaS6_EEENSE_IJSB_SB_EEENS0_18inequality_wrapperIN6hipcub16HIPCUB_304000_NS8EqualityEEEPlJS6_EEE10hipError_tPvRmT3_T4_T5_T6_T7_T9_mT8_P12ihipStream_tbDpT10_ENKUlT_T0_E_clISt17integral_constantIbLb1EES16_IbLb0EEEEDaS12_S13_EUlS12_E_NS1_11comp_targetILNS1_3genE2ELNS1_11target_archE906ELNS1_3gpuE6ELNS1_3repE0EEENS1_30default_config_static_selectorELNS0_4arch9wavefront6targetE1EEEvT1_
; %bb.0:
	.section	.rodata,"a",@progbits
	.p2align	6, 0x0
	.amdhsa_kernel _ZN7rocprim17ROCPRIM_400000_NS6detail17trampoline_kernelINS0_14default_configENS1_25partition_config_selectorILNS1_17partition_subalgoE8EaNS0_10empty_typeEbEEZZNS1_14partition_implILS5_8ELb0ES3_jPKaPS6_PKS6_NS0_5tupleIJPaS6_EEENSE_IJSB_SB_EEENS0_18inequality_wrapperIN6hipcub16HIPCUB_304000_NS8EqualityEEEPlJS6_EEE10hipError_tPvRmT3_T4_T5_T6_T7_T9_mT8_P12ihipStream_tbDpT10_ENKUlT_T0_E_clISt17integral_constantIbLb1EES16_IbLb0EEEEDaS12_S13_EUlS12_E_NS1_11comp_targetILNS1_3genE2ELNS1_11target_archE906ELNS1_3gpuE6ELNS1_3repE0EEENS1_30default_config_static_selectorELNS0_4arch9wavefront6targetE1EEEvT1_
		.amdhsa_group_segment_fixed_size 0
		.amdhsa_private_segment_fixed_size 0
		.amdhsa_kernarg_size 112
		.amdhsa_user_sgpr_count 2
		.amdhsa_user_sgpr_dispatch_ptr 0
		.amdhsa_user_sgpr_queue_ptr 0
		.amdhsa_user_sgpr_kernarg_segment_ptr 1
		.amdhsa_user_sgpr_dispatch_id 0
		.amdhsa_user_sgpr_kernarg_preload_length 0
		.amdhsa_user_sgpr_kernarg_preload_offset 0
		.amdhsa_user_sgpr_private_segment_size 0
		.amdhsa_uses_dynamic_stack 0
		.amdhsa_enable_private_segment 0
		.amdhsa_system_sgpr_workgroup_id_x 1
		.amdhsa_system_sgpr_workgroup_id_y 0
		.amdhsa_system_sgpr_workgroup_id_z 0
		.amdhsa_system_sgpr_workgroup_info 0
		.amdhsa_system_vgpr_workitem_id 0
		.amdhsa_next_free_vgpr 1
		.amdhsa_next_free_sgpr 0
		.amdhsa_accum_offset 4
		.amdhsa_reserve_vcc 0
		.amdhsa_float_round_mode_32 0
		.amdhsa_float_round_mode_16_64 0
		.amdhsa_float_denorm_mode_32 3
		.amdhsa_float_denorm_mode_16_64 3
		.amdhsa_dx10_clamp 1
		.amdhsa_ieee_mode 1
		.amdhsa_fp16_overflow 0
		.amdhsa_tg_split 0
		.amdhsa_exception_fp_ieee_invalid_op 0
		.amdhsa_exception_fp_denorm_src 0
		.amdhsa_exception_fp_ieee_div_zero 0
		.amdhsa_exception_fp_ieee_overflow 0
		.amdhsa_exception_fp_ieee_underflow 0
		.amdhsa_exception_fp_ieee_inexact 0
		.amdhsa_exception_int_div_zero 0
	.end_amdhsa_kernel
	.section	.text._ZN7rocprim17ROCPRIM_400000_NS6detail17trampoline_kernelINS0_14default_configENS1_25partition_config_selectorILNS1_17partition_subalgoE8EaNS0_10empty_typeEbEEZZNS1_14partition_implILS5_8ELb0ES3_jPKaPS6_PKS6_NS0_5tupleIJPaS6_EEENSE_IJSB_SB_EEENS0_18inequality_wrapperIN6hipcub16HIPCUB_304000_NS8EqualityEEEPlJS6_EEE10hipError_tPvRmT3_T4_T5_T6_T7_T9_mT8_P12ihipStream_tbDpT10_ENKUlT_T0_E_clISt17integral_constantIbLb1EES16_IbLb0EEEEDaS12_S13_EUlS12_E_NS1_11comp_targetILNS1_3genE2ELNS1_11target_archE906ELNS1_3gpuE6ELNS1_3repE0EEENS1_30default_config_static_selectorELNS0_4arch9wavefront6targetE1EEEvT1_,"axG",@progbits,_ZN7rocprim17ROCPRIM_400000_NS6detail17trampoline_kernelINS0_14default_configENS1_25partition_config_selectorILNS1_17partition_subalgoE8EaNS0_10empty_typeEbEEZZNS1_14partition_implILS5_8ELb0ES3_jPKaPS6_PKS6_NS0_5tupleIJPaS6_EEENSE_IJSB_SB_EEENS0_18inequality_wrapperIN6hipcub16HIPCUB_304000_NS8EqualityEEEPlJS6_EEE10hipError_tPvRmT3_T4_T5_T6_T7_T9_mT8_P12ihipStream_tbDpT10_ENKUlT_T0_E_clISt17integral_constantIbLb1EES16_IbLb0EEEEDaS12_S13_EUlS12_E_NS1_11comp_targetILNS1_3genE2ELNS1_11target_archE906ELNS1_3gpuE6ELNS1_3repE0EEENS1_30default_config_static_selectorELNS0_4arch9wavefront6targetE1EEEvT1_,comdat
.Lfunc_end223:
	.size	_ZN7rocprim17ROCPRIM_400000_NS6detail17trampoline_kernelINS0_14default_configENS1_25partition_config_selectorILNS1_17partition_subalgoE8EaNS0_10empty_typeEbEEZZNS1_14partition_implILS5_8ELb0ES3_jPKaPS6_PKS6_NS0_5tupleIJPaS6_EEENSE_IJSB_SB_EEENS0_18inequality_wrapperIN6hipcub16HIPCUB_304000_NS8EqualityEEEPlJS6_EEE10hipError_tPvRmT3_T4_T5_T6_T7_T9_mT8_P12ihipStream_tbDpT10_ENKUlT_T0_E_clISt17integral_constantIbLb1EES16_IbLb0EEEEDaS12_S13_EUlS12_E_NS1_11comp_targetILNS1_3genE2ELNS1_11target_archE906ELNS1_3gpuE6ELNS1_3repE0EEENS1_30default_config_static_selectorELNS0_4arch9wavefront6targetE1EEEvT1_, .Lfunc_end223-_ZN7rocprim17ROCPRIM_400000_NS6detail17trampoline_kernelINS0_14default_configENS1_25partition_config_selectorILNS1_17partition_subalgoE8EaNS0_10empty_typeEbEEZZNS1_14partition_implILS5_8ELb0ES3_jPKaPS6_PKS6_NS0_5tupleIJPaS6_EEENSE_IJSB_SB_EEENS0_18inequality_wrapperIN6hipcub16HIPCUB_304000_NS8EqualityEEEPlJS6_EEE10hipError_tPvRmT3_T4_T5_T6_T7_T9_mT8_P12ihipStream_tbDpT10_ENKUlT_T0_E_clISt17integral_constantIbLb1EES16_IbLb0EEEEDaS12_S13_EUlS12_E_NS1_11comp_targetILNS1_3genE2ELNS1_11target_archE906ELNS1_3gpuE6ELNS1_3repE0EEENS1_30default_config_static_selectorELNS0_4arch9wavefront6targetE1EEEvT1_
                                        ; -- End function
	.section	.AMDGPU.csdata,"",@progbits
; Kernel info:
; codeLenInByte = 0
; NumSgprs: 6
; NumVgprs: 0
; NumAgprs: 0
; TotalNumVgprs: 0
; ScratchSize: 0
; MemoryBound: 0
; FloatMode: 240
; IeeeMode: 1
; LDSByteSize: 0 bytes/workgroup (compile time only)
; SGPRBlocks: 0
; VGPRBlocks: 0
; NumSGPRsForWavesPerEU: 6
; NumVGPRsForWavesPerEU: 1
; AccumOffset: 4
; Occupancy: 8
; WaveLimiterHint : 0
; COMPUTE_PGM_RSRC2:SCRATCH_EN: 0
; COMPUTE_PGM_RSRC2:USER_SGPR: 2
; COMPUTE_PGM_RSRC2:TRAP_HANDLER: 0
; COMPUTE_PGM_RSRC2:TGID_X_EN: 1
; COMPUTE_PGM_RSRC2:TGID_Y_EN: 0
; COMPUTE_PGM_RSRC2:TGID_Z_EN: 0
; COMPUTE_PGM_RSRC2:TIDIG_COMP_CNT: 0
; COMPUTE_PGM_RSRC3_GFX90A:ACCUM_OFFSET: 0
; COMPUTE_PGM_RSRC3_GFX90A:TG_SPLIT: 0
	.section	.text._ZN7rocprim17ROCPRIM_400000_NS6detail17trampoline_kernelINS0_14default_configENS1_25partition_config_selectorILNS1_17partition_subalgoE8EaNS0_10empty_typeEbEEZZNS1_14partition_implILS5_8ELb0ES3_jPKaPS6_PKS6_NS0_5tupleIJPaS6_EEENSE_IJSB_SB_EEENS0_18inequality_wrapperIN6hipcub16HIPCUB_304000_NS8EqualityEEEPlJS6_EEE10hipError_tPvRmT3_T4_T5_T6_T7_T9_mT8_P12ihipStream_tbDpT10_ENKUlT_T0_E_clISt17integral_constantIbLb1EES16_IbLb0EEEEDaS12_S13_EUlS12_E_NS1_11comp_targetILNS1_3genE10ELNS1_11target_archE1200ELNS1_3gpuE4ELNS1_3repE0EEENS1_30default_config_static_selectorELNS0_4arch9wavefront6targetE1EEEvT1_,"axG",@progbits,_ZN7rocprim17ROCPRIM_400000_NS6detail17trampoline_kernelINS0_14default_configENS1_25partition_config_selectorILNS1_17partition_subalgoE8EaNS0_10empty_typeEbEEZZNS1_14partition_implILS5_8ELb0ES3_jPKaPS6_PKS6_NS0_5tupleIJPaS6_EEENSE_IJSB_SB_EEENS0_18inequality_wrapperIN6hipcub16HIPCUB_304000_NS8EqualityEEEPlJS6_EEE10hipError_tPvRmT3_T4_T5_T6_T7_T9_mT8_P12ihipStream_tbDpT10_ENKUlT_T0_E_clISt17integral_constantIbLb1EES16_IbLb0EEEEDaS12_S13_EUlS12_E_NS1_11comp_targetILNS1_3genE10ELNS1_11target_archE1200ELNS1_3gpuE4ELNS1_3repE0EEENS1_30default_config_static_selectorELNS0_4arch9wavefront6targetE1EEEvT1_,comdat
	.protected	_ZN7rocprim17ROCPRIM_400000_NS6detail17trampoline_kernelINS0_14default_configENS1_25partition_config_selectorILNS1_17partition_subalgoE8EaNS0_10empty_typeEbEEZZNS1_14partition_implILS5_8ELb0ES3_jPKaPS6_PKS6_NS0_5tupleIJPaS6_EEENSE_IJSB_SB_EEENS0_18inequality_wrapperIN6hipcub16HIPCUB_304000_NS8EqualityEEEPlJS6_EEE10hipError_tPvRmT3_T4_T5_T6_T7_T9_mT8_P12ihipStream_tbDpT10_ENKUlT_T0_E_clISt17integral_constantIbLb1EES16_IbLb0EEEEDaS12_S13_EUlS12_E_NS1_11comp_targetILNS1_3genE10ELNS1_11target_archE1200ELNS1_3gpuE4ELNS1_3repE0EEENS1_30default_config_static_selectorELNS0_4arch9wavefront6targetE1EEEvT1_ ; -- Begin function _ZN7rocprim17ROCPRIM_400000_NS6detail17trampoline_kernelINS0_14default_configENS1_25partition_config_selectorILNS1_17partition_subalgoE8EaNS0_10empty_typeEbEEZZNS1_14partition_implILS5_8ELb0ES3_jPKaPS6_PKS6_NS0_5tupleIJPaS6_EEENSE_IJSB_SB_EEENS0_18inequality_wrapperIN6hipcub16HIPCUB_304000_NS8EqualityEEEPlJS6_EEE10hipError_tPvRmT3_T4_T5_T6_T7_T9_mT8_P12ihipStream_tbDpT10_ENKUlT_T0_E_clISt17integral_constantIbLb1EES16_IbLb0EEEEDaS12_S13_EUlS12_E_NS1_11comp_targetILNS1_3genE10ELNS1_11target_archE1200ELNS1_3gpuE4ELNS1_3repE0EEENS1_30default_config_static_selectorELNS0_4arch9wavefront6targetE1EEEvT1_
	.globl	_ZN7rocprim17ROCPRIM_400000_NS6detail17trampoline_kernelINS0_14default_configENS1_25partition_config_selectorILNS1_17partition_subalgoE8EaNS0_10empty_typeEbEEZZNS1_14partition_implILS5_8ELb0ES3_jPKaPS6_PKS6_NS0_5tupleIJPaS6_EEENSE_IJSB_SB_EEENS0_18inequality_wrapperIN6hipcub16HIPCUB_304000_NS8EqualityEEEPlJS6_EEE10hipError_tPvRmT3_T4_T5_T6_T7_T9_mT8_P12ihipStream_tbDpT10_ENKUlT_T0_E_clISt17integral_constantIbLb1EES16_IbLb0EEEEDaS12_S13_EUlS12_E_NS1_11comp_targetILNS1_3genE10ELNS1_11target_archE1200ELNS1_3gpuE4ELNS1_3repE0EEENS1_30default_config_static_selectorELNS0_4arch9wavefront6targetE1EEEvT1_
	.p2align	8
	.type	_ZN7rocprim17ROCPRIM_400000_NS6detail17trampoline_kernelINS0_14default_configENS1_25partition_config_selectorILNS1_17partition_subalgoE8EaNS0_10empty_typeEbEEZZNS1_14partition_implILS5_8ELb0ES3_jPKaPS6_PKS6_NS0_5tupleIJPaS6_EEENSE_IJSB_SB_EEENS0_18inequality_wrapperIN6hipcub16HIPCUB_304000_NS8EqualityEEEPlJS6_EEE10hipError_tPvRmT3_T4_T5_T6_T7_T9_mT8_P12ihipStream_tbDpT10_ENKUlT_T0_E_clISt17integral_constantIbLb1EES16_IbLb0EEEEDaS12_S13_EUlS12_E_NS1_11comp_targetILNS1_3genE10ELNS1_11target_archE1200ELNS1_3gpuE4ELNS1_3repE0EEENS1_30default_config_static_selectorELNS0_4arch9wavefront6targetE1EEEvT1_,@function
_ZN7rocprim17ROCPRIM_400000_NS6detail17trampoline_kernelINS0_14default_configENS1_25partition_config_selectorILNS1_17partition_subalgoE8EaNS0_10empty_typeEbEEZZNS1_14partition_implILS5_8ELb0ES3_jPKaPS6_PKS6_NS0_5tupleIJPaS6_EEENSE_IJSB_SB_EEENS0_18inequality_wrapperIN6hipcub16HIPCUB_304000_NS8EqualityEEEPlJS6_EEE10hipError_tPvRmT3_T4_T5_T6_T7_T9_mT8_P12ihipStream_tbDpT10_ENKUlT_T0_E_clISt17integral_constantIbLb1EES16_IbLb0EEEEDaS12_S13_EUlS12_E_NS1_11comp_targetILNS1_3genE10ELNS1_11target_archE1200ELNS1_3gpuE4ELNS1_3repE0EEENS1_30default_config_static_selectorELNS0_4arch9wavefront6targetE1EEEvT1_: ; @_ZN7rocprim17ROCPRIM_400000_NS6detail17trampoline_kernelINS0_14default_configENS1_25partition_config_selectorILNS1_17partition_subalgoE8EaNS0_10empty_typeEbEEZZNS1_14partition_implILS5_8ELb0ES3_jPKaPS6_PKS6_NS0_5tupleIJPaS6_EEENSE_IJSB_SB_EEENS0_18inequality_wrapperIN6hipcub16HIPCUB_304000_NS8EqualityEEEPlJS6_EEE10hipError_tPvRmT3_T4_T5_T6_T7_T9_mT8_P12ihipStream_tbDpT10_ENKUlT_T0_E_clISt17integral_constantIbLb1EES16_IbLb0EEEEDaS12_S13_EUlS12_E_NS1_11comp_targetILNS1_3genE10ELNS1_11target_archE1200ELNS1_3gpuE4ELNS1_3repE0EEENS1_30default_config_static_selectorELNS0_4arch9wavefront6targetE1EEEvT1_
; %bb.0:
	.section	.rodata,"a",@progbits
	.p2align	6, 0x0
	.amdhsa_kernel _ZN7rocprim17ROCPRIM_400000_NS6detail17trampoline_kernelINS0_14default_configENS1_25partition_config_selectorILNS1_17partition_subalgoE8EaNS0_10empty_typeEbEEZZNS1_14partition_implILS5_8ELb0ES3_jPKaPS6_PKS6_NS0_5tupleIJPaS6_EEENSE_IJSB_SB_EEENS0_18inequality_wrapperIN6hipcub16HIPCUB_304000_NS8EqualityEEEPlJS6_EEE10hipError_tPvRmT3_T4_T5_T6_T7_T9_mT8_P12ihipStream_tbDpT10_ENKUlT_T0_E_clISt17integral_constantIbLb1EES16_IbLb0EEEEDaS12_S13_EUlS12_E_NS1_11comp_targetILNS1_3genE10ELNS1_11target_archE1200ELNS1_3gpuE4ELNS1_3repE0EEENS1_30default_config_static_selectorELNS0_4arch9wavefront6targetE1EEEvT1_
		.amdhsa_group_segment_fixed_size 0
		.amdhsa_private_segment_fixed_size 0
		.amdhsa_kernarg_size 112
		.amdhsa_user_sgpr_count 2
		.amdhsa_user_sgpr_dispatch_ptr 0
		.amdhsa_user_sgpr_queue_ptr 0
		.amdhsa_user_sgpr_kernarg_segment_ptr 1
		.amdhsa_user_sgpr_dispatch_id 0
		.amdhsa_user_sgpr_kernarg_preload_length 0
		.amdhsa_user_sgpr_kernarg_preload_offset 0
		.amdhsa_user_sgpr_private_segment_size 0
		.amdhsa_uses_dynamic_stack 0
		.amdhsa_enable_private_segment 0
		.amdhsa_system_sgpr_workgroup_id_x 1
		.amdhsa_system_sgpr_workgroup_id_y 0
		.amdhsa_system_sgpr_workgroup_id_z 0
		.amdhsa_system_sgpr_workgroup_info 0
		.amdhsa_system_vgpr_workitem_id 0
		.amdhsa_next_free_vgpr 1
		.amdhsa_next_free_sgpr 0
		.amdhsa_accum_offset 4
		.amdhsa_reserve_vcc 0
		.amdhsa_float_round_mode_32 0
		.amdhsa_float_round_mode_16_64 0
		.amdhsa_float_denorm_mode_32 3
		.amdhsa_float_denorm_mode_16_64 3
		.amdhsa_dx10_clamp 1
		.amdhsa_ieee_mode 1
		.amdhsa_fp16_overflow 0
		.amdhsa_tg_split 0
		.amdhsa_exception_fp_ieee_invalid_op 0
		.amdhsa_exception_fp_denorm_src 0
		.amdhsa_exception_fp_ieee_div_zero 0
		.amdhsa_exception_fp_ieee_overflow 0
		.amdhsa_exception_fp_ieee_underflow 0
		.amdhsa_exception_fp_ieee_inexact 0
		.amdhsa_exception_int_div_zero 0
	.end_amdhsa_kernel
	.section	.text._ZN7rocprim17ROCPRIM_400000_NS6detail17trampoline_kernelINS0_14default_configENS1_25partition_config_selectorILNS1_17partition_subalgoE8EaNS0_10empty_typeEbEEZZNS1_14partition_implILS5_8ELb0ES3_jPKaPS6_PKS6_NS0_5tupleIJPaS6_EEENSE_IJSB_SB_EEENS0_18inequality_wrapperIN6hipcub16HIPCUB_304000_NS8EqualityEEEPlJS6_EEE10hipError_tPvRmT3_T4_T5_T6_T7_T9_mT8_P12ihipStream_tbDpT10_ENKUlT_T0_E_clISt17integral_constantIbLb1EES16_IbLb0EEEEDaS12_S13_EUlS12_E_NS1_11comp_targetILNS1_3genE10ELNS1_11target_archE1200ELNS1_3gpuE4ELNS1_3repE0EEENS1_30default_config_static_selectorELNS0_4arch9wavefront6targetE1EEEvT1_,"axG",@progbits,_ZN7rocprim17ROCPRIM_400000_NS6detail17trampoline_kernelINS0_14default_configENS1_25partition_config_selectorILNS1_17partition_subalgoE8EaNS0_10empty_typeEbEEZZNS1_14partition_implILS5_8ELb0ES3_jPKaPS6_PKS6_NS0_5tupleIJPaS6_EEENSE_IJSB_SB_EEENS0_18inequality_wrapperIN6hipcub16HIPCUB_304000_NS8EqualityEEEPlJS6_EEE10hipError_tPvRmT3_T4_T5_T6_T7_T9_mT8_P12ihipStream_tbDpT10_ENKUlT_T0_E_clISt17integral_constantIbLb1EES16_IbLb0EEEEDaS12_S13_EUlS12_E_NS1_11comp_targetILNS1_3genE10ELNS1_11target_archE1200ELNS1_3gpuE4ELNS1_3repE0EEENS1_30default_config_static_selectorELNS0_4arch9wavefront6targetE1EEEvT1_,comdat
.Lfunc_end224:
	.size	_ZN7rocprim17ROCPRIM_400000_NS6detail17trampoline_kernelINS0_14default_configENS1_25partition_config_selectorILNS1_17partition_subalgoE8EaNS0_10empty_typeEbEEZZNS1_14partition_implILS5_8ELb0ES3_jPKaPS6_PKS6_NS0_5tupleIJPaS6_EEENSE_IJSB_SB_EEENS0_18inequality_wrapperIN6hipcub16HIPCUB_304000_NS8EqualityEEEPlJS6_EEE10hipError_tPvRmT3_T4_T5_T6_T7_T9_mT8_P12ihipStream_tbDpT10_ENKUlT_T0_E_clISt17integral_constantIbLb1EES16_IbLb0EEEEDaS12_S13_EUlS12_E_NS1_11comp_targetILNS1_3genE10ELNS1_11target_archE1200ELNS1_3gpuE4ELNS1_3repE0EEENS1_30default_config_static_selectorELNS0_4arch9wavefront6targetE1EEEvT1_, .Lfunc_end224-_ZN7rocprim17ROCPRIM_400000_NS6detail17trampoline_kernelINS0_14default_configENS1_25partition_config_selectorILNS1_17partition_subalgoE8EaNS0_10empty_typeEbEEZZNS1_14partition_implILS5_8ELb0ES3_jPKaPS6_PKS6_NS0_5tupleIJPaS6_EEENSE_IJSB_SB_EEENS0_18inequality_wrapperIN6hipcub16HIPCUB_304000_NS8EqualityEEEPlJS6_EEE10hipError_tPvRmT3_T4_T5_T6_T7_T9_mT8_P12ihipStream_tbDpT10_ENKUlT_T0_E_clISt17integral_constantIbLb1EES16_IbLb0EEEEDaS12_S13_EUlS12_E_NS1_11comp_targetILNS1_3genE10ELNS1_11target_archE1200ELNS1_3gpuE4ELNS1_3repE0EEENS1_30default_config_static_selectorELNS0_4arch9wavefront6targetE1EEEvT1_
                                        ; -- End function
	.section	.AMDGPU.csdata,"",@progbits
; Kernel info:
; codeLenInByte = 0
; NumSgprs: 6
; NumVgprs: 0
; NumAgprs: 0
; TotalNumVgprs: 0
; ScratchSize: 0
; MemoryBound: 0
; FloatMode: 240
; IeeeMode: 1
; LDSByteSize: 0 bytes/workgroup (compile time only)
; SGPRBlocks: 0
; VGPRBlocks: 0
; NumSGPRsForWavesPerEU: 6
; NumVGPRsForWavesPerEU: 1
; AccumOffset: 4
; Occupancy: 8
; WaveLimiterHint : 0
; COMPUTE_PGM_RSRC2:SCRATCH_EN: 0
; COMPUTE_PGM_RSRC2:USER_SGPR: 2
; COMPUTE_PGM_RSRC2:TRAP_HANDLER: 0
; COMPUTE_PGM_RSRC2:TGID_X_EN: 1
; COMPUTE_PGM_RSRC2:TGID_Y_EN: 0
; COMPUTE_PGM_RSRC2:TGID_Z_EN: 0
; COMPUTE_PGM_RSRC2:TIDIG_COMP_CNT: 0
; COMPUTE_PGM_RSRC3_GFX90A:ACCUM_OFFSET: 0
; COMPUTE_PGM_RSRC3_GFX90A:TG_SPLIT: 0
	.section	.text._ZN7rocprim17ROCPRIM_400000_NS6detail17trampoline_kernelINS0_14default_configENS1_25partition_config_selectorILNS1_17partition_subalgoE8EaNS0_10empty_typeEbEEZZNS1_14partition_implILS5_8ELb0ES3_jPKaPS6_PKS6_NS0_5tupleIJPaS6_EEENSE_IJSB_SB_EEENS0_18inequality_wrapperIN6hipcub16HIPCUB_304000_NS8EqualityEEEPlJS6_EEE10hipError_tPvRmT3_T4_T5_T6_T7_T9_mT8_P12ihipStream_tbDpT10_ENKUlT_T0_E_clISt17integral_constantIbLb1EES16_IbLb0EEEEDaS12_S13_EUlS12_E_NS1_11comp_targetILNS1_3genE9ELNS1_11target_archE1100ELNS1_3gpuE3ELNS1_3repE0EEENS1_30default_config_static_selectorELNS0_4arch9wavefront6targetE1EEEvT1_,"axG",@progbits,_ZN7rocprim17ROCPRIM_400000_NS6detail17trampoline_kernelINS0_14default_configENS1_25partition_config_selectorILNS1_17partition_subalgoE8EaNS0_10empty_typeEbEEZZNS1_14partition_implILS5_8ELb0ES3_jPKaPS6_PKS6_NS0_5tupleIJPaS6_EEENSE_IJSB_SB_EEENS0_18inequality_wrapperIN6hipcub16HIPCUB_304000_NS8EqualityEEEPlJS6_EEE10hipError_tPvRmT3_T4_T5_T6_T7_T9_mT8_P12ihipStream_tbDpT10_ENKUlT_T0_E_clISt17integral_constantIbLb1EES16_IbLb0EEEEDaS12_S13_EUlS12_E_NS1_11comp_targetILNS1_3genE9ELNS1_11target_archE1100ELNS1_3gpuE3ELNS1_3repE0EEENS1_30default_config_static_selectorELNS0_4arch9wavefront6targetE1EEEvT1_,comdat
	.protected	_ZN7rocprim17ROCPRIM_400000_NS6detail17trampoline_kernelINS0_14default_configENS1_25partition_config_selectorILNS1_17partition_subalgoE8EaNS0_10empty_typeEbEEZZNS1_14partition_implILS5_8ELb0ES3_jPKaPS6_PKS6_NS0_5tupleIJPaS6_EEENSE_IJSB_SB_EEENS0_18inequality_wrapperIN6hipcub16HIPCUB_304000_NS8EqualityEEEPlJS6_EEE10hipError_tPvRmT3_T4_T5_T6_T7_T9_mT8_P12ihipStream_tbDpT10_ENKUlT_T0_E_clISt17integral_constantIbLb1EES16_IbLb0EEEEDaS12_S13_EUlS12_E_NS1_11comp_targetILNS1_3genE9ELNS1_11target_archE1100ELNS1_3gpuE3ELNS1_3repE0EEENS1_30default_config_static_selectorELNS0_4arch9wavefront6targetE1EEEvT1_ ; -- Begin function _ZN7rocprim17ROCPRIM_400000_NS6detail17trampoline_kernelINS0_14default_configENS1_25partition_config_selectorILNS1_17partition_subalgoE8EaNS0_10empty_typeEbEEZZNS1_14partition_implILS5_8ELb0ES3_jPKaPS6_PKS6_NS0_5tupleIJPaS6_EEENSE_IJSB_SB_EEENS0_18inequality_wrapperIN6hipcub16HIPCUB_304000_NS8EqualityEEEPlJS6_EEE10hipError_tPvRmT3_T4_T5_T6_T7_T9_mT8_P12ihipStream_tbDpT10_ENKUlT_T0_E_clISt17integral_constantIbLb1EES16_IbLb0EEEEDaS12_S13_EUlS12_E_NS1_11comp_targetILNS1_3genE9ELNS1_11target_archE1100ELNS1_3gpuE3ELNS1_3repE0EEENS1_30default_config_static_selectorELNS0_4arch9wavefront6targetE1EEEvT1_
	.globl	_ZN7rocprim17ROCPRIM_400000_NS6detail17trampoline_kernelINS0_14default_configENS1_25partition_config_selectorILNS1_17partition_subalgoE8EaNS0_10empty_typeEbEEZZNS1_14partition_implILS5_8ELb0ES3_jPKaPS6_PKS6_NS0_5tupleIJPaS6_EEENSE_IJSB_SB_EEENS0_18inequality_wrapperIN6hipcub16HIPCUB_304000_NS8EqualityEEEPlJS6_EEE10hipError_tPvRmT3_T4_T5_T6_T7_T9_mT8_P12ihipStream_tbDpT10_ENKUlT_T0_E_clISt17integral_constantIbLb1EES16_IbLb0EEEEDaS12_S13_EUlS12_E_NS1_11comp_targetILNS1_3genE9ELNS1_11target_archE1100ELNS1_3gpuE3ELNS1_3repE0EEENS1_30default_config_static_selectorELNS0_4arch9wavefront6targetE1EEEvT1_
	.p2align	8
	.type	_ZN7rocprim17ROCPRIM_400000_NS6detail17trampoline_kernelINS0_14default_configENS1_25partition_config_selectorILNS1_17partition_subalgoE8EaNS0_10empty_typeEbEEZZNS1_14partition_implILS5_8ELb0ES3_jPKaPS6_PKS6_NS0_5tupleIJPaS6_EEENSE_IJSB_SB_EEENS0_18inequality_wrapperIN6hipcub16HIPCUB_304000_NS8EqualityEEEPlJS6_EEE10hipError_tPvRmT3_T4_T5_T6_T7_T9_mT8_P12ihipStream_tbDpT10_ENKUlT_T0_E_clISt17integral_constantIbLb1EES16_IbLb0EEEEDaS12_S13_EUlS12_E_NS1_11comp_targetILNS1_3genE9ELNS1_11target_archE1100ELNS1_3gpuE3ELNS1_3repE0EEENS1_30default_config_static_selectorELNS0_4arch9wavefront6targetE1EEEvT1_,@function
_ZN7rocprim17ROCPRIM_400000_NS6detail17trampoline_kernelINS0_14default_configENS1_25partition_config_selectorILNS1_17partition_subalgoE8EaNS0_10empty_typeEbEEZZNS1_14partition_implILS5_8ELb0ES3_jPKaPS6_PKS6_NS0_5tupleIJPaS6_EEENSE_IJSB_SB_EEENS0_18inequality_wrapperIN6hipcub16HIPCUB_304000_NS8EqualityEEEPlJS6_EEE10hipError_tPvRmT3_T4_T5_T6_T7_T9_mT8_P12ihipStream_tbDpT10_ENKUlT_T0_E_clISt17integral_constantIbLb1EES16_IbLb0EEEEDaS12_S13_EUlS12_E_NS1_11comp_targetILNS1_3genE9ELNS1_11target_archE1100ELNS1_3gpuE3ELNS1_3repE0EEENS1_30default_config_static_selectorELNS0_4arch9wavefront6targetE1EEEvT1_: ; @_ZN7rocprim17ROCPRIM_400000_NS6detail17trampoline_kernelINS0_14default_configENS1_25partition_config_selectorILNS1_17partition_subalgoE8EaNS0_10empty_typeEbEEZZNS1_14partition_implILS5_8ELb0ES3_jPKaPS6_PKS6_NS0_5tupleIJPaS6_EEENSE_IJSB_SB_EEENS0_18inequality_wrapperIN6hipcub16HIPCUB_304000_NS8EqualityEEEPlJS6_EEE10hipError_tPvRmT3_T4_T5_T6_T7_T9_mT8_P12ihipStream_tbDpT10_ENKUlT_T0_E_clISt17integral_constantIbLb1EES16_IbLb0EEEEDaS12_S13_EUlS12_E_NS1_11comp_targetILNS1_3genE9ELNS1_11target_archE1100ELNS1_3gpuE3ELNS1_3repE0EEENS1_30default_config_static_selectorELNS0_4arch9wavefront6targetE1EEEvT1_
; %bb.0:
	.section	.rodata,"a",@progbits
	.p2align	6, 0x0
	.amdhsa_kernel _ZN7rocprim17ROCPRIM_400000_NS6detail17trampoline_kernelINS0_14default_configENS1_25partition_config_selectorILNS1_17partition_subalgoE8EaNS0_10empty_typeEbEEZZNS1_14partition_implILS5_8ELb0ES3_jPKaPS6_PKS6_NS0_5tupleIJPaS6_EEENSE_IJSB_SB_EEENS0_18inequality_wrapperIN6hipcub16HIPCUB_304000_NS8EqualityEEEPlJS6_EEE10hipError_tPvRmT3_T4_T5_T6_T7_T9_mT8_P12ihipStream_tbDpT10_ENKUlT_T0_E_clISt17integral_constantIbLb1EES16_IbLb0EEEEDaS12_S13_EUlS12_E_NS1_11comp_targetILNS1_3genE9ELNS1_11target_archE1100ELNS1_3gpuE3ELNS1_3repE0EEENS1_30default_config_static_selectorELNS0_4arch9wavefront6targetE1EEEvT1_
		.amdhsa_group_segment_fixed_size 0
		.amdhsa_private_segment_fixed_size 0
		.amdhsa_kernarg_size 112
		.amdhsa_user_sgpr_count 2
		.amdhsa_user_sgpr_dispatch_ptr 0
		.amdhsa_user_sgpr_queue_ptr 0
		.amdhsa_user_sgpr_kernarg_segment_ptr 1
		.amdhsa_user_sgpr_dispatch_id 0
		.amdhsa_user_sgpr_kernarg_preload_length 0
		.amdhsa_user_sgpr_kernarg_preload_offset 0
		.amdhsa_user_sgpr_private_segment_size 0
		.amdhsa_uses_dynamic_stack 0
		.amdhsa_enable_private_segment 0
		.amdhsa_system_sgpr_workgroup_id_x 1
		.amdhsa_system_sgpr_workgroup_id_y 0
		.amdhsa_system_sgpr_workgroup_id_z 0
		.amdhsa_system_sgpr_workgroup_info 0
		.amdhsa_system_vgpr_workitem_id 0
		.amdhsa_next_free_vgpr 1
		.amdhsa_next_free_sgpr 0
		.amdhsa_accum_offset 4
		.amdhsa_reserve_vcc 0
		.amdhsa_float_round_mode_32 0
		.amdhsa_float_round_mode_16_64 0
		.amdhsa_float_denorm_mode_32 3
		.amdhsa_float_denorm_mode_16_64 3
		.amdhsa_dx10_clamp 1
		.amdhsa_ieee_mode 1
		.amdhsa_fp16_overflow 0
		.amdhsa_tg_split 0
		.amdhsa_exception_fp_ieee_invalid_op 0
		.amdhsa_exception_fp_denorm_src 0
		.amdhsa_exception_fp_ieee_div_zero 0
		.amdhsa_exception_fp_ieee_overflow 0
		.amdhsa_exception_fp_ieee_underflow 0
		.amdhsa_exception_fp_ieee_inexact 0
		.amdhsa_exception_int_div_zero 0
	.end_amdhsa_kernel
	.section	.text._ZN7rocprim17ROCPRIM_400000_NS6detail17trampoline_kernelINS0_14default_configENS1_25partition_config_selectorILNS1_17partition_subalgoE8EaNS0_10empty_typeEbEEZZNS1_14partition_implILS5_8ELb0ES3_jPKaPS6_PKS6_NS0_5tupleIJPaS6_EEENSE_IJSB_SB_EEENS0_18inequality_wrapperIN6hipcub16HIPCUB_304000_NS8EqualityEEEPlJS6_EEE10hipError_tPvRmT3_T4_T5_T6_T7_T9_mT8_P12ihipStream_tbDpT10_ENKUlT_T0_E_clISt17integral_constantIbLb1EES16_IbLb0EEEEDaS12_S13_EUlS12_E_NS1_11comp_targetILNS1_3genE9ELNS1_11target_archE1100ELNS1_3gpuE3ELNS1_3repE0EEENS1_30default_config_static_selectorELNS0_4arch9wavefront6targetE1EEEvT1_,"axG",@progbits,_ZN7rocprim17ROCPRIM_400000_NS6detail17trampoline_kernelINS0_14default_configENS1_25partition_config_selectorILNS1_17partition_subalgoE8EaNS0_10empty_typeEbEEZZNS1_14partition_implILS5_8ELb0ES3_jPKaPS6_PKS6_NS0_5tupleIJPaS6_EEENSE_IJSB_SB_EEENS0_18inequality_wrapperIN6hipcub16HIPCUB_304000_NS8EqualityEEEPlJS6_EEE10hipError_tPvRmT3_T4_T5_T6_T7_T9_mT8_P12ihipStream_tbDpT10_ENKUlT_T0_E_clISt17integral_constantIbLb1EES16_IbLb0EEEEDaS12_S13_EUlS12_E_NS1_11comp_targetILNS1_3genE9ELNS1_11target_archE1100ELNS1_3gpuE3ELNS1_3repE0EEENS1_30default_config_static_selectorELNS0_4arch9wavefront6targetE1EEEvT1_,comdat
.Lfunc_end225:
	.size	_ZN7rocprim17ROCPRIM_400000_NS6detail17trampoline_kernelINS0_14default_configENS1_25partition_config_selectorILNS1_17partition_subalgoE8EaNS0_10empty_typeEbEEZZNS1_14partition_implILS5_8ELb0ES3_jPKaPS6_PKS6_NS0_5tupleIJPaS6_EEENSE_IJSB_SB_EEENS0_18inequality_wrapperIN6hipcub16HIPCUB_304000_NS8EqualityEEEPlJS6_EEE10hipError_tPvRmT3_T4_T5_T6_T7_T9_mT8_P12ihipStream_tbDpT10_ENKUlT_T0_E_clISt17integral_constantIbLb1EES16_IbLb0EEEEDaS12_S13_EUlS12_E_NS1_11comp_targetILNS1_3genE9ELNS1_11target_archE1100ELNS1_3gpuE3ELNS1_3repE0EEENS1_30default_config_static_selectorELNS0_4arch9wavefront6targetE1EEEvT1_, .Lfunc_end225-_ZN7rocprim17ROCPRIM_400000_NS6detail17trampoline_kernelINS0_14default_configENS1_25partition_config_selectorILNS1_17partition_subalgoE8EaNS0_10empty_typeEbEEZZNS1_14partition_implILS5_8ELb0ES3_jPKaPS6_PKS6_NS0_5tupleIJPaS6_EEENSE_IJSB_SB_EEENS0_18inequality_wrapperIN6hipcub16HIPCUB_304000_NS8EqualityEEEPlJS6_EEE10hipError_tPvRmT3_T4_T5_T6_T7_T9_mT8_P12ihipStream_tbDpT10_ENKUlT_T0_E_clISt17integral_constantIbLb1EES16_IbLb0EEEEDaS12_S13_EUlS12_E_NS1_11comp_targetILNS1_3genE9ELNS1_11target_archE1100ELNS1_3gpuE3ELNS1_3repE0EEENS1_30default_config_static_selectorELNS0_4arch9wavefront6targetE1EEEvT1_
                                        ; -- End function
	.section	.AMDGPU.csdata,"",@progbits
; Kernel info:
; codeLenInByte = 0
; NumSgprs: 6
; NumVgprs: 0
; NumAgprs: 0
; TotalNumVgprs: 0
; ScratchSize: 0
; MemoryBound: 0
; FloatMode: 240
; IeeeMode: 1
; LDSByteSize: 0 bytes/workgroup (compile time only)
; SGPRBlocks: 0
; VGPRBlocks: 0
; NumSGPRsForWavesPerEU: 6
; NumVGPRsForWavesPerEU: 1
; AccumOffset: 4
; Occupancy: 8
; WaveLimiterHint : 0
; COMPUTE_PGM_RSRC2:SCRATCH_EN: 0
; COMPUTE_PGM_RSRC2:USER_SGPR: 2
; COMPUTE_PGM_RSRC2:TRAP_HANDLER: 0
; COMPUTE_PGM_RSRC2:TGID_X_EN: 1
; COMPUTE_PGM_RSRC2:TGID_Y_EN: 0
; COMPUTE_PGM_RSRC2:TGID_Z_EN: 0
; COMPUTE_PGM_RSRC2:TIDIG_COMP_CNT: 0
; COMPUTE_PGM_RSRC3_GFX90A:ACCUM_OFFSET: 0
; COMPUTE_PGM_RSRC3_GFX90A:TG_SPLIT: 0
	.section	.text._ZN7rocprim17ROCPRIM_400000_NS6detail17trampoline_kernelINS0_14default_configENS1_25partition_config_selectorILNS1_17partition_subalgoE8EaNS0_10empty_typeEbEEZZNS1_14partition_implILS5_8ELb0ES3_jPKaPS6_PKS6_NS0_5tupleIJPaS6_EEENSE_IJSB_SB_EEENS0_18inequality_wrapperIN6hipcub16HIPCUB_304000_NS8EqualityEEEPlJS6_EEE10hipError_tPvRmT3_T4_T5_T6_T7_T9_mT8_P12ihipStream_tbDpT10_ENKUlT_T0_E_clISt17integral_constantIbLb1EES16_IbLb0EEEEDaS12_S13_EUlS12_E_NS1_11comp_targetILNS1_3genE8ELNS1_11target_archE1030ELNS1_3gpuE2ELNS1_3repE0EEENS1_30default_config_static_selectorELNS0_4arch9wavefront6targetE1EEEvT1_,"axG",@progbits,_ZN7rocprim17ROCPRIM_400000_NS6detail17trampoline_kernelINS0_14default_configENS1_25partition_config_selectorILNS1_17partition_subalgoE8EaNS0_10empty_typeEbEEZZNS1_14partition_implILS5_8ELb0ES3_jPKaPS6_PKS6_NS0_5tupleIJPaS6_EEENSE_IJSB_SB_EEENS0_18inequality_wrapperIN6hipcub16HIPCUB_304000_NS8EqualityEEEPlJS6_EEE10hipError_tPvRmT3_T4_T5_T6_T7_T9_mT8_P12ihipStream_tbDpT10_ENKUlT_T0_E_clISt17integral_constantIbLb1EES16_IbLb0EEEEDaS12_S13_EUlS12_E_NS1_11comp_targetILNS1_3genE8ELNS1_11target_archE1030ELNS1_3gpuE2ELNS1_3repE0EEENS1_30default_config_static_selectorELNS0_4arch9wavefront6targetE1EEEvT1_,comdat
	.protected	_ZN7rocprim17ROCPRIM_400000_NS6detail17trampoline_kernelINS0_14default_configENS1_25partition_config_selectorILNS1_17partition_subalgoE8EaNS0_10empty_typeEbEEZZNS1_14partition_implILS5_8ELb0ES3_jPKaPS6_PKS6_NS0_5tupleIJPaS6_EEENSE_IJSB_SB_EEENS0_18inequality_wrapperIN6hipcub16HIPCUB_304000_NS8EqualityEEEPlJS6_EEE10hipError_tPvRmT3_T4_T5_T6_T7_T9_mT8_P12ihipStream_tbDpT10_ENKUlT_T0_E_clISt17integral_constantIbLb1EES16_IbLb0EEEEDaS12_S13_EUlS12_E_NS1_11comp_targetILNS1_3genE8ELNS1_11target_archE1030ELNS1_3gpuE2ELNS1_3repE0EEENS1_30default_config_static_selectorELNS0_4arch9wavefront6targetE1EEEvT1_ ; -- Begin function _ZN7rocprim17ROCPRIM_400000_NS6detail17trampoline_kernelINS0_14default_configENS1_25partition_config_selectorILNS1_17partition_subalgoE8EaNS0_10empty_typeEbEEZZNS1_14partition_implILS5_8ELb0ES3_jPKaPS6_PKS6_NS0_5tupleIJPaS6_EEENSE_IJSB_SB_EEENS0_18inequality_wrapperIN6hipcub16HIPCUB_304000_NS8EqualityEEEPlJS6_EEE10hipError_tPvRmT3_T4_T5_T6_T7_T9_mT8_P12ihipStream_tbDpT10_ENKUlT_T0_E_clISt17integral_constantIbLb1EES16_IbLb0EEEEDaS12_S13_EUlS12_E_NS1_11comp_targetILNS1_3genE8ELNS1_11target_archE1030ELNS1_3gpuE2ELNS1_3repE0EEENS1_30default_config_static_selectorELNS0_4arch9wavefront6targetE1EEEvT1_
	.globl	_ZN7rocprim17ROCPRIM_400000_NS6detail17trampoline_kernelINS0_14default_configENS1_25partition_config_selectorILNS1_17partition_subalgoE8EaNS0_10empty_typeEbEEZZNS1_14partition_implILS5_8ELb0ES3_jPKaPS6_PKS6_NS0_5tupleIJPaS6_EEENSE_IJSB_SB_EEENS0_18inequality_wrapperIN6hipcub16HIPCUB_304000_NS8EqualityEEEPlJS6_EEE10hipError_tPvRmT3_T4_T5_T6_T7_T9_mT8_P12ihipStream_tbDpT10_ENKUlT_T0_E_clISt17integral_constantIbLb1EES16_IbLb0EEEEDaS12_S13_EUlS12_E_NS1_11comp_targetILNS1_3genE8ELNS1_11target_archE1030ELNS1_3gpuE2ELNS1_3repE0EEENS1_30default_config_static_selectorELNS0_4arch9wavefront6targetE1EEEvT1_
	.p2align	8
	.type	_ZN7rocprim17ROCPRIM_400000_NS6detail17trampoline_kernelINS0_14default_configENS1_25partition_config_selectorILNS1_17partition_subalgoE8EaNS0_10empty_typeEbEEZZNS1_14partition_implILS5_8ELb0ES3_jPKaPS6_PKS6_NS0_5tupleIJPaS6_EEENSE_IJSB_SB_EEENS0_18inequality_wrapperIN6hipcub16HIPCUB_304000_NS8EqualityEEEPlJS6_EEE10hipError_tPvRmT3_T4_T5_T6_T7_T9_mT8_P12ihipStream_tbDpT10_ENKUlT_T0_E_clISt17integral_constantIbLb1EES16_IbLb0EEEEDaS12_S13_EUlS12_E_NS1_11comp_targetILNS1_3genE8ELNS1_11target_archE1030ELNS1_3gpuE2ELNS1_3repE0EEENS1_30default_config_static_selectorELNS0_4arch9wavefront6targetE1EEEvT1_,@function
_ZN7rocprim17ROCPRIM_400000_NS6detail17trampoline_kernelINS0_14default_configENS1_25partition_config_selectorILNS1_17partition_subalgoE8EaNS0_10empty_typeEbEEZZNS1_14partition_implILS5_8ELb0ES3_jPKaPS6_PKS6_NS0_5tupleIJPaS6_EEENSE_IJSB_SB_EEENS0_18inequality_wrapperIN6hipcub16HIPCUB_304000_NS8EqualityEEEPlJS6_EEE10hipError_tPvRmT3_T4_T5_T6_T7_T9_mT8_P12ihipStream_tbDpT10_ENKUlT_T0_E_clISt17integral_constantIbLb1EES16_IbLb0EEEEDaS12_S13_EUlS12_E_NS1_11comp_targetILNS1_3genE8ELNS1_11target_archE1030ELNS1_3gpuE2ELNS1_3repE0EEENS1_30default_config_static_selectorELNS0_4arch9wavefront6targetE1EEEvT1_: ; @_ZN7rocprim17ROCPRIM_400000_NS6detail17trampoline_kernelINS0_14default_configENS1_25partition_config_selectorILNS1_17partition_subalgoE8EaNS0_10empty_typeEbEEZZNS1_14partition_implILS5_8ELb0ES3_jPKaPS6_PKS6_NS0_5tupleIJPaS6_EEENSE_IJSB_SB_EEENS0_18inequality_wrapperIN6hipcub16HIPCUB_304000_NS8EqualityEEEPlJS6_EEE10hipError_tPvRmT3_T4_T5_T6_T7_T9_mT8_P12ihipStream_tbDpT10_ENKUlT_T0_E_clISt17integral_constantIbLb1EES16_IbLb0EEEEDaS12_S13_EUlS12_E_NS1_11comp_targetILNS1_3genE8ELNS1_11target_archE1030ELNS1_3gpuE2ELNS1_3repE0EEENS1_30default_config_static_selectorELNS0_4arch9wavefront6targetE1EEEvT1_
; %bb.0:
	.section	.rodata,"a",@progbits
	.p2align	6, 0x0
	.amdhsa_kernel _ZN7rocprim17ROCPRIM_400000_NS6detail17trampoline_kernelINS0_14default_configENS1_25partition_config_selectorILNS1_17partition_subalgoE8EaNS0_10empty_typeEbEEZZNS1_14partition_implILS5_8ELb0ES3_jPKaPS6_PKS6_NS0_5tupleIJPaS6_EEENSE_IJSB_SB_EEENS0_18inequality_wrapperIN6hipcub16HIPCUB_304000_NS8EqualityEEEPlJS6_EEE10hipError_tPvRmT3_T4_T5_T6_T7_T9_mT8_P12ihipStream_tbDpT10_ENKUlT_T0_E_clISt17integral_constantIbLb1EES16_IbLb0EEEEDaS12_S13_EUlS12_E_NS1_11comp_targetILNS1_3genE8ELNS1_11target_archE1030ELNS1_3gpuE2ELNS1_3repE0EEENS1_30default_config_static_selectorELNS0_4arch9wavefront6targetE1EEEvT1_
		.amdhsa_group_segment_fixed_size 0
		.amdhsa_private_segment_fixed_size 0
		.amdhsa_kernarg_size 112
		.amdhsa_user_sgpr_count 2
		.amdhsa_user_sgpr_dispatch_ptr 0
		.amdhsa_user_sgpr_queue_ptr 0
		.amdhsa_user_sgpr_kernarg_segment_ptr 1
		.amdhsa_user_sgpr_dispatch_id 0
		.amdhsa_user_sgpr_kernarg_preload_length 0
		.amdhsa_user_sgpr_kernarg_preload_offset 0
		.amdhsa_user_sgpr_private_segment_size 0
		.amdhsa_uses_dynamic_stack 0
		.amdhsa_enable_private_segment 0
		.amdhsa_system_sgpr_workgroup_id_x 1
		.amdhsa_system_sgpr_workgroup_id_y 0
		.amdhsa_system_sgpr_workgroup_id_z 0
		.amdhsa_system_sgpr_workgroup_info 0
		.amdhsa_system_vgpr_workitem_id 0
		.amdhsa_next_free_vgpr 1
		.amdhsa_next_free_sgpr 0
		.amdhsa_accum_offset 4
		.amdhsa_reserve_vcc 0
		.amdhsa_float_round_mode_32 0
		.amdhsa_float_round_mode_16_64 0
		.amdhsa_float_denorm_mode_32 3
		.amdhsa_float_denorm_mode_16_64 3
		.amdhsa_dx10_clamp 1
		.amdhsa_ieee_mode 1
		.amdhsa_fp16_overflow 0
		.amdhsa_tg_split 0
		.amdhsa_exception_fp_ieee_invalid_op 0
		.amdhsa_exception_fp_denorm_src 0
		.amdhsa_exception_fp_ieee_div_zero 0
		.amdhsa_exception_fp_ieee_overflow 0
		.amdhsa_exception_fp_ieee_underflow 0
		.amdhsa_exception_fp_ieee_inexact 0
		.amdhsa_exception_int_div_zero 0
	.end_amdhsa_kernel
	.section	.text._ZN7rocprim17ROCPRIM_400000_NS6detail17trampoline_kernelINS0_14default_configENS1_25partition_config_selectorILNS1_17partition_subalgoE8EaNS0_10empty_typeEbEEZZNS1_14partition_implILS5_8ELb0ES3_jPKaPS6_PKS6_NS0_5tupleIJPaS6_EEENSE_IJSB_SB_EEENS0_18inequality_wrapperIN6hipcub16HIPCUB_304000_NS8EqualityEEEPlJS6_EEE10hipError_tPvRmT3_T4_T5_T6_T7_T9_mT8_P12ihipStream_tbDpT10_ENKUlT_T0_E_clISt17integral_constantIbLb1EES16_IbLb0EEEEDaS12_S13_EUlS12_E_NS1_11comp_targetILNS1_3genE8ELNS1_11target_archE1030ELNS1_3gpuE2ELNS1_3repE0EEENS1_30default_config_static_selectorELNS0_4arch9wavefront6targetE1EEEvT1_,"axG",@progbits,_ZN7rocprim17ROCPRIM_400000_NS6detail17trampoline_kernelINS0_14default_configENS1_25partition_config_selectorILNS1_17partition_subalgoE8EaNS0_10empty_typeEbEEZZNS1_14partition_implILS5_8ELb0ES3_jPKaPS6_PKS6_NS0_5tupleIJPaS6_EEENSE_IJSB_SB_EEENS0_18inequality_wrapperIN6hipcub16HIPCUB_304000_NS8EqualityEEEPlJS6_EEE10hipError_tPvRmT3_T4_T5_T6_T7_T9_mT8_P12ihipStream_tbDpT10_ENKUlT_T0_E_clISt17integral_constantIbLb1EES16_IbLb0EEEEDaS12_S13_EUlS12_E_NS1_11comp_targetILNS1_3genE8ELNS1_11target_archE1030ELNS1_3gpuE2ELNS1_3repE0EEENS1_30default_config_static_selectorELNS0_4arch9wavefront6targetE1EEEvT1_,comdat
.Lfunc_end226:
	.size	_ZN7rocprim17ROCPRIM_400000_NS6detail17trampoline_kernelINS0_14default_configENS1_25partition_config_selectorILNS1_17partition_subalgoE8EaNS0_10empty_typeEbEEZZNS1_14partition_implILS5_8ELb0ES3_jPKaPS6_PKS6_NS0_5tupleIJPaS6_EEENSE_IJSB_SB_EEENS0_18inequality_wrapperIN6hipcub16HIPCUB_304000_NS8EqualityEEEPlJS6_EEE10hipError_tPvRmT3_T4_T5_T6_T7_T9_mT8_P12ihipStream_tbDpT10_ENKUlT_T0_E_clISt17integral_constantIbLb1EES16_IbLb0EEEEDaS12_S13_EUlS12_E_NS1_11comp_targetILNS1_3genE8ELNS1_11target_archE1030ELNS1_3gpuE2ELNS1_3repE0EEENS1_30default_config_static_selectorELNS0_4arch9wavefront6targetE1EEEvT1_, .Lfunc_end226-_ZN7rocprim17ROCPRIM_400000_NS6detail17trampoline_kernelINS0_14default_configENS1_25partition_config_selectorILNS1_17partition_subalgoE8EaNS0_10empty_typeEbEEZZNS1_14partition_implILS5_8ELb0ES3_jPKaPS6_PKS6_NS0_5tupleIJPaS6_EEENSE_IJSB_SB_EEENS0_18inequality_wrapperIN6hipcub16HIPCUB_304000_NS8EqualityEEEPlJS6_EEE10hipError_tPvRmT3_T4_T5_T6_T7_T9_mT8_P12ihipStream_tbDpT10_ENKUlT_T0_E_clISt17integral_constantIbLb1EES16_IbLb0EEEEDaS12_S13_EUlS12_E_NS1_11comp_targetILNS1_3genE8ELNS1_11target_archE1030ELNS1_3gpuE2ELNS1_3repE0EEENS1_30default_config_static_selectorELNS0_4arch9wavefront6targetE1EEEvT1_
                                        ; -- End function
	.section	.AMDGPU.csdata,"",@progbits
; Kernel info:
; codeLenInByte = 0
; NumSgprs: 6
; NumVgprs: 0
; NumAgprs: 0
; TotalNumVgprs: 0
; ScratchSize: 0
; MemoryBound: 0
; FloatMode: 240
; IeeeMode: 1
; LDSByteSize: 0 bytes/workgroup (compile time only)
; SGPRBlocks: 0
; VGPRBlocks: 0
; NumSGPRsForWavesPerEU: 6
; NumVGPRsForWavesPerEU: 1
; AccumOffset: 4
; Occupancy: 8
; WaveLimiterHint : 0
; COMPUTE_PGM_RSRC2:SCRATCH_EN: 0
; COMPUTE_PGM_RSRC2:USER_SGPR: 2
; COMPUTE_PGM_RSRC2:TRAP_HANDLER: 0
; COMPUTE_PGM_RSRC2:TGID_X_EN: 1
; COMPUTE_PGM_RSRC2:TGID_Y_EN: 0
; COMPUTE_PGM_RSRC2:TGID_Z_EN: 0
; COMPUTE_PGM_RSRC2:TIDIG_COMP_CNT: 0
; COMPUTE_PGM_RSRC3_GFX90A:ACCUM_OFFSET: 0
; COMPUTE_PGM_RSRC3_GFX90A:TG_SPLIT: 0
	.section	.text._ZN7rocprim17ROCPRIM_400000_NS6detail17trampoline_kernelINS0_14default_configENS1_25partition_config_selectorILNS1_17partition_subalgoE8EaNS0_10empty_typeEbEEZZNS1_14partition_implILS5_8ELb0ES3_jPKaPS6_PKS6_NS0_5tupleIJPaS6_EEENSE_IJSB_SB_EEENS0_18inequality_wrapperIN6hipcub16HIPCUB_304000_NS8EqualityEEEPlJS6_EEE10hipError_tPvRmT3_T4_T5_T6_T7_T9_mT8_P12ihipStream_tbDpT10_ENKUlT_T0_E_clISt17integral_constantIbLb0EES16_IbLb1EEEEDaS12_S13_EUlS12_E_NS1_11comp_targetILNS1_3genE0ELNS1_11target_archE4294967295ELNS1_3gpuE0ELNS1_3repE0EEENS1_30default_config_static_selectorELNS0_4arch9wavefront6targetE1EEEvT1_,"axG",@progbits,_ZN7rocprim17ROCPRIM_400000_NS6detail17trampoline_kernelINS0_14default_configENS1_25partition_config_selectorILNS1_17partition_subalgoE8EaNS0_10empty_typeEbEEZZNS1_14partition_implILS5_8ELb0ES3_jPKaPS6_PKS6_NS0_5tupleIJPaS6_EEENSE_IJSB_SB_EEENS0_18inequality_wrapperIN6hipcub16HIPCUB_304000_NS8EqualityEEEPlJS6_EEE10hipError_tPvRmT3_T4_T5_T6_T7_T9_mT8_P12ihipStream_tbDpT10_ENKUlT_T0_E_clISt17integral_constantIbLb0EES16_IbLb1EEEEDaS12_S13_EUlS12_E_NS1_11comp_targetILNS1_3genE0ELNS1_11target_archE4294967295ELNS1_3gpuE0ELNS1_3repE0EEENS1_30default_config_static_selectorELNS0_4arch9wavefront6targetE1EEEvT1_,comdat
	.protected	_ZN7rocprim17ROCPRIM_400000_NS6detail17trampoline_kernelINS0_14default_configENS1_25partition_config_selectorILNS1_17partition_subalgoE8EaNS0_10empty_typeEbEEZZNS1_14partition_implILS5_8ELb0ES3_jPKaPS6_PKS6_NS0_5tupleIJPaS6_EEENSE_IJSB_SB_EEENS0_18inequality_wrapperIN6hipcub16HIPCUB_304000_NS8EqualityEEEPlJS6_EEE10hipError_tPvRmT3_T4_T5_T6_T7_T9_mT8_P12ihipStream_tbDpT10_ENKUlT_T0_E_clISt17integral_constantIbLb0EES16_IbLb1EEEEDaS12_S13_EUlS12_E_NS1_11comp_targetILNS1_3genE0ELNS1_11target_archE4294967295ELNS1_3gpuE0ELNS1_3repE0EEENS1_30default_config_static_selectorELNS0_4arch9wavefront6targetE1EEEvT1_ ; -- Begin function _ZN7rocprim17ROCPRIM_400000_NS6detail17trampoline_kernelINS0_14default_configENS1_25partition_config_selectorILNS1_17partition_subalgoE8EaNS0_10empty_typeEbEEZZNS1_14partition_implILS5_8ELb0ES3_jPKaPS6_PKS6_NS0_5tupleIJPaS6_EEENSE_IJSB_SB_EEENS0_18inequality_wrapperIN6hipcub16HIPCUB_304000_NS8EqualityEEEPlJS6_EEE10hipError_tPvRmT3_T4_T5_T6_T7_T9_mT8_P12ihipStream_tbDpT10_ENKUlT_T0_E_clISt17integral_constantIbLb0EES16_IbLb1EEEEDaS12_S13_EUlS12_E_NS1_11comp_targetILNS1_3genE0ELNS1_11target_archE4294967295ELNS1_3gpuE0ELNS1_3repE0EEENS1_30default_config_static_selectorELNS0_4arch9wavefront6targetE1EEEvT1_
	.globl	_ZN7rocprim17ROCPRIM_400000_NS6detail17trampoline_kernelINS0_14default_configENS1_25partition_config_selectorILNS1_17partition_subalgoE8EaNS0_10empty_typeEbEEZZNS1_14partition_implILS5_8ELb0ES3_jPKaPS6_PKS6_NS0_5tupleIJPaS6_EEENSE_IJSB_SB_EEENS0_18inequality_wrapperIN6hipcub16HIPCUB_304000_NS8EqualityEEEPlJS6_EEE10hipError_tPvRmT3_T4_T5_T6_T7_T9_mT8_P12ihipStream_tbDpT10_ENKUlT_T0_E_clISt17integral_constantIbLb0EES16_IbLb1EEEEDaS12_S13_EUlS12_E_NS1_11comp_targetILNS1_3genE0ELNS1_11target_archE4294967295ELNS1_3gpuE0ELNS1_3repE0EEENS1_30default_config_static_selectorELNS0_4arch9wavefront6targetE1EEEvT1_
	.p2align	8
	.type	_ZN7rocprim17ROCPRIM_400000_NS6detail17trampoline_kernelINS0_14default_configENS1_25partition_config_selectorILNS1_17partition_subalgoE8EaNS0_10empty_typeEbEEZZNS1_14partition_implILS5_8ELb0ES3_jPKaPS6_PKS6_NS0_5tupleIJPaS6_EEENSE_IJSB_SB_EEENS0_18inequality_wrapperIN6hipcub16HIPCUB_304000_NS8EqualityEEEPlJS6_EEE10hipError_tPvRmT3_T4_T5_T6_T7_T9_mT8_P12ihipStream_tbDpT10_ENKUlT_T0_E_clISt17integral_constantIbLb0EES16_IbLb1EEEEDaS12_S13_EUlS12_E_NS1_11comp_targetILNS1_3genE0ELNS1_11target_archE4294967295ELNS1_3gpuE0ELNS1_3repE0EEENS1_30default_config_static_selectorELNS0_4arch9wavefront6targetE1EEEvT1_,@function
_ZN7rocprim17ROCPRIM_400000_NS6detail17trampoline_kernelINS0_14default_configENS1_25partition_config_selectorILNS1_17partition_subalgoE8EaNS0_10empty_typeEbEEZZNS1_14partition_implILS5_8ELb0ES3_jPKaPS6_PKS6_NS0_5tupleIJPaS6_EEENSE_IJSB_SB_EEENS0_18inequality_wrapperIN6hipcub16HIPCUB_304000_NS8EqualityEEEPlJS6_EEE10hipError_tPvRmT3_T4_T5_T6_T7_T9_mT8_P12ihipStream_tbDpT10_ENKUlT_T0_E_clISt17integral_constantIbLb0EES16_IbLb1EEEEDaS12_S13_EUlS12_E_NS1_11comp_targetILNS1_3genE0ELNS1_11target_archE4294967295ELNS1_3gpuE0ELNS1_3repE0EEENS1_30default_config_static_selectorELNS0_4arch9wavefront6targetE1EEEvT1_: ; @_ZN7rocprim17ROCPRIM_400000_NS6detail17trampoline_kernelINS0_14default_configENS1_25partition_config_selectorILNS1_17partition_subalgoE8EaNS0_10empty_typeEbEEZZNS1_14partition_implILS5_8ELb0ES3_jPKaPS6_PKS6_NS0_5tupleIJPaS6_EEENSE_IJSB_SB_EEENS0_18inequality_wrapperIN6hipcub16HIPCUB_304000_NS8EqualityEEEPlJS6_EEE10hipError_tPvRmT3_T4_T5_T6_T7_T9_mT8_P12ihipStream_tbDpT10_ENKUlT_T0_E_clISt17integral_constantIbLb0EES16_IbLb1EEEEDaS12_S13_EUlS12_E_NS1_11comp_targetILNS1_3genE0ELNS1_11target_archE4294967295ELNS1_3gpuE0ELNS1_3repE0EEENS1_30default_config_static_selectorELNS0_4arch9wavefront6targetE1EEEvT1_
; %bb.0:
	.section	.rodata,"a",@progbits
	.p2align	6, 0x0
	.amdhsa_kernel _ZN7rocprim17ROCPRIM_400000_NS6detail17trampoline_kernelINS0_14default_configENS1_25partition_config_selectorILNS1_17partition_subalgoE8EaNS0_10empty_typeEbEEZZNS1_14partition_implILS5_8ELb0ES3_jPKaPS6_PKS6_NS0_5tupleIJPaS6_EEENSE_IJSB_SB_EEENS0_18inequality_wrapperIN6hipcub16HIPCUB_304000_NS8EqualityEEEPlJS6_EEE10hipError_tPvRmT3_T4_T5_T6_T7_T9_mT8_P12ihipStream_tbDpT10_ENKUlT_T0_E_clISt17integral_constantIbLb0EES16_IbLb1EEEEDaS12_S13_EUlS12_E_NS1_11comp_targetILNS1_3genE0ELNS1_11target_archE4294967295ELNS1_3gpuE0ELNS1_3repE0EEENS1_30default_config_static_selectorELNS0_4arch9wavefront6targetE1EEEvT1_
		.amdhsa_group_segment_fixed_size 0
		.amdhsa_private_segment_fixed_size 0
		.amdhsa_kernarg_size 128
		.amdhsa_user_sgpr_count 2
		.amdhsa_user_sgpr_dispatch_ptr 0
		.amdhsa_user_sgpr_queue_ptr 0
		.amdhsa_user_sgpr_kernarg_segment_ptr 1
		.amdhsa_user_sgpr_dispatch_id 0
		.amdhsa_user_sgpr_kernarg_preload_length 0
		.amdhsa_user_sgpr_kernarg_preload_offset 0
		.amdhsa_user_sgpr_private_segment_size 0
		.amdhsa_uses_dynamic_stack 0
		.amdhsa_enable_private_segment 0
		.amdhsa_system_sgpr_workgroup_id_x 1
		.amdhsa_system_sgpr_workgroup_id_y 0
		.amdhsa_system_sgpr_workgroup_id_z 0
		.amdhsa_system_sgpr_workgroup_info 0
		.amdhsa_system_vgpr_workitem_id 0
		.amdhsa_next_free_vgpr 1
		.amdhsa_next_free_sgpr 0
		.amdhsa_accum_offset 4
		.amdhsa_reserve_vcc 0
		.amdhsa_float_round_mode_32 0
		.amdhsa_float_round_mode_16_64 0
		.amdhsa_float_denorm_mode_32 3
		.amdhsa_float_denorm_mode_16_64 3
		.amdhsa_dx10_clamp 1
		.amdhsa_ieee_mode 1
		.amdhsa_fp16_overflow 0
		.amdhsa_tg_split 0
		.amdhsa_exception_fp_ieee_invalid_op 0
		.amdhsa_exception_fp_denorm_src 0
		.amdhsa_exception_fp_ieee_div_zero 0
		.amdhsa_exception_fp_ieee_overflow 0
		.amdhsa_exception_fp_ieee_underflow 0
		.amdhsa_exception_fp_ieee_inexact 0
		.amdhsa_exception_int_div_zero 0
	.end_amdhsa_kernel
	.section	.text._ZN7rocprim17ROCPRIM_400000_NS6detail17trampoline_kernelINS0_14default_configENS1_25partition_config_selectorILNS1_17partition_subalgoE8EaNS0_10empty_typeEbEEZZNS1_14partition_implILS5_8ELb0ES3_jPKaPS6_PKS6_NS0_5tupleIJPaS6_EEENSE_IJSB_SB_EEENS0_18inequality_wrapperIN6hipcub16HIPCUB_304000_NS8EqualityEEEPlJS6_EEE10hipError_tPvRmT3_T4_T5_T6_T7_T9_mT8_P12ihipStream_tbDpT10_ENKUlT_T0_E_clISt17integral_constantIbLb0EES16_IbLb1EEEEDaS12_S13_EUlS12_E_NS1_11comp_targetILNS1_3genE0ELNS1_11target_archE4294967295ELNS1_3gpuE0ELNS1_3repE0EEENS1_30default_config_static_selectorELNS0_4arch9wavefront6targetE1EEEvT1_,"axG",@progbits,_ZN7rocprim17ROCPRIM_400000_NS6detail17trampoline_kernelINS0_14default_configENS1_25partition_config_selectorILNS1_17partition_subalgoE8EaNS0_10empty_typeEbEEZZNS1_14partition_implILS5_8ELb0ES3_jPKaPS6_PKS6_NS0_5tupleIJPaS6_EEENSE_IJSB_SB_EEENS0_18inequality_wrapperIN6hipcub16HIPCUB_304000_NS8EqualityEEEPlJS6_EEE10hipError_tPvRmT3_T4_T5_T6_T7_T9_mT8_P12ihipStream_tbDpT10_ENKUlT_T0_E_clISt17integral_constantIbLb0EES16_IbLb1EEEEDaS12_S13_EUlS12_E_NS1_11comp_targetILNS1_3genE0ELNS1_11target_archE4294967295ELNS1_3gpuE0ELNS1_3repE0EEENS1_30default_config_static_selectorELNS0_4arch9wavefront6targetE1EEEvT1_,comdat
.Lfunc_end227:
	.size	_ZN7rocprim17ROCPRIM_400000_NS6detail17trampoline_kernelINS0_14default_configENS1_25partition_config_selectorILNS1_17partition_subalgoE8EaNS0_10empty_typeEbEEZZNS1_14partition_implILS5_8ELb0ES3_jPKaPS6_PKS6_NS0_5tupleIJPaS6_EEENSE_IJSB_SB_EEENS0_18inequality_wrapperIN6hipcub16HIPCUB_304000_NS8EqualityEEEPlJS6_EEE10hipError_tPvRmT3_T4_T5_T6_T7_T9_mT8_P12ihipStream_tbDpT10_ENKUlT_T0_E_clISt17integral_constantIbLb0EES16_IbLb1EEEEDaS12_S13_EUlS12_E_NS1_11comp_targetILNS1_3genE0ELNS1_11target_archE4294967295ELNS1_3gpuE0ELNS1_3repE0EEENS1_30default_config_static_selectorELNS0_4arch9wavefront6targetE1EEEvT1_, .Lfunc_end227-_ZN7rocprim17ROCPRIM_400000_NS6detail17trampoline_kernelINS0_14default_configENS1_25partition_config_selectorILNS1_17partition_subalgoE8EaNS0_10empty_typeEbEEZZNS1_14partition_implILS5_8ELb0ES3_jPKaPS6_PKS6_NS0_5tupleIJPaS6_EEENSE_IJSB_SB_EEENS0_18inequality_wrapperIN6hipcub16HIPCUB_304000_NS8EqualityEEEPlJS6_EEE10hipError_tPvRmT3_T4_T5_T6_T7_T9_mT8_P12ihipStream_tbDpT10_ENKUlT_T0_E_clISt17integral_constantIbLb0EES16_IbLb1EEEEDaS12_S13_EUlS12_E_NS1_11comp_targetILNS1_3genE0ELNS1_11target_archE4294967295ELNS1_3gpuE0ELNS1_3repE0EEENS1_30default_config_static_selectorELNS0_4arch9wavefront6targetE1EEEvT1_
                                        ; -- End function
	.section	.AMDGPU.csdata,"",@progbits
; Kernel info:
; codeLenInByte = 0
; NumSgprs: 6
; NumVgprs: 0
; NumAgprs: 0
; TotalNumVgprs: 0
; ScratchSize: 0
; MemoryBound: 0
; FloatMode: 240
; IeeeMode: 1
; LDSByteSize: 0 bytes/workgroup (compile time only)
; SGPRBlocks: 0
; VGPRBlocks: 0
; NumSGPRsForWavesPerEU: 6
; NumVGPRsForWavesPerEU: 1
; AccumOffset: 4
; Occupancy: 8
; WaveLimiterHint : 0
; COMPUTE_PGM_RSRC2:SCRATCH_EN: 0
; COMPUTE_PGM_RSRC2:USER_SGPR: 2
; COMPUTE_PGM_RSRC2:TRAP_HANDLER: 0
; COMPUTE_PGM_RSRC2:TGID_X_EN: 1
; COMPUTE_PGM_RSRC2:TGID_Y_EN: 0
; COMPUTE_PGM_RSRC2:TGID_Z_EN: 0
; COMPUTE_PGM_RSRC2:TIDIG_COMP_CNT: 0
; COMPUTE_PGM_RSRC3_GFX90A:ACCUM_OFFSET: 0
; COMPUTE_PGM_RSRC3_GFX90A:TG_SPLIT: 0
	.section	.text._ZN7rocprim17ROCPRIM_400000_NS6detail17trampoline_kernelINS0_14default_configENS1_25partition_config_selectorILNS1_17partition_subalgoE8EaNS0_10empty_typeEbEEZZNS1_14partition_implILS5_8ELb0ES3_jPKaPS6_PKS6_NS0_5tupleIJPaS6_EEENSE_IJSB_SB_EEENS0_18inequality_wrapperIN6hipcub16HIPCUB_304000_NS8EqualityEEEPlJS6_EEE10hipError_tPvRmT3_T4_T5_T6_T7_T9_mT8_P12ihipStream_tbDpT10_ENKUlT_T0_E_clISt17integral_constantIbLb0EES16_IbLb1EEEEDaS12_S13_EUlS12_E_NS1_11comp_targetILNS1_3genE5ELNS1_11target_archE942ELNS1_3gpuE9ELNS1_3repE0EEENS1_30default_config_static_selectorELNS0_4arch9wavefront6targetE1EEEvT1_,"axG",@progbits,_ZN7rocprim17ROCPRIM_400000_NS6detail17trampoline_kernelINS0_14default_configENS1_25partition_config_selectorILNS1_17partition_subalgoE8EaNS0_10empty_typeEbEEZZNS1_14partition_implILS5_8ELb0ES3_jPKaPS6_PKS6_NS0_5tupleIJPaS6_EEENSE_IJSB_SB_EEENS0_18inequality_wrapperIN6hipcub16HIPCUB_304000_NS8EqualityEEEPlJS6_EEE10hipError_tPvRmT3_T4_T5_T6_T7_T9_mT8_P12ihipStream_tbDpT10_ENKUlT_T0_E_clISt17integral_constantIbLb0EES16_IbLb1EEEEDaS12_S13_EUlS12_E_NS1_11comp_targetILNS1_3genE5ELNS1_11target_archE942ELNS1_3gpuE9ELNS1_3repE0EEENS1_30default_config_static_selectorELNS0_4arch9wavefront6targetE1EEEvT1_,comdat
	.protected	_ZN7rocprim17ROCPRIM_400000_NS6detail17trampoline_kernelINS0_14default_configENS1_25partition_config_selectorILNS1_17partition_subalgoE8EaNS0_10empty_typeEbEEZZNS1_14partition_implILS5_8ELb0ES3_jPKaPS6_PKS6_NS0_5tupleIJPaS6_EEENSE_IJSB_SB_EEENS0_18inequality_wrapperIN6hipcub16HIPCUB_304000_NS8EqualityEEEPlJS6_EEE10hipError_tPvRmT3_T4_T5_T6_T7_T9_mT8_P12ihipStream_tbDpT10_ENKUlT_T0_E_clISt17integral_constantIbLb0EES16_IbLb1EEEEDaS12_S13_EUlS12_E_NS1_11comp_targetILNS1_3genE5ELNS1_11target_archE942ELNS1_3gpuE9ELNS1_3repE0EEENS1_30default_config_static_selectorELNS0_4arch9wavefront6targetE1EEEvT1_ ; -- Begin function _ZN7rocprim17ROCPRIM_400000_NS6detail17trampoline_kernelINS0_14default_configENS1_25partition_config_selectorILNS1_17partition_subalgoE8EaNS0_10empty_typeEbEEZZNS1_14partition_implILS5_8ELb0ES3_jPKaPS6_PKS6_NS0_5tupleIJPaS6_EEENSE_IJSB_SB_EEENS0_18inequality_wrapperIN6hipcub16HIPCUB_304000_NS8EqualityEEEPlJS6_EEE10hipError_tPvRmT3_T4_T5_T6_T7_T9_mT8_P12ihipStream_tbDpT10_ENKUlT_T0_E_clISt17integral_constantIbLb0EES16_IbLb1EEEEDaS12_S13_EUlS12_E_NS1_11comp_targetILNS1_3genE5ELNS1_11target_archE942ELNS1_3gpuE9ELNS1_3repE0EEENS1_30default_config_static_selectorELNS0_4arch9wavefront6targetE1EEEvT1_
	.globl	_ZN7rocprim17ROCPRIM_400000_NS6detail17trampoline_kernelINS0_14default_configENS1_25partition_config_selectorILNS1_17partition_subalgoE8EaNS0_10empty_typeEbEEZZNS1_14partition_implILS5_8ELb0ES3_jPKaPS6_PKS6_NS0_5tupleIJPaS6_EEENSE_IJSB_SB_EEENS0_18inequality_wrapperIN6hipcub16HIPCUB_304000_NS8EqualityEEEPlJS6_EEE10hipError_tPvRmT3_T4_T5_T6_T7_T9_mT8_P12ihipStream_tbDpT10_ENKUlT_T0_E_clISt17integral_constantIbLb0EES16_IbLb1EEEEDaS12_S13_EUlS12_E_NS1_11comp_targetILNS1_3genE5ELNS1_11target_archE942ELNS1_3gpuE9ELNS1_3repE0EEENS1_30default_config_static_selectorELNS0_4arch9wavefront6targetE1EEEvT1_
	.p2align	8
	.type	_ZN7rocprim17ROCPRIM_400000_NS6detail17trampoline_kernelINS0_14default_configENS1_25partition_config_selectorILNS1_17partition_subalgoE8EaNS0_10empty_typeEbEEZZNS1_14partition_implILS5_8ELb0ES3_jPKaPS6_PKS6_NS0_5tupleIJPaS6_EEENSE_IJSB_SB_EEENS0_18inequality_wrapperIN6hipcub16HIPCUB_304000_NS8EqualityEEEPlJS6_EEE10hipError_tPvRmT3_T4_T5_T6_T7_T9_mT8_P12ihipStream_tbDpT10_ENKUlT_T0_E_clISt17integral_constantIbLb0EES16_IbLb1EEEEDaS12_S13_EUlS12_E_NS1_11comp_targetILNS1_3genE5ELNS1_11target_archE942ELNS1_3gpuE9ELNS1_3repE0EEENS1_30default_config_static_selectorELNS0_4arch9wavefront6targetE1EEEvT1_,@function
_ZN7rocprim17ROCPRIM_400000_NS6detail17trampoline_kernelINS0_14default_configENS1_25partition_config_selectorILNS1_17partition_subalgoE8EaNS0_10empty_typeEbEEZZNS1_14partition_implILS5_8ELb0ES3_jPKaPS6_PKS6_NS0_5tupleIJPaS6_EEENSE_IJSB_SB_EEENS0_18inequality_wrapperIN6hipcub16HIPCUB_304000_NS8EqualityEEEPlJS6_EEE10hipError_tPvRmT3_T4_T5_T6_T7_T9_mT8_P12ihipStream_tbDpT10_ENKUlT_T0_E_clISt17integral_constantIbLb0EES16_IbLb1EEEEDaS12_S13_EUlS12_E_NS1_11comp_targetILNS1_3genE5ELNS1_11target_archE942ELNS1_3gpuE9ELNS1_3repE0EEENS1_30default_config_static_selectorELNS0_4arch9wavefront6targetE1EEEvT1_: ; @_ZN7rocprim17ROCPRIM_400000_NS6detail17trampoline_kernelINS0_14default_configENS1_25partition_config_selectorILNS1_17partition_subalgoE8EaNS0_10empty_typeEbEEZZNS1_14partition_implILS5_8ELb0ES3_jPKaPS6_PKS6_NS0_5tupleIJPaS6_EEENSE_IJSB_SB_EEENS0_18inequality_wrapperIN6hipcub16HIPCUB_304000_NS8EqualityEEEPlJS6_EEE10hipError_tPvRmT3_T4_T5_T6_T7_T9_mT8_P12ihipStream_tbDpT10_ENKUlT_T0_E_clISt17integral_constantIbLb0EES16_IbLb1EEEEDaS12_S13_EUlS12_E_NS1_11comp_targetILNS1_3genE5ELNS1_11target_archE942ELNS1_3gpuE9ELNS1_3repE0EEENS1_30default_config_static_selectorELNS0_4arch9wavefront6targetE1EEEvT1_
; %bb.0:
	s_load_dwordx2 s[26:27], s[0:1], 0x28
	s_load_dwordx4 s[20:23], s[0:1], 0x40
	s_load_dwordx2 s[8:9], s[0:1], 0x50
	s_load_dwordx2 s[30:31], s[0:1], 0x60
	v_cmp_ne_u32_e64 s[2:3], 0, v0
	v_cmp_eq_u32_e64 s[18:19], 0, v0
	s_and_saveexec_b64 s[4:5], s[18:19]
	s_cbranch_execz .LBB228_4
; %bb.1:
	s_mov_b64 s[10:11], exec
	v_mbcnt_lo_u32_b32 v1, s10, 0
	v_mbcnt_hi_u32_b32 v1, s11, v1
	v_cmp_eq_u32_e32 vcc, 0, v1
                                        ; implicit-def: $vgpr2
	s_and_saveexec_b64 s[6:7], vcc
	s_cbranch_execz .LBB228_3
; %bb.2:
	s_load_dwordx2 s[12:13], s[0:1], 0x70
	s_bcnt1_i32_b64 s10, s[10:11]
	v_mov_b32_e32 v2, 0
	v_mov_b32_e32 v3, s10
	s_waitcnt lgkmcnt(0)
	global_atomic_add v2, v2, v3, s[12:13] sc0
.LBB228_3:
	s_or_b64 exec, exec, s[6:7]
	s_waitcnt vmcnt(0)
	v_readfirstlane_b32 s6, v2
	v_mov_b32_e32 v2, 0
	s_nop 0
	v_add_u32_e32 v1, s6, v1
	ds_write_b32 v2, v1
.LBB228_4:
	s_or_b64 exec, exec, s[4:5]
	v_mov_b32_e32 v3, 0
	s_load_dwordx4 s[4:7], s[0:1], 0x8
	s_load_dword s12, s[0:1], 0x68
	s_waitcnt lgkmcnt(0)
	s_barrier
	ds_read_b32 v1, v3
	s_waitcnt lgkmcnt(0)
	s_barrier
	global_load_dwordx2 v[6:7], v3, s[22:23]
	s_add_u32 s0, s4, s6
	s_addc_u32 s1, s5, s7
	s_add_i32 s5, s12, -1
	s_lshl_b32 s4, s5, 14
	v_mov_b32_e32 v9, s9
	s_lshl_b32 s9, s12, 14
	s_add_i32 s4, s6, s4
	s_add_u32 s12, s6, s9
	s_addc_u32 s13, s7, 0
	v_readfirstlane_b32 s33, v1
	v_mov_b32_e32 v8, s8
	s_cmp_eq_u32 s33, s5
	v_lshlrev_b32_e32 v2, 14, v1
	v_cmp_ge_u64_e32 vcc, s[12:13], v[8:9]
	s_cselect_b64 s[24:25], -1, 0
	v_lshl_add_u64 v[10:11], s[0:1], 0, v[2:3]
	s_and_b64 s[0:1], vcc, s[24:25]
	s_xor_b64 s[28:29], s[0:1], -1
	s_mov_b64 s[10:11], -1
	v_lshrrev_b32_e32 v4, 5, v0
	s_and_b64 vcc, exec, s[28:29]
	s_waitcnt vmcnt(0)
	v_readfirstlane_b32 s22, v6
	v_readfirstlane_b32 s23, v7
	s_cbranch_vccz .LBB228_6
; %bb.5:
	v_readfirstlane_b32 s10, v10
	v_readfirstlane_b32 s11, v11
	s_nop 4
	global_load_ubyte v5, v0, s[10:11]
	global_load_ubyte v12, v0, s[10:11] offset:512
	global_load_ubyte v13, v0, s[10:11] offset:1024
	;; [unrolled: 1-line block ×6, first 2 shown]
	v_mov_b32_e32 v1, v3
	v_lshl_add_u64 v[2:3], v[10:11], 0, v[0:1]
	global_load_ubyte v1, v0, s[10:11] offset:3584
	v_add_co_u32_e32 v6, vcc, 0x1000, v2
	v_and_b32_e32 v8, 12, v4
	s_nop 0
	v_addc_co_u32_e32 v7, vcc, 0, v3, vcc
	global_load_ubyte v18, v[6:7], off
	global_load_ubyte v19, v[6:7], off offset:512
	global_load_ubyte v22, v[6:7], off offset:1024
	global_load_ubyte v27, v[6:7], off offset:1536
	v_or_b32_e32 v9, 0x200, v0
	v_or_b32_e32 v20, 0x400, v0
	;; [unrolled: 1-line block ×4, first 2 shown]
	v_add_u32_e32 v26, v8, v0
	v_lshrrev_b32_e32 v8, 5, v9
	v_lshrrev_b32_e32 v9, 5, v20
	;; [unrolled: 1-line block ×4, first 2 shown]
	global_load_ubyte v23, v[6:7], off offset:2048
	global_load_ubyte v29, v[6:7], off offset:2560
	;; [unrolled: 1-line block ×3, first 2 shown]
	v_and_b32_e32 v28, 28, v8
	global_load_ubyte v6, v[6:7], off offset:3584
	v_and_b32_e32 v9, 44, v9
	v_add_co_u32_e32 v8, vcc, 0x2000, v2
	v_and_b32_e32 v20, 60, v20
	v_add_u32_e32 v31, v9, v0
	v_addc_co_u32_e32 v9, vcc, 0, v3, vcc
	v_add_u32_e32 v7, v20, v0
	global_load_ubyte v20, v[8:9], off
	global_load_ubyte v32, v[8:9], off offset:512
	global_load_ubyte v33, v[8:9], off offset:1024
	;; [unrolled: 1-line block ×7, first 2 shown]
	v_or_b32_e32 v25, 0xc00, v0
	v_or_b32_e32 v24, 0xa00, v0
	v_lshrrev_b32_e32 v25, 5, v25
	v_add_co_u32_e32 v2, vcc, 0x3000, v2
	v_lshrrev_b32_e32 v24, 5, v24
	v_and_b32_e32 v25, 0x6c, v25
	v_addc_co_u32_e32 v3, vcc, 0, v3, vcc
	v_and_b32_e32 v21, 0x4c, v21
	v_and_b32_e32 v24, 0x5c, v24
	global_load_ubyte v8, v[2:3], off
	global_load_ubyte v9, v[2:3], off offset:512
	global_load_ubyte v39, v[2:3], off offset:1024
	;; [unrolled: 1-line block ×7, first 2 shown]
	v_add_u32_e32 v2, v25, v0
	v_add_u32_e32 v28, v28, v0
	;; [unrolled: 1-line block ×4, first 2 shown]
	s_mov_b64 s[10:11], 0
	s_waitcnt vmcnt(31)
	ds_write_b8 v26, v5
	s_waitcnt vmcnt(30)
	ds_write_b8 v28, v12 offset:512
	s_waitcnt vmcnt(29)
	ds_write_b8 v31, v13 offset:1024
	;; [unrolled: 2-line block ×6, first 2 shown]
	v_or_b32_e32 v2, 0xe00, v0
	v_lshrrev_b32_e32 v2, 5, v2
	v_and_b32_e32 v2, 0x7c, v2
	v_add_u32_e32 v2, v2, v0
	s_waitcnt vmcnt(24)
	ds_write_b8 v2, v1 offset:3584
	v_or_b32_e32 v1, 0x1000, v0
	v_lshrrev_b32_e32 v1, 5, v1
	v_and_b32_e32 v1, 0x8c, v1
	v_add_u32_e32 v1, v1, v0
	s_waitcnt vmcnt(23)
	ds_write_b8 v1, v18 offset:4096
	;; [unrolled: 6-line block ×25, first 2 shown]
	s_waitcnt lgkmcnt(0)
	s_barrier
.LBB228_6:
	s_andn2_b64 vcc, exec, s[10:11]
	s_sub_i32 s56, s8, s4
	s_cbranch_vccnz .LBB228_72
; %bb.7:
	v_cmp_gt_u32_e32 vcc, s56, v0
                                        ; implicit-def: $vgpr1
	s_and_saveexec_b64 s[4:5], vcc
	s_cbranch_execz .LBB228_9
; %bb.8:
	v_readfirstlane_b32 s8, v10
	v_readfirstlane_b32 s9, v11
	s_nop 4
	global_load_ubyte v1, v0, s[8:9]
.LBB228_9:
	s_or_b64 exec, exec, s[4:5]
	v_or_b32_e32 v2, 0x200, v0
	v_cmp_gt_u32_e32 vcc, s56, v2
                                        ; implicit-def: $vgpr3
	s_and_saveexec_b64 s[4:5], vcc
	s_cbranch_execz .LBB228_11
; %bb.10:
	v_readfirstlane_b32 s8, v10
	v_readfirstlane_b32 s9, v11
	s_nop 4
	global_load_ubyte v3, v0, s[8:9] offset:512
.LBB228_11:
	s_or_b64 exec, exec, s[4:5]
	v_or_b32_e32 v5, 0x400, v0
	v_cmp_gt_u32_e32 vcc, s56, v5
                                        ; implicit-def: $vgpr6
	s_and_saveexec_b64 s[4:5], vcc
	s_cbranch_execz .LBB228_13
; %bb.12:
	v_readfirstlane_b32 s8, v10
	v_readfirstlane_b32 s9, v11
	s_nop 4
	global_load_ubyte v6, v0, s[8:9] offset:1024
.LBB228_13:
	s_or_b64 exec, exec, s[4:5]
	v_or_b32_e32 v7, 0x600, v0
	v_cmp_gt_u32_e32 vcc, s56, v7
                                        ; implicit-def: $vgpr8
	s_and_saveexec_b64 s[4:5], vcc
	s_cbranch_execz .LBB228_15
; %bb.14:
	v_readfirstlane_b32 s8, v10
	v_readfirstlane_b32 s9, v11
	s_nop 4
	global_load_ubyte v8, v0, s[8:9] offset:1536
.LBB228_15:
	s_or_b64 exec, exec, s[4:5]
	v_or_b32_e32 v9, 0x800, v0
	v_cmp_gt_u32_e32 vcc, s56, v9
                                        ; implicit-def: $vgpr12
	s_and_saveexec_b64 s[4:5], vcc
	s_cbranch_execz .LBB228_17
; %bb.16:
	v_readfirstlane_b32 s8, v10
	v_readfirstlane_b32 s9, v11
	s_nop 4
	global_load_ubyte v12, v0, s[8:9] offset:2048
.LBB228_17:
	s_or_b64 exec, exec, s[4:5]
	v_or_b32_e32 v13, 0xa00, v0
	v_cmp_gt_u32_e32 vcc, s56, v13
                                        ; implicit-def: $vgpr14
	s_and_saveexec_b64 s[4:5], vcc
	s_cbranch_execz .LBB228_19
; %bb.18:
	v_readfirstlane_b32 s8, v10
	v_readfirstlane_b32 s9, v11
	s_nop 4
	global_load_ubyte v14, v0, s[8:9] offset:2560
.LBB228_19:
	s_or_b64 exec, exec, s[4:5]
	v_or_b32_e32 v15, 0xc00, v0
	v_cmp_gt_u32_e32 vcc, s56, v15
                                        ; implicit-def: $vgpr16
	s_and_saveexec_b64 s[4:5], vcc
	s_cbranch_execz .LBB228_21
; %bb.20:
	v_readfirstlane_b32 s8, v10
	v_readfirstlane_b32 s9, v11
	s_nop 4
	global_load_ubyte v16, v0, s[8:9] offset:3072
.LBB228_21:
	s_or_b64 exec, exec, s[4:5]
	v_or_b32_e32 v17, 0xe00, v0
	v_cmp_gt_u32_e32 vcc, s56, v17
                                        ; implicit-def: $vgpr18
	s_and_saveexec_b64 s[4:5], vcc
	s_cbranch_execz .LBB228_23
; %bb.22:
	v_readfirstlane_b32 s8, v10
	v_readfirstlane_b32 s9, v11
	s_nop 4
	global_load_ubyte v18, v0, s[8:9] offset:3584
.LBB228_23:
	s_or_b64 exec, exec, s[4:5]
	v_or_b32_e32 v19, 0x1000, v0
	v_cmp_gt_u32_e32 vcc, s56, v19
                                        ; implicit-def: $vgpr20
	s_and_saveexec_b64 s[4:5], vcc
	s_cbranch_execz .LBB228_25
; %bb.24:
	v_readfirstlane_b32 s8, v10
	v_readfirstlane_b32 s9, v11
	s_nop 4
	global_load_ubyte v20, v19, s[8:9]
.LBB228_25:
	s_or_b64 exec, exec, s[4:5]
	v_or_b32_e32 v21, 0x1200, v0
	v_cmp_gt_u32_e32 vcc, s56, v21
                                        ; implicit-def: $vgpr22
	s_and_saveexec_b64 s[4:5], vcc
	s_cbranch_execz .LBB228_27
; %bb.26:
	v_readfirstlane_b32 s8, v10
	v_readfirstlane_b32 s9, v11
	s_nop 4
	global_load_ubyte v22, v21, s[8:9]
.LBB228_27:
	s_or_b64 exec, exec, s[4:5]
	v_or_b32_e32 v23, 0x1400, v0
	v_cmp_gt_u32_e32 vcc, s56, v23
                                        ; implicit-def: $vgpr24
	s_and_saveexec_b64 s[4:5], vcc
	s_cbranch_execz .LBB228_29
; %bb.28:
	v_readfirstlane_b32 s8, v10
	v_readfirstlane_b32 s9, v11
	s_nop 4
	global_load_ubyte v24, v23, s[8:9]
.LBB228_29:
	s_or_b64 exec, exec, s[4:5]
	v_or_b32_e32 v25, 0x1600, v0
	v_cmp_gt_u32_e32 vcc, s56, v25
                                        ; implicit-def: $vgpr26
	s_and_saveexec_b64 s[4:5], vcc
	s_cbranch_execz .LBB228_31
; %bb.30:
	v_readfirstlane_b32 s8, v10
	v_readfirstlane_b32 s9, v11
	s_nop 4
	global_load_ubyte v26, v25, s[8:9]
.LBB228_31:
	s_or_b64 exec, exec, s[4:5]
	v_or_b32_e32 v27, 0x1800, v0
	v_cmp_gt_u32_e32 vcc, s56, v27
                                        ; implicit-def: $vgpr28
	s_and_saveexec_b64 s[4:5], vcc
	s_cbranch_execz .LBB228_33
; %bb.32:
	v_readfirstlane_b32 s8, v10
	v_readfirstlane_b32 s9, v11
	s_nop 4
	global_load_ubyte v28, v27, s[8:9]
.LBB228_33:
	s_or_b64 exec, exec, s[4:5]
	v_or_b32_e32 v29, 0x1a00, v0
	v_cmp_gt_u32_e32 vcc, s56, v29
                                        ; implicit-def: $vgpr30
	s_and_saveexec_b64 s[4:5], vcc
	s_cbranch_execz .LBB228_35
; %bb.34:
	v_readfirstlane_b32 s8, v10
	v_readfirstlane_b32 s9, v11
	s_nop 4
	global_load_ubyte v30, v29, s[8:9]
.LBB228_35:
	s_or_b64 exec, exec, s[4:5]
	v_or_b32_e32 v31, 0x1c00, v0
	v_cmp_gt_u32_e32 vcc, s56, v31
                                        ; implicit-def: $vgpr32
	s_and_saveexec_b64 s[4:5], vcc
	s_cbranch_execz .LBB228_37
; %bb.36:
	v_readfirstlane_b32 s8, v10
	v_readfirstlane_b32 s9, v11
	s_nop 4
	global_load_ubyte v32, v31, s[8:9]
.LBB228_37:
	s_or_b64 exec, exec, s[4:5]
	v_or_b32_e32 v33, 0x1e00, v0
	v_cmp_gt_u32_e32 vcc, s56, v33
                                        ; implicit-def: $vgpr34
	s_and_saveexec_b64 s[4:5], vcc
	s_cbranch_execz .LBB228_39
; %bb.38:
	v_readfirstlane_b32 s8, v10
	v_readfirstlane_b32 s9, v11
	s_nop 4
	global_load_ubyte v34, v33, s[8:9]
.LBB228_39:
	s_or_b64 exec, exec, s[4:5]
	v_or_b32_e32 v35, 0x2000, v0
	v_cmp_gt_u32_e32 vcc, s56, v35
                                        ; implicit-def: $vgpr36
	s_and_saveexec_b64 s[4:5], vcc
	s_cbranch_execz .LBB228_41
; %bb.40:
	v_readfirstlane_b32 s8, v10
	v_readfirstlane_b32 s9, v11
	s_nop 4
	global_load_ubyte v36, v35, s[8:9]
.LBB228_41:
	s_or_b64 exec, exec, s[4:5]
	v_or_b32_e32 v37, 0x2200, v0
	v_cmp_gt_u32_e32 vcc, s56, v37
                                        ; implicit-def: $vgpr38
	s_and_saveexec_b64 s[4:5], vcc
	s_cbranch_execz .LBB228_43
; %bb.42:
	v_readfirstlane_b32 s8, v10
	v_readfirstlane_b32 s9, v11
	s_nop 4
	global_load_ubyte v38, v37, s[8:9]
.LBB228_43:
	s_or_b64 exec, exec, s[4:5]
	v_or_b32_e32 v39, 0x2400, v0
	v_cmp_gt_u32_e32 vcc, s56, v39
                                        ; implicit-def: $vgpr40
	s_and_saveexec_b64 s[4:5], vcc
	s_cbranch_execz .LBB228_45
; %bb.44:
	v_readfirstlane_b32 s8, v10
	v_readfirstlane_b32 s9, v11
	s_nop 4
	global_load_ubyte v40, v39, s[8:9]
.LBB228_45:
	s_or_b64 exec, exec, s[4:5]
	v_or_b32_e32 v41, 0x2600, v0
	v_cmp_gt_u32_e32 vcc, s56, v41
                                        ; implicit-def: $vgpr42
	s_and_saveexec_b64 s[4:5], vcc
	s_cbranch_execz .LBB228_47
; %bb.46:
	v_readfirstlane_b32 s8, v10
	v_readfirstlane_b32 s9, v11
	s_nop 4
	global_load_ubyte v42, v41, s[8:9]
.LBB228_47:
	s_or_b64 exec, exec, s[4:5]
	v_or_b32_e32 v43, 0x2800, v0
	v_cmp_gt_u32_e32 vcc, s56, v43
                                        ; implicit-def: $vgpr44
	s_and_saveexec_b64 s[4:5], vcc
	s_cbranch_execz .LBB228_49
; %bb.48:
	v_readfirstlane_b32 s8, v10
	v_readfirstlane_b32 s9, v11
	s_nop 4
	global_load_ubyte v44, v43, s[8:9]
.LBB228_49:
	s_or_b64 exec, exec, s[4:5]
	v_or_b32_e32 v45, 0x2a00, v0
	v_cmp_gt_u32_e32 vcc, s56, v45
                                        ; implicit-def: $vgpr46
	s_and_saveexec_b64 s[4:5], vcc
	s_cbranch_execz .LBB228_51
; %bb.50:
	v_readfirstlane_b32 s8, v10
	v_readfirstlane_b32 s9, v11
	s_nop 4
	global_load_ubyte v46, v45, s[8:9]
.LBB228_51:
	s_or_b64 exec, exec, s[4:5]
	v_or_b32_e32 v47, 0x2c00, v0
	v_cmp_gt_u32_e32 vcc, s56, v47
                                        ; implicit-def: $vgpr48
	s_and_saveexec_b64 s[4:5], vcc
	s_cbranch_execz .LBB228_53
; %bb.52:
	v_readfirstlane_b32 s8, v10
	v_readfirstlane_b32 s9, v11
	s_nop 4
	global_load_ubyte v48, v47, s[8:9]
.LBB228_53:
	s_or_b64 exec, exec, s[4:5]
	v_or_b32_e32 v49, 0x2e00, v0
	v_cmp_gt_u32_e32 vcc, s56, v49
                                        ; implicit-def: $vgpr50
	s_and_saveexec_b64 s[4:5], vcc
	s_cbranch_execz .LBB228_55
; %bb.54:
	v_readfirstlane_b32 s8, v10
	v_readfirstlane_b32 s9, v11
	s_nop 4
	global_load_ubyte v50, v49, s[8:9]
.LBB228_55:
	s_or_b64 exec, exec, s[4:5]
	v_or_b32_e32 v51, 0x3000, v0
	v_cmp_gt_u32_e32 vcc, s56, v51
                                        ; implicit-def: $vgpr52
	s_and_saveexec_b64 s[4:5], vcc
	s_cbranch_execz .LBB228_57
; %bb.56:
	v_readfirstlane_b32 s8, v10
	v_readfirstlane_b32 s9, v11
	s_nop 4
	global_load_ubyte v52, v51, s[8:9]
.LBB228_57:
	s_or_b64 exec, exec, s[4:5]
	v_or_b32_e32 v53, 0x3200, v0
	v_cmp_gt_u32_e32 vcc, s56, v53
                                        ; implicit-def: $vgpr54
	s_and_saveexec_b64 s[4:5], vcc
	s_cbranch_execz .LBB228_59
; %bb.58:
	v_readfirstlane_b32 s8, v10
	v_readfirstlane_b32 s9, v11
	s_nop 4
	global_load_ubyte v54, v53, s[8:9]
.LBB228_59:
	s_or_b64 exec, exec, s[4:5]
	v_or_b32_e32 v55, 0x3400, v0
	v_cmp_gt_u32_e32 vcc, s56, v55
                                        ; implicit-def: $vgpr56
	s_and_saveexec_b64 s[4:5], vcc
	s_cbranch_execz .LBB228_61
; %bb.60:
	v_readfirstlane_b32 s8, v10
	v_readfirstlane_b32 s9, v11
	s_nop 4
	global_load_ubyte v56, v55, s[8:9]
.LBB228_61:
	s_or_b64 exec, exec, s[4:5]
	v_or_b32_e32 v57, 0x3600, v0
	v_cmp_gt_u32_e32 vcc, s56, v57
                                        ; implicit-def: $vgpr58
	s_and_saveexec_b64 s[4:5], vcc
	s_cbranch_execz .LBB228_63
; %bb.62:
	v_readfirstlane_b32 s8, v10
	v_readfirstlane_b32 s9, v11
	s_nop 4
	global_load_ubyte v58, v57, s[8:9]
.LBB228_63:
	s_or_b64 exec, exec, s[4:5]
	v_or_b32_e32 v59, 0x3800, v0
	v_cmp_gt_u32_e32 vcc, s56, v59
                                        ; implicit-def: $vgpr60
	s_and_saveexec_b64 s[4:5], vcc
	s_cbranch_execz .LBB228_65
; %bb.64:
	v_readfirstlane_b32 s8, v10
	v_readfirstlane_b32 s9, v11
	s_nop 4
	global_load_ubyte v60, v59, s[8:9]
.LBB228_65:
	s_or_b64 exec, exec, s[4:5]
	v_or_b32_e32 v61, 0x3a00, v0
	v_cmp_gt_u32_e32 vcc, s56, v61
                                        ; implicit-def: $vgpr62
	s_and_saveexec_b64 s[4:5], vcc
	s_cbranch_execz .LBB228_67
; %bb.66:
	v_readfirstlane_b32 s8, v10
	v_readfirstlane_b32 s9, v11
	s_nop 4
	global_load_ubyte v62, v61, s[8:9]
.LBB228_67:
	s_or_b64 exec, exec, s[4:5]
	v_or_b32_e32 v63, 0x3c00, v0
	v_cmp_gt_u32_e32 vcc, s56, v63
                                        ; implicit-def: $vgpr64
	s_and_saveexec_b64 s[4:5], vcc
	s_cbranch_execz .LBB228_69
; %bb.68:
	v_readfirstlane_b32 s8, v10
	v_readfirstlane_b32 s9, v11
	s_nop 4
	global_load_ubyte v64, v63, s[8:9]
.LBB228_69:
	s_or_b64 exec, exec, s[4:5]
	v_or_b32_e32 v65, 0x3e00, v0
	v_cmp_gt_u32_e32 vcc, s56, v65
                                        ; implicit-def: $vgpr66
	s_and_saveexec_b64 s[4:5], vcc
	s_cbranch_execz .LBB228_71
; %bb.70:
	v_readfirstlane_b32 s8, v10
	v_readfirstlane_b32 s9, v11
	s_nop 4
	global_load_ubyte v66, v65, s[8:9]
.LBB228_71:
	s_or_b64 exec, exec, s[4:5]
	v_and_b32_e32 v4, 12, v4
	v_add_u32_e32 v4, v4, v0
	s_waitcnt vmcnt(0)
	ds_write_b8 v4, v1
	v_lshrrev_b32_e32 v1, 5, v2
	v_and_b32_e32 v1, 28, v1
	v_add_u32_e32 v1, v1, v0
	ds_write_b8 v1, v3 offset:512
	v_lshrrev_b32_e32 v1, 5, v5
	v_and_b32_e32 v1, 60, v1
	v_add_u32_e32 v1, v1, v0
	ds_write_b8 v1, v6 offset:1024
	;; [unrolled: 4-line block ×31, first 2 shown]
	s_waitcnt lgkmcnt(0)
	s_barrier
.LBB228_72:
	v_lshlrev_b32_e32 v12, 5, v0
	v_and_b32_e32 v1, 0x1fc, v0
	v_add_u32_e32 v1, v1, v12
	ds_read2_b32 v[2:3], v1 offset0:6 offset1:7
	ds_read2_b32 v[8:9], v1 offset1:1
	ds_read2_b32 v[6:7], v1 offset0:2 offset1:3
	ds_read2_b32 v[4:5], v1 offset0:4 offset1:5
	s_cmp_lg_u32 s33, 0
	s_cselect_b64 s[16:17], -1, 0
	s_cmp_lg_u64 s[6:7], 0
	s_cselect_b64 s[6:7], -1, 0
	s_or_b64 s[6:7], s[6:7], s[16:17]
	s_waitcnt lgkmcnt(3)
	v_lshrrev_b32_e32 v24, 8, v2
	v_lshrrev_b32_e32 v23, 16, v2
	v_lshrrev_b32_e32 v22, 24, v2
	v_lshrrev_b32_e32 v21, 8, v3
	v_lshrrev_b32_e32 v20, 16, v3
	v_lshrrev_b32_e32 v1, 24, v3
	s_waitcnt lgkmcnt(2)
	v_lshrrev_b32_e32 v49, 8, v8
	v_lshrrev_b32_e32 v47, 16, v8
	v_lshrrev_b32_e32 v46, 24, v8
	v_lshrrev_b32_e32 v44, 8, v9
	v_lshrrev_b32_e32 v42, 16, v9
	v_lshrrev_b32_e32 v41, 24, v9
	;; [unrolled: 7-line block ×4, first 2 shown]
	s_mov_b64 s[4:5], 0
	s_and_b64 vcc, exec, s[6:7]
	s_barrier
	s_cbranch_vccz .LBB228_77
; %bb.73:
	global_load_ubyte v10, v[10:11], off offset:-1
	s_and_b64 vcc, exec, s[28:29]
	ds_write_b8 v0, v1
	s_cbranch_vccz .LBB228_79
; %bb.74:
	s_waitcnt vmcnt(0)
	v_mov_b32_e32 v11, v10
	s_waitcnt lgkmcnt(0)
	s_barrier
	s_and_saveexec_b64 s[4:5], s[2:3]
	s_cbranch_execz .LBB228_76
; %bb.75:
	v_add_u32_e32 v11, -1, v0
	ds_read_u8 v11, v11
.LBB228_76:
	s_or_b64 exec, exec, s[4:5]
	v_cmp_ne_u16_sdwa s[4:5], v20, v1 src0_sel:BYTE_0 src1_sel:DWORD
	s_waitcnt lgkmcnt(0)
	v_cmp_ne_u16_sdwa s[6:7], v11, v8 src0_sel:BYTE_0 src1_sel:BYTE_0
	v_cndmask_b32_e64 v33, 0, 1, s[4:5]
	v_cmp_ne_u16_sdwa s[4:5], v21, v20 src0_sel:BYTE_0 src1_sel:BYTE_0
	s_nop 1
	v_cndmask_b32_e64 v35, 0, 1, s[4:5]
	v_cmp_ne_u16_sdwa s[4:5], v3, v21 src0_sel:BYTE_0 src1_sel:BYTE_0
	s_nop 1
	v_cndmask_b32_e64 v38, 0, 1, s[4:5]
	v_cmp_ne_u16_sdwa s[4:5], v22, v3 src0_sel:DWORD src1_sel:BYTE_0
	s_nop 1
	v_cndmask_b32_e64 v40, 0, 1, s[4:5]
	v_cmp_ne_u16_sdwa s[4:5], v23, v22 src0_sel:BYTE_0 src1_sel:DWORD
	s_nop 1
	v_cndmask_b32_e64 v43, 0, 1, s[4:5]
	v_cmp_ne_u16_sdwa s[4:5], v24, v23 src0_sel:BYTE_0 src1_sel:BYTE_0
	s_nop 1
	v_cndmask_b32_e64 v45, 0, 1, s[4:5]
	v_cmp_ne_u16_sdwa s[4:5], v2, v24 src0_sel:BYTE_0 src1_sel:BYTE_0
	s_nop 1
	v_cndmask_b32_e64 v48, 0, 1, s[4:5]
	v_cmp_ne_u16_sdwa s[4:5], v25, v2 src0_sel:DWORD src1_sel:BYTE_0
	s_nop 1
	v_cndmask_b32_e64 v50, 0, 1, s[4:5]
	v_cmp_ne_u16_sdwa s[4:5], v26, v25 src0_sel:BYTE_0 src1_sel:DWORD
	s_nop 1
	;; [unrolled: 12-line block ×7, first 2 shown]
	v_cndmask_b32_e64 v71, 0, 1, s[4:5]
	v_cmp_ne_u16_sdwa s[4:5], v49, v47 src0_sel:BYTE_0 src1_sel:BYTE_0
	s_nop 1
	v_cndmask_b32_e64 v72, 0, 1, s[4:5]
	v_cmp_ne_u16_sdwa s[4:5], v8, v49 src0_sel:BYTE_0 src1_sel:BYTE_0
	s_nop 1
	v_cndmask_b32_e64 v73, 0, 1, s[4:5]
	s_branch .LBB228_83
.LBB228_77:
                                        ; implicit-def: $sgpr6_sgpr7
                                        ; implicit-def: $vgpr73
                                        ; implicit-def: $vgpr72
                                        ; implicit-def: $vgpr71
                                        ; implicit-def: $vgpr70
                                        ; implicit-def: $vgpr69
                                        ; implicit-def: $vgpr68
                                        ; implicit-def: $vgpr67
                                        ; implicit-def: $vgpr66
                                        ; implicit-def: $vgpr65
                                        ; implicit-def: $vgpr64
                                        ; implicit-def: $vgpr63
                                        ; implicit-def: $vgpr62
                                        ; implicit-def: $vgpr61
                                        ; implicit-def: $vgpr60
                                        ; implicit-def: $vgpr59
                                        ; implicit-def: $vgpr58
                                        ; implicit-def: $vgpr57
                                        ; implicit-def: $vgpr56
                                        ; implicit-def: $vgpr55
                                        ; implicit-def: $vgpr54
                                        ; implicit-def: $vgpr53
                                        ; implicit-def: $vgpr52
                                        ; implicit-def: $vgpr51
                                        ; implicit-def: $vgpr50
                                        ; implicit-def: $vgpr48
                                        ; implicit-def: $vgpr45
                                        ; implicit-def: $vgpr43
                                        ; implicit-def: $vgpr40
                                        ; implicit-def: $vgpr38
                                        ; implicit-def: $vgpr35
                                        ; implicit-def: $vgpr33
	s_branch .LBB228_84
.LBB228_78:
                                        ; implicit-def: $sgpr10
	v_mov_b32_e32 v74, s10
	s_and_saveexec_b64 s[2:3], s[4:5]
	s_cbranch_execnz .LBB228_92
	s_branch .LBB228_93
.LBB228_79:
                                        ; implicit-def: $sgpr6_sgpr7
                                        ; implicit-def: $vgpr73
                                        ; implicit-def: $vgpr72
                                        ; implicit-def: $vgpr71
                                        ; implicit-def: $vgpr70
                                        ; implicit-def: $vgpr69
                                        ; implicit-def: $vgpr68
                                        ; implicit-def: $vgpr67
                                        ; implicit-def: $vgpr66
                                        ; implicit-def: $vgpr65
                                        ; implicit-def: $vgpr64
                                        ; implicit-def: $vgpr63
                                        ; implicit-def: $vgpr62
                                        ; implicit-def: $vgpr61
                                        ; implicit-def: $vgpr60
                                        ; implicit-def: $vgpr59
                                        ; implicit-def: $vgpr58
                                        ; implicit-def: $vgpr57
                                        ; implicit-def: $vgpr56
                                        ; implicit-def: $vgpr55
                                        ; implicit-def: $vgpr54
                                        ; implicit-def: $vgpr53
                                        ; implicit-def: $vgpr52
                                        ; implicit-def: $vgpr51
                                        ; implicit-def: $vgpr50
                                        ; implicit-def: $vgpr48
                                        ; implicit-def: $vgpr45
                                        ; implicit-def: $vgpr43
                                        ; implicit-def: $vgpr40
                                        ; implicit-def: $vgpr38
                                        ; implicit-def: $vgpr35
                                        ; implicit-def: $vgpr33
	s_cbranch_execz .LBB228_83
; %bb.80:
	s_waitcnt lgkmcnt(0)
	s_barrier
	s_and_saveexec_b64 s[4:5], s[2:3]
	s_cbranch_execz .LBB228_82
; %bb.81:
	s_waitcnt vmcnt(0)
	v_add_u32_e32 v10, -1, v0
	ds_read_u8 v10, v10
.LBB228_82:
	s_or_b64 exec, exec, s[4:5]
	v_or_b32_e32 v11, 31, v12
	v_cmp_gt_u32_e32 vcc, s56, v11
	v_cmp_ne_u16_sdwa s[4:5], v20, v1 src0_sel:BYTE_0 src1_sel:BYTE_0
	s_and_b64 s[4:5], vcc, s[4:5]
	v_or_b32_e32 v11, 30, v12
	v_cndmask_b32_e64 v33, 0, 1, s[4:5]
	v_cmp_gt_u32_e32 vcc, s56, v11
	v_cmp_ne_u16_sdwa s[4:5], v21, v20 src0_sel:BYTE_0 src1_sel:BYTE_0
	s_and_b64 s[4:5], vcc, s[4:5]
	v_or_b32_e32 v11, 29, v12
	v_cndmask_b32_e64 v35, 0, 1, s[4:5]
	v_cmp_gt_u32_e32 vcc, s56, v11
	v_cmp_ne_u16_sdwa s[4:5], v3, v21 src0_sel:BYTE_0 src1_sel:BYTE_0
	s_and_b64 s[4:5], vcc, s[4:5]
	v_or_b32_e32 v11, 28, v12
	v_cndmask_b32_e64 v38, 0, 1, s[4:5]
	v_cmp_gt_u32_e32 vcc, s56, v11
	v_cmp_ne_u16_sdwa s[4:5], v22, v3 src0_sel:BYTE_0 src1_sel:BYTE_0
	s_and_b64 s[4:5], vcc, s[4:5]
	v_or_b32_e32 v11, 27, v12
	v_cndmask_b32_e64 v40, 0, 1, s[4:5]
	v_cmp_gt_u32_e32 vcc, s56, v11
	v_cmp_ne_u16_sdwa s[4:5], v23, v22 src0_sel:BYTE_0 src1_sel:BYTE_0
	s_and_b64 s[4:5], vcc, s[4:5]
	v_or_b32_e32 v11, 26, v12
	v_cndmask_b32_e64 v43, 0, 1, s[4:5]
	v_cmp_gt_u32_e32 vcc, s56, v11
	v_cmp_ne_u16_sdwa s[4:5], v24, v23 src0_sel:BYTE_0 src1_sel:BYTE_0
	s_and_b64 s[4:5], vcc, s[4:5]
	v_or_b32_e32 v11, 25, v12
	v_cndmask_b32_e64 v45, 0, 1, s[4:5]
	v_cmp_gt_u32_e32 vcc, s56, v11
	v_cmp_ne_u16_sdwa s[4:5], v2, v24 src0_sel:BYTE_0 src1_sel:BYTE_0
	s_and_b64 s[4:5], vcc, s[4:5]
	v_or_b32_e32 v11, 24, v12
	v_cndmask_b32_e64 v48, 0, 1, s[4:5]
	v_cmp_gt_u32_e32 vcc, s56, v11
	v_cmp_ne_u16_sdwa s[4:5], v25, v2 src0_sel:BYTE_0 src1_sel:BYTE_0
	s_and_b64 s[4:5], vcc, s[4:5]
	v_or_b32_e32 v11, 23, v12
	v_cndmask_b32_e64 v50, 0, 1, s[4:5]
	v_cmp_gt_u32_e32 vcc, s56, v11
	v_cmp_ne_u16_sdwa s[4:5], v26, v25 src0_sel:BYTE_0 src1_sel:BYTE_0
	s_and_b64 s[4:5], vcc, s[4:5]
	v_or_b32_e32 v11, 22, v12
	v_cndmask_b32_e64 v51, 0, 1, s[4:5]
	v_cmp_gt_u32_e32 vcc, s56, v11
	v_cmp_ne_u16_sdwa s[4:5], v27, v26 src0_sel:BYTE_0 src1_sel:BYTE_0
	s_and_b64 s[4:5], vcc, s[4:5]
	v_or_b32_e32 v11, 21, v12
	v_cndmask_b32_e64 v52, 0, 1, s[4:5]
	v_cmp_gt_u32_e32 vcc, s56, v11
	v_cmp_ne_u16_sdwa s[4:5], v5, v27 src0_sel:BYTE_0 src1_sel:BYTE_0
	s_and_b64 s[4:5], vcc, s[4:5]
	v_or_b32_e32 v11, 20, v12
	v_cndmask_b32_e64 v53, 0, 1, s[4:5]
	v_cmp_gt_u32_e32 vcc, s56, v11
	v_cmp_ne_u16_sdwa s[4:5], v28, v5 src0_sel:BYTE_0 src1_sel:BYTE_0
	s_and_b64 s[4:5], vcc, s[4:5]
	v_or_b32_e32 v11, 19, v12
	v_cndmask_b32_e64 v54, 0, 1, s[4:5]
	v_cmp_gt_u32_e32 vcc, s56, v11
	v_cmp_ne_u16_sdwa s[4:5], v29, v28 src0_sel:BYTE_0 src1_sel:BYTE_0
	s_and_b64 s[4:5], vcc, s[4:5]
	v_or_b32_e32 v11, 18, v12
	v_cndmask_b32_e64 v55, 0, 1, s[4:5]
	v_cmp_gt_u32_e32 vcc, s56, v11
	v_cmp_ne_u16_sdwa s[4:5], v30, v29 src0_sel:BYTE_0 src1_sel:BYTE_0
	s_and_b64 s[4:5], vcc, s[4:5]
	v_or_b32_e32 v11, 17, v12
	v_cndmask_b32_e64 v56, 0, 1, s[4:5]
	v_cmp_gt_u32_e32 vcc, s56, v11
	v_cmp_ne_u16_sdwa s[4:5], v4, v30 src0_sel:BYTE_0 src1_sel:BYTE_0
	s_and_b64 s[4:5], vcc, s[4:5]
	v_or_b32_e32 v11, 16, v12
	v_cndmask_b32_e64 v57, 0, 1, s[4:5]
	v_cmp_gt_u32_e32 vcc, s56, v11
	v_cmp_ne_u16_sdwa s[4:5], v31, v4 src0_sel:BYTE_0 src1_sel:BYTE_0
	s_and_b64 s[4:5], vcc, s[4:5]
	v_or_b32_e32 v11, 15, v12
	v_cndmask_b32_e64 v58, 0, 1, s[4:5]
	v_cmp_gt_u32_e32 vcc, s56, v11
	v_cmp_ne_u16_sdwa s[4:5], v32, v31 src0_sel:BYTE_0 src1_sel:BYTE_0
	s_and_b64 s[4:5], vcc, s[4:5]
	v_or_b32_e32 v11, 14, v12
	v_cndmask_b32_e64 v59, 0, 1, s[4:5]
	v_cmp_gt_u32_e32 vcc, s56, v11
	v_cmp_ne_u16_sdwa s[4:5], v34, v32 src0_sel:BYTE_0 src1_sel:BYTE_0
	s_and_b64 s[4:5], vcc, s[4:5]
	v_or_b32_e32 v11, 13, v12
	v_cndmask_b32_e64 v60, 0, 1, s[4:5]
	v_cmp_gt_u32_e32 vcc, s56, v11
	v_cmp_ne_u16_sdwa s[4:5], v7, v34 src0_sel:BYTE_0 src1_sel:BYTE_0
	s_and_b64 s[4:5], vcc, s[4:5]
	v_or_b32_e32 v11, 12, v12
	v_cndmask_b32_e64 v61, 0, 1, s[4:5]
	v_cmp_gt_u32_e32 vcc, s56, v11
	v_cmp_ne_u16_sdwa s[4:5], v36, v7 src0_sel:BYTE_0 src1_sel:BYTE_0
	s_and_b64 s[4:5], vcc, s[4:5]
	v_or_b32_e32 v11, 11, v12
	v_cndmask_b32_e64 v62, 0, 1, s[4:5]
	v_cmp_gt_u32_e32 vcc, s56, v11
	v_cmp_ne_u16_sdwa s[4:5], v37, v36 src0_sel:BYTE_0 src1_sel:BYTE_0
	s_and_b64 s[4:5], vcc, s[4:5]
	v_or_b32_e32 v11, 10, v12
	v_cndmask_b32_e64 v63, 0, 1, s[4:5]
	v_cmp_gt_u32_e32 vcc, s56, v11
	v_cmp_ne_u16_sdwa s[4:5], v39, v37 src0_sel:BYTE_0 src1_sel:BYTE_0
	s_and_b64 s[4:5], vcc, s[4:5]
	v_or_b32_e32 v11, 9, v12
	v_cndmask_b32_e64 v64, 0, 1, s[4:5]
	v_cmp_gt_u32_e32 vcc, s56, v11
	v_cmp_ne_u16_sdwa s[4:5], v6, v39 src0_sel:BYTE_0 src1_sel:BYTE_0
	s_and_b64 s[4:5], vcc, s[4:5]
	v_or_b32_e32 v11, 8, v12
	v_cndmask_b32_e64 v65, 0, 1, s[4:5]
	v_cmp_gt_u32_e32 vcc, s56, v11
	v_cmp_ne_u16_sdwa s[4:5], v41, v6 src0_sel:BYTE_0 src1_sel:BYTE_0
	s_and_b64 s[4:5], vcc, s[4:5]
	v_or_b32_e32 v11, 7, v12
	v_cndmask_b32_e64 v66, 0, 1, s[4:5]
	v_cmp_gt_u32_e32 vcc, s56, v11
	v_cmp_ne_u16_sdwa s[4:5], v42, v41 src0_sel:BYTE_0 src1_sel:BYTE_0
	s_and_b64 s[4:5], vcc, s[4:5]
	v_or_b32_e32 v11, 6, v12
	v_cndmask_b32_e64 v67, 0, 1, s[4:5]
	v_cmp_gt_u32_e32 vcc, s56, v11
	v_cmp_ne_u16_sdwa s[4:5], v44, v42 src0_sel:BYTE_0 src1_sel:BYTE_0
	s_and_b64 s[4:5], vcc, s[4:5]
	v_or_b32_e32 v11, 5, v12
	v_cndmask_b32_e64 v68, 0, 1, s[4:5]
	v_cmp_gt_u32_e32 vcc, s56, v11
	v_cmp_ne_u16_sdwa s[4:5], v9, v44 src0_sel:BYTE_0 src1_sel:BYTE_0
	s_and_b64 s[4:5], vcc, s[4:5]
	v_or_b32_e32 v11, 4, v12
	v_cndmask_b32_e64 v69, 0, 1, s[4:5]
	v_cmp_gt_u32_e32 vcc, s56, v11
	v_cmp_ne_u16_sdwa s[4:5], v46, v9 src0_sel:BYTE_0 src1_sel:BYTE_0
	s_and_b64 s[4:5], vcc, s[4:5]
	v_or_b32_e32 v11, 3, v12
	v_cndmask_b32_e64 v70, 0, 1, s[4:5]
	v_cmp_gt_u32_e32 vcc, s56, v11
	v_cmp_ne_u16_sdwa s[4:5], v47, v46 src0_sel:BYTE_0 src1_sel:BYTE_0
	s_and_b64 s[4:5], vcc, s[4:5]
	v_or_b32_e32 v11, 2, v12
	v_cndmask_b32_e64 v71, 0, 1, s[4:5]
	v_cmp_gt_u32_e32 vcc, s56, v11
	v_cmp_ne_u16_sdwa s[4:5], v49, v47 src0_sel:BYTE_0 src1_sel:BYTE_0
	s_and_b64 s[4:5], vcc, s[4:5]
	v_or_b32_e32 v11, 1, v12
	v_cndmask_b32_e64 v72, 0, 1, s[4:5]
	v_cmp_gt_u32_e32 vcc, s56, v11
	v_cmp_ne_u16_sdwa s[4:5], v8, v49 src0_sel:BYTE_0 src1_sel:BYTE_0
	s_and_b64 s[4:5], vcc, s[4:5]
	v_cmp_gt_u32_e32 vcc, s56, v12
	v_cndmask_b32_e64 v73, 0, 1, s[4:5]
	s_waitcnt vmcnt(0) lgkmcnt(0)
	v_cmp_ne_u16_sdwa s[4:5], v10, v8 src0_sel:BYTE_0 src1_sel:BYTE_0
	s_and_b64 s[6:7], vcc, s[4:5]
.LBB228_83:
	s_mov_b64 s[4:5], -1
	s_cbranch_execnz .LBB228_78
.LBB228_84:
	s_and_b64 vcc, exec, s[28:29]
	v_cmp_ne_u16_sdwa s[52:53], v21, v20 src0_sel:BYTE_0 src1_sel:BYTE_0
	v_cmp_ne_u16_sdwa s[54:55], v3, v21 src0_sel:BYTE_0 src1_sel:BYTE_0
	;; [unrolled: 1-line block ×16, first 2 shown]
	ds_write_b8 v0, v1
	s_cbranch_vccz .LBB228_88
; %bb.85:
	v_cndmask_b32_e64 v35, 0, 1, s[52:53]
	v_cmp_ne_u16_sdwa s[52:53], v22, v3 src0_sel:DWORD src1_sel:BYTE_0
	v_cndmask_b32_e64 v45, 0, 1, s[48:49]
	v_cmp_ne_u16_sdwa s[48:49], v25, v2 src0_sel:DWORD src1_sel:BYTE_0
	;; [unrolled: 2-line block ×7, first 2 shown]
	v_cmp_ne_u16_sdwa s[58:59], v20, v1 src0_sel:BYTE_0 src1_sel:DWORD
	v_cndmask_b32_e64 v40, 0, 1, s[52:53]
	v_cmp_ne_u16_sdwa s[52:53], v23, v22 src0_sel:BYTE_0 src1_sel:DWORD
	v_cndmask_b32_e64 v50, 0, 1, s[48:49]
	;; [unrolled: 2-line block ×8, first 2 shown]
	v_cndmask_b32_e64 v38, 0, 1, s[54:55]
	v_cndmask_b32_e64 v43, 0, 1, s[52:53]
	;; [unrolled: 1-line block ×16, first 2 shown]
	s_waitcnt lgkmcnt(0)
	s_barrier
	s_waitcnt lgkmcnt(0)
                                        ; implicit-def: $sgpr6_sgpr7
	s_and_saveexec_b64 s[8:9], s[2:3]
	s_xor_b64 s[8:9], exec, s[8:9]
	s_cbranch_execz .LBB228_87
; %bb.86:
	s_waitcnt vmcnt(0)
	v_add_u32_e32 v10, -1, v0
	ds_read_u8 v10, v10
	s_or_b64 s[4:5], s[4:5], exec
	s_waitcnt lgkmcnt(0)
	v_cmp_ne_u16_sdwa s[6:7], v10, v8 src0_sel:DWORD src1_sel:BYTE_0
	s_and_b64 s[6:7], s[6:7], exec
.LBB228_87:
	s_or_b64 exec, exec, s[8:9]
	s_mov_b32 s10, 1
	s_branch .LBB228_91
.LBB228_88:
                                        ; implicit-def: $sgpr6_sgpr7
                                        ; implicit-def: $vgpr73
                                        ; implicit-def: $vgpr72
                                        ; implicit-def: $vgpr71
                                        ; implicit-def: $vgpr70
                                        ; implicit-def: $vgpr69
                                        ; implicit-def: $vgpr68
                                        ; implicit-def: $vgpr67
                                        ; implicit-def: $vgpr66
                                        ; implicit-def: $vgpr65
                                        ; implicit-def: $vgpr64
                                        ; implicit-def: $vgpr63
                                        ; implicit-def: $vgpr62
                                        ; implicit-def: $vgpr61
                                        ; implicit-def: $vgpr60
                                        ; implicit-def: $vgpr59
                                        ; implicit-def: $vgpr58
                                        ; implicit-def: $vgpr57
                                        ; implicit-def: $vgpr56
                                        ; implicit-def: $vgpr55
                                        ; implicit-def: $vgpr54
                                        ; implicit-def: $vgpr53
                                        ; implicit-def: $vgpr52
                                        ; implicit-def: $vgpr51
                                        ; implicit-def: $vgpr50
                                        ; implicit-def: $vgpr48
                                        ; implicit-def: $vgpr45
                                        ; implicit-def: $vgpr43
                                        ; implicit-def: $vgpr40
                                        ; implicit-def: $vgpr38
                                        ; implicit-def: $vgpr35
                                        ; implicit-def: $vgpr33
                                        ; implicit-def: $sgpr10
	s_cbranch_execz .LBB228_91
; %bb.89:
	s_waitcnt vmcnt(0)
	v_or_b32_e32 v10, 31, v12
	v_cmp_gt_u32_e32 vcc, s56, v10
	v_cmp_ne_u16_sdwa s[6:7], v20, v1 src0_sel:BYTE_0 src1_sel:BYTE_0
	s_and_b64 s[6:7], vcc, s[6:7]
	v_or_b32_e32 v10, 30, v12
	v_cndmask_b32_e64 v33, 0, 1, s[6:7]
	v_cmp_gt_u32_e32 vcc, s56, v10
	v_cmp_ne_u16_sdwa s[6:7], v21, v20 src0_sel:BYTE_0 src1_sel:BYTE_0
	s_and_b64 s[6:7], vcc, s[6:7]
	v_or_b32_e32 v10, 29, v12
	v_cndmask_b32_e64 v35, 0, 1, s[6:7]
	;; [unrolled: 5-line block ×30, first 2 shown]
	v_cmp_gt_u32_e32 vcc, s56, v10
	v_cmp_ne_u16_sdwa s[6:7], v8, v49 src0_sel:BYTE_0 src1_sel:BYTE_0
	s_and_b64 s[6:7], vcc, s[6:7]
	s_mov_b32 s10, 1
	v_cndmask_b32_e64 v73, 0, 1, s[6:7]
	s_waitcnt lgkmcnt(0)
	s_barrier
	s_waitcnt lgkmcnt(0)
                                        ; implicit-def: $sgpr6_sgpr7
	s_and_saveexec_b64 s[8:9], s[2:3]
	s_cbranch_execz .LBB228_311
; %bb.90:
	v_add_u32_e32 v10, -1, v0
	ds_read_u8 v10, v10
	v_cmp_gt_u32_e32 vcc, s56, v12
	s_or_b64 s[4:5], s[4:5], exec
	s_waitcnt lgkmcnt(0)
	v_and_b32_e32 v10, 0xff, v10
	v_cmp_ne_u16_sdwa s[2:3], v10, v8 src0_sel:DWORD src1_sel:BYTE_0
	s_and_b64 s[2:3], vcc, s[2:3]
	s_and_b64 s[6:7], s[2:3], exec
	s_or_b64 exec, exec, s[8:9]
.LBB228_91:
	v_mov_b32_e32 v74, s10
	s_and_saveexec_b64 s[2:3], s[4:5]
.LBB228_92:
	v_cndmask_b32_e64 v74, 0, 1, s[6:7]
.LBB228_93:
	s_or_b64 exec, exec, s[2:3]
	s_andn2_b64 vcc, exec, s[0:1]
	s_cbranch_vccnz .LBB228_95
; %bb.94:
	v_cmp_gt_u32_e32 vcc, s56, v12
	s_waitcnt vmcnt(0)
	v_or_b32_e32 v10, 1, v12
	v_cndmask_b32_e32 v74, 0, v74, vcc
	v_cmp_gt_u32_e32 vcc, s56, v10
	v_or_b32_e32 v10, 2, v12
	s_nop 0
	v_cndmask_b32_e32 v73, 0, v73, vcc
	v_cmp_gt_u32_e32 vcc, s56, v10
	v_or_b32_e32 v10, 3, v12
	s_nop 0
	;; [unrolled: 4-line block ×30, first 2 shown]
	v_cndmask_b32_e32 v35, 0, v35, vcc
	v_cmp_gt_u32_e32 vcc, s56, v10
	s_nop 1
	v_cndmask_b32_e32 v33, 0, v33, vcc
.LBB228_95:
	v_and_b32_e32 v115, 0xff, v40
	v_and_b32_e32 v116, 0xff, v38
	s_waitcnt vmcnt(0)
	v_add_u32_sdwa v10, v35, v33 dst_sel:DWORD dst_unused:UNUSED_PAD src0_sel:BYTE_0 src1_sel:BYTE_0
	v_and_b32_e32 v113, 0xff, v45
	v_and_b32_e32 v114, 0xff, v43
	v_add3_u32 v10, v10, v116, v115
	v_and_b32_e32 v111, 0xff, v50
	v_and_b32_e32 v112, 0xff, v48
	v_add3_u32 v10, v10, v114, v113
	;; [unrolled: 3-line block ×14, first 2 shown]
	v_add3_u32 v89, v10, v76, v75
	v_mbcnt_lo_u32_b32 v10, -1, 0
	v_mbcnt_hi_u32_b32 v87, -1, v10
	v_and_b32_e32 v10, 15, v87
	v_cmp_eq_u32_e64 s[14:15], 0, v10
	v_cmp_lt_u32_e64 s[12:13], 1, v10
	v_cmp_lt_u32_e64 s[10:11], 3, v10
	;; [unrolled: 1-line block ×3, first 2 shown]
	v_and_b32_e32 v10, 16, v87
	v_cmp_eq_u32_e64 s[6:7], 0, v10
	v_or_b32_e32 v10, 63, v0
	v_cmp_lt_u32_e64 s[2:3], 31, v87
	v_lshrrev_b32_e32 v88, 6, v0
	v_cmp_eq_u32_e64 s[4:5], v10, v0
	s_and_b64 vcc, exec, s[16:17]
	s_waitcnt lgkmcnt(0)
	s_barrier
	s_cbranch_vccz .LBB228_122
; %bb.96:
	v_mov_b32_dpp v10, v89 row_shr:1 row_mask:0xf bank_mask:0xf
	v_cndmask_b32_e64 v10, v10, 0, s[14:15]
	v_add_u32_e32 v10, v10, v89
	s_nop 1
	v_mov_b32_dpp v11, v10 row_shr:2 row_mask:0xf bank_mask:0xf
	v_cndmask_b32_e64 v11, 0, v11, s[12:13]
	v_add_u32_e32 v10, v10, v11
	s_nop 1
	;; [unrolled: 4-line block ×4, first 2 shown]
	v_mov_b32_dpp v11, v10 row_bcast:15 row_mask:0xf bank_mask:0xf
	v_cndmask_b32_e64 v11, v11, 0, s[6:7]
	v_add_u32_e32 v10, v10, v11
	s_nop 1
	v_mov_b32_dpp v11, v10 row_bcast:31 row_mask:0xf bank_mask:0xf
	v_cndmask_b32_e64 v11, 0, v11, s[2:3]
	v_add_u32_e32 v10, v10, v11
	s_and_saveexec_b64 s[0:1], s[4:5]
	s_cbranch_execz .LBB228_98
; %bb.97:
	v_lshlrev_b32_e32 v11, 2, v88
	ds_write_b32 v11, v10
.LBB228_98:
	s_or_b64 exec, exec, s[0:1]
	v_cmp_gt_u32_e32 vcc, 8, v0
	s_waitcnt lgkmcnt(0)
	s_barrier
	s_and_saveexec_b64 s[0:1], vcc
	s_cbranch_execz .LBB228_100
; %bb.99:
	v_lshlrev_b32_e32 v11, 2, v0
	ds_read_b32 v12, v11
	v_and_b32_e32 v13, 7, v87
	v_cmp_ne_u32_e32 vcc, 0, v13
	s_waitcnt lgkmcnt(0)
	v_mov_b32_dpp v14, v12 row_shr:1 row_mask:0xf bank_mask:0xf
	v_cndmask_b32_e32 v14, 0, v14, vcc
	v_add_u32_e32 v12, v14, v12
	v_cmp_lt_u32_e32 vcc, 1, v13
	s_nop 0
	v_mov_b32_dpp v14, v12 row_shr:2 row_mask:0xf bank_mask:0xf
	v_cndmask_b32_e32 v14, 0, v14, vcc
	v_add_u32_e32 v12, v12, v14
	v_cmp_lt_u32_e32 vcc, 3, v13
	s_nop 0
	v_mov_b32_dpp v14, v12 row_shr:4 row_mask:0xf bank_mask:0xf
	v_cndmask_b32_e32 v13, 0, v14, vcc
	v_add_u32_e32 v12, v12, v13
	ds_write_b32 v11, v12
.LBB228_100:
	s_or_b64 exec, exec, s[0:1]
	v_cmp_gt_u32_e32 vcc, 64, v0
	v_cmp_lt_u32_e64 s[0:1], 63, v0
	s_waitcnt lgkmcnt(0)
	s_barrier
	s_waitcnt lgkmcnt(0)
                                        ; implicit-def: $vgpr90
	s_and_saveexec_b64 s[16:17], s[0:1]
	s_cbranch_execz .LBB228_102
; %bb.101:
	v_lshl_add_u32 v11, v88, 2, -4
	ds_read_b32 v90, v11
	s_waitcnt lgkmcnt(0)
	v_add_u32_e32 v10, v90, v10
.LBB228_102:
	s_or_b64 exec, exec, s[16:17]
	v_add_u32_e32 v11, -1, v87
	v_and_b32_e32 v12, 64, v87
	v_cmp_lt_i32_e64 s[0:1], v11, v12
	v_cmp_eq_u32_e64 s[16:17], 0, v87
	s_nop 0
	v_cndmask_b32_e64 v11, v11, v87, s[0:1]
	v_lshlrev_b32_e32 v11, 2, v11
	ds_bpermute_b32 v91, v11, v10
	s_and_saveexec_b64 s[0:1], vcc
	s_cbranch_execz .LBB228_121
; %bb.103:
	v_mov_b32_e32 v17, 0
	ds_read_b32 v10, v17 offset:28
	s_and_saveexec_b64 s[34:35], s[16:17]
	s_cbranch_execz .LBB228_105
; %bb.104:
	s_add_i32 s36, s33, 64
	s_mov_b32 s37, 0
	s_lshl_b64 s[36:37], s[36:37], 3
	s_add_u32 s36, s30, s36
	v_mov_b32_e32 v11, 1
	s_addc_u32 s37, s31, s37
	s_waitcnt lgkmcnt(0)
	global_store_dwordx2 v17, v[10:11], s[36:37] sc1
.LBB228_105:
	s_or_b64 exec, exec, s[34:35]
	v_xad_u32 v12, v87, -1, s33
	v_add_u32_e32 v16, 64, v12
	v_lshl_add_u64 v[18:19], v[16:17], 3, s[30:31]
	global_load_dwordx2 v[14:15], v[18:19], off sc1
	s_waitcnt vmcnt(0)
	v_cmp_eq_u16_sdwa s[36:37], v15, v17 src0_sel:BYTE_0 src1_sel:DWORD
	s_and_saveexec_b64 s[34:35], s[36:37]
	s_cbranch_execz .LBB228_109
; %bb.106:
	s_mov_b64 s[36:37], 0
	v_mov_b32_e32 v11, 0
.LBB228_107:                            ; =>This Inner Loop Header: Depth=1
	global_load_dwordx2 v[14:15], v[18:19], off sc1
	s_waitcnt vmcnt(0)
	v_cmp_ne_u16_sdwa s[38:39], v15, v11 src0_sel:BYTE_0 src1_sel:DWORD
	s_or_b64 s[36:37], s[38:39], s[36:37]
	s_andn2_b64 exec, exec, s[36:37]
	s_cbranch_execnz .LBB228_107
; %bb.108:
	s_or_b64 exec, exec, s[36:37]
.LBB228_109:
	s_or_b64 exec, exec, s[34:35]
	v_and_b32_e32 v93, 63, v87
	v_mov_b32_e32 v92, 2
	v_cmp_ne_u32_e32 vcc, 63, v93
	v_cmp_eq_u16_sdwa s[34:35], v15, v92 src0_sel:BYTE_0 src1_sel:DWORD
	v_lshlrev_b64 v[16:17], v87, -1
	v_addc_co_u32_e32 v18, vcc, 0, v87, vcc
	v_and_b32_e32 v11, s35, v17
	v_lshlrev_b32_e32 v94, 2, v18
	v_or_b32_e32 v11, 0x80000000, v11
	ds_bpermute_b32 v18, v94, v14
	v_and_b32_e32 v13, s34, v16
	v_ffbl_b32_e32 v11, v11
	v_add_u32_e32 v11, 32, v11
	v_ffbl_b32_e32 v13, v13
	v_min_u32_e32 v11, v13, v11
	v_cmp_lt_u32_e32 vcc, v93, v11
	v_add_u32_e32 v96, 2, v93
	v_add_u32_e32 v98, 4, v93
	s_waitcnt lgkmcnt(0)
	v_cndmask_b32_e32 v13, 0, v18, vcc
	v_cmp_gt_u32_e32 vcc, 62, v93
	v_add_u32_e32 v13, v13, v14
	v_add_u32_e32 v118, 8, v93
	v_cndmask_b32_e64 v14, 0, 1, vcc
	v_lshlrev_b32_e32 v14, 1, v14
	v_add_lshl_u32 v95, v14, v87, 2
	ds_bpermute_b32 v14, v95, v13
	v_cmp_le_u32_e32 vcc, v96, v11
	v_add_u32_e32 v120, 16, v93
	v_add_u32_e32 v122, 32, v93
	s_waitcnt lgkmcnt(0)
	v_cndmask_b32_e32 v14, 0, v14, vcc
	v_cmp_gt_u32_e32 vcc, 60, v93
	v_add_u32_e32 v13, v13, v14
	s_nop 0
	v_cndmask_b32_e64 v14, 0, 1, vcc
	v_lshlrev_b32_e32 v14, 2, v14
	v_add_lshl_u32 v97, v14, v87, 2
	ds_bpermute_b32 v14, v97, v13
	v_cmp_le_u32_e32 vcc, v98, v11
	s_waitcnt lgkmcnt(0)
	s_nop 0
	v_cndmask_b32_e32 v14, 0, v14, vcc
	v_cmp_gt_u32_e32 vcc, 56, v93
	v_add_u32_e32 v13, v13, v14
	s_nop 0
	v_cndmask_b32_e64 v14, 0, 1, vcc
	v_lshlrev_b32_e32 v14, 3, v14
	v_add_lshl_u32 v117, v14, v87, 2
	ds_bpermute_b32 v14, v117, v13
	v_cmp_le_u32_e32 vcc, v118, v11
	s_waitcnt lgkmcnt(0)
	s_nop 0
	;; [unrolled: 11-line block ×4, first 2 shown]
	v_cndmask_b32_e32 v11, 0, v14, vcc
	v_add_u32_e32 v14, v13, v11
	v_mov_b32_e32 v13, 0
	s_branch .LBB228_111
.LBB228_110:                            ;   in Loop: Header=BB228_111 Depth=1
	s_or_b64 exec, exec, s[34:35]
	v_cmp_eq_u16_sdwa s[34:35], v15, v92 src0_sel:BYTE_0 src1_sel:DWORD
	ds_bpermute_b32 v123, v94, v14
	v_subrev_u32_e32 v12, 64, v12
	v_and_b32_e32 v18, s35, v17
	v_or_b32_e32 v18, 0x80000000, v18
	v_and_b32_e32 v19, s34, v16
	v_ffbl_b32_e32 v18, v18
	v_add_u32_e32 v18, 32, v18
	v_ffbl_b32_e32 v19, v19
	v_min_u32_e32 v18, v19, v18
	v_cmp_lt_u32_e32 vcc, v93, v18
	s_waitcnt lgkmcnt(0)
	s_nop 0
	v_cndmask_b32_e32 v19, 0, v123, vcc
	v_add_u32_e32 v14, v19, v14
	ds_bpermute_b32 v19, v95, v14
	v_cmp_le_u32_e32 vcc, v96, v18
	s_waitcnt lgkmcnt(0)
	s_nop 0
	v_cndmask_b32_e32 v19, 0, v19, vcc
	v_add_u32_e32 v14, v14, v19
	ds_bpermute_b32 v19, v97, v14
	v_cmp_le_u32_e32 vcc, v98, v18
	;; [unrolled: 6-line block ×5, first 2 shown]
	s_waitcnt lgkmcnt(0)
	s_nop 0
	v_cndmask_b32_e32 v18, 0, v19, vcc
	v_add3_u32 v14, v18, v11, v14
.LBB228_111:                            ; =>This Loop Header: Depth=1
                                        ;     Child Loop BB228_114 Depth 2
	v_cmp_ne_u16_sdwa s[34:35], v15, v92 src0_sel:BYTE_0 src1_sel:DWORD
	s_nop 1
	v_cndmask_b32_e64 v11, 0, 1, s[34:35]
	;;#ASMSTART
	;;#ASMEND
	s_nop 0
	v_cmp_ne_u32_e32 vcc, 0, v11
	s_cmp_lg_u64 vcc, exec
	v_mov_b32_e32 v11, v14
	s_cbranch_scc1 .LBB228_116
; %bb.112:                              ;   in Loop: Header=BB228_111 Depth=1
	v_lshl_add_u64 v[18:19], v[12:13], 3, s[30:31]
	global_load_dwordx2 v[14:15], v[18:19], off sc1
	s_waitcnt vmcnt(0)
	v_cmp_eq_u16_sdwa s[36:37], v15, v13 src0_sel:BYTE_0 src1_sel:DWORD
	s_and_saveexec_b64 s[34:35], s[36:37]
	s_cbranch_execz .LBB228_110
; %bb.113:                              ;   in Loop: Header=BB228_111 Depth=1
	s_mov_b64 s[36:37], 0
.LBB228_114:                            ;   Parent Loop BB228_111 Depth=1
                                        ; =>  This Inner Loop Header: Depth=2
	global_load_dwordx2 v[14:15], v[18:19], off sc1
	s_waitcnt vmcnt(0)
	v_cmp_ne_u16_sdwa s[38:39], v15, v13 src0_sel:BYTE_0 src1_sel:DWORD
	s_or_b64 s[36:37], s[38:39], s[36:37]
	s_andn2_b64 exec, exec, s[36:37]
	s_cbranch_execnz .LBB228_114
; %bb.115:                              ;   in Loop: Header=BB228_111 Depth=1
	s_or_b64 exec, exec, s[36:37]
	s_branch .LBB228_110
.LBB228_116:                            ;   in Loop: Header=BB228_111 Depth=1
                                        ; implicit-def: $vgpr14
                                        ; implicit-def: $vgpr15
	s_cbranch_execz .LBB228_111
; %bb.117:
	s_and_saveexec_b64 s[34:35], s[16:17]
	s_cbranch_execz .LBB228_119
; %bb.118:
	s_add_i32 s36, s33, 64
	s_mov_b32 s37, 0
	s_lshl_b64 s[36:37], s[36:37], 3
	s_add_u32 s36, s30, s36
	v_add_u32_e32 v12, v11, v10
	v_mov_b32_e32 v13, 2
	s_addc_u32 s37, s31, s37
	v_mov_b32_e32 v14, 0
	global_store_dwordx2 v14, v[12:13], s[36:37] sc1
	ds_write_b64 v14, v[10:11] offset:16896
.LBB228_119:
	s_or_b64 exec, exec, s[34:35]
	s_and_b64 exec, exec, s[18:19]
	s_cbranch_execz .LBB228_121
; %bb.120:
	v_mov_b32_e32 v10, 0
	ds_write_b32 v10, v11 offset:28
.LBB228_121:
	s_or_b64 exec, exec, s[0:1]
	v_mov_b32_e32 v10, 0
	s_waitcnt lgkmcnt(0)
	s_barrier
	ds_read_b32 v11, v10 offset:28
	s_waitcnt lgkmcnt(0)
	s_barrier
	ds_read_b64 v[16:17], v10 offset:16896
	v_cndmask_b32_e64 v10, v91, v90, s[16:17]
	v_cndmask_b32_e64 v10, v10, 0, s[18:19]
	v_add_u32_e32 v95, v11, v10
	s_waitcnt lgkmcnt(0)
	v_mov_b32_e32 v18, v17
	s_branch .LBB228_132
.LBB228_122:
                                        ; implicit-def: $vgpr18
                                        ; implicit-def: $vgpr16
                                        ; implicit-def: $vgpr95
	s_cbranch_execz .LBB228_132
; %bb.123:
	v_mov_b32_dpp v10, v89 row_shr:1 row_mask:0xf bank_mask:0xf
	v_cndmask_b32_e64 v10, v10, 0, s[14:15]
	v_add_u32_e32 v10, v10, v89
	s_nop 1
	v_mov_b32_dpp v11, v10 row_shr:2 row_mask:0xf bank_mask:0xf
	v_cndmask_b32_e64 v11, 0, v11, s[12:13]
	v_add_u32_e32 v10, v10, v11
	s_nop 1
	;; [unrolled: 4-line block ×4, first 2 shown]
	v_mov_b32_dpp v11, v10 row_bcast:15 row_mask:0xf bank_mask:0xf
	v_cndmask_b32_e64 v11, v11, 0, s[6:7]
	v_add_u32_e32 v10, v10, v11
	s_nop 1
	v_mov_b32_dpp v11, v10 row_bcast:31 row_mask:0xf bank_mask:0xf
	v_cndmask_b32_e64 v11, 0, v11, s[2:3]
	v_add_u32_e32 v10, v10, v11
	s_and_saveexec_b64 s[0:1], s[4:5]
	s_cbranch_execz .LBB228_125
; %bb.124:
	v_lshlrev_b32_e32 v11, 2, v88
	ds_write_b32 v11, v10
.LBB228_125:
	s_or_b64 exec, exec, s[0:1]
	v_cmp_gt_u32_e32 vcc, 8, v0
	s_waitcnt lgkmcnt(0)
	s_barrier
	s_and_saveexec_b64 s[0:1], vcc
	s_cbranch_execz .LBB228_127
; %bb.126:
	v_lshlrev_b32_e32 v11, 2, v0
	ds_read_b32 v12, v11
	v_and_b32_e32 v13, 7, v87
	v_cmp_ne_u32_e32 vcc, 0, v13
	s_waitcnt lgkmcnt(0)
	v_mov_b32_dpp v14, v12 row_shr:1 row_mask:0xf bank_mask:0xf
	v_cndmask_b32_e32 v14, 0, v14, vcc
	v_add_u32_e32 v12, v14, v12
	v_cmp_lt_u32_e32 vcc, 1, v13
	s_nop 0
	v_mov_b32_dpp v14, v12 row_shr:2 row_mask:0xf bank_mask:0xf
	v_cndmask_b32_e32 v14, 0, v14, vcc
	v_add_u32_e32 v12, v12, v14
	v_cmp_lt_u32_e32 vcc, 3, v13
	s_nop 0
	v_mov_b32_dpp v14, v12 row_shr:4 row_mask:0xf bank_mask:0xf
	v_cndmask_b32_e32 v13, 0, v14, vcc
	v_add_u32_e32 v12, v12, v13
	ds_write_b32 v11, v12
.LBB228_127:
	s_or_b64 exec, exec, s[0:1]
	v_cmp_lt_u32_e32 vcc, 63, v0
	v_mov_b32_e32 v12, 0
	v_mov_b32_e32 v11, 0
	s_waitcnt lgkmcnt(0)
	s_barrier
	s_and_saveexec_b64 s[0:1], vcc
	s_cbranch_execz .LBB228_129
; %bb.128:
	v_lshl_add_u32 v11, v88, 2, -4
	ds_read_b32 v11, v11
.LBB228_129:
	s_or_b64 exec, exec, s[0:1]
	v_add_u32_e32 v13, -1, v87
	v_and_b32_e32 v14, 64, v87
	v_cmp_lt_i32_e32 vcc, v13, v14
	s_waitcnt lgkmcnt(0)
	v_add_u32_e32 v10, v11, v10
	ds_read_b32 v16, v12 offset:28
	v_cndmask_b32_e32 v13, v13, v87, vcc
	v_lshlrev_b32_e32 v13, 2, v13
	ds_bpermute_b32 v10, v13, v10
	s_and_saveexec_b64 s[0:1], s[18:19]
	s_cbranch_execz .LBB228_131
; %bb.130:
	v_mov_b32_e32 v12, 0
	v_mov_b32_e32 v17, 2
	s_waitcnt lgkmcnt(1)
	global_store_dwordx2 v12, v[16:17], s[30:31] offset:512 sc1
.LBB228_131:
	s_or_b64 exec, exec, s[0:1]
	v_cmp_eq_u32_e32 vcc, 0, v87
	v_mov_b32_e32 v18, 0
	s_waitcnt lgkmcnt(0)
	v_cndmask_b32_e32 v10, v10, v11, vcc
	v_cndmask_b32_e64 v95, v10, 0, s[18:19]
	s_barrier
.LBB228_132:
	v_add_u32_e32 v98, v95, v75
	v_add_u32_e32 v97, v98, v76
	;; [unrolled: 1-line block ×29, first 2 shown]
	s_movk_i32 s0, 0x201
	v_add_u32_e32 v11, v12, v116
	v_cmp_gt_u32_e32 vcc, s0, v16
	v_add_u32_sdwa v10, v11, v35 dst_sel:DWORD dst_unused:UNUSED_PAD src0_sel:DWORD src1_sel:BYTE_0
	s_mov_b64 s[0:1], -1
	s_cbranch_vccnz .LBB228_136
; %bb.133:
	s_and_b64 vcc, exec, s[0:1]
	s_cbranch_vccnz .LBB228_233
.LBB228_134:
	s_and_b64 s[0:1], s[18:19], s[24:25]
	s_and_saveexec_b64 s[2:3], s[0:1]
	s_cbranch_execnz .LBB228_310
.LBB228_135:
	s_endpgm
.LBB228_136:
	v_add_u32_e32 v99, v18, v16
	v_cmp_lt_u32_e32 vcc, v95, v99
	s_or_b64 s[2:3], s[28:29], vcc
	s_and_saveexec_b64 s[0:1], s[2:3]
	s_cbranch_execz .LBB228_139
; %bb.137:
	v_and_b32_e32 v100, 1, v74
	v_cmp_eq_u32_e32 vcc, 1, v100
	s_and_b64 exec, exec, vcc
	s_cbranch_execz .LBB228_139
; %bb.138:
	s_add_u32 s2, s26, s22
	s_addc_u32 s3, s27, s23
	global_store_byte v95, v8, s[2:3]
.LBB228_139:
	s_or_b64 exec, exec, s[0:1]
	v_cmp_lt_u32_e32 vcc, v98, v99
	s_or_b64 s[2:3], s[28:29], vcc
	s_and_saveexec_b64 s[0:1], s[2:3]
	s_cbranch_execz .LBB228_142
; %bb.140:
	v_and_b32_e32 v100, 1, v73
	v_cmp_eq_u32_e32 vcc, 1, v100
	s_and_b64 exec, exec, vcc
	s_cbranch_execz .LBB228_142
; %bb.141:
	s_add_u32 s2, s26, s22
	s_addc_u32 s3, s27, s23
	global_store_byte v98, v49, s[2:3]
.LBB228_142:
	s_or_b64 exec, exec, s[0:1]
	;; [unrolled: 15-line block ×32, first 2 shown]
	s_branch .LBB228_134
.LBB228_233:
	v_and_b32_e32 v74, 1, v74
	v_cmp_eq_u32_e32 vcc, 1, v74
	s_and_saveexec_b64 s[0:1], vcc
	s_cbranch_execz .LBB228_235
; %bb.234:
	v_sub_u32_e32 v74, v95, v18
	ds_write_b8 v74, v8
.LBB228_235:
	s_or_b64 exec, exec, s[0:1]
	v_and_b32_e32 v8, 1, v73
	v_cmp_eq_u32_e32 vcc, 1, v8
	s_and_saveexec_b64 s[0:1], vcc
	s_cbranch_execz .LBB228_237
; %bb.236:
	v_sub_u32_e32 v8, v98, v18
	ds_write_b8 v8, v49
.LBB228_237:
	s_or_b64 exec, exec, s[0:1]
	;; [unrolled: 9-line block ×32, first 2 shown]
	v_cmp_lt_u32_e32 vcc, v0, v16
	s_waitcnt lgkmcnt(0)
	s_barrier
	s_and_saveexec_b64 s[0:1], vcc
	s_cbranch_execz .LBB228_309
; %bb.298:
	v_mov_b32_e32 v19, 0
	v_lshl_add_u64 v[2:3], s[26:27], 0, v[18:19]
	v_xad_u32 v1, v0, -1, v16
	s_movk_i32 s2, 0xdff
	v_lshl_add_u64 v[20:21], v[2:3], 0, s[22:23]
	v_cmp_lt_u32_e32 vcc, s2, v1
	s_mov_b64 s[4:5], -1
	s_and_saveexec_b64 s[2:3], vcc
	s_cbranch_execz .LBB228_306
; %bb.299:
	v_lshrrev_b32_e32 v17, 9, v1
	v_or_b32_e32 v7, 0xe00, v0
	v_or_b32_e32 v6, 0xc00, v0
	v_or_b32_e32 v5, 0xa00, v0
	v_or_b32_e32 v4, 0x800, v0
	v_or_b32_e32 v3, 0x600, v0
	v_or_b32_e32 v2, 0x400, v0
	v_or_b32_e32 v1, 0x200, v0
	v_add_u32_e32 v24, -7, v17
	v_mov_b64_e32 v[14:15], v[6:7]
	v_cmp_lt_u32_e32 vcc, 7, v24
	v_mov_b64_e32 v[12:13], v[4:5]
	v_mov_b64_e32 v[10:11], v[2:3]
	;; [unrolled: 1-line block ×3, first 2 shown]
	s_and_saveexec_b64 s[4:5], vcc
	s_cbranch_execz .LBB228_303
; %bb.300:
	v_lshrrev_b32_e32 v8, 3, v24
	v_add_u32_e32 v8, 1, v8
	v_and_b32_e32 v19, 0x3ffffffe, v8
	v_mov_b64_e32 v[14:15], v[6:7]
	s_mov_b32 s8, 0
	s_mov_b64 s[6:7], 0
	v_mov_b32_e32 v23, 0
	v_mov_b32_e32 v25, v0
	v_mov_b64_e32 v[12:13], v[4:5]
	v_mov_b64_e32 v[10:11], v[2:3]
	;; [unrolled: 1-line block ×3, first 2 shown]
.LBB228_301:                            ; =>This Inner Loop Header: Depth=1
	v_mov_b32_e32 v22, v8
	v_lshl_add_u64 v[34:35], v[20:21], 0, v[22:23]
	v_mov_b32_e32 v22, v9
	v_lshl_add_u64 v[36:37], v[20:21], 0, v[22:23]
	;; [unrolled: 2-line block ×3, first 2 shown]
	v_mov_b32_e32 v22, v11
	ds_read_u8 v44, v25
	ds_read_u8 v45, v25 offset:512
	ds_read_u8 v46, v25 offset:1024
	;; [unrolled: 1-line block ×7, first 2 shown]
	v_lshl_add_u64 v[40:41], v[20:21], 0, v[22:23]
	v_mov_b32_e32 v22, v12
	ds_read_u8 v52, v25 offset:4096
	ds_read_u8 v53, v25 offset:4608
	;; [unrolled: 1-line block ×8, first 2 shown]
	v_lshl_add_u64 v[42:43], v[20:21], 0, v[22:23]
	v_mov_b32_e32 v22, v13
	s_waitcnt lgkmcnt(14)
	global_store_byte v[34:35], v44, off
	global_store_byte v[36:37], v45, off
	s_waitcnt lgkmcnt(13)
	global_store_byte v[38:39], v46, off
	s_waitcnt lgkmcnt(12)
	global_store_byte v[40:41], v47, off
	v_lshl_add_u64 v[34:35], v[20:21], 0, v[22:23]
	v_mov_b32_e32 v22, v14
	v_add_u32_e32 v19, -2, v19
	v_lshl_add_u64 v[36:37], v[20:21], 0, v[22:23]
	v_mov_b32_e32 v22, v15
	s_add_i32 s8, s8, 16
	v_cmp_eq_u32_e32 vcc, 0, v19
	s_waitcnt lgkmcnt(11)
	global_store_byte v[42:43], v48, off
	s_waitcnt lgkmcnt(10)
	global_store_byte v[34:35], v49, off
	v_lshl_add_u64 v[34:35], v[20:21], 0, v[22:23]
	v_add_u32_e32 v22, 0x1000, v8
	v_add_u32_e32 v2, 0x1000, v15
	;; [unrolled: 1-line block ×8, first 2 shown]
	v_mov_b32_e32 v33, v23
	v_mov_b32_e32 v31, v23
	;; [unrolled: 1-line block ×7, first 2 shown]
	v_add_u32_e32 v25, 0x2000, v25
	v_add_u32_e32 v9, 0x2000, v9
	v_mov_b32_e32 v1, s8
	v_add_u32_e32 v10, 0x2000, v10
	s_or_b64 s[6:7], vcc, s[6:7]
	v_add_u32_e32 v11, 0x2000, v11
	v_add_u32_e32 v12, 0x2000, v12
	;; [unrolled: 1-line block ×5, first 2 shown]
	s_waitcnt lgkmcnt(9)
	global_store_byte v[36:37], v50, off
	v_add_u32_e32 v8, 0x2000, v8
	s_waitcnt lgkmcnt(8)
	global_store_byte v[34:35], v51, off
	v_lshl_add_u64 v[34:35], v[20:21], 0, v[22:23]
	v_lshl_add_u64 v[32:33], v[20:21], 0, v[32:33]
	;; [unrolled: 1-line block ×8, first 2 shown]
	s_waitcnt lgkmcnt(7)
	global_store_byte v[34:35], v52, off
	s_waitcnt lgkmcnt(6)
	global_store_byte v[32:33], v53, off
	;; [unrolled: 2-line block ×8, first 2 shown]
	s_andn2_b64 exec, exec, s[6:7]
	s_cbranch_execnz .LBB228_301
; %bb.302:
	s_or_b64 exec, exec, s[6:7]
	v_lshlrev_b32_e32 v19, 9, v1
.LBB228_303:
	s_or_b64 exec, exec, s[4:5]
	v_and_b32_e32 v1, 8, v24
	v_cmp_eq_u32_e32 vcc, 0, v1
	s_and_saveexec_b64 s[4:5], vcc
	s_cbranch_execz .LBB228_305
; %bb.304:
	v_mov_b32_e32 v3, 0
	v_mov_b32_e32 v2, v8
	v_lshl_add_u64 v[4:5], v[20:21], 0, v[2:3]
	v_mov_b32_e32 v2, v9
	v_or_b32_e32 v1, v0, v19
	v_lshl_add_u64 v[6:7], v[20:21], 0, v[2:3]
	v_mov_b32_e32 v2, v10
	ds_read_u8 v19, v1
	ds_read_u8 v26, v1 offset:512
	ds_read_u8 v27, v1 offset:1024
	;; [unrolled: 1-line block ×7, first 2 shown]
	v_lshl_add_u64 v[8:9], v[20:21], 0, v[2:3]
	v_mov_b32_e32 v2, v11
	v_lshl_add_u64 v[10:11], v[20:21], 0, v[2:3]
	v_mov_b32_e32 v2, v12
	v_lshl_add_u64 v[22:23], v[20:21], 0, v[2:3]
	v_mov_b32_e32 v2, v13
	v_lshl_add_u64 v[12:13], v[20:21], 0, v[2:3]
	v_mov_b32_e32 v2, v14
	v_lshl_add_u64 v[24:25], v[20:21], 0, v[2:3]
	v_mov_b32_e32 v2, v15
	v_lshl_add_u64 v[2:3], v[20:21], 0, v[2:3]
	s_waitcnt lgkmcnt(7)
	global_store_byte v[4:5], v19, off
	s_waitcnt lgkmcnt(6)
	global_store_byte v[6:7], v26, off
	;; [unrolled: 2-line block ×8, first 2 shown]
.LBB228_305:
	s_or_b64 exec, exec, s[4:5]
	v_add_u32_e32 v1, 1, v17
	v_and_b32_e32 v2, 0xfffff8, v1
	v_cmp_ne_u32_e32 vcc, v1, v2
	v_lshl_or_b32 v0, v2, 9, v0
	s_orn2_b64 s[4:5], vcc, exec
.LBB228_306:
	s_or_b64 exec, exec, s[2:3]
	s_and_b64 exec, exec, s[4:5]
	s_cbranch_execz .LBB228_309
; %bb.307:
	s_mov_b64 s[2:3], 0
.LBB228_308:                            ; =>This Inner Loop Header: Depth=1
	ds_read_u8 v1, v0
	v_readfirstlane_b32 s4, v20
	v_readfirstlane_b32 s5, v21
	s_waitcnt lgkmcnt(0)
	s_nop 3
	global_store_byte v0, v1, s[4:5]
	v_add_u32_e32 v0, 0x200, v0
	v_cmp_ge_u32_e32 vcc, v0, v16
	s_or_b64 s[2:3], vcc, s[2:3]
	s_andn2_b64 exec, exec, s[2:3]
	s_cbranch_execnz .LBB228_308
.LBB228_309:
	s_or_b64 exec, exec, s[0:1]
	s_and_b64 s[0:1], s[18:19], s[24:25]
	s_and_saveexec_b64 s[2:3], s[0:1]
	s_cbranch_execz .LBB228_135
.LBB228_310:
	v_mov_b32_e32 v17, 0
	v_lshl_add_u64 v[0:1], s[22:23], 0, v[16:17]
	v_mov_b32_e32 v19, v17
	v_lshl_add_u64 v[0:1], v[0:1], 0, v[18:19]
	global_store_dwordx2 v17, v[0:1], s[20:21]
	s_endpgm
.LBB228_311:
	s_or_b64 exec, exec, s[8:9]
	v_mov_b32_e32 v74, s10
	s_and_saveexec_b64 s[2:3], s[4:5]
	s_cbranch_execnz .LBB228_92
	s_branch .LBB228_93
	.section	.rodata,"a",@progbits
	.p2align	6, 0x0
	.amdhsa_kernel _ZN7rocprim17ROCPRIM_400000_NS6detail17trampoline_kernelINS0_14default_configENS1_25partition_config_selectorILNS1_17partition_subalgoE8EaNS0_10empty_typeEbEEZZNS1_14partition_implILS5_8ELb0ES3_jPKaPS6_PKS6_NS0_5tupleIJPaS6_EEENSE_IJSB_SB_EEENS0_18inequality_wrapperIN6hipcub16HIPCUB_304000_NS8EqualityEEEPlJS6_EEE10hipError_tPvRmT3_T4_T5_T6_T7_T9_mT8_P12ihipStream_tbDpT10_ENKUlT_T0_E_clISt17integral_constantIbLb0EES16_IbLb1EEEEDaS12_S13_EUlS12_E_NS1_11comp_targetILNS1_3genE5ELNS1_11target_archE942ELNS1_3gpuE9ELNS1_3repE0EEENS1_30default_config_static_selectorELNS0_4arch9wavefront6targetE1EEEvT1_
		.amdhsa_group_segment_fixed_size 16904
		.amdhsa_private_segment_fixed_size 0
		.amdhsa_kernarg_size 128
		.amdhsa_user_sgpr_count 2
		.amdhsa_user_sgpr_dispatch_ptr 0
		.amdhsa_user_sgpr_queue_ptr 0
		.amdhsa_user_sgpr_kernarg_segment_ptr 1
		.amdhsa_user_sgpr_dispatch_id 0
		.amdhsa_user_sgpr_kernarg_preload_length 0
		.amdhsa_user_sgpr_kernarg_preload_offset 0
		.amdhsa_user_sgpr_private_segment_size 0
		.amdhsa_uses_dynamic_stack 0
		.amdhsa_enable_private_segment 0
		.amdhsa_system_sgpr_workgroup_id_x 1
		.amdhsa_system_sgpr_workgroup_id_y 0
		.amdhsa_system_sgpr_workgroup_id_z 0
		.amdhsa_system_sgpr_workgroup_info 0
		.amdhsa_system_vgpr_workitem_id 0
		.amdhsa_next_free_vgpr 124
		.amdhsa_next_free_sgpr 60
		.amdhsa_accum_offset 124
		.amdhsa_reserve_vcc 1
		.amdhsa_float_round_mode_32 0
		.amdhsa_float_round_mode_16_64 0
		.amdhsa_float_denorm_mode_32 3
		.amdhsa_float_denorm_mode_16_64 3
		.amdhsa_dx10_clamp 1
		.amdhsa_ieee_mode 1
		.amdhsa_fp16_overflow 0
		.amdhsa_tg_split 0
		.amdhsa_exception_fp_ieee_invalid_op 0
		.amdhsa_exception_fp_denorm_src 0
		.amdhsa_exception_fp_ieee_div_zero 0
		.amdhsa_exception_fp_ieee_overflow 0
		.amdhsa_exception_fp_ieee_underflow 0
		.amdhsa_exception_fp_ieee_inexact 0
		.amdhsa_exception_int_div_zero 0
	.end_amdhsa_kernel
	.section	.text._ZN7rocprim17ROCPRIM_400000_NS6detail17trampoline_kernelINS0_14default_configENS1_25partition_config_selectorILNS1_17partition_subalgoE8EaNS0_10empty_typeEbEEZZNS1_14partition_implILS5_8ELb0ES3_jPKaPS6_PKS6_NS0_5tupleIJPaS6_EEENSE_IJSB_SB_EEENS0_18inequality_wrapperIN6hipcub16HIPCUB_304000_NS8EqualityEEEPlJS6_EEE10hipError_tPvRmT3_T4_T5_T6_T7_T9_mT8_P12ihipStream_tbDpT10_ENKUlT_T0_E_clISt17integral_constantIbLb0EES16_IbLb1EEEEDaS12_S13_EUlS12_E_NS1_11comp_targetILNS1_3genE5ELNS1_11target_archE942ELNS1_3gpuE9ELNS1_3repE0EEENS1_30default_config_static_selectorELNS0_4arch9wavefront6targetE1EEEvT1_,"axG",@progbits,_ZN7rocprim17ROCPRIM_400000_NS6detail17trampoline_kernelINS0_14default_configENS1_25partition_config_selectorILNS1_17partition_subalgoE8EaNS0_10empty_typeEbEEZZNS1_14partition_implILS5_8ELb0ES3_jPKaPS6_PKS6_NS0_5tupleIJPaS6_EEENSE_IJSB_SB_EEENS0_18inequality_wrapperIN6hipcub16HIPCUB_304000_NS8EqualityEEEPlJS6_EEE10hipError_tPvRmT3_T4_T5_T6_T7_T9_mT8_P12ihipStream_tbDpT10_ENKUlT_T0_E_clISt17integral_constantIbLb0EES16_IbLb1EEEEDaS12_S13_EUlS12_E_NS1_11comp_targetILNS1_3genE5ELNS1_11target_archE942ELNS1_3gpuE9ELNS1_3repE0EEENS1_30default_config_static_selectorELNS0_4arch9wavefront6targetE1EEEvT1_,comdat
.Lfunc_end228:
	.size	_ZN7rocprim17ROCPRIM_400000_NS6detail17trampoline_kernelINS0_14default_configENS1_25partition_config_selectorILNS1_17partition_subalgoE8EaNS0_10empty_typeEbEEZZNS1_14partition_implILS5_8ELb0ES3_jPKaPS6_PKS6_NS0_5tupleIJPaS6_EEENSE_IJSB_SB_EEENS0_18inequality_wrapperIN6hipcub16HIPCUB_304000_NS8EqualityEEEPlJS6_EEE10hipError_tPvRmT3_T4_T5_T6_T7_T9_mT8_P12ihipStream_tbDpT10_ENKUlT_T0_E_clISt17integral_constantIbLb0EES16_IbLb1EEEEDaS12_S13_EUlS12_E_NS1_11comp_targetILNS1_3genE5ELNS1_11target_archE942ELNS1_3gpuE9ELNS1_3repE0EEENS1_30default_config_static_selectorELNS0_4arch9wavefront6targetE1EEEvT1_, .Lfunc_end228-_ZN7rocprim17ROCPRIM_400000_NS6detail17trampoline_kernelINS0_14default_configENS1_25partition_config_selectorILNS1_17partition_subalgoE8EaNS0_10empty_typeEbEEZZNS1_14partition_implILS5_8ELb0ES3_jPKaPS6_PKS6_NS0_5tupleIJPaS6_EEENSE_IJSB_SB_EEENS0_18inequality_wrapperIN6hipcub16HIPCUB_304000_NS8EqualityEEEPlJS6_EEE10hipError_tPvRmT3_T4_T5_T6_T7_T9_mT8_P12ihipStream_tbDpT10_ENKUlT_T0_E_clISt17integral_constantIbLb0EES16_IbLb1EEEEDaS12_S13_EUlS12_E_NS1_11comp_targetILNS1_3genE5ELNS1_11target_archE942ELNS1_3gpuE9ELNS1_3repE0EEENS1_30default_config_static_selectorELNS0_4arch9wavefront6targetE1EEEvT1_
                                        ; -- End function
	.section	.AMDGPU.csdata,"",@progbits
; Kernel info:
; codeLenInByte = 14428
; NumSgprs: 66
; NumVgprs: 124
; NumAgprs: 0
; TotalNumVgprs: 124
; ScratchSize: 0
; MemoryBound: 0
; FloatMode: 240
; IeeeMode: 1
; LDSByteSize: 16904 bytes/workgroup (compile time only)
; SGPRBlocks: 8
; VGPRBlocks: 15
; NumSGPRsForWavesPerEU: 66
; NumVGPRsForWavesPerEU: 124
; AccumOffset: 124
; Occupancy: 4
; WaveLimiterHint : 1
; COMPUTE_PGM_RSRC2:SCRATCH_EN: 0
; COMPUTE_PGM_RSRC2:USER_SGPR: 2
; COMPUTE_PGM_RSRC2:TRAP_HANDLER: 0
; COMPUTE_PGM_RSRC2:TGID_X_EN: 1
; COMPUTE_PGM_RSRC2:TGID_Y_EN: 0
; COMPUTE_PGM_RSRC2:TGID_Z_EN: 0
; COMPUTE_PGM_RSRC2:TIDIG_COMP_CNT: 0
; COMPUTE_PGM_RSRC3_GFX90A:ACCUM_OFFSET: 30
; COMPUTE_PGM_RSRC3_GFX90A:TG_SPLIT: 0
	.section	.text._ZN7rocprim17ROCPRIM_400000_NS6detail17trampoline_kernelINS0_14default_configENS1_25partition_config_selectorILNS1_17partition_subalgoE8EaNS0_10empty_typeEbEEZZNS1_14partition_implILS5_8ELb0ES3_jPKaPS6_PKS6_NS0_5tupleIJPaS6_EEENSE_IJSB_SB_EEENS0_18inequality_wrapperIN6hipcub16HIPCUB_304000_NS8EqualityEEEPlJS6_EEE10hipError_tPvRmT3_T4_T5_T6_T7_T9_mT8_P12ihipStream_tbDpT10_ENKUlT_T0_E_clISt17integral_constantIbLb0EES16_IbLb1EEEEDaS12_S13_EUlS12_E_NS1_11comp_targetILNS1_3genE4ELNS1_11target_archE910ELNS1_3gpuE8ELNS1_3repE0EEENS1_30default_config_static_selectorELNS0_4arch9wavefront6targetE1EEEvT1_,"axG",@progbits,_ZN7rocprim17ROCPRIM_400000_NS6detail17trampoline_kernelINS0_14default_configENS1_25partition_config_selectorILNS1_17partition_subalgoE8EaNS0_10empty_typeEbEEZZNS1_14partition_implILS5_8ELb0ES3_jPKaPS6_PKS6_NS0_5tupleIJPaS6_EEENSE_IJSB_SB_EEENS0_18inequality_wrapperIN6hipcub16HIPCUB_304000_NS8EqualityEEEPlJS6_EEE10hipError_tPvRmT3_T4_T5_T6_T7_T9_mT8_P12ihipStream_tbDpT10_ENKUlT_T0_E_clISt17integral_constantIbLb0EES16_IbLb1EEEEDaS12_S13_EUlS12_E_NS1_11comp_targetILNS1_3genE4ELNS1_11target_archE910ELNS1_3gpuE8ELNS1_3repE0EEENS1_30default_config_static_selectorELNS0_4arch9wavefront6targetE1EEEvT1_,comdat
	.protected	_ZN7rocprim17ROCPRIM_400000_NS6detail17trampoline_kernelINS0_14default_configENS1_25partition_config_selectorILNS1_17partition_subalgoE8EaNS0_10empty_typeEbEEZZNS1_14partition_implILS5_8ELb0ES3_jPKaPS6_PKS6_NS0_5tupleIJPaS6_EEENSE_IJSB_SB_EEENS0_18inequality_wrapperIN6hipcub16HIPCUB_304000_NS8EqualityEEEPlJS6_EEE10hipError_tPvRmT3_T4_T5_T6_T7_T9_mT8_P12ihipStream_tbDpT10_ENKUlT_T0_E_clISt17integral_constantIbLb0EES16_IbLb1EEEEDaS12_S13_EUlS12_E_NS1_11comp_targetILNS1_3genE4ELNS1_11target_archE910ELNS1_3gpuE8ELNS1_3repE0EEENS1_30default_config_static_selectorELNS0_4arch9wavefront6targetE1EEEvT1_ ; -- Begin function _ZN7rocprim17ROCPRIM_400000_NS6detail17trampoline_kernelINS0_14default_configENS1_25partition_config_selectorILNS1_17partition_subalgoE8EaNS0_10empty_typeEbEEZZNS1_14partition_implILS5_8ELb0ES3_jPKaPS6_PKS6_NS0_5tupleIJPaS6_EEENSE_IJSB_SB_EEENS0_18inequality_wrapperIN6hipcub16HIPCUB_304000_NS8EqualityEEEPlJS6_EEE10hipError_tPvRmT3_T4_T5_T6_T7_T9_mT8_P12ihipStream_tbDpT10_ENKUlT_T0_E_clISt17integral_constantIbLb0EES16_IbLb1EEEEDaS12_S13_EUlS12_E_NS1_11comp_targetILNS1_3genE4ELNS1_11target_archE910ELNS1_3gpuE8ELNS1_3repE0EEENS1_30default_config_static_selectorELNS0_4arch9wavefront6targetE1EEEvT1_
	.globl	_ZN7rocprim17ROCPRIM_400000_NS6detail17trampoline_kernelINS0_14default_configENS1_25partition_config_selectorILNS1_17partition_subalgoE8EaNS0_10empty_typeEbEEZZNS1_14partition_implILS5_8ELb0ES3_jPKaPS6_PKS6_NS0_5tupleIJPaS6_EEENSE_IJSB_SB_EEENS0_18inequality_wrapperIN6hipcub16HIPCUB_304000_NS8EqualityEEEPlJS6_EEE10hipError_tPvRmT3_T4_T5_T6_T7_T9_mT8_P12ihipStream_tbDpT10_ENKUlT_T0_E_clISt17integral_constantIbLb0EES16_IbLb1EEEEDaS12_S13_EUlS12_E_NS1_11comp_targetILNS1_3genE4ELNS1_11target_archE910ELNS1_3gpuE8ELNS1_3repE0EEENS1_30default_config_static_selectorELNS0_4arch9wavefront6targetE1EEEvT1_
	.p2align	8
	.type	_ZN7rocprim17ROCPRIM_400000_NS6detail17trampoline_kernelINS0_14default_configENS1_25partition_config_selectorILNS1_17partition_subalgoE8EaNS0_10empty_typeEbEEZZNS1_14partition_implILS5_8ELb0ES3_jPKaPS6_PKS6_NS0_5tupleIJPaS6_EEENSE_IJSB_SB_EEENS0_18inequality_wrapperIN6hipcub16HIPCUB_304000_NS8EqualityEEEPlJS6_EEE10hipError_tPvRmT3_T4_T5_T6_T7_T9_mT8_P12ihipStream_tbDpT10_ENKUlT_T0_E_clISt17integral_constantIbLb0EES16_IbLb1EEEEDaS12_S13_EUlS12_E_NS1_11comp_targetILNS1_3genE4ELNS1_11target_archE910ELNS1_3gpuE8ELNS1_3repE0EEENS1_30default_config_static_selectorELNS0_4arch9wavefront6targetE1EEEvT1_,@function
_ZN7rocprim17ROCPRIM_400000_NS6detail17trampoline_kernelINS0_14default_configENS1_25partition_config_selectorILNS1_17partition_subalgoE8EaNS0_10empty_typeEbEEZZNS1_14partition_implILS5_8ELb0ES3_jPKaPS6_PKS6_NS0_5tupleIJPaS6_EEENSE_IJSB_SB_EEENS0_18inequality_wrapperIN6hipcub16HIPCUB_304000_NS8EqualityEEEPlJS6_EEE10hipError_tPvRmT3_T4_T5_T6_T7_T9_mT8_P12ihipStream_tbDpT10_ENKUlT_T0_E_clISt17integral_constantIbLb0EES16_IbLb1EEEEDaS12_S13_EUlS12_E_NS1_11comp_targetILNS1_3genE4ELNS1_11target_archE910ELNS1_3gpuE8ELNS1_3repE0EEENS1_30default_config_static_selectorELNS0_4arch9wavefront6targetE1EEEvT1_: ; @_ZN7rocprim17ROCPRIM_400000_NS6detail17trampoline_kernelINS0_14default_configENS1_25partition_config_selectorILNS1_17partition_subalgoE8EaNS0_10empty_typeEbEEZZNS1_14partition_implILS5_8ELb0ES3_jPKaPS6_PKS6_NS0_5tupleIJPaS6_EEENSE_IJSB_SB_EEENS0_18inequality_wrapperIN6hipcub16HIPCUB_304000_NS8EqualityEEEPlJS6_EEE10hipError_tPvRmT3_T4_T5_T6_T7_T9_mT8_P12ihipStream_tbDpT10_ENKUlT_T0_E_clISt17integral_constantIbLb0EES16_IbLb1EEEEDaS12_S13_EUlS12_E_NS1_11comp_targetILNS1_3genE4ELNS1_11target_archE910ELNS1_3gpuE8ELNS1_3repE0EEENS1_30default_config_static_selectorELNS0_4arch9wavefront6targetE1EEEvT1_
; %bb.0:
	.section	.rodata,"a",@progbits
	.p2align	6, 0x0
	.amdhsa_kernel _ZN7rocprim17ROCPRIM_400000_NS6detail17trampoline_kernelINS0_14default_configENS1_25partition_config_selectorILNS1_17partition_subalgoE8EaNS0_10empty_typeEbEEZZNS1_14partition_implILS5_8ELb0ES3_jPKaPS6_PKS6_NS0_5tupleIJPaS6_EEENSE_IJSB_SB_EEENS0_18inequality_wrapperIN6hipcub16HIPCUB_304000_NS8EqualityEEEPlJS6_EEE10hipError_tPvRmT3_T4_T5_T6_T7_T9_mT8_P12ihipStream_tbDpT10_ENKUlT_T0_E_clISt17integral_constantIbLb0EES16_IbLb1EEEEDaS12_S13_EUlS12_E_NS1_11comp_targetILNS1_3genE4ELNS1_11target_archE910ELNS1_3gpuE8ELNS1_3repE0EEENS1_30default_config_static_selectorELNS0_4arch9wavefront6targetE1EEEvT1_
		.amdhsa_group_segment_fixed_size 0
		.amdhsa_private_segment_fixed_size 0
		.amdhsa_kernarg_size 128
		.amdhsa_user_sgpr_count 2
		.amdhsa_user_sgpr_dispatch_ptr 0
		.amdhsa_user_sgpr_queue_ptr 0
		.amdhsa_user_sgpr_kernarg_segment_ptr 1
		.amdhsa_user_sgpr_dispatch_id 0
		.amdhsa_user_sgpr_kernarg_preload_length 0
		.amdhsa_user_sgpr_kernarg_preload_offset 0
		.amdhsa_user_sgpr_private_segment_size 0
		.amdhsa_uses_dynamic_stack 0
		.amdhsa_enable_private_segment 0
		.amdhsa_system_sgpr_workgroup_id_x 1
		.amdhsa_system_sgpr_workgroup_id_y 0
		.amdhsa_system_sgpr_workgroup_id_z 0
		.amdhsa_system_sgpr_workgroup_info 0
		.amdhsa_system_vgpr_workitem_id 0
		.amdhsa_next_free_vgpr 1
		.amdhsa_next_free_sgpr 0
		.amdhsa_accum_offset 4
		.amdhsa_reserve_vcc 0
		.amdhsa_float_round_mode_32 0
		.amdhsa_float_round_mode_16_64 0
		.amdhsa_float_denorm_mode_32 3
		.amdhsa_float_denorm_mode_16_64 3
		.amdhsa_dx10_clamp 1
		.amdhsa_ieee_mode 1
		.amdhsa_fp16_overflow 0
		.amdhsa_tg_split 0
		.amdhsa_exception_fp_ieee_invalid_op 0
		.amdhsa_exception_fp_denorm_src 0
		.amdhsa_exception_fp_ieee_div_zero 0
		.amdhsa_exception_fp_ieee_overflow 0
		.amdhsa_exception_fp_ieee_underflow 0
		.amdhsa_exception_fp_ieee_inexact 0
		.amdhsa_exception_int_div_zero 0
	.end_amdhsa_kernel
	.section	.text._ZN7rocprim17ROCPRIM_400000_NS6detail17trampoline_kernelINS0_14default_configENS1_25partition_config_selectorILNS1_17partition_subalgoE8EaNS0_10empty_typeEbEEZZNS1_14partition_implILS5_8ELb0ES3_jPKaPS6_PKS6_NS0_5tupleIJPaS6_EEENSE_IJSB_SB_EEENS0_18inequality_wrapperIN6hipcub16HIPCUB_304000_NS8EqualityEEEPlJS6_EEE10hipError_tPvRmT3_T4_T5_T6_T7_T9_mT8_P12ihipStream_tbDpT10_ENKUlT_T0_E_clISt17integral_constantIbLb0EES16_IbLb1EEEEDaS12_S13_EUlS12_E_NS1_11comp_targetILNS1_3genE4ELNS1_11target_archE910ELNS1_3gpuE8ELNS1_3repE0EEENS1_30default_config_static_selectorELNS0_4arch9wavefront6targetE1EEEvT1_,"axG",@progbits,_ZN7rocprim17ROCPRIM_400000_NS6detail17trampoline_kernelINS0_14default_configENS1_25partition_config_selectorILNS1_17partition_subalgoE8EaNS0_10empty_typeEbEEZZNS1_14partition_implILS5_8ELb0ES3_jPKaPS6_PKS6_NS0_5tupleIJPaS6_EEENSE_IJSB_SB_EEENS0_18inequality_wrapperIN6hipcub16HIPCUB_304000_NS8EqualityEEEPlJS6_EEE10hipError_tPvRmT3_T4_T5_T6_T7_T9_mT8_P12ihipStream_tbDpT10_ENKUlT_T0_E_clISt17integral_constantIbLb0EES16_IbLb1EEEEDaS12_S13_EUlS12_E_NS1_11comp_targetILNS1_3genE4ELNS1_11target_archE910ELNS1_3gpuE8ELNS1_3repE0EEENS1_30default_config_static_selectorELNS0_4arch9wavefront6targetE1EEEvT1_,comdat
.Lfunc_end229:
	.size	_ZN7rocprim17ROCPRIM_400000_NS6detail17trampoline_kernelINS0_14default_configENS1_25partition_config_selectorILNS1_17partition_subalgoE8EaNS0_10empty_typeEbEEZZNS1_14partition_implILS5_8ELb0ES3_jPKaPS6_PKS6_NS0_5tupleIJPaS6_EEENSE_IJSB_SB_EEENS0_18inequality_wrapperIN6hipcub16HIPCUB_304000_NS8EqualityEEEPlJS6_EEE10hipError_tPvRmT3_T4_T5_T6_T7_T9_mT8_P12ihipStream_tbDpT10_ENKUlT_T0_E_clISt17integral_constantIbLb0EES16_IbLb1EEEEDaS12_S13_EUlS12_E_NS1_11comp_targetILNS1_3genE4ELNS1_11target_archE910ELNS1_3gpuE8ELNS1_3repE0EEENS1_30default_config_static_selectorELNS0_4arch9wavefront6targetE1EEEvT1_, .Lfunc_end229-_ZN7rocprim17ROCPRIM_400000_NS6detail17trampoline_kernelINS0_14default_configENS1_25partition_config_selectorILNS1_17partition_subalgoE8EaNS0_10empty_typeEbEEZZNS1_14partition_implILS5_8ELb0ES3_jPKaPS6_PKS6_NS0_5tupleIJPaS6_EEENSE_IJSB_SB_EEENS0_18inequality_wrapperIN6hipcub16HIPCUB_304000_NS8EqualityEEEPlJS6_EEE10hipError_tPvRmT3_T4_T5_T6_T7_T9_mT8_P12ihipStream_tbDpT10_ENKUlT_T0_E_clISt17integral_constantIbLb0EES16_IbLb1EEEEDaS12_S13_EUlS12_E_NS1_11comp_targetILNS1_3genE4ELNS1_11target_archE910ELNS1_3gpuE8ELNS1_3repE0EEENS1_30default_config_static_selectorELNS0_4arch9wavefront6targetE1EEEvT1_
                                        ; -- End function
	.section	.AMDGPU.csdata,"",@progbits
; Kernel info:
; codeLenInByte = 0
; NumSgprs: 6
; NumVgprs: 0
; NumAgprs: 0
; TotalNumVgprs: 0
; ScratchSize: 0
; MemoryBound: 0
; FloatMode: 240
; IeeeMode: 1
; LDSByteSize: 0 bytes/workgroup (compile time only)
; SGPRBlocks: 0
; VGPRBlocks: 0
; NumSGPRsForWavesPerEU: 6
; NumVGPRsForWavesPerEU: 1
; AccumOffset: 4
; Occupancy: 8
; WaveLimiterHint : 0
; COMPUTE_PGM_RSRC2:SCRATCH_EN: 0
; COMPUTE_PGM_RSRC2:USER_SGPR: 2
; COMPUTE_PGM_RSRC2:TRAP_HANDLER: 0
; COMPUTE_PGM_RSRC2:TGID_X_EN: 1
; COMPUTE_PGM_RSRC2:TGID_Y_EN: 0
; COMPUTE_PGM_RSRC2:TGID_Z_EN: 0
; COMPUTE_PGM_RSRC2:TIDIG_COMP_CNT: 0
; COMPUTE_PGM_RSRC3_GFX90A:ACCUM_OFFSET: 0
; COMPUTE_PGM_RSRC3_GFX90A:TG_SPLIT: 0
	.section	.text._ZN7rocprim17ROCPRIM_400000_NS6detail17trampoline_kernelINS0_14default_configENS1_25partition_config_selectorILNS1_17partition_subalgoE8EaNS0_10empty_typeEbEEZZNS1_14partition_implILS5_8ELb0ES3_jPKaPS6_PKS6_NS0_5tupleIJPaS6_EEENSE_IJSB_SB_EEENS0_18inequality_wrapperIN6hipcub16HIPCUB_304000_NS8EqualityEEEPlJS6_EEE10hipError_tPvRmT3_T4_T5_T6_T7_T9_mT8_P12ihipStream_tbDpT10_ENKUlT_T0_E_clISt17integral_constantIbLb0EES16_IbLb1EEEEDaS12_S13_EUlS12_E_NS1_11comp_targetILNS1_3genE3ELNS1_11target_archE908ELNS1_3gpuE7ELNS1_3repE0EEENS1_30default_config_static_selectorELNS0_4arch9wavefront6targetE1EEEvT1_,"axG",@progbits,_ZN7rocprim17ROCPRIM_400000_NS6detail17trampoline_kernelINS0_14default_configENS1_25partition_config_selectorILNS1_17partition_subalgoE8EaNS0_10empty_typeEbEEZZNS1_14partition_implILS5_8ELb0ES3_jPKaPS6_PKS6_NS0_5tupleIJPaS6_EEENSE_IJSB_SB_EEENS0_18inequality_wrapperIN6hipcub16HIPCUB_304000_NS8EqualityEEEPlJS6_EEE10hipError_tPvRmT3_T4_T5_T6_T7_T9_mT8_P12ihipStream_tbDpT10_ENKUlT_T0_E_clISt17integral_constantIbLb0EES16_IbLb1EEEEDaS12_S13_EUlS12_E_NS1_11comp_targetILNS1_3genE3ELNS1_11target_archE908ELNS1_3gpuE7ELNS1_3repE0EEENS1_30default_config_static_selectorELNS0_4arch9wavefront6targetE1EEEvT1_,comdat
	.protected	_ZN7rocprim17ROCPRIM_400000_NS6detail17trampoline_kernelINS0_14default_configENS1_25partition_config_selectorILNS1_17partition_subalgoE8EaNS0_10empty_typeEbEEZZNS1_14partition_implILS5_8ELb0ES3_jPKaPS6_PKS6_NS0_5tupleIJPaS6_EEENSE_IJSB_SB_EEENS0_18inequality_wrapperIN6hipcub16HIPCUB_304000_NS8EqualityEEEPlJS6_EEE10hipError_tPvRmT3_T4_T5_T6_T7_T9_mT8_P12ihipStream_tbDpT10_ENKUlT_T0_E_clISt17integral_constantIbLb0EES16_IbLb1EEEEDaS12_S13_EUlS12_E_NS1_11comp_targetILNS1_3genE3ELNS1_11target_archE908ELNS1_3gpuE7ELNS1_3repE0EEENS1_30default_config_static_selectorELNS0_4arch9wavefront6targetE1EEEvT1_ ; -- Begin function _ZN7rocprim17ROCPRIM_400000_NS6detail17trampoline_kernelINS0_14default_configENS1_25partition_config_selectorILNS1_17partition_subalgoE8EaNS0_10empty_typeEbEEZZNS1_14partition_implILS5_8ELb0ES3_jPKaPS6_PKS6_NS0_5tupleIJPaS6_EEENSE_IJSB_SB_EEENS0_18inequality_wrapperIN6hipcub16HIPCUB_304000_NS8EqualityEEEPlJS6_EEE10hipError_tPvRmT3_T4_T5_T6_T7_T9_mT8_P12ihipStream_tbDpT10_ENKUlT_T0_E_clISt17integral_constantIbLb0EES16_IbLb1EEEEDaS12_S13_EUlS12_E_NS1_11comp_targetILNS1_3genE3ELNS1_11target_archE908ELNS1_3gpuE7ELNS1_3repE0EEENS1_30default_config_static_selectorELNS0_4arch9wavefront6targetE1EEEvT1_
	.globl	_ZN7rocprim17ROCPRIM_400000_NS6detail17trampoline_kernelINS0_14default_configENS1_25partition_config_selectorILNS1_17partition_subalgoE8EaNS0_10empty_typeEbEEZZNS1_14partition_implILS5_8ELb0ES3_jPKaPS6_PKS6_NS0_5tupleIJPaS6_EEENSE_IJSB_SB_EEENS0_18inequality_wrapperIN6hipcub16HIPCUB_304000_NS8EqualityEEEPlJS6_EEE10hipError_tPvRmT3_T4_T5_T6_T7_T9_mT8_P12ihipStream_tbDpT10_ENKUlT_T0_E_clISt17integral_constantIbLb0EES16_IbLb1EEEEDaS12_S13_EUlS12_E_NS1_11comp_targetILNS1_3genE3ELNS1_11target_archE908ELNS1_3gpuE7ELNS1_3repE0EEENS1_30default_config_static_selectorELNS0_4arch9wavefront6targetE1EEEvT1_
	.p2align	8
	.type	_ZN7rocprim17ROCPRIM_400000_NS6detail17trampoline_kernelINS0_14default_configENS1_25partition_config_selectorILNS1_17partition_subalgoE8EaNS0_10empty_typeEbEEZZNS1_14partition_implILS5_8ELb0ES3_jPKaPS6_PKS6_NS0_5tupleIJPaS6_EEENSE_IJSB_SB_EEENS0_18inequality_wrapperIN6hipcub16HIPCUB_304000_NS8EqualityEEEPlJS6_EEE10hipError_tPvRmT3_T4_T5_T6_T7_T9_mT8_P12ihipStream_tbDpT10_ENKUlT_T0_E_clISt17integral_constantIbLb0EES16_IbLb1EEEEDaS12_S13_EUlS12_E_NS1_11comp_targetILNS1_3genE3ELNS1_11target_archE908ELNS1_3gpuE7ELNS1_3repE0EEENS1_30default_config_static_selectorELNS0_4arch9wavefront6targetE1EEEvT1_,@function
_ZN7rocprim17ROCPRIM_400000_NS6detail17trampoline_kernelINS0_14default_configENS1_25partition_config_selectorILNS1_17partition_subalgoE8EaNS0_10empty_typeEbEEZZNS1_14partition_implILS5_8ELb0ES3_jPKaPS6_PKS6_NS0_5tupleIJPaS6_EEENSE_IJSB_SB_EEENS0_18inequality_wrapperIN6hipcub16HIPCUB_304000_NS8EqualityEEEPlJS6_EEE10hipError_tPvRmT3_T4_T5_T6_T7_T9_mT8_P12ihipStream_tbDpT10_ENKUlT_T0_E_clISt17integral_constantIbLb0EES16_IbLb1EEEEDaS12_S13_EUlS12_E_NS1_11comp_targetILNS1_3genE3ELNS1_11target_archE908ELNS1_3gpuE7ELNS1_3repE0EEENS1_30default_config_static_selectorELNS0_4arch9wavefront6targetE1EEEvT1_: ; @_ZN7rocprim17ROCPRIM_400000_NS6detail17trampoline_kernelINS0_14default_configENS1_25partition_config_selectorILNS1_17partition_subalgoE8EaNS0_10empty_typeEbEEZZNS1_14partition_implILS5_8ELb0ES3_jPKaPS6_PKS6_NS0_5tupleIJPaS6_EEENSE_IJSB_SB_EEENS0_18inequality_wrapperIN6hipcub16HIPCUB_304000_NS8EqualityEEEPlJS6_EEE10hipError_tPvRmT3_T4_T5_T6_T7_T9_mT8_P12ihipStream_tbDpT10_ENKUlT_T0_E_clISt17integral_constantIbLb0EES16_IbLb1EEEEDaS12_S13_EUlS12_E_NS1_11comp_targetILNS1_3genE3ELNS1_11target_archE908ELNS1_3gpuE7ELNS1_3repE0EEENS1_30default_config_static_selectorELNS0_4arch9wavefront6targetE1EEEvT1_
; %bb.0:
	.section	.rodata,"a",@progbits
	.p2align	6, 0x0
	.amdhsa_kernel _ZN7rocprim17ROCPRIM_400000_NS6detail17trampoline_kernelINS0_14default_configENS1_25partition_config_selectorILNS1_17partition_subalgoE8EaNS0_10empty_typeEbEEZZNS1_14partition_implILS5_8ELb0ES3_jPKaPS6_PKS6_NS0_5tupleIJPaS6_EEENSE_IJSB_SB_EEENS0_18inequality_wrapperIN6hipcub16HIPCUB_304000_NS8EqualityEEEPlJS6_EEE10hipError_tPvRmT3_T4_T5_T6_T7_T9_mT8_P12ihipStream_tbDpT10_ENKUlT_T0_E_clISt17integral_constantIbLb0EES16_IbLb1EEEEDaS12_S13_EUlS12_E_NS1_11comp_targetILNS1_3genE3ELNS1_11target_archE908ELNS1_3gpuE7ELNS1_3repE0EEENS1_30default_config_static_selectorELNS0_4arch9wavefront6targetE1EEEvT1_
		.amdhsa_group_segment_fixed_size 0
		.amdhsa_private_segment_fixed_size 0
		.amdhsa_kernarg_size 128
		.amdhsa_user_sgpr_count 2
		.amdhsa_user_sgpr_dispatch_ptr 0
		.amdhsa_user_sgpr_queue_ptr 0
		.amdhsa_user_sgpr_kernarg_segment_ptr 1
		.amdhsa_user_sgpr_dispatch_id 0
		.amdhsa_user_sgpr_kernarg_preload_length 0
		.amdhsa_user_sgpr_kernarg_preload_offset 0
		.amdhsa_user_sgpr_private_segment_size 0
		.amdhsa_uses_dynamic_stack 0
		.amdhsa_enable_private_segment 0
		.amdhsa_system_sgpr_workgroup_id_x 1
		.amdhsa_system_sgpr_workgroup_id_y 0
		.amdhsa_system_sgpr_workgroup_id_z 0
		.amdhsa_system_sgpr_workgroup_info 0
		.amdhsa_system_vgpr_workitem_id 0
		.amdhsa_next_free_vgpr 1
		.amdhsa_next_free_sgpr 0
		.amdhsa_accum_offset 4
		.amdhsa_reserve_vcc 0
		.amdhsa_float_round_mode_32 0
		.amdhsa_float_round_mode_16_64 0
		.amdhsa_float_denorm_mode_32 3
		.amdhsa_float_denorm_mode_16_64 3
		.amdhsa_dx10_clamp 1
		.amdhsa_ieee_mode 1
		.amdhsa_fp16_overflow 0
		.amdhsa_tg_split 0
		.amdhsa_exception_fp_ieee_invalid_op 0
		.amdhsa_exception_fp_denorm_src 0
		.amdhsa_exception_fp_ieee_div_zero 0
		.amdhsa_exception_fp_ieee_overflow 0
		.amdhsa_exception_fp_ieee_underflow 0
		.amdhsa_exception_fp_ieee_inexact 0
		.amdhsa_exception_int_div_zero 0
	.end_amdhsa_kernel
	.section	.text._ZN7rocprim17ROCPRIM_400000_NS6detail17trampoline_kernelINS0_14default_configENS1_25partition_config_selectorILNS1_17partition_subalgoE8EaNS0_10empty_typeEbEEZZNS1_14partition_implILS5_8ELb0ES3_jPKaPS6_PKS6_NS0_5tupleIJPaS6_EEENSE_IJSB_SB_EEENS0_18inequality_wrapperIN6hipcub16HIPCUB_304000_NS8EqualityEEEPlJS6_EEE10hipError_tPvRmT3_T4_T5_T6_T7_T9_mT8_P12ihipStream_tbDpT10_ENKUlT_T0_E_clISt17integral_constantIbLb0EES16_IbLb1EEEEDaS12_S13_EUlS12_E_NS1_11comp_targetILNS1_3genE3ELNS1_11target_archE908ELNS1_3gpuE7ELNS1_3repE0EEENS1_30default_config_static_selectorELNS0_4arch9wavefront6targetE1EEEvT1_,"axG",@progbits,_ZN7rocprim17ROCPRIM_400000_NS6detail17trampoline_kernelINS0_14default_configENS1_25partition_config_selectorILNS1_17partition_subalgoE8EaNS0_10empty_typeEbEEZZNS1_14partition_implILS5_8ELb0ES3_jPKaPS6_PKS6_NS0_5tupleIJPaS6_EEENSE_IJSB_SB_EEENS0_18inequality_wrapperIN6hipcub16HIPCUB_304000_NS8EqualityEEEPlJS6_EEE10hipError_tPvRmT3_T4_T5_T6_T7_T9_mT8_P12ihipStream_tbDpT10_ENKUlT_T0_E_clISt17integral_constantIbLb0EES16_IbLb1EEEEDaS12_S13_EUlS12_E_NS1_11comp_targetILNS1_3genE3ELNS1_11target_archE908ELNS1_3gpuE7ELNS1_3repE0EEENS1_30default_config_static_selectorELNS0_4arch9wavefront6targetE1EEEvT1_,comdat
.Lfunc_end230:
	.size	_ZN7rocprim17ROCPRIM_400000_NS6detail17trampoline_kernelINS0_14default_configENS1_25partition_config_selectorILNS1_17partition_subalgoE8EaNS0_10empty_typeEbEEZZNS1_14partition_implILS5_8ELb0ES3_jPKaPS6_PKS6_NS0_5tupleIJPaS6_EEENSE_IJSB_SB_EEENS0_18inequality_wrapperIN6hipcub16HIPCUB_304000_NS8EqualityEEEPlJS6_EEE10hipError_tPvRmT3_T4_T5_T6_T7_T9_mT8_P12ihipStream_tbDpT10_ENKUlT_T0_E_clISt17integral_constantIbLb0EES16_IbLb1EEEEDaS12_S13_EUlS12_E_NS1_11comp_targetILNS1_3genE3ELNS1_11target_archE908ELNS1_3gpuE7ELNS1_3repE0EEENS1_30default_config_static_selectorELNS0_4arch9wavefront6targetE1EEEvT1_, .Lfunc_end230-_ZN7rocprim17ROCPRIM_400000_NS6detail17trampoline_kernelINS0_14default_configENS1_25partition_config_selectorILNS1_17partition_subalgoE8EaNS0_10empty_typeEbEEZZNS1_14partition_implILS5_8ELb0ES3_jPKaPS6_PKS6_NS0_5tupleIJPaS6_EEENSE_IJSB_SB_EEENS0_18inequality_wrapperIN6hipcub16HIPCUB_304000_NS8EqualityEEEPlJS6_EEE10hipError_tPvRmT3_T4_T5_T6_T7_T9_mT8_P12ihipStream_tbDpT10_ENKUlT_T0_E_clISt17integral_constantIbLb0EES16_IbLb1EEEEDaS12_S13_EUlS12_E_NS1_11comp_targetILNS1_3genE3ELNS1_11target_archE908ELNS1_3gpuE7ELNS1_3repE0EEENS1_30default_config_static_selectorELNS0_4arch9wavefront6targetE1EEEvT1_
                                        ; -- End function
	.section	.AMDGPU.csdata,"",@progbits
; Kernel info:
; codeLenInByte = 0
; NumSgprs: 6
; NumVgprs: 0
; NumAgprs: 0
; TotalNumVgprs: 0
; ScratchSize: 0
; MemoryBound: 0
; FloatMode: 240
; IeeeMode: 1
; LDSByteSize: 0 bytes/workgroup (compile time only)
; SGPRBlocks: 0
; VGPRBlocks: 0
; NumSGPRsForWavesPerEU: 6
; NumVGPRsForWavesPerEU: 1
; AccumOffset: 4
; Occupancy: 8
; WaveLimiterHint : 0
; COMPUTE_PGM_RSRC2:SCRATCH_EN: 0
; COMPUTE_PGM_RSRC2:USER_SGPR: 2
; COMPUTE_PGM_RSRC2:TRAP_HANDLER: 0
; COMPUTE_PGM_RSRC2:TGID_X_EN: 1
; COMPUTE_PGM_RSRC2:TGID_Y_EN: 0
; COMPUTE_PGM_RSRC2:TGID_Z_EN: 0
; COMPUTE_PGM_RSRC2:TIDIG_COMP_CNT: 0
; COMPUTE_PGM_RSRC3_GFX90A:ACCUM_OFFSET: 0
; COMPUTE_PGM_RSRC3_GFX90A:TG_SPLIT: 0
	.section	.text._ZN7rocprim17ROCPRIM_400000_NS6detail17trampoline_kernelINS0_14default_configENS1_25partition_config_selectorILNS1_17partition_subalgoE8EaNS0_10empty_typeEbEEZZNS1_14partition_implILS5_8ELb0ES3_jPKaPS6_PKS6_NS0_5tupleIJPaS6_EEENSE_IJSB_SB_EEENS0_18inequality_wrapperIN6hipcub16HIPCUB_304000_NS8EqualityEEEPlJS6_EEE10hipError_tPvRmT3_T4_T5_T6_T7_T9_mT8_P12ihipStream_tbDpT10_ENKUlT_T0_E_clISt17integral_constantIbLb0EES16_IbLb1EEEEDaS12_S13_EUlS12_E_NS1_11comp_targetILNS1_3genE2ELNS1_11target_archE906ELNS1_3gpuE6ELNS1_3repE0EEENS1_30default_config_static_selectorELNS0_4arch9wavefront6targetE1EEEvT1_,"axG",@progbits,_ZN7rocprim17ROCPRIM_400000_NS6detail17trampoline_kernelINS0_14default_configENS1_25partition_config_selectorILNS1_17partition_subalgoE8EaNS0_10empty_typeEbEEZZNS1_14partition_implILS5_8ELb0ES3_jPKaPS6_PKS6_NS0_5tupleIJPaS6_EEENSE_IJSB_SB_EEENS0_18inequality_wrapperIN6hipcub16HIPCUB_304000_NS8EqualityEEEPlJS6_EEE10hipError_tPvRmT3_T4_T5_T6_T7_T9_mT8_P12ihipStream_tbDpT10_ENKUlT_T0_E_clISt17integral_constantIbLb0EES16_IbLb1EEEEDaS12_S13_EUlS12_E_NS1_11comp_targetILNS1_3genE2ELNS1_11target_archE906ELNS1_3gpuE6ELNS1_3repE0EEENS1_30default_config_static_selectorELNS0_4arch9wavefront6targetE1EEEvT1_,comdat
	.protected	_ZN7rocprim17ROCPRIM_400000_NS6detail17trampoline_kernelINS0_14default_configENS1_25partition_config_selectorILNS1_17partition_subalgoE8EaNS0_10empty_typeEbEEZZNS1_14partition_implILS5_8ELb0ES3_jPKaPS6_PKS6_NS0_5tupleIJPaS6_EEENSE_IJSB_SB_EEENS0_18inequality_wrapperIN6hipcub16HIPCUB_304000_NS8EqualityEEEPlJS6_EEE10hipError_tPvRmT3_T4_T5_T6_T7_T9_mT8_P12ihipStream_tbDpT10_ENKUlT_T0_E_clISt17integral_constantIbLb0EES16_IbLb1EEEEDaS12_S13_EUlS12_E_NS1_11comp_targetILNS1_3genE2ELNS1_11target_archE906ELNS1_3gpuE6ELNS1_3repE0EEENS1_30default_config_static_selectorELNS0_4arch9wavefront6targetE1EEEvT1_ ; -- Begin function _ZN7rocprim17ROCPRIM_400000_NS6detail17trampoline_kernelINS0_14default_configENS1_25partition_config_selectorILNS1_17partition_subalgoE8EaNS0_10empty_typeEbEEZZNS1_14partition_implILS5_8ELb0ES3_jPKaPS6_PKS6_NS0_5tupleIJPaS6_EEENSE_IJSB_SB_EEENS0_18inequality_wrapperIN6hipcub16HIPCUB_304000_NS8EqualityEEEPlJS6_EEE10hipError_tPvRmT3_T4_T5_T6_T7_T9_mT8_P12ihipStream_tbDpT10_ENKUlT_T0_E_clISt17integral_constantIbLb0EES16_IbLb1EEEEDaS12_S13_EUlS12_E_NS1_11comp_targetILNS1_3genE2ELNS1_11target_archE906ELNS1_3gpuE6ELNS1_3repE0EEENS1_30default_config_static_selectorELNS0_4arch9wavefront6targetE1EEEvT1_
	.globl	_ZN7rocprim17ROCPRIM_400000_NS6detail17trampoline_kernelINS0_14default_configENS1_25partition_config_selectorILNS1_17partition_subalgoE8EaNS0_10empty_typeEbEEZZNS1_14partition_implILS5_8ELb0ES3_jPKaPS6_PKS6_NS0_5tupleIJPaS6_EEENSE_IJSB_SB_EEENS0_18inequality_wrapperIN6hipcub16HIPCUB_304000_NS8EqualityEEEPlJS6_EEE10hipError_tPvRmT3_T4_T5_T6_T7_T9_mT8_P12ihipStream_tbDpT10_ENKUlT_T0_E_clISt17integral_constantIbLb0EES16_IbLb1EEEEDaS12_S13_EUlS12_E_NS1_11comp_targetILNS1_3genE2ELNS1_11target_archE906ELNS1_3gpuE6ELNS1_3repE0EEENS1_30default_config_static_selectorELNS0_4arch9wavefront6targetE1EEEvT1_
	.p2align	8
	.type	_ZN7rocprim17ROCPRIM_400000_NS6detail17trampoline_kernelINS0_14default_configENS1_25partition_config_selectorILNS1_17partition_subalgoE8EaNS0_10empty_typeEbEEZZNS1_14partition_implILS5_8ELb0ES3_jPKaPS6_PKS6_NS0_5tupleIJPaS6_EEENSE_IJSB_SB_EEENS0_18inequality_wrapperIN6hipcub16HIPCUB_304000_NS8EqualityEEEPlJS6_EEE10hipError_tPvRmT3_T4_T5_T6_T7_T9_mT8_P12ihipStream_tbDpT10_ENKUlT_T0_E_clISt17integral_constantIbLb0EES16_IbLb1EEEEDaS12_S13_EUlS12_E_NS1_11comp_targetILNS1_3genE2ELNS1_11target_archE906ELNS1_3gpuE6ELNS1_3repE0EEENS1_30default_config_static_selectorELNS0_4arch9wavefront6targetE1EEEvT1_,@function
_ZN7rocprim17ROCPRIM_400000_NS6detail17trampoline_kernelINS0_14default_configENS1_25partition_config_selectorILNS1_17partition_subalgoE8EaNS0_10empty_typeEbEEZZNS1_14partition_implILS5_8ELb0ES3_jPKaPS6_PKS6_NS0_5tupleIJPaS6_EEENSE_IJSB_SB_EEENS0_18inequality_wrapperIN6hipcub16HIPCUB_304000_NS8EqualityEEEPlJS6_EEE10hipError_tPvRmT3_T4_T5_T6_T7_T9_mT8_P12ihipStream_tbDpT10_ENKUlT_T0_E_clISt17integral_constantIbLb0EES16_IbLb1EEEEDaS12_S13_EUlS12_E_NS1_11comp_targetILNS1_3genE2ELNS1_11target_archE906ELNS1_3gpuE6ELNS1_3repE0EEENS1_30default_config_static_selectorELNS0_4arch9wavefront6targetE1EEEvT1_: ; @_ZN7rocprim17ROCPRIM_400000_NS6detail17trampoline_kernelINS0_14default_configENS1_25partition_config_selectorILNS1_17partition_subalgoE8EaNS0_10empty_typeEbEEZZNS1_14partition_implILS5_8ELb0ES3_jPKaPS6_PKS6_NS0_5tupleIJPaS6_EEENSE_IJSB_SB_EEENS0_18inequality_wrapperIN6hipcub16HIPCUB_304000_NS8EqualityEEEPlJS6_EEE10hipError_tPvRmT3_T4_T5_T6_T7_T9_mT8_P12ihipStream_tbDpT10_ENKUlT_T0_E_clISt17integral_constantIbLb0EES16_IbLb1EEEEDaS12_S13_EUlS12_E_NS1_11comp_targetILNS1_3genE2ELNS1_11target_archE906ELNS1_3gpuE6ELNS1_3repE0EEENS1_30default_config_static_selectorELNS0_4arch9wavefront6targetE1EEEvT1_
; %bb.0:
	.section	.rodata,"a",@progbits
	.p2align	6, 0x0
	.amdhsa_kernel _ZN7rocprim17ROCPRIM_400000_NS6detail17trampoline_kernelINS0_14default_configENS1_25partition_config_selectorILNS1_17partition_subalgoE8EaNS0_10empty_typeEbEEZZNS1_14partition_implILS5_8ELb0ES3_jPKaPS6_PKS6_NS0_5tupleIJPaS6_EEENSE_IJSB_SB_EEENS0_18inequality_wrapperIN6hipcub16HIPCUB_304000_NS8EqualityEEEPlJS6_EEE10hipError_tPvRmT3_T4_T5_T6_T7_T9_mT8_P12ihipStream_tbDpT10_ENKUlT_T0_E_clISt17integral_constantIbLb0EES16_IbLb1EEEEDaS12_S13_EUlS12_E_NS1_11comp_targetILNS1_3genE2ELNS1_11target_archE906ELNS1_3gpuE6ELNS1_3repE0EEENS1_30default_config_static_selectorELNS0_4arch9wavefront6targetE1EEEvT1_
		.amdhsa_group_segment_fixed_size 0
		.amdhsa_private_segment_fixed_size 0
		.amdhsa_kernarg_size 128
		.amdhsa_user_sgpr_count 2
		.amdhsa_user_sgpr_dispatch_ptr 0
		.amdhsa_user_sgpr_queue_ptr 0
		.amdhsa_user_sgpr_kernarg_segment_ptr 1
		.amdhsa_user_sgpr_dispatch_id 0
		.amdhsa_user_sgpr_kernarg_preload_length 0
		.amdhsa_user_sgpr_kernarg_preload_offset 0
		.amdhsa_user_sgpr_private_segment_size 0
		.amdhsa_uses_dynamic_stack 0
		.amdhsa_enable_private_segment 0
		.amdhsa_system_sgpr_workgroup_id_x 1
		.amdhsa_system_sgpr_workgroup_id_y 0
		.amdhsa_system_sgpr_workgroup_id_z 0
		.amdhsa_system_sgpr_workgroup_info 0
		.amdhsa_system_vgpr_workitem_id 0
		.amdhsa_next_free_vgpr 1
		.amdhsa_next_free_sgpr 0
		.amdhsa_accum_offset 4
		.amdhsa_reserve_vcc 0
		.amdhsa_float_round_mode_32 0
		.amdhsa_float_round_mode_16_64 0
		.amdhsa_float_denorm_mode_32 3
		.amdhsa_float_denorm_mode_16_64 3
		.amdhsa_dx10_clamp 1
		.amdhsa_ieee_mode 1
		.amdhsa_fp16_overflow 0
		.amdhsa_tg_split 0
		.amdhsa_exception_fp_ieee_invalid_op 0
		.amdhsa_exception_fp_denorm_src 0
		.amdhsa_exception_fp_ieee_div_zero 0
		.amdhsa_exception_fp_ieee_overflow 0
		.amdhsa_exception_fp_ieee_underflow 0
		.amdhsa_exception_fp_ieee_inexact 0
		.amdhsa_exception_int_div_zero 0
	.end_amdhsa_kernel
	.section	.text._ZN7rocprim17ROCPRIM_400000_NS6detail17trampoline_kernelINS0_14default_configENS1_25partition_config_selectorILNS1_17partition_subalgoE8EaNS0_10empty_typeEbEEZZNS1_14partition_implILS5_8ELb0ES3_jPKaPS6_PKS6_NS0_5tupleIJPaS6_EEENSE_IJSB_SB_EEENS0_18inequality_wrapperIN6hipcub16HIPCUB_304000_NS8EqualityEEEPlJS6_EEE10hipError_tPvRmT3_T4_T5_T6_T7_T9_mT8_P12ihipStream_tbDpT10_ENKUlT_T0_E_clISt17integral_constantIbLb0EES16_IbLb1EEEEDaS12_S13_EUlS12_E_NS1_11comp_targetILNS1_3genE2ELNS1_11target_archE906ELNS1_3gpuE6ELNS1_3repE0EEENS1_30default_config_static_selectorELNS0_4arch9wavefront6targetE1EEEvT1_,"axG",@progbits,_ZN7rocprim17ROCPRIM_400000_NS6detail17trampoline_kernelINS0_14default_configENS1_25partition_config_selectorILNS1_17partition_subalgoE8EaNS0_10empty_typeEbEEZZNS1_14partition_implILS5_8ELb0ES3_jPKaPS6_PKS6_NS0_5tupleIJPaS6_EEENSE_IJSB_SB_EEENS0_18inequality_wrapperIN6hipcub16HIPCUB_304000_NS8EqualityEEEPlJS6_EEE10hipError_tPvRmT3_T4_T5_T6_T7_T9_mT8_P12ihipStream_tbDpT10_ENKUlT_T0_E_clISt17integral_constantIbLb0EES16_IbLb1EEEEDaS12_S13_EUlS12_E_NS1_11comp_targetILNS1_3genE2ELNS1_11target_archE906ELNS1_3gpuE6ELNS1_3repE0EEENS1_30default_config_static_selectorELNS0_4arch9wavefront6targetE1EEEvT1_,comdat
.Lfunc_end231:
	.size	_ZN7rocprim17ROCPRIM_400000_NS6detail17trampoline_kernelINS0_14default_configENS1_25partition_config_selectorILNS1_17partition_subalgoE8EaNS0_10empty_typeEbEEZZNS1_14partition_implILS5_8ELb0ES3_jPKaPS6_PKS6_NS0_5tupleIJPaS6_EEENSE_IJSB_SB_EEENS0_18inequality_wrapperIN6hipcub16HIPCUB_304000_NS8EqualityEEEPlJS6_EEE10hipError_tPvRmT3_T4_T5_T6_T7_T9_mT8_P12ihipStream_tbDpT10_ENKUlT_T0_E_clISt17integral_constantIbLb0EES16_IbLb1EEEEDaS12_S13_EUlS12_E_NS1_11comp_targetILNS1_3genE2ELNS1_11target_archE906ELNS1_3gpuE6ELNS1_3repE0EEENS1_30default_config_static_selectorELNS0_4arch9wavefront6targetE1EEEvT1_, .Lfunc_end231-_ZN7rocprim17ROCPRIM_400000_NS6detail17trampoline_kernelINS0_14default_configENS1_25partition_config_selectorILNS1_17partition_subalgoE8EaNS0_10empty_typeEbEEZZNS1_14partition_implILS5_8ELb0ES3_jPKaPS6_PKS6_NS0_5tupleIJPaS6_EEENSE_IJSB_SB_EEENS0_18inequality_wrapperIN6hipcub16HIPCUB_304000_NS8EqualityEEEPlJS6_EEE10hipError_tPvRmT3_T4_T5_T6_T7_T9_mT8_P12ihipStream_tbDpT10_ENKUlT_T0_E_clISt17integral_constantIbLb0EES16_IbLb1EEEEDaS12_S13_EUlS12_E_NS1_11comp_targetILNS1_3genE2ELNS1_11target_archE906ELNS1_3gpuE6ELNS1_3repE0EEENS1_30default_config_static_selectorELNS0_4arch9wavefront6targetE1EEEvT1_
                                        ; -- End function
	.section	.AMDGPU.csdata,"",@progbits
; Kernel info:
; codeLenInByte = 0
; NumSgprs: 6
; NumVgprs: 0
; NumAgprs: 0
; TotalNumVgprs: 0
; ScratchSize: 0
; MemoryBound: 0
; FloatMode: 240
; IeeeMode: 1
; LDSByteSize: 0 bytes/workgroup (compile time only)
; SGPRBlocks: 0
; VGPRBlocks: 0
; NumSGPRsForWavesPerEU: 6
; NumVGPRsForWavesPerEU: 1
; AccumOffset: 4
; Occupancy: 8
; WaveLimiterHint : 0
; COMPUTE_PGM_RSRC2:SCRATCH_EN: 0
; COMPUTE_PGM_RSRC2:USER_SGPR: 2
; COMPUTE_PGM_RSRC2:TRAP_HANDLER: 0
; COMPUTE_PGM_RSRC2:TGID_X_EN: 1
; COMPUTE_PGM_RSRC2:TGID_Y_EN: 0
; COMPUTE_PGM_RSRC2:TGID_Z_EN: 0
; COMPUTE_PGM_RSRC2:TIDIG_COMP_CNT: 0
; COMPUTE_PGM_RSRC3_GFX90A:ACCUM_OFFSET: 0
; COMPUTE_PGM_RSRC3_GFX90A:TG_SPLIT: 0
	.section	.text._ZN7rocprim17ROCPRIM_400000_NS6detail17trampoline_kernelINS0_14default_configENS1_25partition_config_selectorILNS1_17partition_subalgoE8EaNS0_10empty_typeEbEEZZNS1_14partition_implILS5_8ELb0ES3_jPKaPS6_PKS6_NS0_5tupleIJPaS6_EEENSE_IJSB_SB_EEENS0_18inequality_wrapperIN6hipcub16HIPCUB_304000_NS8EqualityEEEPlJS6_EEE10hipError_tPvRmT3_T4_T5_T6_T7_T9_mT8_P12ihipStream_tbDpT10_ENKUlT_T0_E_clISt17integral_constantIbLb0EES16_IbLb1EEEEDaS12_S13_EUlS12_E_NS1_11comp_targetILNS1_3genE10ELNS1_11target_archE1200ELNS1_3gpuE4ELNS1_3repE0EEENS1_30default_config_static_selectorELNS0_4arch9wavefront6targetE1EEEvT1_,"axG",@progbits,_ZN7rocprim17ROCPRIM_400000_NS6detail17trampoline_kernelINS0_14default_configENS1_25partition_config_selectorILNS1_17partition_subalgoE8EaNS0_10empty_typeEbEEZZNS1_14partition_implILS5_8ELb0ES3_jPKaPS6_PKS6_NS0_5tupleIJPaS6_EEENSE_IJSB_SB_EEENS0_18inequality_wrapperIN6hipcub16HIPCUB_304000_NS8EqualityEEEPlJS6_EEE10hipError_tPvRmT3_T4_T5_T6_T7_T9_mT8_P12ihipStream_tbDpT10_ENKUlT_T0_E_clISt17integral_constantIbLb0EES16_IbLb1EEEEDaS12_S13_EUlS12_E_NS1_11comp_targetILNS1_3genE10ELNS1_11target_archE1200ELNS1_3gpuE4ELNS1_3repE0EEENS1_30default_config_static_selectorELNS0_4arch9wavefront6targetE1EEEvT1_,comdat
	.protected	_ZN7rocprim17ROCPRIM_400000_NS6detail17trampoline_kernelINS0_14default_configENS1_25partition_config_selectorILNS1_17partition_subalgoE8EaNS0_10empty_typeEbEEZZNS1_14partition_implILS5_8ELb0ES3_jPKaPS6_PKS6_NS0_5tupleIJPaS6_EEENSE_IJSB_SB_EEENS0_18inequality_wrapperIN6hipcub16HIPCUB_304000_NS8EqualityEEEPlJS6_EEE10hipError_tPvRmT3_T4_T5_T6_T7_T9_mT8_P12ihipStream_tbDpT10_ENKUlT_T0_E_clISt17integral_constantIbLb0EES16_IbLb1EEEEDaS12_S13_EUlS12_E_NS1_11comp_targetILNS1_3genE10ELNS1_11target_archE1200ELNS1_3gpuE4ELNS1_3repE0EEENS1_30default_config_static_selectorELNS0_4arch9wavefront6targetE1EEEvT1_ ; -- Begin function _ZN7rocprim17ROCPRIM_400000_NS6detail17trampoline_kernelINS0_14default_configENS1_25partition_config_selectorILNS1_17partition_subalgoE8EaNS0_10empty_typeEbEEZZNS1_14partition_implILS5_8ELb0ES3_jPKaPS6_PKS6_NS0_5tupleIJPaS6_EEENSE_IJSB_SB_EEENS0_18inequality_wrapperIN6hipcub16HIPCUB_304000_NS8EqualityEEEPlJS6_EEE10hipError_tPvRmT3_T4_T5_T6_T7_T9_mT8_P12ihipStream_tbDpT10_ENKUlT_T0_E_clISt17integral_constantIbLb0EES16_IbLb1EEEEDaS12_S13_EUlS12_E_NS1_11comp_targetILNS1_3genE10ELNS1_11target_archE1200ELNS1_3gpuE4ELNS1_3repE0EEENS1_30default_config_static_selectorELNS0_4arch9wavefront6targetE1EEEvT1_
	.globl	_ZN7rocprim17ROCPRIM_400000_NS6detail17trampoline_kernelINS0_14default_configENS1_25partition_config_selectorILNS1_17partition_subalgoE8EaNS0_10empty_typeEbEEZZNS1_14partition_implILS5_8ELb0ES3_jPKaPS6_PKS6_NS0_5tupleIJPaS6_EEENSE_IJSB_SB_EEENS0_18inequality_wrapperIN6hipcub16HIPCUB_304000_NS8EqualityEEEPlJS6_EEE10hipError_tPvRmT3_T4_T5_T6_T7_T9_mT8_P12ihipStream_tbDpT10_ENKUlT_T0_E_clISt17integral_constantIbLb0EES16_IbLb1EEEEDaS12_S13_EUlS12_E_NS1_11comp_targetILNS1_3genE10ELNS1_11target_archE1200ELNS1_3gpuE4ELNS1_3repE0EEENS1_30default_config_static_selectorELNS0_4arch9wavefront6targetE1EEEvT1_
	.p2align	8
	.type	_ZN7rocprim17ROCPRIM_400000_NS6detail17trampoline_kernelINS0_14default_configENS1_25partition_config_selectorILNS1_17partition_subalgoE8EaNS0_10empty_typeEbEEZZNS1_14partition_implILS5_8ELb0ES3_jPKaPS6_PKS6_NS0_5tupleIJPaS6_EEENSE_IJSB_SB_EEENS0_18inequality_wrapperIN6hipcub16HIPCUB_304000_NS8EqualityEEEPlJS6_EEE10hipError_tPvRmT3_T4_T5_T6_T7_T9_mT8_P12ihipStream_tbDpT10_ENKUlT_T0_E_clISt17integral_constantIbLb0EES16_IbLb1EEEEDaS12_S13_EUlS12_E_NS1_11comp_targetILNS1_3genE10ELNS1_11target_archE1200ELNS1_3gpuE4ELNS1_3repE0EEENS1_30default_config_static_selectorELNS0_4arch9wavefront6targetE1EEEvT1_,@function
_ZN7rocprim17ROCPRIM_400000_NS6detail17trampoline_kernelINS0_14default_configENS1_25partition_config_selectorILNS1_17partition_subalgoE8EaNS0_10empty_typeEbEEZZNS1_14partition_implILS5_8ELb0ES3_jPKaPS6_PKS6_NS0_5tupleIJPaS6_EEENSE_IJSB_SB_EEENS0_18inequality_wrapperIN6hipcub16HIPCUB_304000_NS8EqualityEEEPlJS6_EEE10hipError_tPvRmT3_T4_T5_T6_T7_T9_mT8_P12ihipStream_tbDpT10_ENKUlT_T0_E_clISt17integral_constantIbLb0EES16_IbLb1EEEEDaS12_S13_EUlS12_E_NS1_11comp_targetILNS1_3genE10ELNS1_11target_archE1200ELNS1_3gpuE4ELNS1_3repE0EEENS1_30default_config_static_selectorELNS0_4arch9wavefront6targetE1EEEvT1_: ; @_ZN7rocprim17ROCPRIM_400000_NS6detail17trampoline_kernelINS0_14default_configENS1_25partition_config_selectorILNS1_17partition_subalgoE8EaNS0_10empty_typeEbEEZZNS1_14partition_implILS5_8ELb0ES3_jPKaPS6_PKS6_NS0_5tupleIJPaS6_EEENSE_IJSB_SB_EEENS0_18inequality_wrapperIN6hipcub16HIPCUB_304000_NS8EqualityEEEPlJS6_EEE10hipError_tPvRmT3_T4_T5_T6_T7_T9_mT8_P12ihipStream_tbDpT10_ENKUlT_T0_E_clISt17integral_constantIbLb0EES16_IbLb1EEEEDaS12_S13_EUlS12_E_NS1_11comp_targetILNS1_3genE10ELNS1_11target_archE1200ELNS1_3gpuE4ELNS1_3repE0EEENS1_30default_config_static_selectorELNS0_4arch9wavefront6targetE1EEEvT1_
; %bb.0:
	.section	.rodata,"a",@progbits
	.p2align	6, 0x0
	.amdhsa_kernel _ZN7rocprim17ROCPRIM_400000_NS6detail17trampoline_kernelINS0_14default_configENS1_25partition_config_selectorILNS1_17partition_subalgoE8EaNS0_10empty_typeEbEEZZNS1_14partition_implILS5_8ELb0ES3_jPKaPS6_PKS6_NS0_5tupleIJPaS6_EEENSE_IJSB_SB_EEENS0_18inequality_wrapperIN6hipcub16HIPCUB_304000_NS8EqualityEEEPlJS6_EEE10hipError_tPvRmT3_T4_T5_T6_T7_T9_mT8_P12ihipStream_tbDpT10_ENKUlT_T0_E_clISt17integral_constantIbLb0EES16_IbLb1EEEEDaS12_S13_EUlS12_E_NS1_11comp_targetILNS1_3genE10ELNS1_11target_archE1200ELNS1_3gpuE4ELNS1_3repE0EEENS1_30default_config_static_selectorELNS0_4arch9wavefront6targetE1EEEvT1_
		.amdhsa_group_segment_fixed_size 0
		.amdhsa_private_segment_fixed_size 0
		.amdhsa_kernarg_size 128
		.amdhsa_user_sgpr_count 2
		.amdhsa_user_sgpr_dispatch_ptr 0
		.amdhsa_user_sgpr_queue_ptr 0
		.amdhsa_user_sgpr_kernarg_segment_ptr 1
		.amdhsa_user_sgpr_dispatch_id 0
		.amdhsa_user_sgpr_kernarg_preload_length 0
		.amdhsa_user_sgpr_kernarg_preload_offset 0
		.amdhsa_user_sgpr_private_segment_size 0
		.amdhsa_uses_dynamic_stack 0
		.amdhsa_enable_private_segment 0
		.amdhsa_system_sgpr_workgroup_id_x 1
		.amdhsa_system_sgpr_workgroup_id_y 0
		.amdhsa_system_sgpr_workgroup_id_z 0
		.amdhsa_system_sgpr_workgroup_info 0
		.amdhsa_system_vgpr_workitem_id 0
		.amdhsa_next_free_vgpr 1
		.amdhsa_next_free_sgpr 0
		.amdhsa_accum_offset 4
		.amdhsa_reserve_vcc 0
		.amdhsa_float_round_mode_32 0
		.amdhsa_float_round_mode_16_64 0
		.amdhsa_float_denorm_mode_32 3
		.amdhsa_float_denorm_mode_16_64 3
		.amdhsa_dx10_clamp 1
		.amdhsa_ieee_mode 1
		.amdhsa_fp16_overflow 0
		.amdhsa_tg_split 0
		.amdhsa_exception_fp_ieee_invalid_op 0
		.amdhsa_exception_fp_denorm_src 0
		.amdhsa_exception_fp_ieee_div_zero 0
		.amdhsa_exception_fp_ieee_overflow 0
		.amdhsa_exception_fp_ieee_underflow 0
		.amdhsa_exception_fp_ieee_inexact 0
		.amdhsa_exception_int_div_zero 0
	.end_amdhsa_kernel
	.section	.text._ZN7rocprim17ROCPRIM_400000_NS6detail17trampoline_kernelINS0_14default_configENS1_25partition_config_selectorILNS1_17partition_subalgoE8EaNS0_10empty_typeEbEEZZNS1_14partition_implILS5_8ELb0ES3_jPKaPS6_PKS6_NS0_5tupleIJPaS6_EEENSE_IJSB_SB_EEENS0_18inequality_wrapperIN6hipcub16HIPCUB_304000_NS8EqualityEEEPlJS6_EEE10hipError_tPvRmT3_T4_T5_T6_T7_T9_mT8_P12ihipStream_tbDpT10_ENKUlT_T0_E_clISt17integral_constantIbLb0EES16_IbLb1EEEEDaS12_S13_EUlS12_E_NS1_11comp_targetILNS1_3genE10ELNS1_11target_archE1200ELNS1_3gpuE4ELNS1_3repE0EEENS1_30default_config_static_selectorELNS0_4arch9wavefront6targetE1EEEvT1_,"axG",@progbits,_ZN7rocprim17ROCPRIM_400000_NS6detail17trampoline_kernelINS0_14default_configENS1_25partition_config_selectorILNS1_17partition_subalgoE8EaNS0_10empty_typeEbEEZZNS1_14partition_implILS5_8ELb0ES3_jPKaPS6_PKS6_NS0_5tupleIJPaS6_EEENSE_IJSB_SB_EEENS0_18inequality_wrapperIN6hipcub16HIPCUB_304000_NS8EqualityEEEPlJS6_EEE10hipError_tPvRmT3_T4_T5_T6_T7_T9_mT8_P12ihipStream_tbDpT10_ENKUlT_T0_E_clISt17integral_constantIbLb0EES16_IbLb1EEEEDaS12_S13_EUlS12_E_NS1_11comp_targetILNS1_3genE10ELNS1_11target_archE1200ELNS1_3gpuE4ELNS1_3repE0EEENS1_30default_config_static_selectorELNS0_4arch9wavefront6targetE1EEEvT1_,comdat
.Lfunc_end232:
	.size	_ZN7rocprim17ROCPRIM_400000_NS6detail17trampoline_kernelINS0_14default_configENS1_25partition_config_selectorILNS1_17partition_subalgoE8EaNS0_10empty_typeEbEEZZNS1_14partition_implILS5_8ELb0ES3_jPKaPS6_PKS6_NS0_5tupleIJPaS6_EEENSE_IJSB_SB_EEENS0_18inequality_wrapperIN6hipcub16HIPCUB_304000_NS8EqualityEEEPlJS6_EEE10hipError_tPvRmT3_T4_T5_T6_T7_T9_mT8_P12ihipStream_tbDpT10_ENKUlT_T0_E_clISt17integral_constantIbLb0EES16_IbLb1EEEEDaS12_S13_EUlS12_E_NS1_11comp_targetILNS1_3genE10ELNS1_11target_archE1200ELNS1_3gpuE4ELNS1_3repE0EEENS1_30default_config_static_selectorELNS0_4arch9wavefront6targetE1EEEvT1_, .Lfunc_end232-_ZN7rocprim17ROCPRIM_400000_NS6detail17trampoline_kernelINS0_14default_configENS1_25partition_config_selectorILNS1_17partition_subalgoE8EaNS0_10empty_typeEbEEZZNS1_14partition_implILS5_8ELb0ES3_jPKaPS6_PKS6_NS0_5tupleIJPaS6_EEENSE_IJSB_SB_EEENS0_18inequality_wrapperIN6hipcub16HIPCUB_304000_NS8EqualityEEEPlJS6_EEE10hipError_tPvRmT3_T4_T5_T6_T7_T9_mT8_P12ihipStream_tbDpT10_ENKUlT_T0_E_clISt17integral_constantIbLb0EES16_IbLb1EEEEDaS12_S13_EUlS12_E_NS1_11comp_targetILNS1_3genE10ELNS1_11target_archE1200ELNS1_3gpuE4ELNS1_3repE0EEENS1_30default_config_static_selectorELNS0_4arch9wavefront6targetE1EEEvT1_
                                        ; -- End function
	.section	.AMDGPU.csdata,"",@progbits
; Kernel info:
; codeLenInByte = 0
; NumSgprs: 6
; NumVgprs: 0
; NumAgprs: 0
; TotalNumVgprs: 0
; ScratchSize: 0
; MemoryBound: 0
; FloatMode: 240
; IeeeMode: 1
; LDSByteSize: 0 bytes/workgroup (compile time only)
; SGPRBlocks: 0
; VGPRBlocks: 0
; NumSGPRsForWavesPerEU: 6
; NumVGPRsForWavesPerEU: 1
; AccumOffset: 4
; Occupancy: 8
; WaveLimiterHint : 0
; COMPUTE_PGM_RSRC2:SCRATCH_EN: 0
; COMPUTE_PGM_RSRC2:USER_SGPR: 2
; COMPUTE_PGM_RSRC2:TRAP_HANDLER: 0
; COMPUTE_PGM_RSRC2:TGID_X_EN: 1
; COMPUTE_PGM_RSRC2:TGID_Y_EN: 0
; COMPUTE_PGM_RSRC2:TGID_Z_EN: 0
; COMPUTE_PGM_RSRC2:TIDIG_COMP_CNT: 0
; COMPUTE_PGM_RSRC3_GFX90A:ACCUM_OFFSET: 0
; COMPUTE_PGM_RSRC3_GFX90A:TG_SPLIT: 0
	.section	.text._ZN7rocprim17ROCPRIM_400000_NS6detail17trampoline_kernelINS0_14default_configENS1_25partition_config_selectorILNS1_17partition_subalgoE8EaNS0_10empty_typeEbEEZZNS1_14partition_implILS5_8ELb0ES3_jPKaPS6_PKS6_NS0_5tupleIJPaS6_EEENSE_IJSB_SB_EEENS0_18inequality_wrapperIN6hipcub16HIPCUB_304000_NS8EqualityEEEPlJS6_EEE10hipError_tPvRmT3_T4_T5_T6_T7_T9_mT8_P12ihipStream_tbDpT10_ENKUlT_T0_E_clISt17integral_constantIbLb0EES16_IbLb1EEEEDaS12_S13_EUlS12_E_NS1_11comp_targetILNS1_3genE9ELNS1_11target_archE1100ELNS1_3gpuE3ELNS1_3repE0EEENS1_30default_config_static_selectorELNS0_4arch9wavefront6targetE1EEEvT1_,"axG",@progbits,_ZN7rocprim17ROCPRIM_400000_NS6detail17trampoline_kernelINS0_14default_configENS1_25partition_config_selectorILNS1_17partition_subalgoE8EaNS0_10empty_typeEbEEZZNS1_14partition_implILS5_8ELb0ES3_jPKaPS6_PKS6_NS0_5tupleIJPaS6_EEENSE_IJSB_SB_EEENS0_18inequality_wrapperIN6hipcub16HIPCUB_304000_NS8EqualityEEEPlJS6_EEE10hipError_tPvRmT3_T4_T5_T6_T7_T9_mT8_P12ihipStream_tbDpT10_ENKUlT_T0_E_clISt17integral_constantIbLb0EES16_IbLb1EEEEDaS12_S13_EUlS12_E_NS1_11comp_targetILNS1_3genE9ELNS1_11target_archE1100ELNS1_3gpuE3ELNS1_3repE0EEENS1_30default_config_static_selectorELNS0_4arch9wavefront6targetE1EEEvT1_,comdat
	.protected	_ZN7rocprim17ROCPRIM_400000_NS6detail17trampoline_kernelINS0_14default_configENS1_25partition_config_selectorILNS1_17partition_subalgoE8EaNS0_10empty_typeEbEEZZNS1_14partition_implILS5_8ELb0ES3_jPKaPS6_PKS6_NS0_5tupleIJPaS6_EEENSE_IJSB_SB_EEENS0_18inequality_wrapperIN6hipcub16HIPCUB_304000_NS8EqualityEEEPlJS6_EEE10hipError_tPvRmT3_T4_T5_T6_T7_T9_mT8_P12ihipStream_tbDpT10_ENKUlT_T0_E_clISt17integral_constantIbLb0EES16_IbLb1EEEEDaS12_S13_EUlS12_E_NS1_11comp_targetILNS1_3genE9ELNS1_11target_archE1100ELNS1_3gpuE3ELNS1_3repE0EEENS1_30default_config_static_selectorELNS0_4arch9wavefront6targetE1EEEvT1_ ; -- Begin function _ZN7rocprim17ROCPRIM_400000_NS6detail17trampoline_kernelINS0_14default_configENS1_25partition_config_selectorILNS1_17partition_subalgoE8EaNS0_10empty_typeEbEEZZNS1_14partition_implILS5_8ELb0ES3_jPKaPS6_PKS6_NS0_5tupleIJPaS6_EEENSE_IJSB_SB_EEENS0_18inequality_wrapperIN6hipcub16HIPCUB_304000_NS8EqualityEEEPlJS6_EEE10hipError_tPvRmT3_T4_T5_T6_T7_T9_mT8_P12ihipStream_tbDpT10_ENKUlT_T0_E_clISt17integral_constantIbLb0EES16_IbLb1EEEEDaS12_S13_EUlS12_E_NS1_11comp_targetILNS1_3genE9ELNS1_11target_archE1100ELNS1_3gpuE3ELNS1_3repE0EEENS1_30default_config_static_selectorELNS0_4arch9wavefront6targetE1EEEvT1_
	.globl	_ZN7rocprim17ROCPRIM_400000_NS6detail17trampoline_kernelINS0_14default_configENS1_25partition_config_selectorILNS1_17partition_subalgoE8EaNS0_10empty_typeEbEEZZNS1_14partition_implILS5_8ELb0ES3_jPKaPS6_PKS6_NS0_5tupleIJPaS6_EEENSE_IJSB_SB_EEENS0_18inequality_wrapperIN6hipcub16HIPCUB_304000_NS8EqualityEEEPlJS6_EEE10hipError_tPvRmT3_T4_T5_T6_T7_T9_mT8_P12ihipStream_tbDpT10_ENKUlT_T0_E_clISt17integral_constantIbLb0EES16_IbLb1EEEEDaS12_S13_EUlS12_E_NS1_11comp_targetILNS1_3genE9ELNS1_11target_archE1100ELNS1_3gpuE3ELNS1_3repE0EEENS1_30default_config_static_selectorELNS0_4arch9wavefront6targetE1EEEvT1_
	.p2align	8
	.type	_ZN7rocprim17ROCPRIM_400000_NS6detail17trampoline_kernelINS0_14default_configENS1_25partition_config_selectorILNS1_17partition_subalgoE8EaNS0_10empty_typeEbEEZZNS1_14partition_implILS5_8ELb0ES3_jPKaPS6_PKS6_NS0_5tupleIJPaS6_EEENSE_IJSB_SB_EEENS0_18inequality_wrapperIN6hipcub16HIPCUB_304000_NS8EqualityEEEPlJS6_EEE10hipError_tPvRmT3_T4_T5_T6_T7_T9_mT8_P12ihipStream_tbDpT10_ENKUlT_T0_E_clISt17integral_constantIbLb0EES16_IbLb1EEEEDaS12_S13_EUlS12_E_NS1_11comp_targetILNS1_3genE9ELNS1_11target_archE1100ELNS1_3gpuE3ELNS1_3repE0EEENS1_30default_config_static_selectorELNS0_4arch9wavefront6targetE1EEEvT1_,@function
_ZN7rocprim17ROCPRIM_400000_NS6detail17trampoline_kernelINS0_14default_configENS1_25partition_config_selectorILNS1_17partition_subalgoE8EaNS0_10empty_typeEbEEZZNS1_14partition_implILS5_8ELb0ES3_jPKaPS6_PKS6_NS0_5tupleIJPaS6_EEENSE_IJSB_SB_EEENS0_18inequality_wrapperIN6hipcub16HIPCUB_304000_NS8EqualityEEEPlJS6_EEE10hipError_tPvRmT3_T4_T5_T6_T7_T9_mT8_P12ihipStream_tbDpT10_ENKUlT_T0_E_clISt17integral_constantIbLb0EES16_IbLb1EEEEDaS12_S13_EUlS12_E_NS1_11comp_targetILNS1_3genE9ELNS1_11target_archE1100ELNS1_3gpuE3ELNS1_3repE0EEENS1_30default_config_static_selectorELNS0_4arch9wavefront6targetE1EEEvT1_: ; @_ZN7rocprim17ROCPRIM_400000_NS6detail17trampoline_kernelINS0_14default_configENS1_25partition_config_selectorILNS1_17partition_subalgoE8EaNS0_10empty_typeEbEEZZNS1_14partition_implILS5_8ELb0ES3_jPKaPS6_PKS6_NS0_5tupleIJPaS6_EEENSE_IJSB_SB_EEENS0_18inequality_wrapperIN6hipcub16HIPCUB_304000_NS8EqualityEEEPlJS6_EEE10hipError_tPvRmT3_T4_T5_T6_T7_T9_mT8_P12ihipStream_tbDpT10_ENKUlT_T0_E_clISt17integral_constantIbLb0EES16_IbLb1EEEEDaS12_S13_EUlS12_E_NS1_11comp_targetILNS1_3genE9ELNS1_11target_archE1100ELNS1_3gpuE3ELNS1_3repE0EEENS1_30default_config_static_selectorELNS0_4arch9wavefront6targetE1EEEvT1_
; %bb.0:
	.section	.rodata,"a",@progbits
	.p2align	6, 0x0
	.amdhsa_kernel _ZN7rocprim17ROCPRIM_400000_NS6detail17trampoline_kernelINS0_14default_configENS1_25partition_config_selectorILNS1_17partition_subalgoE8EaNS0_10empty_typeEbEEZZNS1_14partition_implILS5_8ELb0ES3_jPKaPS6_PKS6_NS0_5tupleIJPaS6_EEENSE_IJSB_SB_EEENS0_18inequality_wrapperIN6hipcub16HIPCUB_304000_NS8EqualityEEEPlJS6_EEE10hipError_tPvRmT3_T4_T5_T6_T7_T9_mT8_P12ihipStream_tbDpT10_ENKUlT_T0_E_clISt17integral_constantIbLb0EES16_IbLb1EEEEDaS12_S13_EUlS12_E_NS1_11comp_targetILNS1_3genE9ELNS1_11target_archE1100ELNS1_3gpuE3ELNS1_3repE0EEENS1_30default_config_static_selectorELNS0_4arch9wavefront6targetE1EEEvT1_
		.amdhsa_group_segment_fixed_size 0
		.amdhsa_private_segment_fixed_size 0
		.amdhsa_kernarg_size 128
		.amdhsa_user_sgpr_count 2
		.amdhsa_user_sgpr_dispatch_ptr 0
		.amdhsa_user_sgpr_queue_ptr 0
		.amdhsa_user_sgpr_kernarg_segment_ptr 1
		.amdhsa_user_sgpr_dispatch_id 0
		.amdhsa_user_sgpr_kernarg_preload_length 0
		.amdhsa_user_sgpr_kernarg_preload_offset 0
		.amdhsa_user_sgpr_private_segment_size 0
		.amdhsa_uses_dynamic_stack 0
		.amdhsa_enable_private_segment 0
		.amdhsa_system_sgpr_workgroup_id_x 1
		.amdhsa_system_sgpr_workgroup_id_y 0
		.amdhsa_system_sgpr_workgroup_id_z 0
		.amdhsa_system_sgpr_workgroup_info 0
		.amdhsa_system_vgpr_workitem_id 0
		.amdhsa_next_free_vgpr 1
		.amdhsa_next_free_sgpr 0
		.amdhsa_accum_offset 4
		.amdhsa_reserve_vcc 0
		.amdhsa_float_round_mode_32 0
		.amdhsa_float_round_mode_16_64 0
		.amdhsa_float_denorm_mode_32 3
		.amdhsa_float_denorm_mode_16_64 3
		.amdhsa_dx10_clamp 1
		.amdhsa_ieee_mode 1
		.amdhsa_fp16_overflow 0
		.amdhsa_tg_split 0
		.amdhsa_exception_fp_ieee_invalid_op 0
		.amdhsa_exception_fp_denorm_src 0
		.amdhsa_exception_fp_ieee_div_zero 0
		.amdhsa_exception_fp_ieee_overflow 0
		.amdhsa_exception_fp_ieee_underflow 0
		.amdhsa_exception_fp_ieee_inexact 0
		.amdhsa_exception_int_div_zero 0
	.end_amdhsa_kernel
	.section	.text._ZN7rocprim17ROCPRIM_400000_NS6detail17trampoline_kernelINS0_14default_configENS1_25partition_config_selectorILNS1_17partition_subalgoE8EaNS0_10empty_typeEbEEZZNS1_14partition_implILS5_8ELb0ES3_jPKaPS6_PKS6_NS0_5tupleIJPaS6_EEENSE_IJSB_SB_EEENS0_18inequality_wrapperIN6hipcub16HIPCUB_304000_NS8EqualityEEEPlJS6_EEE10hipError_tPvRmT3_T4_T5_T6_T7_T9_mT8_P12ihipStream_tbDpT10_ENKUlT_T0_E_clISt17integral_constantIbLb0EES16_IbLb1EEEEDaS12_S13_EUlS12_E_NS1_11comp_targetILNS1_3genE9ELNS1_11target_archE1100ELNS1_3gpuE3ELNS1_3repE0EEENS1_30default_config_static_selectorELNS0_4arch9wavefront6targetE1EEEvT1_,"axG",@progbits,_ZN7rocprim17ROCPRIM_400000_NS6detail17trampoline_kernelINS0_14default_configENS1_25partition_config_selectorILNS1_17partition_subalgoE8EaNS0_10empty_typeEbEEZZNS1_14partition_implILS5_8ELb0ES3_jPKaPS6_PKS6_NS0_5tupleIJPaS6_EEENSE_IJSB_SB_EEENS0_18inequality_wrapperIN6hipcub16HIPCUB_304000_NS8EqualityEEEPlJS6_EEE10hipError_tPvRmT3_T4_T5_T6_T7_T9_mT8_P12ihipStream_tbDpT10_ENKUlT_T0_E_clISt17integral_constantIbLb0EES16_IbLb1EEEEDaS12_S13_EUlS12_E_NS1_11comp_targetILNS1_3genE9ELNS1_11target_archE1100ELNS1_3gpuE3ELNS1_3repE0EEENS1_30default_config_static_selectorELNS0_4arch9wavefront6targetE1EEEvT1_,comdat
.Lfunc_end233:
	.size	_ZN7rocprim17ROCPRIM_400000_NS6detail17trampoline_kernelINS0_14default_configENS1_25partition_config_selectorILNS1_17partition_subalgoE8EaNS0_10empty_typeEbEEZZNS1_14partition_implILS5_8ELb0ES3_jPKaPS6_PKS6_NS0_5tupleIJPaS6_EEENSE_IJSB_SB_EEENS0_18inequality_wrapperIN6hipcub16HIPCUB_304000_NS8EqualityEEEPlJS6_EEE10hipError_tPvRmT3_T4_T5_T6_T7_T9_mT8_P12ihipStream_tbDpT10_ENKUlT_T0_E_clISt17integral_constantIbLb0EES16_IbLb1EEEEDaS12_S13_EUlS12_E_NS1_11comp_targetILNS1_3genE9ELNS1_11target_archE1100ELNS1_3gpuE3ELNS1_3repE0EEENS1_30default_config_static_selectorELNS0_4arch9wavefront6targetE1EEEvT1_, .Lfunc_end233-_ZN7rocprim17ROCPRIM_400000_NS6detail17trampoline_kernelINS0_14default_configENS1_25partition_config_selectorILNS1_17partition_subalgoE8EaNS0_10empty_typeEbEEZZNS1_14partition_implILS5_8ELb0ES3_jPKaPS6_PKS6_NS0_5tupleIJPaS6_EEENSE_IJSB_SB_EEENS0_18inequality_wrapperIN6hipcub16HIPCUB_304000_NS8EqualityEEEPlJS6_EEE10hipError_tPvRmT3_T4_T5_T6_T7_T9_mT8_P12ihipStream_tbDpT10_ENKUlT_T0_E_clISt17integral_constantIbLb0EES16_IbLb1EEEEDaS12_S13_EUlS12_E_NS1_11comp_targetILNS1_3genE9ELNS1_11target_archE1100ELNS1_3gpuE3ELNS1_3repE0EEENS1_30default_config_static_selectorELNS0_4arch9wavefront6targetE1EEEvT1_
                                        ; -- End function
	.section	.AMDGPU.csdata,"",@progbits
; Kernel info:
; codeLenInByte = 0
; NumSgprs: 6
; NumVgprs: 0
; NumAgprs: 0
; TotalNumVgprs: 0
; ScratchSize: 0
; MemoryBound: 0
; FloatMode: 240
; IeeeMode: 1
; LDSByteSize: 0 bytes/workgroup (compile time only)
; SGPRBlocks: 0
; VGPRBlocks: 0
; NumSGPRsForWavesPerEU: 6
; NumVGPRsForWavesPerEU: 1
; AccumOffset: 4
; Occupancy: 8
; WaveLimiterHint : 0
; COMPUTE_PGM_RSRC2:SCRATCH_EN: 0
; COMPUTE_PGM_RSRC2:USER_SGPR: 2
; COMPUTE_PGM_RSRC2:TRAP_HANDLER: 0
; COMPUTE_PGM_RSRC2:TGID_X_EN: 1
; COMPUTE_PGM_RSRC2:TGID_Y_EN: 0
; COMPUTE_PGM_RSRC2:TGID_Z_EN: 0
; COMPUTE_PGM_RSRC2:TIDIG_COMP_CNT: 0
; COMPUTE_PGM_RSRC3_GFX90A:ACCUM_OFFSET: 0
; COMPUTE_PGM_RSRC3_GFX90A:TG_SPLIT: 0
	.section	.text._ZN7rocprim17ROCPRIM_400000_NS6detail17trampoline_kernelINS0_14default_configENS1_25partition_config_selectorILNS1_17partition_subalgoE8EaNS0_10empty_typeEbEEZZNS1_14partition_implILS5_8ELb0ES3_jPKaPS6_PKS6_NS0_5tupleIJPaS6_EEENSE_IJSB_SB_EEENS0_18inequality_wrapperIN6hipcub16HIPCUB_304000_NS8EqualityEEEPlJS6_EEE10hipError_tPvRmT3_T4_T5_T6_T7_T9_mT8_P12ihipStream_tbDpT10_ENKUlT_T0_E_clISt17integral_constantIbLb0EES16_IbLb1EEEEDaS12_S13_EUlS12_E_NS1_11comp_targetILNS1_3genE8ELNS1_11target_archE1030ELNS1_3gpuE2ELNS1_3repE0EEENS1_30default_config_static_selectorELNS0_4arch9wavefront6targetE1EEEvT1_,"axG",@progbits,_ZN7rocprim17ROCPRIM_400000_NS6detail17trampoline_kernelINS0_14default_configENS1_25partition_config_selectorILNS1_17partition_subalgoE8EaNS0_10empty_typeEbEEZZNS1_14partition_implILS5_8ELb0ES3_jPKaPS6_PKS6_NS0_5tupleIJPaS6_EEENSE_IJSB_SB_EEENS0_18inequality_wrapperIN6hipcub16HIPCUB_304000_NS8EqualityEEEPlJS6_EEE10hipError_tPvRmT3_T4_T5_T6_T7_T9_mT8_P12ihipStream_tbDpT10_ENKUlT_T0_E_clISt17integral_constantIbLb0EES16_IbLb1EEEEDaS12_S13_EUlS12_E_NS1_11comp_targetILNS1_3genE8ELNS1_11target_archE1030ELNS1_3gpuE2ELNS1_3repE0EEENS1_30default_config_static_selectorELNS0_4arch9wavefront6targetE1EEEvT1_,comdat
	.protected	_ZN7rocprim17ROCPRIM_400000_NS6detail17trampoline_kernelINS0_14default_configENS1_25partition_config_selectorILNS1_17partition_subalgoE8EaNS0_10empty_typeEbEEZZNS1_14partition_implILS5_8ELb0ES3_jPKaPS6_PKS6_NS0_5tupleIJPaS6_EEENSE_IJSB_SB_EEENS0_18inequality_wrapperIN6hipcub16HIPCUB_304000_NS8EqualityEEEPlJS6_EEE10hipError_tPvRmT3_T4_T5_T6_T7_T9_mT8_P12ihipStream_tbDpT10_ENKUlT_T0_E_clISt17integral_constantIbLb0EES16_IbLb1EEEEDaS12_S13_EUlS12_E_NS1_11comp_targetILNS1_3genE8ELNS1_11target_archE1030ELNS1_3gpuE2ELNS1_3repE0EEENS1_30default_config_static_selectorELNS0_4arch9wavefront6targetE1EEEvT1_ ; -- Begin function _ZN7rocprim17ROCPRIM_400000_NS6detail17trampoline_kernelINS0_14default_configENS1_25partition_config_selectorILNS1_17partition_subalgoE8EaNS0_10empty_typeEbEEZZNS1_14partition_implILS5_8ELb0ES3_jPKaPS6_PKS6_NS0_5tupleIJPaS6_EEENSE_IJSB_SB_EEENS0_18inequality_wrapperIN6hipcub16HIPCUB_304000_NS8EqualityEEEPlJS6_EEE10hipError_tPvRmT3_T4_T5_T6_T7_T9_mT8_P12ihipStream_tbDpT10_ENKUlT_T0_E_clISt17integral_constantIbLb0EES16_IbLb1EEEEDaS12_S13_EUlS12_E_NS1_11comp_targetILNS1_3genE8ELNS1_11target_archE1030ELNS1_3gpuE2ELNS1_3repE0EEENS1_30default_config_static_selectorELNS0_4arch9wavefront6targetE1EEEvT1_
	.globl	_ZN7rocprim17ROCPRIM_400000_NS6detail17trampoline_kernelINS0_14default_configENS1_25partition_config_selectorILNS1_17partition_subalgoE8EaNS0_10empty_typeEbEEZZNS1_14partition_implILS5_8ELb0ES3_jPKaPS6_PKS6_NS0_5tupleIJPaS6_EEENSE_IJSB_SB_EEENS0_18inequality_wrapperIN6hipcub16HIPCUB_304000_NS8EqualityEEEPlJS6_EEE10hipError_tPvRmT3_T4_T5_T6_T7_T9_mT8_P12ihipStream_tbDpT10_ENKUlT_T0_E_clISt17integral_constantIbLb0EES16_IbLb1EEEEDaS12_S13_EUlS12_E_NS1_11comp_targetILNS1_3genE8ELNS1_11target_archE1030ELNS1_3gpuE2ELNS1_3repE0EEENS1_30default_config_static_selectorELNS0_4arch9wavefront6targetE1EEEvT1_
	.p2align	8
	.type	_ZN7rocprim17ROCPRIM_400000_NS6detail17trampoline_kernelINS0_14default_configENS1_25partition_config_selectorILNS1_17partition_subalgoE8EaNS0_10empty_typeEbEEZZNS1_14partition_implILS5_8ELb0ES3_jPKaPS6_PKS6_NS0_5tupleIJPaS6_EEENSE_IJSB_SB_EEENS0_18inequality_wrapperIN6hipcub16HIPCUB_304000_NS8EqualityEEEPlJS6_EEE10hipError_tPvRmT3_T4_T5_T6_T7_T9_mT8_P12ihipStream_tbDpT10_ENKUlT_T0_E_clISt17integral_constantIbLb0EES16_IbLb1EEEEDaS12_S13_EUlS12_E_NS1_11comp_targetILNS1_3genE8ELNS1_11target_archE1030ELNS1_3gpuE2ELNS1_3repE0EEENS1_30default_config_static_selectorELNS0_4arch9wavefront6targetE1EEEvT1_,@function
_ZN7rocprim17ROCPRIM_400000_NS6detail17trampoline_kernelINS0_14default_configENS1_25partition_config_selectorILNS1_17partition_subalgoE8EaNS0_10empty_typeEbEEZZNS1_14partition_implILS5_8ELb0ES3_jPKaPS6_PKS6_NS0_5tupleIJPaS6_EEENSE_IJSB_SB_EEENS0_18inequality_wrapperIN6hipcub16HIPCUB_304000_NS8EqualityEEEPlJS6_EEE10hipError_tPvRmT3_T4_T5_T6_T7_T9_mT8_P12ihipStream_tbDpT10_ENKUlT_T0_E_clISt17integral_constantIbLb0EES16_IbLb1EEEEDaS12_S13_EUlS12_E_NS1_11comp_targetILNS1_3genE8ELNS1_11target_archE1030ELNS1_3gpuE2ELNS1_3repE0EEENS1_30default_config_static_selectorELNS0_4arch9wavefront6targetE1EEEvT1_: ; @_ZN7rocprim17ROCPRIM_400000_NS6detail17trampoline_kernelINS0_14default_configENS1_25partition_config_selectorILNS1_17partition_subalgoE8EaNS0_10empty_typeEbEEZZNS1_14partition_implILS5_8ELb0ES3_jPKaPS6_PKS6_NS0_5tupleIJPaS6_EEENSE_IJSB_SB_EEENS0_18inequality_wrapperIN6hipcub16HIPCUB_304000_NS8EqualityEEEPlJS6_EEE10hipError_tPvRmT3_T4_T5_T6_T7_T9_mT8_P12ihipStream_tbDpT10_ENKUlT_T0_E_clISt17integral_constantIbLb0EES16_IbLb1EEEEDaS12_S13_EUlS12_E_NS1_11comp_targetILNS1_3genE8ELNS1_11target_archE1030ELNS1_3gpuE2ELNS1_3repE0EEENS1_30default_config_static_selectorELNS0_4arch9wavefront6targetE1EEEvT1_
; %bb.0:
	.section	.rodata,"a",@progbits
	.p2align	6, 0x0
	.amdhsa_kernel _ZN7rocprim17ROCPRIM_400000_NS6detail17trampoline_kernelINS0_14default_configENS1_25partition_config_selectorILNS1_17partition_subalgoE8EaNS0_10empty_typeEbEEZZNS1_14partition_implILS5_8ELb0ES3_jPKaPS6_PKS6_NS0_5tupleIJPaS6_EEENSE_IJSB_SB_EEENS0_18inequality_wrapperIN6hipcub16HIPCUB_304000_NS8EqualityEEEPlJS6_EEE10hipError_tPvRmT3_T4_T5_T6_T7_T9_mT8_P12ihipStream_tbDpT10_ENKUlT_T0_E_clISt17integral_constantIbLb0EES16_IbLb1EEEEDaS12_S13_EUlS12_E_NS1_11comp_targetILNS1_3genE8ELNS1_11target_archE1030ELNS1_3gpuE2ELNS1_3repE0EEENS1_30default_config_static_selectorELNS0_4arch9wavefront6targetE1EEEvT1_
		.amdhsa_group_segment_fixed_size 0
		.amdhsa_private_segment_fixed_size 0
		.amdhsa_kernarg_size 128
		.amdhsa_user_sgpr_count 2
		.amdhsa_user_sgpr_dispatch_ptr 0
		.amdhsa_user_sgpr_queue_ptr 0
		.amdhsa_user_sgpr_kernarg_segment_ptr 1
		.amdhsa_user_sgpr_dispatch_id 0
		.amdhsa_user_sgpr_kernarg_preload_length 0
		.amdhsa_user_sgpr_kernarg_preload_offset 0
		.amdhsa_user_sgpr_private_segment_size 0
		.amdhsa_uses_dynamic_stack 0
		.amdhsa_enable_private_segment 0
		.amdhsa_system_sgpr_workgroup_id_x 1
		.amdhsa_system_sgpr_workgroup_id_y 0
		.amdhsa_system_sgpr_workgroup_id_z 0
		.amdhsa_system_sgpr_workgroup_info 0
		.amdhsa_system_vgpr_workitem_id 0
		.amdhsa_next_free_vgpr 1
		.amdhsa_next_free_sgpr 0
		.amdhsa_accum_offset 4
		.amdhsa_reserve_vcc 0
		.amdhsa_float_round_mode_32 0
		.amdhsa_float_round_mode_16_64 0
		.amdhsa_float_denorm_mode_32 3
		.amdhsa_float_denorm_mode_16_64 3
		.amdhsa_dx10_clamp 1
		.amdhsa_ieee_mode 1
		.amdhsa_fp16_overflow 0
		.amdhsa_tg_split 0
		.amdhsa_exception_fp_ieee_invalid_op 0
		.amdhsa_exception_fp_denorm_src 0
		.amdhsa_exception_fp_ieee_div_zero 0
		.amdhsa_exception_fp_ieee_overflow 0
		.amdhsa_exception_fp_ieee_underflow 0
		.amdhsa_exception_fp_ieee_inexact 0
		.amdhsa_exception_int_div_zero 0
	.end_amdhsa_kernel
	.section	.text._ZN7rocprim17ROCPRIM_400000_NS6detail17trampoline_kernelINS0_14default_configENS1_25partition_config_selectorILNS1_17partition_subalgoE8EaNS0_10empty_typeEbEEZZNS1_14partition_implILS5_8ELb0ES3_jPKaPS6_PKS6_NS0_5tupleIJPaS6_EEENSE_IJSB_SB_EEENS0_18inequality_wrapperIN6hipcub16HIPCUB_304000_NS8EqualityEEEPlJS6_EEE10hipError_tPvRmT3_T4_T5_T6_T7_T9_mT8_P12ihipStream_tbDpT10_ENKUlT_T0_E_clISt17integral_constantIbLb0EES16_IbLb1EEEEDaS12_S13_EUlS12_E_NS1_11comp_targetILNS1_3genE8ELNS1_11target_archE1030ELNS1_3gpuE2ELNS1_3repE0EEENS1_30default_config_static_selectorELNS0_4arch9wavefront6targetE1EEEvT1_,"axG",@progbits,_ZN7rocprim17ROCPRIM_400000_NS6detail17trampoline_kernelINS0_14default_configENS1_25partition_config_selectorILNS1_17partition_subalgoE8EaNS0_10empty_typeEbEEZZNS1_14partition_implILS5_8ELb0ES3_jPKaPS6_PKS6_NS0_5tupleIJPaS6_EEENSE_IJSB_SB_EEENS0_18inequality_wrapperIN6hipcub16HIPCUB_304000_NS8EqualityEEEPlJS6_EEE10hipError_tPvRmT3_T4_T5_T6_T7_T9_mT8_P12ihipStream_tbDpT10_ENKUlT_T0_E_clISt17integral_constantIbLb0EES16_IbLb1EEEEDaS12_S13_EUlS12_E_NS1_11comp_targetILNS1_3genE8ELNS1_11target_archE1030ELNS1_3gpuE2ELNS1_3repE0EEENS1_30default_config_static_selectorELNS0_4arch9wavefront6targetE1EEEvT1_,comdat
.Lfunc_end234:
	.size	_ZN7rocprim17ROCPRIM_400000_NS6detail17trampoline_kernelINS0_14default_configENS1_25partition_config_selectorILNS1_17partition_subalgoE8EaNS0_10empty_typeEbEEZZNS1_14partition_implILS5_8ELb0ES3_jPKaPS6_PKS6_NS0_5tupleIJPaS6_EEENSE_IJSB_SB_EEENS0_18inequality_wrapperIN6hipcub16HIPCUB_304000_NS8EqualityEEEPlJS6_EEE10hipError_tPvRmT3_T4_T5_T6_T7_T9_mT8_P12ihipStream_tbDpT10_ENKUlT_T0_E_clISt17integral_constantIbLb0EES16_IbLb1EEEEDaS12_S13_EUlS12_E_NS1_11comp_targetILNS1_3genE8ELNS1_11target_archE1030ELNS1_3gpuE2ELNS1_3repE0EEENS1_30default_config_static_selectorELNS0_4arch9wavefront6targetE1EEEvT1_, .Lfunc_end234-_ZN7rocprim17ROCPRIM_400000_NS6detail17trampoline_kernelINS0_14default_configENS1_25partition_config_selectorILNS1_17partition_subalgoE8EaNS0_10empty_typeEbEEZZNS1_14partition_implILS5_8ELb0ES3_jPKaPS6_PKS6_NS0_5tupleIJPaS6_EEENSE_IJSB_SB_EEENS0_18inequality_wrapperIN6hipcub16HIPCUB_304000_NS8EqualityEEEPlJS6_EEE10hipError_tPvRmT3_T4_T5_T6_T7_T9_mT8_P12ihipStream_tbDpT10_ENKUlT_T0_E_clISt17integral_constantIbLb0EES16_IbLb1EEEEDaS12_S13_EUlS12_E_NS1_11comp_targetILNS1_3genE8ELNS1_11target_archE1030ELNS1_3gpuE2ELNS1_3repE0EEENS1_30default_config_static_selectorELNS0_4arch9wavefront6targetE1EEEvT1_
                                        ; -- End function
	.section	.AMDGPU.csdata,"",@progbits
; Kernel info:
; codeLenInByte = 0
; NumSgprs: 6
; NumVgprs: 0
; NumAgprs: 0
; TotalNumVgprs: 0
; ScratchSize: 0
; MemoryBound: 0
; FloatMode: 240
; IeeeMode: 1
; LDSByteSize: 0 bytes/workgroup (compile time only)
; SGPRBlocks: 0
; VGPRBlocks: 0
; NumSGPRsForWavesPerEU: 6
; NumVGPRsForWavesPerEU: 1
; AccumOffset: 4
; Occupancy: 8
; WaveLimiterHint : 0
; COMPUTE_PGM_RSRC2:SCRATCH_EN: 0
; COMPUTE_PGM_RSRC2:USER_SGPR: 2
; COMPUTE_PGM_RSRC2:TRAP_HANDLER: 0
; COMPUTE_PGM_RSRC2:TGID_X_EN: 1
; COMPUTE_PGM_RSRC2:TGID_Y_EN: 0
; COMPUTE_PGM_RSRC2:TGID_Z_EN: 0
; COMPUTE_PGM_RSRC2:TIDIG_COMP_CNT: 0
; COMPUTE_PGM_RSRC3_GFX90A:ACCUM_OFFSET: 0
; COMPUTE_PGM_RSRC3_GFX90A:TG_SPLIT: 0
	.section	.text._ZN7rocprim17ROCPRIM_400000_NS6detail17trampoline_kernelINS0_14default_configENS1_33run_length_encode_config_selectorIajNS0_4plusIjEEEEZZNS1_33reduce_by_key_impl_wrapped_configILNS1_25lookback_scan_determinismE0ES3_S7_PKaNS0_17constant_iteratorIjlEEPaPlSF_S6_NS0_8equal_toIaEEEE10hipError_tPvRmT2_T3_mT4_T5_T6_T7_T8_P12ihipStream_tbENKUlT_T0_E_clISt17integral_constantIbLb0EESZ_EEDaSU_SV_EUlSU_E_NS1_11comp_targetILNS1_3genE0ELNS1_11target_archE4294967295ELNS1_3gpuE0ELNS1_3repE0EEENS1_30default_config_static_selectorELNS0_4arch9wavefront6targetE1EEEvT1_,"axG",@progbits,_ZN7rocprim17ROCPRIM_400000_NS6detail17trampoline_kernelINS0_14default_configENS1_33run_length_encode_config_selectorIajNS0_4plusIjEEEEZZNS1_33reduce_by_key_impl_wrapped_configILNS1_25lookback_scan_determinismE0ES3_S7_PKaNS0_17constant_iteratorIjlEEPaPlSF_S6_NS0_8equal_toIaEEEE10hipError_tPvRmT2_T3_mT4_T5_T6_T7_T8_P12ihipStream_tbENKUlT_T0_E_clISt17integral_constantIbLb0EESZ_EEDaSU_SV_EUlSU_E_NS1_11comp_targetILNS1_3genE0ELNS1_11target_archE4294967295ELNS1_3gpuE0ELNS1_3repE0EEENS1_30default_config_static_selectorELNS0_4arch9wavefront6targetE1EEEvT1_,comdat
	.protected	_ZN7rocprim17ROCPRIM_400000_NS6detail17trampoline_kernelINS0_14default_configENS1_33run_length_encode_config_selectorIajNS0_4plusIjEEEEZZNS1_33reduce_by_key_impl_wrapped_configILNS1_25lookback_scan_determinismE0ES3_S7_PKaNS0_17constant_iteratorIjlEEPaPlSF_S6_NS0_8equal_toIaEEEE10hipError_tPvRmT2_T3_mT4_T5_T6_T7_T8_P12ihipStream_tbENKUlT_T0_E_clISt17integral_constantIbLb0EESZ_EEDaSU_SV_EUlSU_E_NS1_11comp_targetILNS1_3genE0ELNS1_11target_archE4294967295ELNS1_3gpuE0ELNS1_3repE0EEENS1_30default_config_static_selectorELNS0_4arch9wavefront6targetE1EEEvT1_ ; -- Begin function _ZN7rocprim17ROCPRIM_400000_NS6detail17trampoline_kernelINS0_14default_configENS1_33run_length_encode_config_selectorIajNS0_4plusIjEEEEZZNS1_33reduce_by_key_impl_wrapped_configILNS1_25lookback_scan_determinismE0ES3_S7_PKaNS0_17constant_iteratorIjlEEPaPlSF_S6_NS0_8equal_toIaEEEE10hipError_tPvRmT2_T3_mT4_T5_T6_T7_T8_P12ihipStream_tbENKUlT_T0_E_clISt17integral_constantIbLb0EESZ_EEDaSU_SV_EUlSU_E_NS1_11comp_targetILNS1_3genE0ELNS1_11target_archE4294967295ELNS1_3gpuE0ELNS1_3repE0EEENS1_30default_config_static_selectorELNS0_4arch9wavefront6targetE1EEEvT1_
	.globl	_ZN7rocprim17ROCPRIM_400000_NS6detail17trampoline_kernelINS0_14default_configENS1_33run_length_encode_config_selectorIajNS0_4plusIjEEEEZZNS1_33reduce_by_key_impl_wrapped_configILNS1_25lookback_scan_determinismE0ES3_S7_PKaNS0_17constant_iteratorIjlEEPaPlSF_S6_NS0_8equal_toIaEEEE10hipError_tPvRmT2_T3_mT4_T5_T6_T7_T8_P12ihipStream_tbENKUlT_T0_E_clISt17integral_constantIbLb0EESZ_EEDaSU_SV_EUlSU_E_NS1_11comp_targetILNS1_3genE0ELNS1_11target_archE4294967295ELNS1_3gpuE0ELNS1_3repE0EEENS1_30default_config_static_selectorELNS0_4arch9wavefront6targetE1EEEvT1_
	.p2align	8
	.type	_ZN7rocprim17ROCPRIM_400000_NS6detail17trampoline_kernelINS0_14default_configENS1_33run_length_encode_config_selectorIajNS0_4plusIjEEEEZZNS1_33reduce_by_key_impl_wrapped_configILNS1_25lookback_scan_determinismE0ES3_S7_PKaNS0_17constant_iteratorIjlEEPaPlSF_S6_NS0_8equal_toIaEEEE10hipError_tPvRmT2_T3_mT4_T5_T6_T7_T8_P12ihipStream_tbENKUlT_T0_E_clISt17integral_constantIbLb0EESZ_EEDaSU_SV_EUlSU_E_NS1_11comp_targetILNS1_3genE0ELNS1_11target_archE4294967295ELNS1_3gpuE0ELNS1_3repE0EEENS1_30default_config_static_selectorELNS0_4arch9wavefront6targetE1EEEvT1_,@function
_ZN7rocprim17ROCPRIM_400000_NS6detail17trampoline_kernelINS0_14default_configENS1_33run_length_encode_config_selectorIajNS0_4plusIjEEEEZZNS1_33reduce_by_key_impl_wrapped_configILNS1_25lookback_scan_determinismE0ES3_S7_PKaNS0_17constant_iteratorIjlEEPaPlSF_S6_NS0_8equal_toIaEEEE10hipError_tPvRmT2_T3_mT4_T5_T6_T7_T8_P12ihipStream_tbENKUlT_T0_E_clISt17integral_constantIbLb0EESZ_EEDaSU_SV_EUlSU_E_NS1_11comp_targetILNS1_3genE0ELNS1_11target_archE4294967295ELNS1_3gpuE0ELNS1_3repE0EEENS1_30default_config_static_selectorELNS0_4arch9wavefront6targetE1EEEvT1_: ; @_ZN7rocprim17ROCPRIM_400000_NS6detail17trampoline_kernelINS0_14default_configENS1_33run_length_encode_config_selectorIajNS0_4plusIjEEEEZZNS1_33reduce_by_key_impl_wrapped_configILNS1_25lookback_scan_determinismE0ES3_S7_PKaNS0_17constant_iteratorIjlEEPaPlSF_S6_NS0_8equal_toIaEEEE10hipError_tPvRmT2_T3_mT4_T5_T6_T7_T8_P12ihipStream_tbENKUlT_T0_E_clISt17integral_constantIbLb0EESZ_EEDaSU_SV_EUlSU_E_NS1_11comp_targetILNS1_3genE0ELNS1_11target_archE4294967295ELNS1_3gpuE0ELNS1_3repE0EEENS1_30default_config_static_selectorELNS0_4arch9wavefront6targetE1EEEvT1_
; %bb.0:
	.section	.rodata,"a",@progbits
	.p2align	6, 0x0
	.amdhsa_kernel _ZN7rocprim17ROCPRIM_400000_NS6detail17trampoline_kernelINS0_14default_configENS1_33run_length_encode_config_selectorIajNS0_4plusIjEEEEZZNS1_33reduce_by_key_impl_wrapped_configILNS1_25lookback_scan_determinismE0ES3_S7_PKaNS0_17constant_iteratorIjlEEPaPlSF_S6_NS0_8equal_toIaEEEE10hipError_tPvRmT2_T3_mT4_T5_T6_T7_T8_P12ihipStream_tbENKUlT_T0_E_clISt17integral_constantIbLb0EESZ_EEDaSU_SV_EUlSU_E_NS1_11comp_targetILNS1_3genE0ELNS1_11target_archE4294967295ELNS1_3gpuE0ELNS1_3repE0EEENS1_30default_config_static_selectorELNS0_4arch9wavefront6targetE1EEEvT1_
		.amdhsa_group_segment_fixed_size 0
		.amdhsa_private_segment_fixed_size 0
		.amdhsa_kernarg_size 128
		.amdhsa_user_sgpr_count 2
		.amdhsa_user_sgpr_dispatch_ptr 0
		.amdhsa_user_sgpr_queue_ptr 0
		.amdhsa_user_sgpr_kernarg_segment_ptr 1
		.amdhsa_user_sgpr_dispatch_id 0
		.amdhsa_user_sgpr_kernarg_preload_length 0
		.amdhsa_user_sgpr_kernarg_preload_offset 0
		.amdhsa_user_sgpr_private_segment_size 0
		.amdhsa_uses_dynamic_stack 0
		.amdhsa_enable_private_segment 0
		.amdhsa_system_sgpr_workgroup_id_x 1
		.amdhsa_system_sgpr_workgroup_id_y 0
		.amdhsa_system_sgpr_workgroup_id_z 0
		.amdhsa_system_sgpr_workgroup_info 0
		.amdhsa_system_vgpr_workitem_id 0
		.amdhsa_next_free_vgpr 1
		.amdhsa_next_free_sgpr 0
		.amdhsa_accum_offset 4
		.amdhsa_reserve_vcc 0
		.amdhsa_float_round_mode_32 0
		.amdhsa_float_round_mode_16_64 0
		.amdhsa_float_denorm_mode_32 3
		.amdhsa_float_denorm_mode_16_64 3
		.amdhsa_dx10_clamp 1
		.amdhsa_ieee_mode 1
		.amdhsa_fp16_overflow 0
		.amdhsa_tg_split 0
		.amdhsa_exception_fp_ieee_invalid_op 0
		.amdhsa_exception_fp_denorm_src 0
		.amdhsa_exception_fp_ieee_div_zero 0
		.amdhsa_exception_fp_ieee_overflow 0
		.amdhsa_exception_fp_ieee_underflow 0
		.amdhsa_exception_fp_ieee_inexact 0
		.amdhsa_exception_int_div_zero 0
	.end_amdhsa_kernel
	.section	.text._ZN7rocprim17ROCPRIM_400000_NS6detail17trampoline_kernelINS0_14default_configENS1_33run_length_encode_config_selectorIajNS0_4plusIjEEEEZZNS1_33reduce_by_key_impl_wrapped_configILNS1_25lookback_scan_determinismE0ES3_S7_PKaNS0_17constant_iteratorIjlEEPaPlSF_S6_NS0_8equal_toIaEEEE10hipError_tPvRmT2_T3_mT4_T5_T6_T7_T8_P12ihipStream_tbENKUlT_T0_E_clISt17integral_constantIbLb0EESZ_EEDaSU_SV_EUlSU_E_NS1_11comp_targetILNS1_3genE0ELNS1_11target_archE4294967295ELNS1_3gpuE0ELNS1_3repE0EEENS1_30default_config_static_selectorELNS0_4arch9wavefront6targetE1EEEvT1_,"axG",@progbits,_ZN7rocprim17ROCPRIM_400000_NS6detail17trampoline_kernelINS0_14default_configENS1_33run_length_encode_config_selectorIajNS0_4plusIjEEEEZZNS1_33reduce_by_key_impl_wrapped_configILNS1_25lookback_scan_determinismE0ES3_S7_PKaNS0_17constant_iteratorIjlEEPaPlSF_S6_NS0_8equal_toIaEEEE10hipError_tPvRmT2_T3_mT4_T5_T6_T7_T8_P12ihipStream_tbENKUlT_T0_E_clISt17integral_constantIbLb0EESZ_EEDaSU_SV_EUlSU_E_NS1_11comp_targetILNS1_3genE0ELNS1_11target_archE4294967295ELNS1_3gpuE0ELNS1_3repE0EEENS1_30default_config_static_selectorELNS0_4arch9wavefront6targetE1EEEvT1_,comdat
.Lfunc_end235:
	.size	_ZN7rocprim17ROCPRIM_400000_NS6detail17trampoline_kernelINS0_14default_configENS1_33run_length_encode_config_selectorIajNS0_4plusIjEEEEZZNS1_33reduce_by_key_impl_wrapped_configILNS1_25lookback_scan_determinismE0ES3_S7_PKaNS0_17constant_iteratorIjlEEPaPlSF_S6_NS0_8equal_toIaEEEE10hipError_tPvRmT2_T3_mT4_T5_T6_T7_T8_P12ihipStream_tbENKUlT_T0_E_clISt17integral_constantIbLb0EESZ_EEDaSU_SV_EUlSU_E_NS1_11comp_targetILNS1_3genE0ELNS1_11target_archE4294967295ELNS1_3gpuE0ELNS1_3repE0EEENS1_30default_config_static_selectorELNS0_4arch9wavefront6targetE1EEEvT1_, .Lfunc_end235-_ZN7rocprim17ROCPRIM_400000_NS6detail17trampoline_kernelINS0_14default_configENS1_33run_length_encode_config_selectorIajNS0_4plusIjEEEEZZNS1_33reduce_by_key_impl_wrapped_configILNS1_25lookback_scan_determinismE0ES3_S7_PKaNS0_17constant_iteratorIjlEEPaPlSF_S6_NS0_8equal_toIaEEEE10hipError_tPvRmT2_T3_mT4_T5_T6_T7_T8_P12ihipStream_tbENKUlT_T0_E_clISt17integral_constantIbLb0EESZ_EEDaSU_SV_EUlSU_E_NS1_11comp_targetILNS1_3genE0ELNS1_11target_archE4294967295ELNS1_3gpuE0ELNS1_3repE0EEENS1_30default_config_static_selectorELNS0_4arch9wavefront6targetE1EEEvT1_
                                        ; -- End function
	.section	.AMDGPU.csdata,"",@progbits
; Kernel info:
; codeLenInByte = 0
; NumSgprs: 6
; NumVgprs: 0
; NumAgprs: 0
; TotalNumVgprs: 0
; ScratchSize: 0
; MemoryBound: 0
; FloatMode: 240
; IeeeMode: 1
; LDSByteSize: 0 bytes/workgroup (compile time only)
; SGPRBlocks: 0
; VGPRBlocks: 0
; NumSGPRsForWavesPerEU: 6
; NumVGPRsForWavesPerEU: 1
; AccumOffset: 4
; Occupancy: 8
; WaveLimiterHint : 0
; COMPUTE_PGM_RSRC2:SCRATCH_EN: 0
; COMPUTE_PGM_RSRC2:USER_SGPR: 2
; COMPUTE_PGM_RSRC2:TRAP_HANDLER: 0
; COMPUTE_PGM_RSRC2:TGID_X_EN: 1
; COMPUTE_PGM_RSRC2:TGID_Y_EN: 0
; COMPUTE_PGM_RSRC2:TGID_Z_EN: 0
; COMPUTE_PGM_RSRC2:TIDIG_COMP_CNT: 0
; COMPUTE_PGM_RSRC3_GFX90A:ACCUM_OFFSET: 0
; COMPUTE_PGM_RSRC3_GFX90A:TG_SPLIT: 0
	.section	.text._ZN7rocprim17ROCPRIM_400000_NS6detail17trampoline_kernelINS0_14default_configENS1_33run_length_encode_config_selectorIajNS0_4plusIjEEEEZZNS1_33reduce_by_key_impl_wrapped_configILNS1_25lookback_scan_determinismE0ES3_S7_PKaNS0_17constant_iteratorIjlEEPaPlSF_S6_NS0_8equal_toIaEEEE10hipError_tPvRmT2_T3_mT4_T5_T6_T7_T8_P12ihipStream_tbENKUlT_T0_E_clISt17integral_constantIbLb0EESZ_EEDaSU_SV_EUlSU_E_NS1_11comp_targetILNS1_3genE5ELNS1_11target_archE942ELNS1_3gpuE9ELNS1_3repE0EEENS1_30default_config_static_selectorELNS0_4arch9wavefront6targetE1EEEvT1_,"axG",@progbits,_ZN7rocprim17ROCPRIM_400000_NS6detail17trampoline_kernelINS0_14default_configENS1_33run_length_encode_config_selectorIajNS0_4plusIjEEEEZZNS1_33reduce_by_key_impl_wrapped_configILNS1_25lookback_scan_determinismE0ES3_S7_PKaNS0_17constant_iteratorIjlEEPaPlSF_S6_NS0_8equal_toIaEEEE10hipError_tPvRmT2_T3_mT4_T5_T6_T7_T8_P12ihipStream_tbENKUlT_T0_E_clISt17integral_constantIbLb0EESZ_EEDaSU_SV_EUlSU_E_NS1_11comp_targetILNS1_3genE5ELNS1_11target_archE942ELNS1_3gpuE9ELNS1_3repE0EEENS1_30default_config_static_selectorELNS0_4arch9wavefront6targetE1EEEvT1_,comdat
	.protected	_ZN7rocprim17ROCPRIM_400000_NS6detail17trampoline_kernelINS0_14default_configENS1_33run_length_encode_config_selectorIajNS0_4plusIjEEEEZZNS1_33reduce_by_key_impl_wrapped_configILNS1_25lookback_scan_determinismE0ES3_S7_PKaNS0_17constant_iteratorIjlEEPaPlSF_S6_NS0_8equal_toIaEEEE10hipError_tPvRmT2_T3_mT4_T5_T6_T7_T8_P12ihipStream_tbENKUlT_T0_E_clISt17integral_constantIbLb0EESZ_EEDaSU_SV_EUlSU_E_NS1_11comp_targetILNS1_3genE5ELNS1_11target_archE942ELNS1_3gpuE9ELNS1_3repE0EEENS1_30default_config_static_selectorELNS0_4arch9wavefront6targetE1EEEvT1_ ; -- Begin function _ZN7rocprim17ROCPRIM_400000_NS6detail17trampoline_kernelINS0_14default_configENS1_33run_length_encode_config_selectorIajNS0_4plusIjEEEEZZNS1_33reduce_by_key_impl_wrapped_configILNS1_25lookback_scan_determinismE0ES3_S7_PKaNS0_17constant_iteratorIjlEEPaPlSF_S6_NS0_8equal_toIaEEEE10hipError_tPvRmT2_T3_mT4_T5_T6_T7_T8_P12ihipStream_tbENKUlT_T0_E_clISt17integral_constantIbLb0EESZ_EEDaSU_SV_EUlSU_E_NS1_11comp_targetILNS1_3genE5ELNS1_11target_archE942ELNS1_3gpuE9ELNS1_3repE0EEENS1_30default_config_static_selectorELNS0_4arch9wavefront6targetE1EEEvT1_
	.globl	_ZN7rocprim17ROCPRIM_400000_NS6detail17trampoline_kernelINS0_14default_configENS1_33run_length_encode_config_selectorIajNS0_4plusIjEEEEZZNS1_33reduce_by_key_impl_wrapped_configILNS1_25lookback_scan_determinismE0ES3_S7_PKaNS0_17constant_iteratorIjlEEPaPlSF_S6_NS0_8equal_toIaEEEE10hipError_tPvRmT2_T3_mT4_T5_T6_T7_T8_P12ihipStream_tbENKUlT_T0_E_clISt17integral_constantIbLb0EESZ_EEDaSU_SV_EUlSU_E_NS1_11comp_targetILNS1_3genE5ELNS1_11target_archE942ELNS1_3gpuE9ELNS1_3repE0EEENS1_30default_config_static_selectorELNS0_4arch9wavefront6targetE1EEEvT1_
	.p2align	8
	.type	_ZN7rocprim17ROCPRIM_400000_NS6detail17trampoline_kernelINS0_14default_configENS1_33run_length_encode_config_selectorIajNS0_4plusIjEEEEZZNS1_33reduce_by_key_impl_wrapped_configILNS1_25lookback_scan_determinismE0ES3_S7_PKaNS0_17constant_iteratorIjlEEPaPlSF_S6_NS0_8equal_toIaEEEE10hipError_tPvRmT2_T3_mT4_T5_T6_T7_T8_P12ihipStream_tbENKUlT_T0_E_clISt17integral_constantIbLb0EESZ_EEDaSU_SV_EUlSU_E_NS1_11comp_targetILNS1_3genE5ELNS1_11target_archE942ELNS1_3gpuE9ELNS1_3repE0EEENS1_30default_config_static_selectorELNS0_4arch9wavefront6targetE1EEEvT1_,@function
_ZN7rocprim17ROCPRIM_400000_NS6detail17trampoline_kernelINS0_14default_configENS1_33run_length_encode_config_selectorIajNS0_4plusIjEEEEZZNS1_33reduce_by_key_impl_wrapped_configILNS1_25lookback_scan_determinismE0ES3_S7_PKaNS0_17constant_iteratorIjlEEPaPlSF_S6_NS0_8equal_toIaEEEE10hipError_tPvRmT2_T3_mT4_T5_T6_T7_T8_P12ihipStream_tbENKUlT_T0_E_clISt17integral_constantIbLb0EESZ_EEDaSU_SV_EUlSU_E_NS1_11comp_targetILNS1_3genE5ELNS1_11target_archE942ELNS1_3gpuE9ELNS1_3repE0EEENS1_30default_config_static_selectorELNS0_4arch9wavefront6targetE1EEEvT1_: ; @_ZN7rocprim17ROCPRIM_400000_NS6detail17trampoline_kernelINS0_14default_configENS1_33run_length_encode_config_selectorIajNS0_4plusIjEEEEZZNS1_33reduce_by_key_impl_wrapped_configILNS1_25lookback_scan_determinismE0ES3_S7_PKaNS0_17constant_iteratorIjlEEPaPlSF_S6_NS0_8equal_toIaEEEE10hipError_tPvRmT2_T3_mT4_T5_T6_T7_T8_P12ihipStream_tbENKUlT_T0_E_clISt17integral_constantIbLb0EESZ_EEDaSU_SV_EUlSU_E_NS1_11comp_targetILNS1_3genE5ELNS1_11target_archE942ELNS1_3gpuE9ELNS1_3repE0EEENS1_30default_config_static_selectorELNS0_4arch9wavefront6targetE1EEEvT1_
; %bb.0:
	s_load_dwordx8 s[36:43], s[0:1], 0x40
	s_load_dwordx4 s[4:7], s[0:1], 0x0
	s_load_dword s3, s[0:1], 0x10
	s_load_dwordx4 s[44:47], s[0:1], 0x60
	s_mov_b64 s[12:13], -1
	s_waitcnt lgkmcnt(0)
	s_mul_i32 s8, s40, s39
	s_mul_hi_u32 s9, s40, s38
	s_add_i32 s8, s9, s8
	s_mul_i32 s9, s41, s38
	s_add_i32 s8, s8, s9
	s_add_u32 s4, s4, s6
	s_addc_u32 s5, s5, s7
	s_mul_i32 s6, s2, 0x1e00
	s_add_u32 s6, s4, s6
	s_mul_i32 s9, s40, s38
	s_addc_u32 s7, s5, 0
	s_add_u32 s4, s9, s2
	s_addc_u32 s5, s8, 0
	s_add_u32 s8, s42, -1
	s_addc_u32 s9, s43, -1
	s_cmp_eq_u64 s[4:5], s[8:9]
	s_cselect_b64 s[34:35], -1, 0
	s_cmp_lg_u64 s[4:5], s[8:9]
	s_cselect_b64 s[10:11], -1, 0
	s_mul_i32 s33, s8, 0xffffe200
	s_and_b64 vcc, exec, s[34:35]
	v_mad_u32_u24 v2, v0, 14, v0
	s_cbranch_vccnz .LBB236_2
; %bb.1:
	v_mov_b32_e32 v1, 0
	v_lshl_add_u64 v[4:5], s[6:7], 0, v[0:1]
	v_add_co_u32_e32 v4, vcc, 0x1000, v4
	global_load_ubyte v1, v0, s[6:7]
	global_load_ubyte v3, v0, s[6:7] offset:512
	global_load_ubyte v6, v0, s[6:7] offset:1024
	global_load_ubyte v7, v0, s[6:7] offset:1536
	global_load_ubyte v8, v0, s[6:7] offset:2048
	global_load_ubyte v9, v0, s[6:7] offset:2560
	global_load_ubyte v10, v0, s[6:7] offset:3072
	global_load_ubyte v11, v0, s[6:7] offset:3584
	v_addc_co_u32_e32 v5, vcc, 0, v5, vcc
	global_load_ubyte v12, v[4:5], off
	global_load_ubyte v13, v[4:5], off offset:512
	global_load_ubyte v14, v[4:5], off offset:1024
	;; [unrolled: 1-line block ×6, first 2 shown]
	s_mov_b64 s[8:9], -1
	s_waitcnt vmcnt(14)
	ds_write_b8 v0, v1
	s_waitcnt vmcnt(13)
	ds_write_b8 v0, v3 offset:512
	s_waitcnt vmcnt(12)
	ds_write_b8 v0, v6 offset:1024
	;; [unrolled: 2-line block ×14, first 2 shown]
	s_waitcnt lgkmcnt(0)
	s_barrier
	ds_read_b96 v[8:10], v2
	ds_read_u8 v56, v2 offset:12
	ds_read_u8 v11, v2 offset:13
	;; [unrolled: 1-line block ×3, first 2 shown]
	s_waitcnt lgkmcnt(3)
	v_lshrrev_b32_e32 v67, 8, v8
	v_lshrrev_b32_e32 v65, 16, v8
	;; [unrolled: 1-line block ×9, first 2 shown]
	s_add_i32 s33, s33, s44
	s_cbranch_execz .LBB236_3
	s_branch .LBB236_34
.LBB236_2:
	s_mov_b64 s[8:9], 0
                                        ; implicit-def: $vgpr8
                                        ; implicit-def: $vgpr67
                                        ; implicit-def: $vgpr65
                                        ; implicit-def: $vgpr64
                                        ; implicit-def: $vgpr62
                                        ; implicit-def: $vgpr61
                                        ; implicit-def: $vgpr60
                                        ; implicit-def: $vgpr59
                                        ; implicit-def: $vgpr58
                                        ; implicit-def: $vgpr57
                                        ; implicit-def: $vgpr56
                                        ; implicit-def: $vgpr11
                                        ; implicit-def: $vgpr1
	s_add_i32 s33, s33, s44
	s_andn2_b64 vcc, exec, s[12:13]
	s_cbranch_vccnz .LBB236_34
.LBB236_3:
	v_cmp_gt_u32_e32 vcc, s33, v0
                                        ; implicit-def: $vgpr1
	s_and_saveexec_b64 s[8:9], vcc
	s_cbranch_execz .LBB236_5
; %bb.4:
	s_waitcnt lgkmcnt(0)
	global_load_ubyte v1, v0, s[6:7]
.LBB236_5:
	s_or_b64 exec, exec, s[8:9]
	v_or_b32_e32 v3, 0x200, v0
	v_cmp_gt_u32_e32 vcc, s33, v3
                                        ; implicit-def: $vgpr3
	s_and_saveexec_b64 s[8:9], vcc
	s_cbranch_execz .LBB236_7
; %bb.6:
	global_load_ubyte v3, v0, s[6:7] offset:512
.LBB236_7:
	s_or_b64 exec, exec, s[8:9]
	v_or_b32_e32 v4, 0x400, v0
	v_cmp_gt_u32_e32 vcc, s33, v4
                                        ; implicit-def: $vgpr4
	s_and_saveexec_b64 s[8:9], vcc
	s_cbranch_execz .LBB236_9
; %bb.8:
	global_load_ubyte v4, v0, s[6:7] offset:1024
.LBB236_9:
	s_or_b64 exec, exec, s[8:9]
	v_or_b32_e32 v5, 0x600, v0
	v_cmp_gt_u32_e32 vcc, s33, v5
                                        ; implicit-def: $vgpr5
	s_and_saveexec_b64 s[8:9], vcc
	s_cbranch_execz .LBB236_11
; %bb.10:
	global_load_ubyte v5, v0, s[6:7] offset:1536
.LBB236_11:
	s_or_b64 exec, exec, s[8:9]
	v_or_b32_e32 v6, 0x800, v0
	v_cmp_gt_u32_e32 vcc, s33, v6
                                        ; implicit-def: $vgpr6
	s_and_saveexec_b64 s[8:9], vcc
	s_cbranch_execz .LBB236_13
; %bb.12:
	global_load_ubyte v6, v0, s[6:7] offset:2048
.LBB236_13:
	s_or_b64 exec, exec, s[8:9]
	v_or_b32_e32 v7, 0xa00, v0
	v_cmp_gt_u32_e32 vcc, s33, v7
                                        ; implicit-def: $vgpr7
	s_and_saveexec_b64 s[8:9], vcc
	s_cbranch_execz .LBB236_15
; %bb.14:
	global_load_ubyte v7, v0, s[6:7] offset:2560
.LBB236_15:
	s_or_b64 exec, exec, s[8:9]
	v_or_b32_e32 v8, 0xc00, v0
	v_cmp_gt_u32_e32 vcc, s33, v8
                                        ; implicit-def: $vgpr8
	s_and_saveexec_b64 s[8:9], vcc
	s_cbranch_execz .LBB236_17
; %bb.16:
	global_load_ubyte v8, v0, s[6:7] offset:3072
.LBB236_17:
	s_or_b64 exec, exec, s[8:9]
	v_or_b32_e32 v9, 0xe00, v0
	v_cmp_gt_u32_e32 vcc, s33, v9
                                        ; implicit-def: $vgpr9
	s_and_saveexec_b64 s[8:9], vcc
	s_cbranch_execz .LBB236_19
; %bb.18:
	global_load_ubyte v9, v0, s[6:7] offset:3584
.LBB236_19:
	s_or_b64 exec, exec, s[8:9]
	s_waitcnt lgkmcnt(1)
	v_or_b32_e32 v11, 0x1000, v0
	v_cmp_gt_u32_e32 vcc, s33, v11
                                        ; implicit-def: $vgpr10
	s_and_saveexec_b64 s[8:9], vcc
	s_cbranch_execz .LBB236_21
; %bb.20:
	global_load_ubyte v10, v11, s[6:7]
.LBB236_21:
	s_or_b64 exec, exec, s[8:9]
	v_or_b32_e32 v12, 0x1200, v0
	v_cmp_gt_u32_e32 vcc, s33, v12
                                        ; implicit-def: $vgpr11
	s_and_saveexec_b64 s[8:9], vcc
	s_cbranch_execz .LBB236_23
; %bb.22:
	global_load_ubyte v11, v12, s[6:7]
.LBB236_23:
	s_or_b64 exec, exec, s[8:9]
	v_or_b32_e32 v13, 0x1400, v0
	v_cmp_gt_u32_e32 vcc, s33, v13
                                        ; implicit-def: $vgpr12
	s_and_saveexec_b64 s[8:9], vcc
	s_cbranch_execz .LBB236_25
; %bb.24:
	global_load_ubyte v12, v13, s[6:7]
.LBB236_25:
	s_or_b64 exec, exec, s[8:9]
	v_or_b32_e32 v14, 0x1600, v0
	v_cmp_gt_u32_e32 vcc, s33, v14
                                        ; implicit-def: $vgpr13
	s_and_saveexec_b64 s[8:9], vcc
	s_cbranch_execz .LBB236_27
; %bb.26:
	global_load_ubyte v13, v14, s[6:7]
.LBB236_27:
	s_or_b64 exec, exec, s[8:9]
	v_or_b32_e32 v15, 0x1800, v0
	v_cmp_gt_u32_e32 vcc, s33, v15
                                        ; implicit-def: $vgpr14
	s_and_saveexec_b64 s[8:9], vcc
	s_cbranch_execz .LBB236_29
; %bb.28:
	global_load_ubyte v14, v15, s[6:7]
.LBB236_29:
	s_or_b64 exec, exec, s[8:9]
	v_or_b32_e32 v16, 0x1a00, v0
	v_cmp_gt_u32_e32 vcc, s33, v16
                                        ; implicit-def: $vgpr15
	s_and_saveexec_b64 s[8:9], vcc
	s_cbranch_execz .LBB236_31
; %bb.30:
	global_load_ubyte v15, v16, s[6:7]
.LBB236_31:
	s_or_b64 exec, exec, s[8:9]
	v_or_b32_e32 v17, 0x1c00, v0
	v_cmp_gt_u32_e32 vcc, s33, v17
                                        ; implicit-def: $vgpr16
	s_and_saveexec_b64 s[8:9], vcc
	s_cbranch_execz .LBB236_33
; %bb.32:
	global_load_ubyte v16, v17, s[6:7]
.LBB236_33:
	s_or_b64 exec, exec, s[8:9]
	s_waitcnt vmcnt(0) lgkmcnt(0)
	ds_write_b8 v0, v1
	ds_write_b8 v0, v3 offset:512
	ds_write_b8 v0, v4 offset:1024
	;; [unrolled: 1-line block ×14, first 2 shown]
	s_waitcnt lgkmcnt(0)
	s_barrier
	ds_read_b96 v[8:10], v2
	ds_read_u8 v56, v2 offset:12
	ds_read_u8 v11, v2 offset:13
	;; [unrolled: 1-line block ×3, first 2 shown]
	v_mad_u32_u24 v2, v0, 15, 14
	s_waitcnt lgkmcnt(3)
	v_lshrrev_b32_e32 v67, 8, v8
	v_lshrrev_b32_e32 v65, 16, v8
	;; [unrolled: 1-line block ×9, first 2 shown]
	v_cmp_gt_u32_e64 s[8:9], s33, v2
.LBB236_34:
	v_mov_b32_e32 v52, s3
                                        ; implicit-def: $vgpr53
	s_and_saveexec_b64 s[12:13], s[8:9]
; %bb.35:
	v_mov_b32_e32 v53, s3
; %bb.36:
	s_or_b64 exec, exec, s[12:13]
	s_load_dwordx2 s[50:51], s[0:1], 0x70
	s_cmp_eq_u64 s[4:5], 0
	s_cselect_b64 s[48:49], -1, 0
	s_cmp_lg_u64 s[4:5], 0
	s_mov_b64 s[8:9], 0
	s_cselect_b64 s[12:13], -1, 0
	s_and_b64 vcc, exec, s[10:11]
	s_waitcnt lgkmcnt(0)
	s_barrier
	s_cbranch_vccz .LBB236_42
; %bb.37:
	s_and_b64 vcc, exec, s[12:13]
	s_cbranch_vccz .LBB236_43
; %bb.38:
	v_mov_b32_e32 v2, 0
	global_load_ubyte v2, v2, s[6:7] offset:-1
	v_cmp_ne_u16_sdwa s[8:9], v11, v1 src0_sel:BYTE_0 src1_sel:BYTE_0
	v_cmp_ne_u16_sdwa s[10:11], v56, v11 src0_sel:BYTE_0 src1_sel:BYTE_0
	;; [unrolled: 1-line block ×14, first 2 shown]
	v_cmp_ne_u32_e32 vcc, 0, v0
	ds_write_b8 v0, v1
	s_waitcnt lgkmcnt(0)
	s_barrier
	s_and_saveexec_b64 s[54:55], vcc
	s_cbranch_execz .LBB236_40
; %bb.39:
	s_waitcnt vmcnt(0)
	v_add_u32_e32 v2, -1, v0
	ds_read_u8 v2, v2
.LBB236_40:
	s_or_b64 exec, exec, s[54:55]
	s_waitcnt vmcnt(0) lgkmcnt(0)
	v_and_b32_e32 v2, 0xff, v2
	v_cndmask_b32_e64 v63, 0, 1, s[8:9]
	v_cndmask_b32_e64 v66, 0, 1, s[10:11]
	;; [unrolled: 1-line block ×14, first 2 shown]
	v_cmp_ne_u16_sdwa s[10:11], v2, v8 src0_sel:DWORD src1_sel:BYTE_0
	s_mov_b64 s[8:9], -1
.LBB236_41:
                                        ; implicit-def: $sgpr3
	s_branch .LBB236_55
.LBB236_42:
                                        ; implicit-def: $sgpr10_sgpr11
                                        ; implicit-def: $vgpr63
                                        ; implicit-def: $vgpr66
                                        ; implicit-def: $vgpr68
                                        ; implicit-def: $vgpr69
                                        ; implicit-def: $vgpr70
                                        ; implicit-def: $vgpr71
                                        ; implicit-def: $vgpr72
                                        ; implicit-def: $vgpr21
                                        ; implicit-def: $vgpr73
                                        ; implicit-def: $vgpr74
                                        ; implicit-def: $vgpr75
                                        ; implicit-def: $vgpr76
                                        ; implicit-def: $vgpr77
                                        ; implicit-def: $vgpr78
                                        ; implicit-def: $sgpr3
	s_cbranch_execnz .LBB236_47
	s_branch .LBB236_55
.LBB236_43:
                                        ; implicit-def: $sgpr10_sgpr11
                                        ; implicit-def: $vgpr63
                                        ; implicit-def: $vgpr66
                                        ; implicit-def: $vgpr68
                                        ; implicit-def: $vgpr69
                                        ; implicit-def: $vgpr70
                                        ; implicit-def: $vgpr71
                                        ; implicit-def: $vgpr72
                                        ; implicit-def: $vgpr21
                                        ; implicit-def: $vgpr73
                                        ; implicit-def: $vgpr74
                                        ; implicit-def: $vgpr75
                                        ; implicit-def: $vgpr76
                                        ; implicit-def: $vgpr77
                                        ; implicit-def: $vgpr78
	s_cbranch_execz .LBB236_41
; %bb.44:
	v_cmp_ne_u16_sdwa s[10:11], v11, v1 src0_sel:BYTE_0 src1_sel:BYTE_0
	v_cmp_ne_u32_e32 vcc, 0, v0
	ds_write_b8 v0, v1
	v_cndmask_b32_e64 v63, 0, 1, s[10:11]
	v_cmp_ne_u16_sdwa s[10:11], v56, v11 src0_sel:BYTE_0 src1_sel:BYTE_0
	s_waitcnt lgkmcnt(0)
	s_barrier
	v_cndmask_b32_e64 v66, 0, 1, s[10:11]
	v_cmp_ne_u16_sdwa s[10:11], v57, v56 src0_sel:BYTE_0 src1_sel:BYTE_0
	s_nop 1
	v_cndmask_b32_e64 v68, 0, 1, s[10:11]
	v_cmp_ne_u16_sdwa s[10:11], v58, v57 src0_sel:BYTE_0 src1_sel:BYTE_0
	s_nop 1
	;; [unrolled: 3-line block ×12, first 2 shown]
	v_cndmask_b32_e64 v78, 0, 1, s[10:11]
                                        ; implicit-def: $sgpr10_sgpr11
	s_and_saveexec_b64 s[14:15], vcc
	s_xor_b64 s[14:15], exec, s[14:15]
	s_cbranch_execz .LBB236_46
; %bb.45:
	v_add_u32_e32 v2, -1, v0
	ds_read_u8 v2, v2
	s_or_b64 s[8:9], s[8:9], exec
	s_waitcnt lgkmcnt(0)
	v_cmp_ne_u16_sdwa s[10:11], v2, v8 src0_sel:DWORD src1_sel:BYTE_0
	s_and_b64 s[10:11], s[10:11], exec
.LBB236_46:
	s_or_b64 exec, exec, s[14:15]
	s_mov_b32 s3, 1
	s_branch .LBB236_55
.LBB236_47:
	s_mul_i32 s3, s5, 0xffffe200
	s_mul_hi_u32 s5, s4, 0xffffe200
	s_sub_i32 s5, s5, s4
	s_add_i32 s5, s5, s3
	s_mul_i32 s3, s4, 0xffffe200
	s_add_u32 s14, s3, s44
	s_addc_u32 s15, s5, s45
	s_and_b64 vcc, exec, s[12:13]
	v_mad_u32_u24 v2, v0, 15, 14
	v_cmp_ne_u16_sdwa s[52:53], v11, v1 src0_sel:BYTE_0 src1_sel:BYTE_0
	v_mad_u32_u24 v32, v0, 15, 13
	v_cmp_ne_u16_sdwa s[44:45], v56, v11 src0_sel:BYTE_0 src1_sel:BYTE_0
	;; [unrolled: 2-line block ×14, first 2 shown]
	v_cmp_ne_u32_e64 s[4:5], 0, v0
	s_cbranch_vccz .LBB236_52
; %bb.48:
	v_mov_b32_e32 v3, 0
	global_load_ubyte v36, v3, s[6:7] offset:-1
	v_cmp_gt_u64_e32 vcc, s[14:15], v[2:3]
	v_mov_b32_e32 v33, v3
	s_and_b64 s[6:7], vcc, s[52:53]
	v_cmp_gt_u64_e32 vcc, s[14:15], v[32:33]
	v_mov_b32_e32 v31, v3
	s_and_b64 s[8:9], vcc, s[44:45]
	;; [unrolled: 3-line block ×13, first 2 shown]
	v_cmp_gt_u64_e32 vcc, s[14:15], v[4:5]
	v_mul_u32_u24_e32 v34, 15, v0
	s_and_b64 s[12:13], vcc, s[12:13]
	ds_write_b8 v0, v1
	s_waitcnt lgkmcnt(0)
	s_barrier
	s_and_saveexec_b64 s[44:45], s[4:5]
	s_cbranch_execz .LBB236_50
; %bb.49:
	v_add_u32_e32 v5, -1, v0
	s_waitcnt vmcnt(0)
	ds_read_u8 v36, v5
.LBB236_50:
	s_or_b64 exec, exec, s[44:45]
	v_mov_b32_e32 v35, v3
	s_waitcnt vmcnt(0) lgkmcnt(0)
	v_and_b32_e32 v3, 0xff, v36
	v_cmp_gt_u64_e32 vcc, s[14:15], v[34:35]
	v_cmp_ne_u16_sdwa s[4:5], v3, v8 src0_sel:DWORD src1_sel:BYTE_0
	v_cndmask_b32_e64 v63, 0, 1, s[6:7]
	v_cndmask_b32_e64 v66, 0, 1, s[8:9]
	;; [unrolled: 1-line block ×14, first 2 shown]
	s_and_b64 s[10:11], vcc, s[4:5]
	s_mov_b64 s[8:9], -1
.LBB236_51:
                                        ; implicit-def: $sgpr3
	v_mov_b32_e32 v79, s3
	s_and_saveexec_b64 s[4:5], s[8:9]
	s_cbranch_execnz .LBB236_56
	s_branch .LBB236_57
.LBB236_52:
                                        ; implicit-def: $sgpr10_sgpr11
                                        ; implicit-def: $vgpr63
                                        ; implicit-def: $vgpr66
                                        ; implicit-def: $vgpr68
                                        ; implicit-def: $vgpr69
                                        ; implicit-def: $vgpr70
                                        ; implicit-def: $vgpr71
                                        ; implicit-def: $vgpr72
                                        ; implicit-def: $vgpr21
                                        ; implicit-def: $vgpr73
                                        ; implicit-def: $vgpr74
                                        ; implicit-def: $vgpr75
                                        ; implicit-def: $vgpr76
                                        ; implicit-def: $vgpr77
                                        ; implicit-def: $vgpr78
	s_cbranch_execz .LBB236_51
; %bb.53:
	v_mov_b32_e32 v3, 0
	v_cmp_gt_u64_e32 vcc, s[14:15], v[2:3]
	v_cmp_ne_u16_sdwa s[4:5], v11, v1 src0_sel:BYTE_0 src1_sel:BYTE_0
	s_and_b64 s[4:5], vcc, s[4:5]
	v_mov_b32_e32 v33, v3
	v_cndmask_b32_e64 v63, 0, 1, s[4:5]
	v_cmp_gt_u64_e32 vcc, s[14:15], v[32:33]
	v_cmp_ne_u16_sdwa s[4:5], v56, v11 src0_sel:BYTE_0 src1_sel:BYTE_0
	s_and_b64 s[4:5], vcc, s[4:5]
	v_mov_b32_e32 v31, v3
	v_cndmask_b32_e64 v66, 0, 1, s[4:5]
	;; [unrolled: 5-line block ×13, first 2 shown]
	v_cmp_gt_u64_e32 vcc, s[14:15], v[4:5]
	v_cmp_ne_u16_sdwa s[4:5], v8, v67 src0_sel:BYTE_0 src1_sel:BYTE_0
	s_and_b64 s[4:5], vcc, s[4:5]
	s_mov_b32 s3, 1
	v_cndmask_b32_e64 v78, 0, 1, s[4:5]
	v_cmp_ne_u32_e32 vcc, 0, v0
	ds_write_b8 v0, v1
	s_waitcnt lgkmcnt(0)
	s_barrier
	s_waitcnt lgkmcnt(0)
                                        ; implicit-def: $sgpr10_sgpr11
	s_and_saveexec_b64 s[4:5], vcc
	s_cbranch_execz .LBB236_145
; %bb.54:
	v_add_u32_e32 v2, -1, v0
	ds_read_u8 v4, v2
	v_mul_u32_u24_e32 v2, 15, v0
	v_cmp_gt_u64_e32 vcc, s[14:15], v[2:3]
	s_or_b64 s[8:9], s[8:9], exec
	s_waitcnt lgkmcnt(0)
	v_and_b32_e32 v2, 0xff, v4
	v_cmp_ne_u16_sdwa s[6:7], v2, v8 src0_sel:DWORD src1_sel:BYTE_0
	s_and_b64 s[6:7], vcc, s[6:7]
	s_and_b64 s[10:11], s[6:7], exec
	s_or_b64 exec, exec, s[4:5]
.LBB236_55:
	v_mov_b32_e32 v79, s3
	s_and_saveexec_b64 s[4:5], s[8:9]
.LBB236_56:
	v_cndmask_b32_e64 v79, 0, 1, s[10:11]
.LBB236_57:
	s_or_b64 exec, exec, s[4:5]
	s_load_dwordx4 s[40:43], s[0:1], 0x20
	s_load_dwordx2 s[44:45], s[0:1], 0x30
	s_cmp_eq_u64 s[38:39], 0
	v_add3_u32 v2, v78, v79, v77
	s_cselect_b64 s[38:39], -1, 0
	s_cmp_lg_u32 s2, 0
	v_cmp_eq_u32_e64 s[24:25], 0, v78
	v_cmp_eq_u32_e64 s[22:23], 0, v77
	;; [unrolled: 1-line block ×3, first 2 shown]
	v_add3_u32 v81, v2, v76, v75
	v_cmp_eq_u32_e64 s[18:19], 0, v75
	v_cmp_eq_u32_e64 s[16:17], 0, v74
	;; [unrolled: 1-line block ×10, first 2 shown]
	v_cmp_eq_u32_e32 vcc, 0, v63
	v_mbcnt_lo_u32_b32 v80, -1, 0
	v_lshrrev_b32_e32 v54, 6, v0
	v_or_b32_e32 v55, 63, v0
	s_cbranch_scc0 .LBB236_84
; %bb.58:
	v_cndmask_b32_e64 v2, 0, v52, s[24:25]
	v_add_u32_e32 v2, v2, v52
	v_cndmask_b32_e64 v2, 0, v2, s[22:23]
	v_add_u32_e32 v2, v2, v52
	;; [unrolled: 2-line block ×11, first 2 shown]
	v_cndmask_b32_e64 v2, 0, v2, s[28:29]
	v_add3_u32 v3, v81, v74, v73
	v_add_u32_e32 v2, v2, v52
	v_add3_u32 v3, v3, v21, v72
	v_cndmask_b32_e64 v2, 0, v2, s[0:1]
	v_add3_u32 v3, v3, v71, v70
	v_add_u32_e32 v2, v2, v52
	v_add3_u32 v3, v3, v69, v68
	v_cndmask_b32_e32 v2, 0, v2, vcc
	v_add3_u32 v3, v3, v66, v63
	v_add_u32_e32 v2, v2, v53
	v_mbcnt_hi_u32_b32 v15, -1, v80
	v_and_b32_e32 v4, 15, v15
	v_mov_b32_dpp v6, v2 row_shr:1 row_mask:0xf bank_mask:0xf
	v_cmp_eq_u32_e32 vcc, 0, v3
	v_mov_b32_dpp v5, v3 row_shr:1 row_mask:0xf bank_mask:0xf
	v_cmp_lt_u32_e64 s[26:27], 1, v4
	v_cndmask_b32_e32 v6, 0, v6, vcc
	v_cmp_eq_u32_e32 vcc, 0, v4
	s_nop 1
	v_cndmask_b32_e64 v5, v5, 0, vcc
	v_add_u32_e32 v3, v5, v3
	v_cndmask_b32_e64 v5, v6, 0, vcc
	v_add_u32_e32 v2, v5, v2
	v_cmp_eq_u32_e32 vcc, 0, v3
	v_mov_b32_dpp v5, v3 row_shr:2 row_mask:0xf bank_mask:0xf
	v_mov_b32_dpp v6, v2 row_shr:2 row_mask:0xf bank_mask:0xf
	v_cndmask_b32_e64 v5, 0, v5, s[26:27]
	s_and_b64 vcc, s[26:27], vcc
	v_cndmask_b32_e32 v6, 0, v6, vcc
	v_add_u32_e32 v3, v3, v5
	v_add_u32_e32 v2, v6, v2
	v_cmp_eq_u32_e32 vcc, 0, v3
	v_mov_b32_dpp v5, v3 row_shr:4 row_mask:0xf bank_mask:0xf
	v_cmp_lt_u32_e64 s[26:27], 3, v4
	v_mov_b32_dpp v6, v2 row_shr:4 row_mask:0xf bank_mask:0xf
	s_and_b64 vcc, s[26:27], vcc
	v_cndmask_b32_e64 v5, 0, v5, s[26:27]
	v_cndmask_b32_e32 v6, 0, v6, vcc
	v_add_u32_e32 v3, v5, v3
	v_add_u32_e32 v2, v2, v6
	v_cmp_eq_u32_e32 vcc, 0, v3
	v_cmp_lt_u32_e64 s[26:27], 7, v4
	v_mov_b32_dpp v5, v3 row_shr:8 row_mask:0xf bank_mask:0xf
	v_mov_b32_dpp v6, v2 row_shr:8 row_mask:0xf bank_mask:0xf
	s_and_b64 vcc, s[26:27], vcc
	v_cndmask_b32_e64 v4, 0, v5, s[26:27]
	v_cndmask_b32_e32 v5, 0, v6, vcc
	v_add_u32_e32 v2, v5, v2
	v_add_u32_e32 v3, v4, v3
	v_bfe_i32 v6, v15, 4, 1
	v_mov_b32_dpp v5, v2 row_bcast:15 row_mask:0xf bank_mask:0xf
	v_mov_b32_dpp v4, v3 row_bcast:15 row_mask:0xf bank_mask:0xf
	v_cmp_eq_u32_e32 vcc, 0, v3
	v_and_b32_e32 v4, v6, v4
	v_add_u32_e32 v3, v4, v3
	v_cndmask_b32_e32 v5, 0, v5, vcc
	v_and_b32_e32 v4, v6, v5
	v_add_u32_e32 v4, v4, v2
	v_mov_b32_dpp v2, v3 row_bcast:31 row_mask:0xf bank_mask:0xf
	v_cmp_eq_u32_e32 vcc, 0, v3
	v_cmp_lt_u32_e64 s[26:27], 31, v15
	v_mov_b32_dpp v5, v4 row_bcast:31 row_mask:0xf bank_mask:0xf
	s_and_b64 vcc, s[26:27], vcc
	v_cndmask_b32_e64 v2, 0, v2, s[26:27]
	v_add_u32_e32 v2, v2, v3
	v_cndmask_b32_e32 v3, 0, v5, vcc
	v_add_u32_e32 v3, v3, v4
	v_cmp_eq_u32_e32 vcc, v55, v0
	v_lshlrev_b32_e32 v4, 3, v54
	s_and_saveexec_b64 s[26:27], vcc
	s_cbranch_execz .LBB236_60
; %bb.59:
	ds_write_b64 v4, v[2:3] offset:1040
.LBB236_60:
	s_or_b64 exec, exec, s[26:27]
	v_cmp_gt_u32_e32 vcc, 8, v0
	s_waitcnt lgkmcnt(0)
	s_barrier
	s_and_saveexec_b64 s[30:31], vcc
	s_cbranch_execz .LBB236_62
; %bb.61:
	v_lshlrev_b32_e32 v5, 3, v0
	ds_read_b64 v[6:7], v5 offset:1040
	v_and_b32_e32 v12, 7, v15
	v_cmp_lt_u32_e64 s[26:27], 1, v12
	s_waitcnt lgkmcnt(0)
	v_mov_b32_dpp v14, v7 row_shr:1 row_mask:0xf bank_mask:0xf
	v_cmp_eq_u32_e32 vcc, 0, v6
	v_mov_b32_dpp v13, v6 row_shr:1 row_mask:0xf bank_mask:0xf
	s_nop 0
	v_cndmask_b32_e32 v14, 0, v14, vcc
	v_cmp_eq_u32_e32 vcc, 0, v12
	s_nop 1
	v_cndmask_b32_e64 v13, v13, 0, vcc
	v_add_u32_e32 v6, v13, v6
	v_cndmask_b32_e64 v13, v14, 0, vcc
	v_add_u32_e32 v7, v13, v7
	v_cmp_eq_u32_e32 vcc, 0, v6
	v_mov_b32_dpp v13, v6 row_shr:2 row_mask:0xf bank_mask:0xf
	v_mov_b32_dpp v14, v7 row_shr:2 row_mask:0xf bank_mask:0xf
	v_cndmask_b32_e64 v13, 0, v13, s[26:27]
	s_and_b64 vcc, s[26:27], vcc
	v_cndmask_b32_e32 v14, 0, v14, vcc
	v_add_u32_e32 v6, v13, v6
	v_add_u32_e32 v7, v14, v7
	v_cmp_eq_u32_e32 vcc, 0, v6
	v_mov_b32_dpp v13, v6 row_shr:4 row_mask:0xf bank_mask:0xf
	v_cmp_lt_u32_e64 s[26:27], 3, v12
	v_mov_b32_dpp v14, v7 row_shr:4 row_mask:0xf bank_mask:0xf
	s_and_b64 vcc, s[26:27], vcc
	v_cndmask_b32_e64 v12, 0, v13, s[26:27]
	v_add_u32_e32 v6, v12, v6
	v_cndmask_b32_e32 v12, 0, v14, vcc
	v_add_u32_e32 v7, v12, v7
	ds_write_b64 v5, v[6:7] offset:1040
.LBB236_62:
	s_or_b64 exec, exec, s[30:31]
	v_cmp_gt_u32_e32 vcc, 64, v0
	v_cmp_lt_u32_e64 s[26:27], 63, v0
	v_mov_b32_e32 v12, 0
	v_mov_b32_e32 v13, 0
	s_waitcnt lgkmcnt(0)
	s_barrier
	s_and_saveexec_b64 s[30:31], s[26:27]
	s_cbranch_execz .LBB236_64
; %bb.63:
	ds_read_b64 v[12:13], v4 offset:1032
	v_cmp_eq_u32_e64 s[26:27], 0, v2
	s_waitcnt lgkmcnt(0)
	v_add_u32_e32 v4, v12, v2
	v_cndmask_b32_e64 v2, 0, v13, s[26:27]
	v_add_u32_e32 v3, v2, v3
	v_mov_b32_e32 v2, v4
.LBB236_64:
	s_or_b64 exec, exec, s[30:31]
	v_add_u32_e32 v4, -1, v15
	v_and_b32_e32 v5, 64, v15
	v_cmp_lt_i32_e64 s[26:27], v4, v5
	s_nop 1
	v_cndmask_b32_e64 v4, v4, v15, s[26:27]
	v_lshlrev_b32_e32 v4, 2, v4
	ds_bpermute_b32 v20, v4, v2
	ds_bpermute_b32 v22, v4, v3
	v_cmp_eq_u32_e64 s[26:27], 0, v15
	s_and_saveexec_b64 s[52:53], vcc
	s_cbranch_execz .LBB236_83
; %bb.65:
	v_mov_b32_e32 v7, 0
	ds_read_b64 v[2:3], v7 offset:1096
	s_waitcnt lgkmcnt(0)
	v_readfirstlane_b32 s3, v2
	v_readfirstlane_b32 s56, v3
	s_and_saveexec_b64 s[30:31], s[26:27]
	s_cbranch_execz .LBB236_67
; %bb.66:
	s_add_i32 s54, s2, 64
	s_mov_b32 s55, 0
	s_lshl_b64 s[58:59], s[54:55], 4
	s_add_u32 s58, s36, s58
	s_addc_u32 s59, s37, s59
	s_and_b32 s61, s56, 0xff000000
	s_mov_b32 s60, s55
	s_and_b32 s63, s56, 0xff0000
	s_mov_b32 s62, s55
	s_or_b64 s[60:61], s[62:63], s[60:61]
	s_and_b32 s63, s56, 0xff00
	s_or_b64 s[60:61], s[60:61], s[62:63]
	s_and_b32 s63, s56, 0xff
	s_or_b64 s[54:55], s[60:61], s[62:63]
	v_mov_b32_e32 v4, s3
	v_mov_b32_e32 v5, s55
	;; [unrolled: 1-line block ×3, first 2 shown]
	v_mov_b64_e32 v[2:3], s[58:59]
	;;#ASMSTART
	global_store_dwordx4 v[2:3], v[4:7] off sc1	
s_waitcnt vmcnt(0)
	;;#ASMEND
.LBB236_67:
	s_or_b64 exec, exec, s[30:31]
	v_xad_u32 v14, v15, -1, s2
	v_add_u32_e32 v6, 64, v14
	v_lshl_add_u64 v[16:17], v[6:7], 4, s[36:37]
	;;#ASMSTART
	global_load_dwordx4 v[2:5], v[16:17] off sc1	
s_waitcnt vmcnt(0)
	;;#ASMEND
	s_nop 0
	v_and_b32_e32 v5, 0xff, v3
	v_and_b32_e32 v6, 0xff00, v3
	v_or3_b32 v2, v2, 0, 0
	v_and_b32_e32 v18, 0xff000000, v3
	v_or3_b32 v5, 0, v5, v6
	;; [unrolled: 2-line block ×3, first 2 shown]
	v_or3_b32 v2, v2, 0, 0
	v_cmp_eq_u16_sdwa s[54:55], v4, v7 src0_sel:BYTE_0 src1_sel:DWORD
	s_and_saveexec_b64 s[30:31], s[54:55]
	s_cbranch_execz .LBB236_71
; %bb.68:
	s_mov_b64 s[54:55], 0
	v_mov_b32_e32 v6, 0
.LBB236_69:                             ; =>This Inner Loop Header: Depth=1
	;;#ASMSTART
	global_load_dwordx4 v[2:5], v[16:17] off sc1	
s_waitcnt vmcnt(0)
	;;#ASMEND
	s_nop 0
	v_cmp_ne_u16_sdwa s[58:59], v4, v6 src0_sel:BYTE_0 src1_sel:DWORD
	s_or_b64 s[54:55], s[58:59], s[54:55]
	s_andn2_b64 exec, exec, s[54:55]
	s_cbranch_execnz .LBB236_69
; %bb.70:
	s_or_b64 exec, exec, s[54:55]
.LBB236_71:
	s_or_b64 exec, exec, s[30:31]
	v_mov_b32_e32 v23, 2
	v_cmp_eq_u16_sdwa s[30:31], v4, v23 src0_sel:BYTE_0 src1_sel:DWORD
	v_lshlrev_b64 v[16:17], v15, -1
	v_and_b32_e32 v24, 63, v15
	v_and_b32_e32 v5, s31, v17
	v_or_b32_e32 v5, 0x80000000, v5
	v_cmp_ne_u32_e32 vcc, 63, v24
	v_and_b32_e32 v6, s30, v16
	v_ffbl_b32_e32 v5, v5
	v_addc_co_u32_e32 v7, vcc, 0, v15, vcc
	v_add_u32_e32 v5, 32, v5
	v_ffbl_b32_e32 v6, v6
	v_lshlrev_b32_e32 v25, 2, v7
	v_min_u32_e32 v5, v6, v5
	ds_bpermute_b32 v6, v25, v3
	v_cmp_eq_u32_e32 vcc, 0, v2
	v_cmp_lt_u32_e64 s[30:31], v24, v5
	ds_bpermute_b32 v7, v25, v2
	s_and_b64 vcc, s[30:31], vcc
	s_waitcnt lgkmcnt(1)
	v_cndmask_b32_e32 v6, 0, v6, vcc
	v_cmp_gt_u32_e32 vcc, 62, v24
	v_add_u32_e32 v3, v6, v3
	s_waitcnt lgkmcnt(0)
	v_cndmask_b32_e64 v7, 0, v7, s[30:31]
	v_cndmask_b32_e64 v6, 0, 1, vcc
	v_lshlrev_b32_e32 v6, 1, v6
	v_add_lshl_u32 v26, v6, v15, 2
	ds_bpermute_b32 v6, v26, v3
	v_add_u32_e32 v2, v7, v2
	ds_bpermute_b32 v7, v26, v2
	v_add_u32_e32 v27, 2, v24
	v_cmp_eq_u32_e32 vcc, 0, v2
	v_add_u32_e32 v29, 4, v24
	v_add_u32_e32 v31, 8, v24
	s_waitcnt lgkmcnt(1)
	v_cndmask_b32_e32 v6, 0, v6, vcc
	v_cmp_gt_u32_e32 vcc, v27, v5
	v_add_u32_e32 v33, 16, v24
	v_add_u32_e32 v35, 32, v24
	v_cndmask_b32_e64 v6, v6, 0, vcc
	v_add_u32_e32 v3, v6, v3
	s_waitcnt lgkmcnt(0)
	v_cndmask_b32_e64 v6, v7, 0, vcc
	v_cmp_gt_u32_e32 vcc, 60, v24
	v_add_u32_e32 v2, v2, v6
	s_nop 0
	v_cndmask_b32_e64 v7, 0, 1, vcc
	v_lshlrev_b32_e32 v7, 2, v7
	v_add_lshl_u32 v28, v7, v15, 2
	ds_bpermute_b32 v7, v28, v3
	ds_bpermute_b32 v6, v28, v2
	v_cmp_eq_u32_e32 vcc, 0, v2
	s_waitcnt lgkmcnt(1)
	s_nop 0
	v_cndmask_b32_e32 v7, 0, v7, vcc
	v_cmp_gt_u32_e32 vcc, v29, v5
	s_nop 1
	v_cndmask_b32_e64 v7, v7, 0, vcc
	s_waitcnt lgkmcnt(0)
	v_cndmask_b32_e64 v6, v6, 0, vcc
	v_cmp_gt_u32_e32 vcc, 56, v24
	v_add_u32_e32 v3, v3, v7
	v_add_u32_e32 v2, v2, v6
	v_cndmask_b32_e64 v7, 0, 1, vcc
	v_lshlrev_b32_e32 v7, 3, v7
	v_add_lshl_u32 v30, v7, v15, 2
	ds_bpermute_b32 v7, v30, v3
	ds_bpermute_b32 v6, v30, v2
	v_cmp_eq_u32_e32 vcc, 0, v2
	s_waitcnt lgkmcnt(1)
	s_nop 0
	v_cndmask_b32_e32 v7, 0, v7, vcc
	v_cmp_gt_u32_e32 vcc, v31, v5
	s_nop 1
	v_cndmask_b32_e64 v7, v7, 0, vcc
	s_waitcnt lgkmcnt(0)
	v_cndmask_b32_e64 v6, v6, 0, vcc
	v_cmp_gt_u32_e32 vcc, 48, v24
	v_add_u32_e32 v3, v3, v7
	v_add_u32_e32 v2, v2, v6
	;; [unrolled: 17-line block ×3, first 2 shown]
	v_cndmask_b32_e64 v7, 0, 1, vcc
	v_lshlrev_b32_e32 v7, 5, v7
	v_add_lshl_u32 v34, v7, v15, 2
	ds_bpermute_b32 v7, v34, v3
	ds_bpermute_b32 v6, v34, v2
	v_cmp_eq_u32_e32 vcc, 0, v2
	v_mov_b32_e32 v15, 0
	s_waitcnt lgkmcnt(1)
	v_cndmask_b32_e32 v7, 0, v7, vcc
	v_cmp_gt_u32_e32 vcc, v35, v5
	s_nop 1
	v_cndmask_b32_e64 v5, v7, 0, vcc
	v_add_u32_e32 v3, v5, v3
	s_waitcnt lgkmcnt(0)
	v_cndmask_b32_e64 v5, v6, 0, vcc
	v_add_u32_e32 v2, v5, v2
	s_branch .LBB236_73
.LBB236_72:                             ;   in Loop: Header=BB236_73 Depth=1
	s_or_b64 exec, exec, s[30:31]
	v_cmp_eq_u16_sdwa s[30:31], v4, v23 src0_sel:BYTE_0 src1_sel:DWORD
	v_cmp_eq_u32_e32 vcc, 0, v2
	ds_bpermute_b32 v19, v25, v2
	v_and_b32_e32 v5, s31, v17
	v_or_b32_e32 v5, 0x80000000, v5
	v_and_b32_e32 v18, s30, v16
	v_ffbl_b32_e32 v5, v5
	v_add_u32_e32 v5, 32, v5
	v_ffbl_b32_e32 v18, v18
	v_min_u32_e32 v5, v18, v5
	ds_bpermute_b32 v18, v25, v3
	v_cmp_lt_u32_e64 s[30:31], v24, v5
	s_and_b64 vcc, s[30:31], vcc
	v_subrev_u32_e32 v14, 64, v14
	s_waitcnt lgkmcnt(1)
	v_cndmask_b32_e64 v19, 0, v19, s[30:31]
	s_waitcnt lgkmcnt(0)
	v_cndmask_b32_e32 v18, 0, v18, vcc
	v_add_u32_e32 v3, v18, v3
	ds_bpermute_b32 v18, v26, v3
	v_add_u32_e32 v2, v19, v2
	v_cmp_eq_u32_e32 vcc, 0, v2
	ds_bpermute_b32 v19, v26, v2
	s_waitcnt lgkmcnt(1)
	v_cndmask_b32_e32 v18, 0, v18, vcc
	v_cmp_gt_u32_e32 vcc, v27, v5
	s_nop 1
	v_cndmask_b32_e64 v18, v18, 0, vcc
	v_add_u32_e32 v3, v18, v3
	ds_bpermute_b32 v18, v28, v3
	s_waitcnt lgkmcnt(1)
	v_cndmask_b32_e64 v19, v19, 0, vcc
	v_add_u32_e32 v2, v2, v19
	v_cmp_eq_u32_e32 vcc, 0, v2
	ds_bpermute_b32 v19, v28, v2
	s_waitcnt lgkmcnt(1)
	v_cndmask_b32_e32 v18, 0, v18, vcc
	v_cmp_gt_u32_e32 vcc, v29, v5
	s_nop 1
	v_cndmask_b32_e64 v18, v18, 0, vcc
	v_add_u32_e32 v3, v3, v18
	ds_bpermute_b32 v18, v30, v3
	s_waitcnt lgkmcnt(1)
	v_cndmask_b32_e64 v19, v19, 0, vcc
	v_add_u32_e32 v2, v2, v19
	ds_bpermute_b32 v19, v30, v2
	v_cmp_eq_u32_e32 vcc, 0, v2
	s_waitcnt lgkmcnt(1)
	s_nop 0
	v_cndmask_b32_e32 v18, 0, v18, vcc
	v_cmp_gt_u32_e32 vcc, v31, v5
	s_nop 1
	v_cndmask_b32_e64 v18, v18, 0, vcc
	v_add_u32_e32 v3, v3, v18
	ds_bpermute_b32 v18, v32, v3
	s_waitcnt lgkmcnt(1)
	v_cndmask_b32_e64 v19, v19, 0, vcc
	v_add_u32_e32 v2, v2, v19
	ds_bpermute_b32 v19, v32, v2
	v_cmp_eq_u32_e32 vcc, 0, v2
	s_waitcnt lgkmcnt(1)
	s_nop 0
	;; [unrolled: 13-line block ×3, first 2 shown]
	v_cndmask_b32_e32 v18, 0, v18, vcc
	v_cmp_gt_u32_e32 vcc, v35, v5
	s_nop 1
	v_cndmask_b32_e64 v5, v18, 0, vcc
	v_add_u32_e32 v3, v5, v3
	s_waitcnt lgkmcnt(0)
	v_cndmask_b32_e64 v5, v19, 0, vcc
	v_cmp_eq_u32_e32 vcc, 0, v6
	v_add3_u32 v2, v2, v6, v5
	s_nop 0
	v_cndmask_b32_e32 v3, 0, v3, vcc
	v_add_u32_e32 v3, v3, v7
.LBB236_73:                             ; =>This Loop Header: Depth=1
                                        ;     Child Loop BB236_76 Depth 2
	v_cmp_ne_u16_sdwa s[30:31], v4, v23 src0_sel:BYTE_0 src1_sel:DWORD
	v_mov_b32_e32 v7, v3
	v_mov_b32_e32 v6, v2
	v_cndmask_b32_e64 v3, 0, 1, s[30:31]
	;;#ASMSTART
	;;#ASMEND
	s_nop 0
	v_cmp_ne_u32_e32 vcc, 0, v3
	s_cmp_lg_u64 vcc, exec
	s_cbranch_scc1 .LBB236_78
; %bb.74:                               ;   in Loop: Header=BB236_73 Depth=1
	v_lshl_add_u64 v[18:19], v[14:15], 4, s[36:37]
	;;#ASMSTART
	global_load_dwordx4 v[2:5], v[18:19] off sc1	
s_waitcnt vmcnt(0)
	;;#ASMEND
	s_nop 0
	v_and_b32_e32 v5, 0xff, v3
	v_and_b32_e32 v36, 0xff00, v3
	v_or3_b32 v2, v2, 0, 0
	v_and_b32_e32 v37, 0xff000000, v3
	v_or3_b32 v5, 0, v5, v36
	;; [unrolled: 2-line block ×3, first 2 shown]
	v_or3_b32 v2, v2, 0, 0
	v_cmp_eq_u16_sdwa s[54:55], v4, v15 src0_sel:BYTE_0 src1_sel:DWORD
	s_and_saveexec_b64 s[30:31], s[54:55]
	s_cbranch_execz .LBB236_72
; %bb.75:                               ;   in Loop: Header=BB236_73 Depth=1
	s_mov_b64 s[54:55], 0
.LBB236_76:                             ;   Parent Loop BB236_73 Depth=1
                                        ; =>  This Inner Loop Header: Depth=2
	;;#ASMSTART
	global_load_dwordx4 v[2:5], v[18:19] off sc1	
s_waitcnt vmcnt(0)
	;;#ASMEND
	s_nop 0
	v_cmp_ne_u16_sdwa s[58:59], v4, v15 src0_sel:BYTE_0 src1_sel:DWORD
	s_or_b64 s[54:55], s[58:59], s[54:55]
	s_andn2_b64 exec, exec, s[54:55]
	s_cbranch_execnz .LBB236_76
; %bb.77:                               ;   in Loop: Header=BB236_73 Depth=1
	s_or_b64 exec, exec, s[54:55]
	s_branch .LBB236_72
.LBB236_78:                             ;   in Loop: Header=BB236_73 Depth=1
                                        ; implicit-def: $vgpr3
                                        ; implicit-def: $vgpr2
                                        ; implicit-def: $vgpr4
	s_cbranch_execz .LBB236_73
; %bb.79:
	s_and_saveexec_b64 s[30:31], s[26:27]
	s_cbranch_execz .LBB236_81
; %bb.80:
	s_cmp_eq_u32 s3, 0
	s_cselect_b64 vcc, -1, 0
	s_mov_b32 s55, 0
	v_cndmask_b32_e32 v2, 0, v7, vcc
	s_add_i32 s54, s2, 64
	v_add_u32_e32 v2, s56, v2
	s_lshl_b64 s[54:55], s[54:55], 4
	s_add_u32 s54, s36, s54
	v_and_b32_e32 v3, 0xff000000, v2
	v_and_b32_e32 v4, 0xff0000, v2
	s_addc_u32 s55, s37, s55
	v_or_b32_e32 v3, v4, v3
	v_and_b32_e32 v4, 0xff00, v2
	v_and_b32_e32 v2, 0xff, v2
	v_add_u32_e32 v14, s3, v6
	v_mov_b32_e32 v17, 0
	v_or3_b32 v15, v3, v4, v2
	v_mov_b32_e32 v16, 2
	v_mov_b64_e32 v[2:3], s[54:55]
	;;#ASMSTART
	global_store_dwordx4 v[2:3], v[14:17] off sc1	
s_waitcnt vmcnt(0)
	;;#ASMEND
	v_mov_b32_e32 v4, s3
	v_mov_b32_e32 v5, s56
	ds_write_b128 v17, v[4:7] offset:1024
.LBB236_81:
	s_or_b64 exec, exec, s[30:31]
	v_cmp_eq_u32_e32 vcc, 0, v0
	s_and_b64 exec, exec, vcc
	s_cbranch_execz .LBB236_83
; %bb.82:
	v_mov_b32_e32 v2, 0
	ds_write_b64 v2, v[6:7] offset:1096
.LBB236_83:
	s_or_b64 exec, exec, s[52:53]
	v_mov_b32_e32 v4, 0
	s_waitcnt lgkmcnt(0)
	s_barrier
	ds_read_b64 v[2:3], v4 offset:1096
	v_cndmask_b32_e64 v6, v20, v12, s[26:27]
	v_cmp_eq_u32_e32 vcc, 0, v6
	v_cndmask_b32_e64 v5, v22, v13, s[26:27]
	s_waitcnt lgkmcnt(0)
	v_cndmask_b32_e32 v7, 0, v3, vcc
	v_add_u32_e32 v5, v7, v5
	v_cmp_eq_u32_e32 vcc, 0, v0
	s_barrier
	s_nop 0
	v_cndmask_b32_e32 v51, v5, v3, vcc
	v_cndmask_b32_e64 v3, v6, 0, vcc
	v_cmp_eq_u32_e32 vcc, 0, v79
	v_add_u32_e32 v50, v2, v3
	v_add_u32_e32 v48, v50, v79
	v_cndmask_b32_e32 v2, 0, v51, vcc
	v_add_u32_e32 v49, v2, v52
	v_cndmask_b32_e64 v2, 0, v49, s[24:25]
	v_add_u32_e32 v47, v2, v52
	v_cndmask_b32_e64 v2, 0, v47, s[22:23]
	;; [unrolled: 2-line block ×7, first 2 shown]
	v_add_u32_e32 v35, v2, v52
	v_add_u32_e32 v46, v48, v78
	v_cndmask_b32_e64 v2, 0, v35, s[10:11]
	v_add_u32_e32 v44, v46, v77
	v_add_u32_e32 v33, v2, v52
	v_add_u32_e32 v42, v44, v76
	v_cndmask_b32_e64 v2, 0, v33, s[8:9]
	v_add_u32_e32 v40, v42, v75
	;; [unrolled: 4-line block ×3, first 2 shown]
	v_add_u32_e32 v29, v2, v52
	ds_read_b128 v[16:19], v4 offset:1024
	v_add_u32_e32 v34, v36, v21
	v_cndmask_b32_e64 v2, 0, v29, s[4:5]
	v_add_u32_e32 v32, v34, v72
	v_add_u32_e32 v27, v2, v52
	;; [unrolled: 1-line block ×3, first 2 shown]
	v_cndmask_b32_e64 v2, 0, v27, s[28:29]
	v_add_u32_e32 v28, v30, v70
	v_add_u32_e32 v23, v2, v52
	;; [unrolled: 1-line block ×3, first 2 shown]
	v_cndmask_b32_e64 v2, 0, v23, s[0:1]
	s_waitcnt lgkmcnt(0)
	v_cmp_eq_u32_e32 vcc, 0, v16
	v_add_u32_e32 v22, v26, v68
	v_add_u32_e32 v25, v2, v52
	v_cndmask_b32_e32 v2, 0, v19, vcc
	v_add_u32_e32 v24, v22, v66
	v_add_u32_e32 v20, v2, v17
	s_branch .LBB236_96
.LBB236_84:
                                        ; implicit-def: $vgpr16
                                        ; implicit-def: $vgpr20
                                        ; implicit-def: $vgpr24_vgpr25
                                        ; implicit-def: $vgpr22_vgpr23
                                        ; implicit-def: $vgpr26_vgpr27
                                        ; implicit-def: $vgpr28_vgpr29
                                        ; implicit-def: $vgpr50_vgpr51
                                        ; implicit-def: $vgpr48_vgpr49
                                        ; implicit-def: $vgpr46_vgpr47
                                        ; implicit-def: $vgpr44_vgpr45
                                        ; implicit-def: $vgpr42_vgpr43
                                        ; implicit-def: $vgpr40_vgpr41
                                        ; implicit-def: $vgpr38_vgpr39
                                        ; implicit-def: $vgpr36_vgpr37
                                        ; implicit-def: $vgpr34_vgpr35
                                        ; implicit-def: $vgpr32_vgpr33
                                        ; implicit-def: $vgpr30_vgpr31
	s_cbranch_execz .LBB236_96
; %bb.85:
	s_and_b64 s[0:1], s[38:39], exec
	s_cselect_b32 s1, 0, s51
	s_cselect_b32 s0, 0, s50
	s_cmp_eq_u64 s[0:1], 0
	v_mov_b32_e32 v6, v52
	s_cbranch_scc1 .LBB236_87
; %bb.86:
	v_mov_b32_e32 v2, 0
	global_load_dword v6, v2, s[0:1]
.LBB236_87:
	v_cmp_eq_u32_e64 s[0:1], 0, v78
	v_cmp_eq_u32_e64 s[2:3], 0, v77
	v_cmp_eq_u32_e64 s[4:5], 0, v76
	v_cndmask_b32_e64 v2, 0, v52, s[0:1]
	v_add_u32_e32 v2, v2, v52
	v_cndmask_b32_e64 v2, 0, v2, s[2:3]
	v_add_u32_e32 v2, v2, v52
	v_cndmask_b32_e64 v2, 0, v2, s[4:5]
	v_add_u32_e32 v2, v2, v52
	v_cmp_eq_u32_e64 s[6:7], 0, v75
	v_cmp_eq_u32_e64 s[8:9], 0, v74
	v_cmp_eq_u32_e64 s[10:11], 0, v73
	v_cndmask_b32_e64 v2, 0, v2, s[6:7]
	v_add_u32_e32 v2, v2, v52
	v_cndmask_b32_e64 v2, 0, v2, s[8:9]
	v_add_u32_e32 v2, v2, v52
	v_cndmask_b32_e64 v2, 0, v2, s[10:11]
	v_add_u32_e32 v2, v2, v52
	;; [unrolled: 9-line block ×3, first 2 shown]
	v_cmp_eq_u32_e64 s[18:19], 0, v70
	v_cmp_eq_u32_e64 s[20:21], 0, v69
	;; [unrolled: 1-line block ×3, first 2 shown]
	v_cndmask_b32_e64 v2, 0, v2, s[18:19]
	v_add_u32_e32 v2, v2, v52
	v_cndmask_b32_e64 v2, 0, v2, s[20:21]
	v_add_u32_e32 v2, v2, v52
	v_cndmask_b32_e64 v2, 0, v2, s[22:23]
	v_add3_u32 v3, v81, v74, v73
	v_add_u32_e32 v2, v2, v52
	v_cmp_eq_u32_e32 vcc, 0, v66
	v_add3_u32 v3, v3, v21, v72
	v_add3_u32 v3, v3, v71, v70
	v_cndmask_b32_e32 v2, 0, v2, vcc
	v_add_u32_e32 v2, v2, v52
	v_cmp_eq_u32_e64 s[24:25], 0, v63
	v_add3_u32 v3, v3, v69, v68
	v_add3_u32 v3, v3, v66, v63
	v_cndmask_b32_e64 v2, 0, v2, s[24:25]
	v_add_u32_e32 v2, v2, v53
	v_mbcnt_hi_u32_b32 v7, -1, v80
	v_and_b32_e32 v4, 15, v7
	v_mov_b32_dpp v12, v2 row_shr:1 row_mask:0xf bank_mask:0xf
	v_cmp_eq_u32_e64 s[24:25], 0, v3
	v_mov_b32_dpp v5, v3 row_shr:1 row_mask:0xf bank_mask:0xf
	v_cmp_lt_u32_e64 s[26:27], 1, v4
	v_cndmask_b32_e64 v12, 0, v12, s[24:25]
	v_cmp_eq_u32_e64 s[24:25], 0, v4
	s_nop 1
	v_cndmask_b32_e64 v5, v5, 0, s[24:25]
	v_add_u32_e32 v3, v5, v3
	v_cndmask_b32_e64 v5, v12, 0, s[24:25]
	v_add_u32_e32 v2, v5, v2
	v_cmp_eq_u32_e64 s[24:25], 0, v3
	v_mov_b32_dpp v5, v3 row_shr:2 row_mask:0xf bank_mask:0xf
	v_mov_b32_dpp v12, v2 row_shr:2 row_mask:0xf bank_mask:0xf
	v_cndmask_b32_e64 v5, 0, v5, s[26:27]
	s_and_b64 s[24:25], s[26:27], s[24:25]
	v_cndmask_b32_e64 v12, 0, v12, s[24:25]
	v_add_u32_e32 v3, v3, v5
	v_add_u32_e32 v2, v12, v2
	v_cmp_eq_u32_e64 s[24:25], 0, v3
	v_mov_b32_dpp v5, v3 row_shr:4 row_mask:0xf bank_mask:0xf
	v_cmp_lt_u32_e64 s[26:27], 3, v4
	v_mov_b32_dpp v12, v2 row_shr:4 row_mask:0xf bank_mask:0xf
	s_and_b64 s[24:25], s[26:27], s[24:25]
	v_cndmask_b32_e64 v5, 0, v5, s[26:27]
	v_cndmask_b32_e64 v12, 0, v12, s[24:25]
	v_add_u32_e32 v3, v5, v3
	v_add_u32_e32 v2, v2, v12
	v_cmp_eq_u32_e64 s[24:25], 0, v3
	v_cmp_lt_u32_e64 s[26:27], 7, v4
	v_mov_b32_dpp v5, v3 row_shr:8 row_mask:0xf bank_mask:0xf
	v_mov_b32_dpp v12, v2 row_shr:8 row_mask:0xf bank_mask:0xf
	s_and_b64 s[24:25], s[26:27], s[24:25]
	v_cndmask_b32_e64 v4, 0, v5, s[26:27]
	v_cndmask_b32_e64 v5, 0, v12, s[24:25]
	v_add_u32_e32 v2, v5, v2
	v_add_u32_e32 v3, v4, v3
	v_bfe_i32 v12, v7, 4, 1
	v_mov_b32_dpp v5, v2 row_bcast:15 row_mask:0xf bank_mask:0xf
	v_mov_b32_dpp v4, v3 row_bcast:15 row_mask:0xf bank_mask:0xf
	v_cmp_eq_u32_e64 s[24:25], 0, v3
	v_and_b32_e32 v4, v12, v4
	v_add_u32_e32 v3, v4, v3
	v_cndmask_b32_e64 v5, 0, v5, s[24:25]
	v_and_b32_e32 v4, v12, v5
	v_add_u32_e32 v4, v4, v2
	v_mov_b32_dpp v2, v3 row_bcast:31 row_mask:0xf bank_mask:0xf
	v_cmp_eq_u32_e64 s[24:25], 0, v3
	v_cmp_lt_u32_e64 s[26:27], 31, v7
	v_mov_b32_dpp v5, v4 row_bcast:31 row_mask:0xf bank_mask:0xf
	s_and_b64 s[24:25], s[26:27], s[24:25]
	v_cndmask_b32_e64 v2, 0, v2, s[26:27]
	v_add_u32_e32 v2, v2, v3
	v_cndmask_b32_e64 v3, 0, v5, s[24:25]
	v_add_u32_e32 v3, v3, v4
	v_cmp_eq_u32_e64 s[24:25], v55, v0
	v_lshlrev_b32_e32 v5, 3, v54
	s_and_saveexec_b64 s[26:27], s[24:25]
	s_cbranch_execz .LBB236_89
; %bb.88:
	ds_write_b64 v5, v[2:3] offset:1040
.LBB236_89:
	s_or_b64 exec, exec, s[26:27]
	v_cmp_gt_u32_e64 s[24:25], 8, v0
	s_waitcnt lgkmcnt(0)
	s_barrier
	s_and_saveexec_b64 s[28:29], s[24:25]
	s_cbranch_execz .LBB236_91
; %bb.90:
	v_lshlrev_b32_e32 v4, 3, v0
	ds_read_b64 v[12:13], v4 offset:1040
	v_and_b32_e32 v14, 7, v7
	v_cmp_lt_u32_e64 s[26:27], 1, v14
	s_waitcnt lgkmcnt(0)
	v_mov_b32_dpp v16, v13 row_shr:1 row_mask:0xf bank_mask:0xf
	v_cmp_eq_u32_e64 s[24:25], 0, v12
	v_mov_b32_dpp v15, v12 row_shr:1 row_mask:0xf bank_mask:0xf
	s_nop 0
	v_cndmask_b32_e64 v16, 0, v16, s[24:25]
	v_cmp_eq_u32_e64 s[24:25], 0, v14
	s_nop 1
	v_cndmask_b32_e64 v15, v15, 0, s[24:25]
	v_add_u32_e32 v12, v15, v12
	v_cndmask_b32_e64 v15, v16, 0, s[24:25]
	v_add_u32_e32 v13, v15, v13
	v_cmp_eq_u32_e64 s[24:25], 0, v12
	v_mov_b32_dpp v15, v12 row_shr:2 row_mask:0xf bank_mask:0xf
	v_mov_b32_dpp v16, v13 row_shr:2 row_mask:0xf bank_mask:0xf
	v_cndmask_b32_e64 v15, 0, v15, s[26:27]
	s_and_b64 s[24:25], s[26:27], s[24:25]
	v_cndmask_b32_e64 v16, 0, v16, s[24:25]
	v_add_u32_e32 v12, v15, v12
	v_add_u32_e32 v13, v16, v13
	v_cmp_eq_u32_e64 s[24:25], 0, v12
	v_mov_b32_dpp v15, v12 row_shr:4 row_mask:0xf bank_mask:0xf
	v_cmp_lt_u32_e64 s[26:27], 3, v14
	v_mov_b32_dpp v16, v13 row_shr:4 row_mask:0xf bank_mask:0xf
	s_and_b64 s[24:25], s[26:27], s[24:25]
	v_cndmask_b32_e64 v14, 0, v15, s[26:27]
	v_add_u32_e32 v12, v14, v12
	v_cndmask_b32_e64 v14, 0, v16, s[24:25]
	v_add_u32_e32 v13, v14, v13
	ds_write_b64 v4, v[12:13] offset:1040
.LBB236_91:
	s_or_b64 exec, exec, s[28:29]
	v_cmp_lt_u32_e64 s[24:25], 63, v0
	v_mov_b32_e32 v12, 0
	v_mov_b32_e32 v4, 0
	s_waitcnt vmcnt(0)
	v_mov_b32_e32 v13, v6
	s_waitcnt lgkmcnt(0)
	s_barrier
	s_and_saveexec_b64 s[26:27], s[24:25]
	s_cbranch_execz .LBB236_93
; %bb.92:
	ds_read_b64 v[4:5], v5 offset:1032
	s_waitcnt lgkmcnt(0)
	v_cmp_eq_u32_e64 s[24:25], 0, v4
	s_nop 1
	v_cndmask_b32_e64 v13, 0, v6, s[24:25]
	v_add_u32_e32 v13, v13, v5
.LBB236_93:
	s_or_b64 exec, exec, s[26:27]
	v_cmp_eq_u32_e64 s[24:25], 0, v2
	v_add_u32_e32 v5, v4, v2
	v_and_b32_e32 v14, 64, v7
	v_cndmask_b32_e64 v2, 0, v13, s[24:25]
	v_add_u32_e32 v2, v2, v3
	v_add_u32_e32 v3, -1, v7
	v_cmp_lt_i32_e64 s[24:25], v3, v14
	v_cmp_eq_u32_e64 s[26:27], 0, v79
	ds_read_b64 v[16:17], v12 offset:1096
	v_cndmask_b32_e64 v3, v3, v7, s[24:25]
	v_lshlrev_b32_e32 v3, 2, v3
	ds_bpermute_b32 v5, v3, v5
	ds_bpermute_b32 v2, v3, v2
	v_cmp_eq_u32_e64 s[24:25], 0, v7
	s_waitcnt lgkmcnt(1)
	s_nop 0
	v_cndmask_b32_e64 v3, v5, v4, s[24:25]
	s_waitcnt lgkmcnt(0)
	v_cndmask_b32_e64 v2, v2, v13, s[24:25]
	v_cmp_eq_u32_e64 s[24:25], 0, v0
	s_nop 1
	v_cndmask_b32_e64 v51, v2, v6, s[24:25]
	v_cndmask_b32_e64 v2, 0, v51, s[26:27]
	v_add_u32_e32 v49, v2, v52
	v_cndmask_b32_e64 v2, 0, v49, s[0:1]
	v_add_u32_e32 v47, v2, v52
	;; [unrolled: 2-line block ×7, first 2 shown]
	v_cndmask_b32_e64 v50, v3, 0, s[24:25]
	v_cndmask_b32_e64 v2, 0, v37, s[12:13]
	v_add_u32_e32 v48, v50, v79
	v_add_u32_e32 v35, v2, v52
	v_add_u32_e32 v46, v48, v78
	v_cndmask_b32_e64 v2, 0, v35, s[14:15]
	v_add_u32_e32 v44, v46, v77
	v_add_u32_e32 v33, v2, v52
	v_add_u32_e32 v42, v44, v76
	;; [unrolled: 4-line block ×6, first 2 shown]
	v_cndmask_b32_e32 v2, 0, v23, vcc
	v_cmp_eq_u32_e32 vcc, 0, v16
	v_add_u32_e32 v22, v26, v68
	v_add_u32_e32 v25, v2, v52
	v_cndmask_b32_e32 v2, 0, v6, vcc
	v_add_u32_e32 v24, v22, v66
	v_add_u32_e32 v20, v2, v17
	s_and_saveexec_b64 s[0:1], s[24:25]
	s_cbranch_execz .LBB236_95
; %bb.94:
	s_add_u32 s2, s36, 0x400
	v_and_b32_e32 v2, 0xff000000, v20
	v_and_b32_e32 v3, 0xff0000, v20
	s_addc_u32 s3, s37, 0
	v_or_b32_e32 v2, v3, v2
	v_and_b32_e32 v3, 0xff00, v20
	v_and_b32_e32 v4, 0xff, v20
	v_mov_b32_e32 v19, 0
	v_or3_b32 v17, v2, v3, v4
	v_mov_b32_e32 v18, 2
	v_mov_b64_e32 v[2:3], s[2:3]
	;;#ASMSTART
	global_store_dwordx4 v[2:3], v[16:19] off sc1	
s_waitcnt vmcnt(0)
	;;#ASMEND
.LBB236_95:
	s_or_b64 exec, exec, s[0:1]
	v_mov_b32_e32 v18, 0
.LBB236_96:
	s_and_b64 s[0:1], s[38:39], exec
	s_cselect_b32 s1, 0, s47
	s_cselect_b32 s0, 0, s46
	s_cmp_eq_u64 s[0:1], 0
	v_mov_b64_e32 v[52:53], 0
	s_waitcnt lgkmcnt(0)
	s_barrier
	s_cbranch_scc1 .LBB236_98
; %bb.97:
	v_mov_b32_e32 v2, 0
	global_load_dwordx2 v[52:53], v2, s[0:1]
.LBB236_98:
	s_waitcnt vmcnt(0)
	v_lshl_add_u64 v[2:3], s[40:41], 0, v[52:53]
	v_mov_b32_e32 v19, 0
	v_cmp_eq_u32_e32 vcc, 0, v79
	v_lshl_add_u64 v[54:55], v[2:3], 0, v[18:19]
	s_movk_i32 s30, 0x200
	v_cndmask_b32_e64 v2, 1, 2, vcc
	v_cmp_eq_u32_e32 vcc, 0, v78
	v_cmp_ne_u32_e64 s[28:29], 0, v79
	v_cmp_ne_u32_e64 s[26:27], 0, v78
	v_cndmask_b32_e64 v3, 1, 2, vcc
	v_cmp_eq_u32_e32 vcc, 0, v77
	v_and_b32_e32 v2, v3, v2
	v_cmp_ne_u32_e64 s[24:25], 0, v77
	v_cndmask_b32_e64 v3, 1, 2, vcc
	v_cmp_eq_u32_e32 vcc, 0, v76
	v_and_b32_e32 v2, v2, v3
	;; [unrolled: 4-line block ×13, first 2 shown]
	v_cmp_ne_u32_e64 s[0:1], 0, v63
	v_cndmask_b32_e64 v3, 1, 2, vcc
	v_and_b32_e32 v2, v2, v3
	v_cmp_gt_u32_e32 vcc, s30, v16
	s_mov_b64 s[36:37], -1
	v_cmp_gt_i16_e64 s[30:31], 2, v2
	s_cbranch_vccz .LBB236_105
; %bb.99:
	s_and_saveexec_b64 s[36:37], s[30:31]
	s_cbranch_execz .LBB236_104
; %bb.100:
	v_cmp_ne_u16_e32 vcc, 1, v2
	s_mov_b64 s[38:39], 0
	s_and_saveexec_b64 s[30:31], vcc
	s_xor_b64 s[30:31], exec, s[30:31]
	s_cbranch_execnz .LBB236_146
; %bb.101:
	s_andn2_saveexec_b64 s[30:31], s[30:31]
	s_cbranch_execnz .LBB236_162
.LBB236_102:
	s_or_b64 exec, exec, s[30:31]
	s_and_b64 exec, exec, s[38:39]
	s_cbranch_execz .LBB236_104
.LBB236_103:
	v_sub_u32_e32 v3, v24, v18
	v_readfirstlane_b32 s30, v54
	v_readfirstlane_b32 s31, v55
	s_nop 4
	global_store_byte v3, v1, s[30:31]
.LBB236_104:
	s_or_b64 exec, exec, s[36:37]
	s_mov_b64 s[36:37], 0
.LBB236_105:
	s_and_b64 vcc, exec, s[36:37]
	s_cbranch_vccz .LBB236_124
; %bb.106:
	v_cmp_gt_i16_e32 vcc, 2, v2
	s_and_saveexec_b64 s[30:31], vcc
	s_cbranch_execz .LBB236_111
; %bb.107:
	v_cmp_ne_u16_e32 vcc, 1, v2
	s_mov_b64 s[38:39], 0
	s_and_saveexec_b64 s[36:37], vcc
	s_xor_b64 s[36:37], exec, s[36:37]
	s_cbranch_execnz .LBB236_163
; %bb.108:
	s_andn2_saveexec_b64 s[0:1], s[36:37]
	s_cbranch_execnz .LBB236_179
.LBB236_109:
	s_or_b64 exec, exec, s[0:1]
	s_and_b64 exec, exec, s[38:39]
	s_cbranch_execz .LBB236_111
.LBB236_110:
	v_sub_u32_e32 v2, v24, v18
	ds_write_b8 v2, v1
.LBB236_111:
	s_or_b64 exec, exec, s[30:31]
	v_cmp_lt_u32_e32 vcc, v0, v16
	s_waitcnt lgkmcnt(0)
	s_barrier
	s_and_saveexec_b64 s[0:1], vcc
	s_cbranch_execz .LBB236_123
; %bb.112:
	v_xad_u32 v2, v0, -1, v16
	s_movk_i32 s2, 0xdff
	v_cmp_lt_u32_e32 vcc, s2, v2
	s_mov_b64 s[4:5], -1
	v_mov_b32_e32 v1, v0
	s_and_saveexec_b64 s[2:3], vcc
	s_cbranch_execz .LBB236_120
; %bb.113:
	v_lshrrev_b32_e32 v17, 9, v2
	v_or_b32_e32 v7, 0xe00, v0
	v_or_b32_e32 v6, 0xc00, v0
	;; [unrolled: 1-line block ×7, first 2 shown]
	v_add_u32_e32 v58, -7, v17
	v_mov_b64_e32 v[14:15], v[6:7]
	v_cmp_lt_u32_e32 vcc, 7, v58
	v_mov_b32_e32 v61, 0
	v_mov_b64_e32 v[12:13], v[4:5]
	v_mov_b64_e32 v[10:11], v[2:3]
	;; [unrolled: 1-line block ×3, first 2 shown]
	s_and_saveexec_b64 s[4:5], vcc
	s_cbranch_execz .LBB236_117
; %bb.114:
	v_lshrrev_b32_e32 v8, 3, v58
	v_add_u32_e32 v8, 1, v8
	v_and_b32_e32 v59, 0x3ffffffe, v8
	v_mov_b64_e32 v[14:15], v[6:7]
	s_mov_b32 s8, 0
	s_mov_b64 s[6:7], 0
	v_mov_b32_e32 v57, 0
	v_mov_b32_e32 v60, v0
	v_mov_b64_e32 v[12:13], v[4:5]
	v_mov_b64_e32 v[10:11], v[2:3]
	;; [unrolled: 1-line block ×3, first 2 shown]
.LBB236_115:                            ; =>This Inner Loop Header: Depth=1
	v_mov_b32_e32 v56, v8
	v_lshl_add_u64 v[86:87], v[54:55], 0, v[56:57]
	v_mov_b32_e32 v56, v9
	v_lshl_add_u64 v[88:89], v[54:55], 0, v[56:57]
	;; [unrolled: 2-line block ×3, first 2 shown]
	v_mov_b32_e32 v56, v11
	ds_read_u8 v1, v60
	ds_read_u8 v62, v60 offset:512
	ds_read_u8 v67, v60 offset:1024
	;; [unrolled: 1-line block ×7, first 2 shown]
	v_lshl_add_u64 v[92:93], v[54:55], 0, v[56:57]
	v_mov_b32_e32 v56, v12
	ds_read_u8 v101, v60 offset:4096
	ds_read_u8 v102, v60 offset:4608
	;; [unrolled: 1-line block ×8, first 2 shown]
	v_lshl_add_u64 v[94:95], v[54:55], 0, v[56:57]
	v_mov_b32_e32 v56, v13
	s_waitcnt lgkmcnt(14)
	global_store_byte v[86:87], v1, off
	global_store_byte v[88:89], v62, off
	s_waitcnt lgkmcnt(13)
	global_store_byte v[90:91], v67, off
	s_waitcnt lgkmcnt(12)
	global_store_byte v[92:93], v96, off
	v_lshl_add_u64 v[86:87], v[54:55], 0, v[56:57]
	v_mov_b32_e32 v56, v14
	v_add_u32_e32 v59, -2, v59
	v_lshl_add_u64 v[88:89], v[54:55], 0, v[56:57]
	v_mov_b32_e32 v56, v15
	s_add_i32 s8, s8, 16
	v_cmp_eq_u32_e32 vcc, 0, v59
	s_waitcnt lgkmcnt(11)
	global_store_byte v[94:95], v97, off
	s_waitcnt lgkmcnt(10)
	global_store_byte v[86:87], v98, off
	v_lshl_add_u64 v[86:87], v[54:55], 0, v[56:57]
	v_add_u32_e32 v56, 0x1000, v8
	v_add_u32_e32 v2, 0x1000, v15
	;; [unrolled: 1-line block ×8, first 2 shown]
	v_mov_b32_e32 v85, v57
	v_mov_b32_e32 v83, v57
	;; [unrolled: 1-line block ×7, first 2 shown]
	v_add_u32_e32 v60, 0x2000, v60
	v_add_u32_e32 v9, 0x2000, v9
	v_mov_b32_e32 v61, s8
	v_add_u32_e32 v10, 0x2000, v10
	s_or_b64 s[6:7], vcc, s[6:7]
	v_add_u32_e32 v11, 0x2000, v11
	v_add_u32_e32 v12, 0x2000, v12
	;; [unrolled: 1-line block ×5, first 2 shown]
	s_waitcnt lgkmcnt(9)
	global_store_byte v[88:89], v99, off
	v_add_u32_e32 v8, 0x2000, v8
	s_waitcnt lgkmcnt(8)
	global_store_byte v[86:87], v100, off
	v_lshl_add_u64 v[86:87], v[54:55], 0, v[56:57]
	v_lshl_add_u64 v[84:85], v[54:55], 0, v[84:85]
	;; [unrolled: 1-line block ×8, first 2 shown]
	s_waitcnt lgkmcnt(7)
	global_store_byte v[86:87], v101, off
	s_waitcnt lgkmcnt(6)
	global_store_byte v[84:85], v102, off
	;; [unrolled: 2-line block ×8, first 2 shown]
	s_andn2_b64 exec, exec, s[6:7]
	s_cbranch_execnz .LBB236_115
; %bb.116:
	s_or_b64 exec, exec, s[6:7]
.LBB236_117:
	s_or_b64 exec, exec, s[4:5]
	v_and_b32_e32 v1, 8, v58
	v_cmp_eq_u32_e32 vcc, 0, v1
	s_and_saveexec_b64 s[4:5], vcc
	s_cbranch_execz .LBB236_119
; %bb.118:
	v_mov_b32_e32 v3, 0
	v_mov_b32_e32 v2, v8
	v_lshl_add_u64 v[4:5], v[54:55], 0, v[2:3]
	v_mov_b32_e32 v2, v9
	v_lshl_or_b32 v1, v61, 9, v0
	v_lshl_add_u64 v[6:7], v[54:55], 0, v[2:3]
	v_mov_b32_e32 v2, v10
	ds_read_u8 v60, v1
	ds_read_u8 v61, v1 offset:512
	ds_read_u8 v62, v1 offset:1024
	;; [unrolled: 1-line block ×7, first 2 shown]
	v_lshl_add_u64 v[8:9], v[54:55], 0, v[2:3]
	v_mov_b32_e32 v2, v11
	v_lshl_add_u64 v[10:11], v[54:55], 0, v[2:3]
	v_mov_b32_e32 v2, v12
	v_lshl_add_u64 v[56:57], v[54:55], 0, v[2:3]
	v_mov_b32_e32 v2, v13
	v_lshl_add_u64 v[12:13], v[54:55], 0, v[2:3]
	v_mov_b32_e32 v2, v14
	v_lshl_add_u64 v[58:59], v[54:55], 0, v[2:3]
	v_mov_b32_e32 v2, v15
	v_lshl_add_u64 v[2:3], v[54:55], 0, v[2:3]
	s_waitcnt lgkmcnt(7)
	global_store_byte v[4:5], v60, off
	s_waitcnt lgkmcnt(6)
	global_store_byte v[6:7], v61, off
	;; [unrolled: 2-line block ×8, first 2 shown]
.LBB236_119:
	s_or_b64 exec, exec, s[4:5]
	v_add_u32_e32 v2, 1, v17
	v_and_b32_e32 v3, 0xfffff8, v2
	v_cmp_ne_u32_e32 vcc, v2, v3
	v_lshl_or_b32 v1, v3, 9, v0
	s_orn2_b64 s[4:5], vcc, exec
.LBB236_120:
	s_or_b64 exec, exec, s[2:3]
	s_and_b64 exec, exec, s[4:5]
	s_cbranch_execz .LBB236_123
; %bb.121:
	s_mov_b64 s[2:3], 0
.LBB236_122:                            ; =>This Inner Loop Header: Depth=1
	ds_read_u8 v2, v1
	v_readfirstlane_b32 s4, v54
	v_readfirstlane_b32 s5, v55
	s_waitcnt lgkmcnt(0)
	s_nop 3
	global_store_byte v1, v2, s[4:5]
	v_add_u32_e32 v1, 0x200, v1
	v_cmp_ge_u32_e32 vcc, v1, v16
	s_or_b64 s[2:3], vcc, s[2:3]
	s_andn2_b64 exec, exec, s[2:3]
	s_cbranch_execnz .LBB236_122
.LBB236_123:
	s_or_b64 exec, exec, s[0:1]
.LBB236_124:
	s_cmpk_lg_i32 s33, 0x1e00
	s_cselect_b64 s[0:1], -1, 0
	v_cndmask_b32_e64 v10, 0, 1, s[48:49]
	s_and_b64 s[0:1], s[34:35], s[0:1]
	v_cmp_eq_u32_e32 vcc, 0, v0
	v_sub_u32_e32 v1, v16, v10
	v_cndmask_b32_e64 v2, 0, 1, s[0:1]
	s_and_b64 s[0:1], vcc, s[48:49]
	v_add_u32_e32 v1, v1, v2
	v_cndmask_b32_e64 v2, v79, 0, s[0:1]
	s_mul_hi_u32 s0, s33, 0x88888889
	s_lshr_b32 s0, s0, 3
	v_mad_i32_i24 v3, v0, -15, s33
	v_cmp_eq_u32_e32 vcc, s0, v0
	v_cmp_ne_u32_e64 s[0:1], 0, v3
	s_and_b64 vcc, s[34:35], vcc
	s_mov_b32 s2, 0
	v_cndmask_b32_e64 v4, 1, v2, s[0:1]
	v_cmp_ne_u32_e64 s[0:1], 1, v3
	s_movk_i32 s30, 0x200
	s_mov_b64 s[36:37], -1
	v_cndmask_b32_e64 v5, 1, v78, s[0:1]
	v_cmp_ne_u32_e64 s[0:1], 2, v3
	v_cndmask_b32_e32 v62, v78, v5, vcc
	v_cmp_ne_u32_e64 s[26:27], 0, v62
	v_cndmask_b32_e64 v6, 1, v77, s[0:1]
	v_cmp_ne_u32_e64 s[0:1], 3, v3
	v_cndmask_b32_e32 v61, v77, v6, vcc
	v_cmp_ne_u32_e64 s[24:25], 0, v61
	v_cndmask_b32_e64 v7, 1, v76, s[0:1]
	v_cmp_ne_u32_e64 s[0:1], 4, v3
	v_cndmask_b32_e32 v60, v76, v7, vcc
	v_lshlrev_b64 v[6:7], 3, v[18:19]
	v_cndmask_b32_e64 v8, 1, v75, s[0:1]
	v_cmp_ne_u32_e64 s[0:1], 5, v3
	v_cndmask_b32_e32 v59, v75, v8, vcc
	v_cmp_ne_u32_e64 s[22:23], 0, v60
	v_cndmask_b32_e64 v9, 1, v74, s[0:1]
	v_cmp_ne_u32_e64 s[0:1], 6, v3
	v_cndmask_b32_e32 v58, v74, v9, vcc
	v_cmp_ne_u32_e64 s[20:21], 0, v59
	v_cndmask_b32_e64 v11, 1, v73, s[0:1]
	v_cmp_ne_u32_e64 s[0:1], 7, v3
	v_cndmask_b32_e32 v57, v73, v11, vcc
	v_mov_b32_e32 v11, s2
	v_cndmask_b32_e64 v12, 1, v21, s[0:1]
	v_cmp_ne_u32_e64 s[0:1], 8, v3
	v_cndmask_b32_e32 v21, v21, v12, vcc
	v_lshl_add_u64 v[8:9], v[10:11], 0, -1
	v_cndmask_b32_e64 v13, 1, v72, s[0:1]
	v_cmp_ne_u32_e64 s[0:1], 9, v3
	v_cndmask_b32_e32 v13, v72, v13, vcc
	v_add_u32_e32 v12, v18, v10
	v_cndmask_b32_e64 v14, 1, v71, s[0:1]
	v_cmp_ne_u32_e64 s[0:1], 10, v3
	v_cndmask_b32_e32 v14, v71, v14, vcc
	v_cmp_ne_u32_e64 s[12:13], 0, v13
	v_cndmask_b32_e64 v15, 1, v70, s[0:1]
	v_cmp_ne_u32_e64 s[0:1], 11, v3
	v_cndmask_b32_e32 v15, v70, v15, vcc
	v_cmp_ne_u32_e64 s[18:19], 0, v58
	v_cndmask_b32_e64 v17, 1, v69, s[0:1]
	v_cmp_ne_u32_e64 s[0:1], 12, v3
	v_cndmask_b32_e32 v17, v69, v17, vcc
	v_cmp_ne_u32_e64 s[16:17], 0, v57
	v_cndmask_b32_e64 v54, 1, v68, s[0:1]
	v_cmp_ne_u32_e64 s[0:1], 13, v3
	v_cndmask_b32_e32 v54, v68, v54, vcc
	v_cmp_ne_u32_e64 s[14:15], 0, v21
	v_cndmask_b32_e64 v55, 1, v66, s[0:1]
	v_cmp_ne_u32_e64 s[0:1], 14, v3
	v_cndmask_b32_e32 v55, v66, v55, vcc
	v_cmp_ne_u32_e64 s[10:11], 0, v14
	v_cndmask_b32_e64 v3, 1, v63, s[0:1]
	v_cndmask_b32_e32 v56, v63, v3, vcc
	v_cndmask_b32_e32 v63, v2, v4, vcc
	v_cmp_eq_u32_e32 vcc, 0, v63
	v_lshlrev_b64 v[4:5], 3, v[52:53]
	v_lshl_add_u64 v[2:3], s[42:43], 0, v[4:5]
	v_cndmask_b32_e64 v10, 1, 2, vcc
	v_cmp_eq_u32_e32 vcc, 0, v62
	v_lshl_add_u64 v[2:3], v[2:3], 0, v[6:7]
	v_cmp_ne_u32_e64 s[28:29], 0, v63
	v_cndmask_b32_e64 v11, 1, 2, vcc
	v_cmp_eq_u32_e32 vcc, 0, v61
	v_and_b32_e32 v10, v11, v10
	v_cmp_ne_u32_e64 s[8:9], 0, v15
	v_cndmask_b32_e64 v11, 1, 2, vcc
	v_cmp_eq_u32_e32 vcc, 0, v60
	v_and_b32_e32 v10, v10, v11
	;; [unrolled: 4-line block ×6, first 2 shown]
	s_nop 0
	v_cndmask_b32_e64 v11, 1, 2, vcc
	v_cmp_eq_u32_e32 vcc, 0, v13
	v_and_b32_e32 v10, v10, v11
	s_barrier
	v_cndmask_b32_e64 v11, 1, 2, vcc
	v_cmp_eq_u32_e32 vcc, 0, v14
	v_and_b32_e32 v10, v10, v11
	s_nop 0
	v_cndmask_b32_e64 v11, 1, 2, vcc
	v_cmp_eq_u32_e32 vcc, 0, v15
	v_and_b32_e32 v10, v10, v11
	s_nop 0
	;; [unrolled: 4-line block ×6, first 2 shown]
	v_cndmask_b32_e64 v11, 1, 2, vcc
	v_and_b32_e32 v13, v10, v11
	v_cmp_gt_u32_e32 vcc, s30, v1
	v_cmp_gt_i16_e64 s[30:31], 2, v13
	s_cbranch_vccz .LBB236_131
; %bb.125:
	s_and_saveexec_b64 s[36:37], s[30:31]
	s_cbranch_execz .LBB236_130
; %bb.126:
	v_lshlrev_b64 v[10:11], 3, v[8:9]
	v_lshl_add_u64 v[10:11], v[2:3], 0, v[10:11]
	v_cmp_ne_u16_e32 vcc, 1, v13
	s_mov_b64 s[38:39], 0
	s_and_saveexec_b64 s[30:31], vcc
	s_xor_b64 s[30:31], exec, s[30:31]
	s_cbranch_execnz .LBB236_180
; %bb.127:
	s_andn2_saveexec_b64 s[30:31], s[30:31]
	s_cbranch_execnz .LBB236_196
.LBB236_128:
	s_or_b64 exec, exec, s[30:31]
	s_and_b64 exec, exec, s[38:39]
	s_cbranch_execz .LBB236_130
.LBB236_129:
	v_mov_b32_e32 v15, 0
	v_sub_u32_e32 v54, v24, v12
	v_mov_b32_e32 v55, v15
	v_mov_b32_e32 v14, v25
	v_lshl_add_u64 v[10:11], v[54:55], 3, v[10:11]
	global_store_dwordx2 v[10:11], v[14:15], off
.LBB236_130:
	s_or_b64 exec, exec, s[36:37]
	s_mov_b64 s[36:37], 0
.LBB236_131:
	s_and_b64 vcc, exec, s[36:37]
	s_cbranch_vccz .LBB236_141
; %bb.132:
	v_cmp_gt_i16_e32 vcc, 2, v13
	s_and_saveexec_b64 s[30:31], vcc
	s_cbranch_execz .LBB236_137
; %bb.133:
	v_cmp_ne_u16_e32 vcc, 1, v13
	s_mov_b64 s[38:39], 0
	s_and_saveexec_b64 s[36:37], vcc
	s_xor_b64 s[36:37], exec, s[36:37]
	s_cbranch_execnz .LBB236_197
; %bb.134:
	s_andn2_saveexec_b64 s[0:1], s[36:37]
	s_cbranch_execnz .LBB236_213
.LBB236_135:
	s_or_b64 exec, exec, s[0:1]
	s_and_b64 exec, exec, s[38:39]
	s_cbranch_execz .LBB236_137
.LBB236_136:
	v_sub_u32_e32 v10, v24, v12
	v_lshlrev_b32_e32 v10, 2, v10
	ds_write_b32 v10, v25
.LBB236_137:
	s_or_b64 exec, exec, s[30:31]
	v_cmp_lt_u32_e32 vcc, v0, v1
	s_waitcnt lgkmcnt(0)
	s_barrier
	s_and_saveexec_b64 s[0:1], vcc
	s_cbranch_execz .LBB236_140
; %bb.138:
	v_lshlrev_b64 v[8:9], 3, v[8:9]
	v_lshl_add_u64 v[4:5], v[4:5], 0, v[8:9]
	v_lshl_add_u64 v[6:7], v[4:5], 0, v[6:7]
	v_lshlrev_b32_e32 v4, 3, v0
	v_mov_b32_e32 v5, 0
	v_lshl_add_u64 v[6:7], s[42:43], 0, v[6:7]
	v_lshlrev_b32_e32 v10, 2, v0
	v_lshl_add_u64 v[6:7], v[6:7], 0, v[4:5]
	s_mov_b64 s[2:3], 0
	s_mov_b64 s[4:5], 0x1000
	v_mov_b32_e32 v8, v0
.LBB236_139:                            ; =>This Inner Loop Header: Depth=1
	ds_read_b32 v4, v10
	v_add_u32_e32 v8, 0x200, v8
	v_cmp_ge_u32_e32 vcc, v8, v1
	v_add_u32_e32 v10, 0x800, v10
	s_or_b64 s[2:3], vcc, s[2:3]
	s_waitcnt lgkmcnt(0)
	global_store_dwordx2 v[6:7], v[4:5], off
	v_lshl_add_u64 v[6:7], v[6:7], 0, s[4:5]
	s_andn2_b64 exec, exec, s[2:3]
	s_cbranch_execnz .LBB236_139
.LBB236_140:
	s_or_b64 exec, exec, s[0:1]
.LBB236_141:
	s_movk_i32 s0, 0x1ff
	v_cmp_eq_u32_e32 vcc, s0, v0
	s_and_b64 s[0:1], vcc, s[34:35]
	s_and_saveexec_b64 s[2:3], s[0:1]
	s_cbranch_execz .LBB236_144
; %bb.142:
	v_mov_b32_e32 v17, 0
	v_lshl_add_u64 v[0:1], v[16:17], 0, v[18:19]
	v_lshl_add_u64 v[0:1], v[0:1], 0, v[52:53]
	s_cmpk_lg_i32 s33, 0x1e00
	global_store_dwordx2 v17, v[0:1], s[44:45]
	s_cbranch_scc1 .LBB236_144
; %bb.143:
	v_lshlrev_b64 v[0:1], 3, v[16:17]
	v_mov_b32_e32 v21, v17
	v_lshl_add_u64 v[0:1], v[2:3], 0, v[0:1]
	global_store_dwordx2 v[0:1], v[20:21], off offset:-8
.LBB236_144:
	s_endpgm
.LBB236_145:
	s_or_b64 exec, exec, s[4:5]
	v_mov_b32_e32 v79, s3
	s_and_saveexec_b64 s[4:5], s[8:9]
	s_cbranch_execnz .LBB236_56
	s_branch .LBB236_57
.LBB236_146:
	s_and_saveexec_b64 s[38:39], s[28:29]
	s_cbranch_execnz .LBB236_214
; %bb.147:
	s_or_b64 exec, exec, s[38:39]
	s_and_saveexec_b64 s[38:39], s[26:27]
	s_cbranch_execnz .LBB236_215
.LBB236_148:
	s_or_b64 exec, exec, s[38:39]
	s_and_saveexec_b64 s[38:39], s[24:25]
	s_cbranch_execnz .LBB236_216
.LBB236_149:
	s_or_b64 exec, exec, s[38:39]
	s_and_saveexec_b64 s[38:39], s[22:23]
	s_cbranch_execnz .LBB236_217
.LBB236_150:
	s_or_b64 exec, exec, s[38:39]
	s_and_saveexec_b64 s[38:39], s[20:21]
	s_cbranch_execnz .LBB236_218
.LBB236_151:
	s_or_b64 exec, exec, s[38:39]
	s_and_saveexec_b64 s[38:39], s[18:19]
	s_cbranch_execnz .LBB236_219
.LBB236_152:
	s_or_b64 exec, exec, s[38:39]
	s_and_saveexec_b64 s[38:39], s[16:17]
	s_cbranch_execnz .LBB236_220
.LBB236_153:
	s_or_b64 exec, exec, s[38:39]
	s_and_saveexec_b64 s[38:39], s[14:15]
	s_cbranch_execnz .LBB236_221
.LBB236_154:
	s_or_b64 exec, exec, s[38:39]
	s_and_saveexec_b64 s[38:39], s[12:13]
	s_cbranch_execnz .LBB236_222
.LBB236_155:
	s_or_b64 exec, exec, s[38:39]
	s_and_saveexec_b64 s[38:39], s[10:11]
	s_cbranch_execnz .LBB236_223
.LBB236_156:
	s_or_b64 exec, exec, s[38:39]
	s_and_saveexec_b64 s[38:39], s[8:9]
	s_cbranch_execnz .LBB236_224
.LBB236_157:
	s_or_b64 exec, exec, s[38:39]
	s_and_saveexec_b64 s[38:39], s[6:7]
	s_cbranch_execnz .LBB236_225
.LBB236_158:
	s_or_b64 exec, exec, s[38:39]
	s_and_saveexec_b64 s[38:39], s[4:5]
	s_cbranch_execnz .LBB236_226
.LBB236_159:
	s_or_b64 exec, exec, s[38:39]
	s_and_saveexec_b64 s[38:39], s[2:3]
	s_cbranch_execz .LBB236_161
.LBB236_160:
	v_sub_u32_e32 v3, v22, v18
	v_readfirstlane_b32 s40, v54
	v_readfirstlane_b32 s41, v55
	s_nop 4
	global_store_byte v3, v11, s[40:41]
.LBB236_161:
	s_or_b64 exec, exec, s[38:39]
	s_and_b64 s[38:39], s[0:1], exec
	s_andn2_saveexec_b64 s[30:31], s[30:31]
	s_cbranch_execz .LBB236_102
.LBB236_162:
	v_sub_u32_e32 v3, v50, v18
	v_readfirstlane_b32 s40, v54
	v_readfirstlane_b32 s41, v55
	s_or_b64 s[38:39], s[38:39], exec
	s_nop 3
	global_store_byte v3, v8, s[40:41]
	v_sub_u32_e32 v3, v48, v18
	global_store_byte v3, v67, s[40:41]
	v_sub_u32_e32 v3, v46, v18
	;; [unrolled: 2-line block ×13, first 2 shown]
	global_store_byte v3, v11, s[40:41]
	s_or_b64 exec, exec, s[30:31]
	s_and_b64 exec, exec, s[38:39]
	s_cbranch_execnz .LBB236_103
	s_branch .LBB236_104
.LBB236_163:
	s_and_saveexec_b64 s[38:39], s[28:29]
	s_cbranch_execnz .LBB236_227
; %bb.164:
	s_or_b64 exec, exec, s[38:39]
	s_and_saveexec_b64 s[28:29], s[26:27]
	s_cbranch_execnz .LBB236_228
.LBB236_165:
	s_or_b64 exec, exec, s[28:29]
	s_and_saveexec_b64 s[26:27], s[24:25]
	s_cbranch_execnz .LBB236_229
.LBB236_166:
	s_or_b64 exec, exec, s[26:27]
	s_and_saveexec_b64 s[24:25], s[22:23]
	s_cbranch_execnz .LBB236_230
.LBB236_167:
	s_or_b64 exec, exec, s[24:25]
	s_and_saveexec_b64 s[22:23], s[20:21]
	s_cbranch_execnz .LBB236_231
.LBB236_168:
	s_or_b64 exec, exec, s[22:23]
	s_and_saveexec_b64 s[20:21], s[18:19]
	s_cbranch_execnz .LBB236_232
.LBB236_169:
	s_or_b64 exec, exec, s[20:21]
	s_and_saveexec_b64 s[18:19], s[16:17]
	s_cbranch_execnz .LBB236_233
.LBB236_170:
	s_or_b64 exec, exec, s[18:19]
	s_and_saveexec_b64 s[16:17], s[14:15]
	s_cbranch_execnz .LBB236_234
.LBB236_171:
	s_or_b64 exec, exec, s[16:17]
	s_and_saveexec_b64 s[14:15], s[12:13]
	s_cbranch_execnz .LBB236_235
.LBB236_172:
	s_or_b64 exec, exec, s[14:15]
	s_and_saveexec_b64 s[12:13], s[10:11]
	s_cbranch_execnz .LBB236_236
.LBB236_173:
	s_or_b64 exec, exec, s[12:13]
	s_and_saveexec_b64 s[10:11], s[8:9]
	s_cbranch_execnz .LBB236_237
.LBB236_174:
	s_or_b64 exec, exec, s[10:11]
	s_and_saveexec_b64 s[8:9], s[6:7]
	s_cbranch_execnz .LBB236_238
.LBB236_175:
	s_or_b64 exec, exec, s[8:9]
	s_and_saveexec_b64 s[6:7], s[4:5]
	s_cbranch_execnz .LBB236_239
.LBB236_176:
	s_or_b64 exec, exec, s[6:7]
	s_and_saveexec_b64 s[4:5], s[2:3]
	s_cbranch_execz .LBB236_178
.LBB236_177:
	v_sub_u32_e32 v2, v22, v18
	ds_write_b8 v2, v11
.LBB236_178:
	s_or_b64 exec, exec, s[4:5]
	s_and_b64 s[38:39], s[0:1], exec
                                        ; implicit-def: $vgpr11
                                        ; implicit-def: $vgpr56
                                        ; implicit-def: $vgpr57
                                        ; implicit-def: $vgpr58
                                        ; implicit-def: $vgpr59
                                        ; implicit-def: $vgpr10
                                        ; implicit-def: $vgpr60
                                        ; implicit-def: $vgpr61
                                        ; implicit-def: $vgpr62
                                        ; implicit-def: $vgpr64
                                        ; implicit-def: $vgpr65
                                        ; implicit-def: $vgpr67
	s_andn2_saveexec_b64 s[0:1], s[36:37]
	s_cbranch_execz .LBB236_109
.LBB236_179:
	v_sub_u32_e32 v2, v50, v18
	ds_write_b8 v2, v8
	v_sub_u32_e32 v2, v48, v18
	ds_write_b8 v2, v67
	;; [unrolled: 2-line block ×13, first 2 shown]
	v_sub_u32_e32 v2, v22, v18
	s_or_b64 s[38:39], s[38:39], exec
	ds_write_b8 v2, v11
	s_or_b64 exec, exec, s[0:1]
	s_and_b64 exec, exec, s[38:39]
	s_cbranch_execnz .LBB236_110
	s_branch .LBB236_111
.LBB236_180:
	s_and_saveexec_b64 s[38:39], s[28:29]
	s_cbranch_execnz .LBB236_240
; %bb.181:
	s_or_b64 exec, exec, s[38:39]
	s_and_saveexec_b64 s[38:39], s[26:27]
	s_cbranch_execnz .LBB236_241
.LBB236_182:
	s_or_b64 exec, exec, s[38:39]
	s_and_saveexec_b64 s[38:39], s[24:25]
	s_cbranch_execnz .LBB236_242
.LBB236_183:
	s_or_b64 exec, exec, s[38:39]
	s_and_saveexec_b64 s[38:39], s[22:23]
	s_cbranch_execnz .LBB236_243
.LBB236_184:
	s_or_b64 exec, exec, s[38:39]
	s_and_saveexec_b64 s[38:39], s[20:21]
	s_cbranch_execnz .LBB236_244
.LBB236_185:
	s_or_b64 exec, exec, s[38:39]
	s_and_saveexec_b64 s[38:39], s[18:19]
	s_cbranch_execnz .LBB236_245
.LBB236_186:
	s_or_b64 exec, exec, s[38:39]
	s_and_saveexec_b64 s[38:39], s[16:17]
	s_cbranch_execnz .LBB236_246
.LBB236_187:
	s_or_b64 exec, exec, s[38:39]
	s_and_saveexec_b64 s[38:39], s[14:15]
	s_cbranch_execnz .LBB236_247
.LBB236_188:
	s_or_b64 exec, exec, s[38:39]
	s_and_saveexec_b64 s[38:39], s[12:13]
	s_cbranch_execnz .LBB236_248
.LBB236_189:
	s_or_b64 exec, exec, s[38:39]
	s_and_saveexec_b64 s[38:39], s[10:11]
	s_cbranch_execnz .LBB236_249
.LBB236_190:
	s_or_b64 exec, exec, s[38:39]
	s_and_saveexec_b64 s[38:39], s[8:9]
	s_cbranch_execnz .LBB236_250
.LBB236_191:
	s_or_b64 exec, exec, s[38:39]
	s_and_saveexec_b64 s[38:39], s[6:7]
	s_cbranch_execnz .LBB236_251
.LBB236_192:
	s_or_b64 exec, exec, s[38:39]
	s_and_saveexec_b64 s[38:39], s[4:5]
	s_cbranch_execnz .LBB236_252
.LBB236_193:
	s_or_b64 exec, exec, s[38:39]
	s_and_saveexec_b64 s[38:39], s[2:3]
	s_cbranch_execz .LBB236_195
.LBB236_194:
	v_sub_u32_e32 v14, v22, v12
	v_mov_b32_e32 v15, 0
	v_lshl_add_u64 v[54:55], v[14:15], 3, v[10:11]
	v_mov_b32_e32 v14, v23
	global_store_dwordx2 v[54:55], v[14:15], off
.LBB236_195:
	s_or_b64 exec, exec, s[38:39]
	s_and_b64 s[38:39], s[0:1], exec
	s_andn2_saveexec_b64 s[30:31], s[30:31]
	s_cbranch_execz .LBB236_128
.LBB236_196:
	v_mov_b32_e32 v15, 0
	v_sub_u32_e32 v54, v50, v12
	v_mov_b32_e32 v55, v15
	v_mov_b32_e32 v14, v51
	v_lshl_add_u64 v[54:55], v[54:55], 3, v[10:11]
	global_store_dwordx2 v[54:55], v[14:15], off
	v_sub_u32_e32 v54, v48, v12
	v_mov_b32_e32 v55, v15
	v_mov_b32_e32 v14, v49
	v_lshl_add_u64 v[54:55], v[54:55], 3, v[10:11]
	global_store_dwordx2 v[54:55], v[14:15], off
	;; [unrolled: 5-line block ×13, first 2 shown]
	v_sub_u32_e32 v54, v22, v12
	v_mov_b32_e32 v55, v15
	v_mov_b32_e32 v14, v23
	v_lshl_add_u64 v[54:55], v[54:55], 3, v[10:11]
	s_or_b64 s[38:39], s[38:39], exec
	global_store_dwordx2 v[54:55], v[14:15], off
	s_or_b64 exec, exec, s[30:31]
	s_and_b64 exec, exec, s[38:39]
	s_cbranch_execnz .LBB236_129
	s_branch .LBB236_130
.LBB236_197:
	s_and_saveexec_b64 s[38:39], s[28:29]
	s_cbranch_execnz .LBB236_253
; %bb.198:
	s_or_b64 exec, exec, s[38:39]
	s_and_saveexec_b64 s[28:29], s[26:27]
	s_cbranch_execnz .LBB236_254
.LBB236_199:
	s_or_b64 exec, exec, s[28:29]
	s_and_saveexec_b64 s[26:27], s[24:25]
	s_cbranch_execnz .LBB236_255
.LBB236_200:
	s_or_b64 exec, exec, s[26:27]
	s_and_saveexec_b64 s[24:25], s[22:23]
	s_cbranch_execnz .LBB236_256
.LBB236_201:
	s_or_b64 exec, exec, s[24:25]
	s_and_saveexec_b64 s[22:23], s[20:21]
	s_cbranch_execnz .LBB236_257
.LBB236_202:
	s_or_b64 exec, exec, s[22:23]
	s_and_saveexec_b64 s[20:21], s[18:19]
	s_cbranch_execnz .LBB236_258
.LBB236_203:
	s_or_b64 exec, exec, s[20:21]
	s_and_saveexec_b64 s[18:19], s[16:17]
	s_cbranch_execnz .LBB236_259
.LBB236_204:
	s_or_b64 exec, exec, s[18:19]
	s_and_saveexec_b64 s[16:17], s[14:15]
	s_cbranch_execnz .LBB236_260
.LBB236_205:
	s_or_b64 exec, exec, s[16:17]
	s_and_saveexec_b64 s[14:15], s[12:13]
	s_cbranch_execnz .LBB236_261
.LBB236_206:
	s_or_b64 exec, exec, s[14:15]
	s_and_saveexec_b64 s[12:13], s[10:11]
	s_cbranch_execnz .LBB236_262
.LBB236_207:
	s_or_b64 exec, exec, s[12:13]
	s_and_saveexec_b64 s[10:11], s[8:9]
	s_cbranch_execnz .LBB236_263
.LBB236_208:
	s_or_b64 exec, exec, s[10:11]
	s_and_saveexec_b64 s[8:9], s[6:7]
	s_cbranch_execnz .LBB236_264
.LBB236_209:
	s_or_b64 exec, exec, s[8:9]
	s_and_saveexec_b64 s[6:7], s[4:5]
	s_cbranch_execnz .LBB236_265
.LBB236_210:
	s_or_b64 exec, exec, s[6:7]
	s_and_saveexec_b64 s[4:5], s[2:3]
	s_cbranch_execz .LBB236_212
.LBB236_211:
	v_sub_u32_e32 v10, v22, v12
	v_lshlrev_b32_e32 v10, 2, v10
	ds_write_b32 v10, v23
.LBB236_212:
	s_or_b64 exec, exec, s[4:5]
	s_and_b64 s[38:39], s[0:1], exec
                                        ; implicit-def: $vgpr22_vgpr23
                                        ; implicit-def: $vgpr26_vgpr27
                                        ; implicit-def: $vgpr28_vgpr29
                                        ; implicit-def: $vgpr50_vgpr51
                                        ; implicit-def: $vgpr48_vgpr49
                                        ; implicit-def: $vgpr46_vgpr47
                                        ; implicit-def: $vgpr44_vgpr45
                                        ; implicit-def: $vgpr42_vgpr43
                                        ; implicit-def: $vgpr40_vgpr41
                                        ; implicit-def: $vgpr38_vgpr39
                                        ; implicit-def: $vgpr36_vgpr37
                                        ; implicit-def: $vgpr34_vgpr35
                                        ; implicit-def: $vgpr32_vgpr33
                                        ; implicit-def: $vgpr30_vgpr31
	s_andn2_saveexec_b64 s[0:1], s[36:37]
	s_cbranch_execz .LBB236_135
.LBB236_213:
	v_sub_u32_e32 v10, v50, v12
	v_lshlrev_b32_e32 v10, 2, v10
	ds_write_b32 v10, v51
	v_sub_u32_e32 v10, v48, v12
	v_lshlrev_b32_e32 v10, 2, v10
	ds_write_b32 v10, v49
	;; [unrolled: 3-line block ×13, first 2 shown]
	v_sub_u32_e32 v10, v22, v12
	v_lshlrev_b32_e32 v10, 2, v10
	s_or_b64 s[38:39], s[38:39], exec
	ds_write_b32 v10, v23
	s_or_b64 exec, exec, s[0:1]
	s_and_b64 exec, exec, s[38:39]
	s_cbranch_execnz .LBB236_136
	s_branch .LBB236_137
.LBB236_214:
	v_sub_u32_e32 v3, v50, v18
	v_readfirstlane_b32 s40, v54
	v_readfirstlane_b32 s41, v55
	s_nop 4
	global_store_byte v3, v8, s[40:41]
	s_or_b64 exec, exec, s[38:39]
	s_and_saveexec_b64 s[38:39], s[26:27]
	s_cbranch_execz .LBB236_148
.LBB236_215:
	v_sub_u32_e32 v3, v48, v18
	v_readfirstlane_b32 s40, v54
	v_readfirstlane_b32 s41, v55
	s_nop 4
	global_store_byte v3, v67, s[40:41]
	s_or_b64 exec, exec, s[38:39]
	s_and_saveexec_b64 s[38:39], s[24:25]
	s_cbranch_execz .LBB236_149
.LBB236_216:
	v_sub_u32_e32 v3, v46, v18
	v_readfirstlane_b32 s40, v54
	v_readfirstlane_b32 s41, v55
	s_nop 4
	global_store_byte v3, v65, s[40:41]
	s_or_b64 exec, exec, s[38:39]
	s_and_saveexec_b64 s[38:39], s[22:23]
	s_cbranch_execz .LBB236_150
.LBB236_217:
	v_sub_u32_e32 v3, v44, v18
	v_readfirstlane_b32 s40, v54
	v_readfirstlane_b32 s41, v55
	s_nop 4
	global_store_byte v3, v64, s[40:41]
	s_or_b64 exec, exec, s[38:39]
	s_and_saveexec_b64 s[38:39], s[20:21]
	s_cbranch_execz .LBB236_151
.LBB236_218:
	v_sub_u32_e32 v3, v42, v18
	v_readfirstlane_b32 s40, v54
	v_readfirstlane_b32 s41, v55
	s_nop 4
	global_store_byte v3, v9, s[40:41]
	s_or_b64 exec, exec, s[38:39]
	s_and_saveexec_b64 s[38:39], s[18:19]
	s_cbranch_execz .LBB236_152
.LBB236_219:
	v_sub_u32_e32 v3, v40, v18
	v_readfirstlane_b32 s40, v54
	v_readfirstlane_b32 s41, v55
	s_nop 4
	global_store_byte v3, v62, s[40:41]
	s_or_b64 exec, exec, s[38:39]
	s_and_saveexec_b64 s[38:39], s[16:17]
	s_cbranch_execz .LBB236_153
.LBB236_220:
	v_sub_u32_e32 v3, v38, v18
	v_readfirstlane_b32 s40, v54
	v_readfirstlane_b32 s41, v55
	s_nop 4
	global_store_byte v3, v61, s[40:41]
	s_or_b64 exec, exec, s[38:39]
	s_and_saveexec_b64 s[38:39], s[14:15]
	s_cbranch_execz .LBB236_154
.LBB236_221:
	v_sub_u32_e32 v3, v36, v18
	v_readfirstlane_b32 s40, v54
	v_readfirstlane_b32 s41, v55
	s_nop 4
	global_store_byte v3, v60, s[40:41]
	s_or_b64 exec, exec, s[38:39]
	s_and_saveexec_b64 s[38:39], s[12:13]
	s_cbranch_execz .LBB236_155
.LBB236_222:
	v_sub_u32_e32 v3, v34, v18
	v_readfirstlane_b32 s40, v54
	v_readfirstlane_b32 s41, v55
	s_nop 4
	global_store_byte v3, v10, s[40:41]
	s_or_b64 exec, exec, s[38:39]
	s_and_saveexec_b64 s[38:39], s[10:11]
	s_cbranch_execz .LBB236_156
.LBB236_223:
	v_sub_u32_e32 v3, v32, v18
	v_readfirstlane_b32 s40, v54
	v_readfirstlane_b32 s41, v55
	s_nop 4
	global_store_byte v3, v59, s[40:41]
	s_or_b64 exec, exec, s[38:39]
	s_and_saveexec_b64 s[38:39], s[8:9]
	s_cbranch_execz .LBB236_157
.LBB236_224:
	v_sub_u32_e32 v3, v30, v18
	v_readfirstlane_b32 s40, v54
	v_readfirstlane_b32 s41, v55
	s_nop 4
	global_store_byte v3, v58, s[40:41]
	s_or_b64 exec, exec, s[38:39]
	s_and_saveexec_b64 s[38:39], s[6:7]
	s_cbranch_execz .LBB236_158
.LBB236_225:
	v_sub_u32_e32 v3, v28, v18
	v_readfirstlane_b32 s40, v54
	v_readfirstlane_b32 s41, v55
	s_nop 4
	global_store_byte v3, v57, s[40:41]
	s_or_b64 exec, exec, s[38:39]
	s_and_saveexec_b64 s[38:39], s[4:5]
	s_cbranch_execz .LBB236_159
.LBB236_226:
	v_sub_u32_e32 v3, v26, v18
	v_readfirstlane_b32 s40, v54
	v_readfirstlane_b32 s41, v55
	s_nop 4
	global_store_byte v3, v56, s[40:41]
	s_or_b64 exec, exec, s[38:39]
	s_and_saveexec_b64 s[38:39], s[2:3]
	s_cbranch_execnz .LBB236_160
	s_branch .LBB236_161
.LBB236_227:
	v_sub_u32_e32 v2, v50, v18
	ds_write_b8 v2, v8
	s_or_b64 exec, exec, s[38:39]
	s_and_saveexec_b64 s[28:29], s[26:27]
	s_cbranch_execz .LBB236_165
.LBB236_228:
	v_sub_u32_e32 v2, v48, v18
	ds_write_b8 v2, v67
	s_or_b64 exec, exec, s[28:29]
	s_and_saveexec_b64 s[26:27], s[24:25]
	s_cbranch_execz .LBB236_166
.LBB236_229:
	v_sub_u32_e32 v2, v46, v18
	ds_write_b8 v2, v65
	s_or_b64 exec, exec, s[26:27]
	s_and_saveexec_b64 s[24:25], s[22:23]
	s_cbranch_execz .LBB236_167
.LBB236_230:
	v_sub_u32_e32 v2, v44, v18
	ds_write_b8 v2, v64
	s_or_b64 exec, exec, s[24:25]
	s_and_saveexec_b64 s[22:23], s[20:21]
	s_cbranch_execz .LBB236_168
.LBB236_231:
	v_sub_u32_e32 v2, v42, v18
	ds_write_b8 v2, v9
	s_or_b64 exec, exec, s[22:23]
	s_and_saveexec_b64 s[20:21], s[18:19]
	s_cbranch_execz .LBB236_169
.LBB236_232:
	v_sub_u32_e32 v2, v40, v18
	ds_write_b8 v2, v62
	s_or_b64 exec, exec, s[20:21]
	s_and_saveexec_b64 s[18:19], s[16:17]
	s_cbranch_execz .LBB236_170
.LBB236_233:
	v_sub_u32_e32 v2, v38, v18
	ds_write_b8 v2, v61
	s_or_b64 exec, exec, s[18:19]
	s_and_saveexec_b64 s[16:17], s[14:15]
	s_cbranch_execz .LBB236_171
.LBB236_234:
	v_sub_u32_e32 v2, v36, v18
	ds_write_b8 v2, v60
	s_or_b64 exec, exec, s[16:17]
	s_and_saveexec_b64 s[14:15], s[12:13]
	s_cbranch_execz .LBB236_172
.LBB236_235:
	v_sub_u32_e32 v2, v34, v18
	ds_write_b8 v2, v10
	s_or_b64 exec, exec, s[14:15]
	s_and_saveexec_b64 s[12:13], s[10:11]
	s_cbranch_execz .LBB236_173
.LBB236_236:
	v_sub_u32_e32 v2, v32, v18
	ds_write_b8 v2, v59
	s_or_b64 exec, exec, s[12:13]
	s_and_saveexec_b64 s[10:11], s[8:9]
	s_cbranch_execz .LBB236_174
.LBB236_237:
	v_sub_u32_e32 v2, v30, v18
	ds_write_b8 v2, v58
	s_or_b64 exec, exec, s[10:11]
	s_and_saveexec_b64 s[8:9], s[6:7]
	s_cbranch_execz .LBB236_175
.LBB236_238:
	v_sub_u32_e32 v2, v28, v18
	ds_write_b8 v2, v57
	s_or_b64 exec, exec, s[8:9]
	s_and_saveexec_b64 s[6:7], s[4:5]
	s_cbranch_execz .LBB236_176
.LBB236_239:
	v_sub_u32_e32 v2, v26, v18
	ds_write_b8 v2, v56
	s_or_b64 exec, exec, s[6:7]
	s_and_saveexec_b64 s[4:5], s[2:3]
	s_cbranch_execnz .LBB236_177
	s_branch .LBB236_178
.LBB236_240:
	v_sub_u32_e32 v14, v50, v12
	v_mov_b32_e32 v15, 0
	v_lshl_add_u64 v[54:55], v[14:15], 3, v[10:11]
	v_mov_b32_e32 v14, v51
	global_store_dwordx2 v[54:55], v[14:15], off
	s_or_b64 exec, exec, s[38:39]
	s_and_saveexec_b64 s[38:39], s[26:27]
	s_cbranch_execz .LBB236_182
.LBB236_241:
	v_sub_u32_e32 v14, v48, v12
	v_mov_b32_e32 v15, 0
	v_lshl_add_u64 v[54:55], v[14:15], 3, v[10:11]
	v_mov_b32_e32 v14, v49
	global_store_dwordx2 v[54:55], v[14:15], off
	s_or_b64 exec, exec, s[38:39]
	s_and_saveexec_b64 s[38:39], s[24:25]
	s_cbranch_execz .LBB236_183
.LBB236_242:
	v_sub_u32_e32 v14, v46, v12
	v_mov_b32_e32 v15, 0
	v_lshl_add_u64 v[54:55], v[14:15], 3, v[10:11]
	v_mov_b32_e32 v14, v47
	global_store_dwordx2 v[54:55], v[14:15], off
	s_or_b64 exec, exec, s[38:39]
	s_and_saveexec_b64 s[38:39], s[22:23]
	s_cbranch_execz .LBB236_184
.LBB236_243:
	v_sub_u32_e32 v14, v44, v12
	v_mov_b32_e32 v15, 0
	v_lshl_add_u64 v[54:55], v[14:15], 3, v[10:11]
	v_mov_b32_e32 v14, v45
	global_store_dwordx2 v[54:55], v[14:15], off
	s_or_b64 exec, exec, s[38:39]
	s_and_saveexec_b64 s[38:39], s[20:21]
	s_cbranch_execz .LBB236_185
.LBB236_244:
	v_sub_u32_e32 v14, v42, v12
	v_mov_b32_e32 v15, 0
	v_lshl_add_u64 v[54:55], v[14:15], 3, v[10:11]
	v_mov_b32_e32 v14, v43
	global_store_dwordx2 v[54:55], v[14:15], off
	s_or_b64 exec, exec, s[38:39]
	s_and_saveexec_b64 s[38:39], s[18:19]
	s_cbranch_execz .LBB236_186
.LBB236_245:
	v_sub_u32_e32 v14, v40, v12
	v_mov_b32_e32 v15, 0
	v_lshl_add_u64 v[54:55], v[14:15], 3, v[10:11]
	v_mov_b32_e32 v14, v41
	global_store_dwordx2 v[54:55], v[14:15], off
	s_or_b64 exec, exec, s[38:39]
	s_and_saveexec_b64 s[38:39], s[16:17]
	s_cbranch_execz .LBB236_187
.LBB236_246:
	v_sub_u32_e32 v14, v38, v12
	v_mov_b32_e32 v15, 0
	v_lshl_add_u64 v[54:55], v[14:15], 3, v[10:11]
	v_mov_b32_e32 v14, v39
	global_store_dwordx2 v[54:55], v[14:15], off
	s_or_b64 exec, exec, s[38:39]
	s_and_saveexec_b64 s[38:39], s[14:15]
	s_cbranch_execz .LBB236_188
.LBB236_247:
	v_sub_u32_e32 v14, v36, v12
	v_mov_b32_e32 v15, 0
	v_lshl_add_u64 v[54:55], v[14:15], 3, v[10:11]
	v_mov_b32_e32 v14, v37
	global_store_dwordx2 v[54:55], v[14:15], off
	s_or_b64 exec, exec, s[38:39]
	s_and_saveexec_b64 s[38:39], s[12:13]
	s_cbranch_execz .LBB236_189
.LBB236_248:
	v_sub_u32_e32 v14, v34, v12
	v_mov_b32_e32 v15, 0
	v_lshl_add_u64 v[54:55], v[14:15], 3, v[10:11]
	v_mov_b32_e32 v14, v35
	global_store_dwordx2 v[54:55], v[14:15], off
	s_or_b64 exec, exec, s[38:39]
	s_and_saveexec_b64 s[38:39], s[10:11]
	s_cbranch_execz .LBB236_190
.LBB236_249:
	v_sub_u32_e32 v14, v32, v12
	v_mov_b32_e32 v15, 0
	v_lshl_add_u64 v[54:55], v[14:15], 3, v[10:11]
	v_mov_b32_e32 v14, v33
	global_store_dwordx2 v[54:55], v[14:15], off
	s_or_b64 exec, exec, s[38:39]
	s_and_saveexec_b64 s[38:39], s[8:9]
	s_cbranch_execz .LBB236_191
.LBB236_250:
	v_sub_u32_e32 v14, v30, v12
	v_mov_b32_e32 v15, 0
	v_lshl_add_u64 v[54:55], v[14:15], 3, v[10:11]
	v_mov_b32_e32 v14, v31
	global_store_dwordx2 v[54:55], v[14:15], off
	s_or_b64 exec, exec, s[38:39]
	s_and_saveexec_b64 s[38:39], s[6:7]
	s_cbranch_execz .LBB236_192
.LBB236_251:
	v_sub_u32_e32 v14, v28, v12
	v_mov_b32_e32 v15, 0
	v_lshl_add_u64 v[54:55], v[14:15], 3, v[10:11]
	v_mov_b32_e32 v14, v29
	global_store_dwordx2 v[54:55], v[14:15], off
	s_or_b64 exec, exec, s[38:39]
	s_and_saveexec_b64 s[38:39], s[4:5]
	s_cbranch_execz .LBB236_193
.LBB236_252:
	v_sub_u32_e32 v14, v26, v12
	v_mov_b32_e32 v15, 0
	v_lshl_add_u64 v[54:55], v[14:15], 3, v[10:11]
	v_mov_b32_e32 v14, v27
	global_store_dwordx2 v[54:55], v[14:15], off
	s_or_b64 exec, exec, s[38:39]
	s_and_saveexec_b64 s[38:39], s[2:3]
	s_cbranch_execnz .LBB236_194
	s_branch .LBB236_195
.LBB236_253:
	v_sub_u32_e32 v10, v50, v12
	v_lshlrev_b32_e32 v10, 2, v10
	ds_write_b32 v10, v51
	s_or_b64 exec, exec, s[38:39]
	s_and_saveexec_b64 s[28:29], s[26:27]
	s_cbranch_execz .LBB236_199
.LBB236_254:
	v_sub_u32_e32 v10, v48, v12
	v_lshlrev_b32_e32 v10, 2, v10
	ds_write_b32 v10, v49
	s_or_b64 exec, exec, s[28:29]
	s_and_saveexec_b64 s[26:27], s[24:25]
	s_cbranch_execz .LBB236_200
.LBB236_255:
	v_sub_u32_e32 v10, v46, v12
	v_lshlrev_b32_e32 v10, 2, v10
	ds_write_b32 v10, v47
	s_or_b64 exec, exec, s[26:27]
	s_and_saveexec_b64 s[24:25], s[22:23]
	s_cbranch_execz .LBB236_201
.LBB236_256:
	v_sub_u32_e32 v10, v44, v12
	v_lshlrev_b32_e32 v10, 2, v10
	ds_write_b32 v10, v45
	s_or_b64 exec, exec, s[24:25]
	s_and_saveexec_b64 s[22:23], s[20:21]
	s_cbranch_execz .LBB236_202
.LBB236_257:
	v_sub_u32_e32 v10, v42, v12
	v_lshlrev_b32_e32 v10, 2, v10
	ds_write_b32 v10, v43
	s_or_b64 exec, exec, s[22:23]
	s_and_saveexec_b64 s[20:21], s[18:19]
	s_cbranch_execz .LBB236_203
.LBB236_258:
	v_sub_u32_e32 v10, v40, v12
	v_lshlrev_b32_e32 v10, 2, v10
	ds_write_b32 v10, v41
	s_or_b64 exec, exec, s[20:21]
	s_and_saveexec_b64 s[18:19], s[16:17]
	s_cbranch_execz .LBB236_204
.LBB236_259:
	v_sub_u32_e32 v10, v38, v12
	v_lshlrev_b32_e32 v10, 2, v10
	ds_write_b32 v10, v39
	s_or_b64 exec, exec, s[18:19]
	s_and_saveexec_b64 s[16:17], s[14:15]
	s_cbranch_execz .LBB236_205
.LBB236_260:
	v_sub_u32_e32 v10, v36, v12
	v_lshlrev_b32_e32 v10, 2, v10
	ds_write_b32 v10, v37
	s_or_b64 exec, exec, s[16:17]
	s_and_saveexec_b64 s[14:15], s[12:13]
	s_cbranch_execz .LBB236_206
.LBB236_261:
	v_sub_u32_e32 v10, v34, v12
	v_lshlrev_b32_e32 v10, 2, v10
	ds_write_b32 v10, v35
	s_or_b64 exec, exec, s[14:15]
	s_and_saveexec_b64 s[12:13], s[10:11]
	s_cbranch_execz .LBB236_207
.LBB236_262:
	v_sub_u32_e32 v10, v32, v12
	v_lshlrev_b32_e32 v10, 2, v10
	ds_write_b32 v10, v33
	s_or_b64 exec, exec, s[12:13]
	s_and_saveexec_b64 s[10:11], s[8:9]
	s_cbranch_execz .LBB236_208
.LBB236_263:
	v_sub_u32_e32 v10, v30, v12
	v_lshlrev_b32_e32 v10, 2, v10
	ds_write_b32 v10, v31
	s_or_b64 exec, exec, s[10:11]
	s_and_saveexec_b64 s[8:9], s[6:7]
	s_cbranch_execz .LBB236_209
.LBB236_264:
	v_sub_u32_e32 v10, v28, v12
	v_lshlrev_b32_e32 v10, 2, v10
	ds_write_b32 v10, v29
	s_or_b64 exec, exec, s[8:9]
	s_and_saveexec_b64 s[6:7], s[4:5]
	s_cbranch_execz .LBB236_210
.LBB236_265:
	v_sub_u32_e32 v10, v26, v12
	v_lshlrev_b32_e32 v10, 2, v10
	ds_write_b32 v10, v27
	s_or_b64 exec, exec, s[6:7]
	s_and_saveexec_b64 s[4:5], s[2:3]
	s_cbranch_execnz .LBB236_211
	s_branch .LBB236_212
	.section	.rodata,"a",@progbits
	.p2align	6, 0x0
	.amdhsa_kernel _ZN7rocprim17ROCPRIM_400000_NS6detail17trampoline_kernelINS0_14default_configENS1_33run_length_encode_config_selectorIajNS0_4plusIjEEEEZZNS1_33reduce_by_key_impl_wrapped_configILNS1_25lookback_scan_determinismE0ES3_S7_PKaNS0_17constant_iteratorIjlEEPaPlSF_S6_NS0_8equal_toIaEEEE10hipError_tPvRmT2_T3_mT4_T5_T6_T7_T8_P12ihipStream_tbENKUlT_T0_E_clISt17integral_constantIbLb0EESZ_EEDaSU_SV_EUlSU_E_NS1_11comp_targetILNS1_3genE5ELNS1_11target_archE942ELNS1_3gpuE9ELNS1_3repE0EEENS1_30default_config_static_selectorELNS0_4arch9wavefront6targetE1EEEvT1_
		.amdhsa_group_segment_fixed_size 30720
		.amdhsa_private_segment_fixed_size 0
		.amdhsa_kernarg_size 128
		.amdhsa_user_sgpr_count 2
		.amdhsa_user_sgpr_dispatch_ptr 0
		.amdhsa_user_sgpr_queue_ptr 0
		.amdhsa_user_sgpr_kernarg_segment_ptr 1
		.amdhsa_user_sgpr_dispatch_id 0
		.amdhsa_user_sgpr_kernarg_preload_length 0
		.amdhsa_user_sgpr_kernarg_preload_offset 0
		.amdhsa_user_sgpr_private_segment_size 0
		.amdhsa_uses_dynamic_stack 0
		.amdhsa_enable_private_segment 0
		.amdhsa_system_sgpr_workgroup_id_x 1
		.amdhsa_system_sgpr_workgroup_id_y 0
		.amdhsa_system_sgpr_workgroup_id_z 0
		.amdhsa_system_sgpr_workgroup_info 0
		.amdhsa_system_vgpr_workitem_id 0
		.amdhsa_next_free_vgpr 109
		.amdhsa_next_free_sgpr 64
		.amdhsa_accum_offset 112
		.amdhsa_reserve_vcc 1
		.amdhsa_float_round_mode_32 0
		.amdhsa_float_round_mode_16_64 0
		.amdhsa_float_denorm_mode_32 3
		.amdhsa_float_denorm_mode_16_64 3
		.amdhsa_dx10_clamp 1
		.amdhsa_ieee_mode 1
		.amdhsa_fp16_overflow 0
		.amdhsa_tg_split 0
		.amdhsa_exception_fp_ieee_invalid_op 0
		.amdhsa_exception_fp_denorm_src 0
		.amdhsa_exception_fp_ieee_div_zero 0
		.amdhsa_exception_fp_ieee_overflow 0
		.amdhsa_exception_fp_ieee_underflow 0
		.amdhsa_exception_fp_ieee_inexact 0
		.amdhsa_exception_int_div_zero 0
	.end_amdhsa_kernel
	.section	.text._ZN7rocprim17ROCPRIM_400000_NS6detail17trampoline_kernelINS0_14default_configENS1_33run_length_encode_config_selectorIajNS0_4plusIjEEEEZZNS1_33reduce_by_key_impl_wrapped_configILNS1_25lookback_scan_determinismE0ES3_S7_PKaNS0_17constant_iteratorIjlEEPaPlSF_S6_NS0_8equal_toIaEEEE10hipError_tPvRmT2_T3_mT4_T5_T6_T7_T8_P12ihipStream_tbENKUlT_T0_E_clISt17integral_constantIbLb0EESZ_EEDaSU_SV_EUlSU_E_NS1_11comp_targetILNS1_3genE5ELNS1_11target_archE942ELNS1_3gpuE9ELNS1_3repE0EEENS1_30default_config_static_selectorELNS0_4arch9wavefront6targetE1EEEvT1_,"axG",@progbits,_ZN7rocprim17ROCPRIM_400000_NS6detail17trampoline_kernelINS0_14default_configENS1_33run_length_encode_config_selectorIajNS0_4plusIjEEEEZZNS1_33reduce_by_key_impl_wrapped_configILNS1_25lookback_scan_determinismE0ES3_S7_PKaNS0_17constant_iteratorIjlEEPaPlSF_S6_NS0_8equal_toIaEEEE10hipError_tPvRmT2_T3_mT4_T5_T6_T7_T8_P12ihipStream_tbENKUlT_T0_E_clISt17integral_constantIbLb0EESZ_EEDaSU_SV_EUlSU_E_NS1_11comp_targetILNS1_3genE5ELNS1_11target_archE942ELNS1_3gpuE9ELNS1_3repE0EEENS1_30default_config_static_selectorELNS0_4arch9wavefront6targetE1EEEvT1_,comdat
.Lfunc_end236:
	.size	_ZN7rocprim17ROCPRIM_400000_NS6detail17trampoline_kernelINS0_14default_configENS1_33run_length_encode_config_selectorIajNS0_4plusIjEEEEZZNS1_33reduce_by_key_impl_wrapped_configILNS1_25lookback_scan_determinismE0ES3_S7_PKaNS0_17constant_iteratorIjlEEPaPlSF_S6_NS0_8equal_toIaEEEE10hipError_tPvRmT2_T3_mT4_T5_T6_T7_T8_P12ihipStream_tbENKUlT_T0_E_clISt17integral_constantIbLb0EESZ_EEDaSU_SV_EUlSU_E_NS1_11comp_targetILNS1_3genE5ELNS1_11target_archE942ELNS1_3gpuE9ELNS1_3repE0EEENS1_30default_config_static_selectorELNS0_4arch9wavefront6targetE1EEEvT1_, .Lfunc_end236-_ZN7rocprim17ROCPRIM_400000_NS6detail17trampoline_kernelINS0_14default_configENS1_33run_length_encode_config_selectorIajNS0_4plusIjEEEEZZNS1_33reduce_by_key_impl_wrapped_configILNS1_25lookback_scan_determinismE0ES3_S7_PKaNS0_17constant_iteratorIjlEEPaPlSF_S6_NS0_8equal_toIaEEEE10hipError_tPvRmT2_T3_mT4_T5_T6_T7_T8_P12ihipStream_tbENKUlT_T0_E_clISt17integral_constantIbLb0EESZ_EEDaSU_SV_EUlSU_E_NS1_11comp_targetILNS1_3genE5ELNS1_11target_archE942ELNS1_3gpuE9ELNS1_3repE0EEENS1_30default_config_static_selectorELNS0_4arch9wavefront6targetE1EEEvT1_
                                        ; -- End function
	.section	.AMDGPU.csdata,"",@progbits
; Kernel info:
; codeLenInByte = 14624
; NumSgprs: 70
; NumVgprs: 109
; NumAgprs: 0
; TotalNumVgprs: 109
; ScratchSize: 0
; MemoryBound: 0
; FloatMode: 240
; IeeeMode: 1
; LDSByteSize: 30720 bytes/workgroup (compile time only)
; SGPRBlocks: 8
; VGPRBlocks: 13
; NumSGPRsForWavesPerEU: 70
; NumVGPRsForWavesPerEU: 109
; AccumOffset: 112
; Occupancy: 4
; WaveLimiterHint : 1
; COMPUTE_PGM_RSRC2:SCRATCH_EN: 0
; COMPUTE_PGM_RSRC2:USER_SGPR: 2
; COMPUTE_PGM_RSRC2:TRAP_HANDLER: 0
; COMPUTE_PGM_RSRC2:TGID_X_EN: 1
; COMPUTE_PGM_RSRC2:TGID_Y_EN: 0
; COMPUTE_PGM_RSRC2:TGID_Z_EN: 0
; COMPUTE_PGM_RSRC2:TIDIG_COMP_CNT: 0
; COMPUTE_PGM_RSRC3_GFX90A:ACCUM_OFFSET: 27
; COMPUTE_PGM_RSRC3_GFX90A:TG_SPLIT: 0
	.section	.text._ZN7rocprim17ROCPRIM_400000_NS6detail17trampoline_kernelINS0_14default_configENS1_33run_length_encode_config_selectorIajNS0_4plusIjEEEEZZNS1_33reduce_by_key_impl_wrapped_configILNS1_25lookback_scan_determinismE0ES3_S7_PKaNS0_17constant_iteratorIjlEEPaPlSF_S6_NS0_8equal_toIaEEEE10hipError_tPvRmT2_T3_mT4_T5_T6_T7_T8_P12ihipStream_tbENKUlT_T0_E_clISt17integral_constantIbLb0EESZ_EEDaSU_SV_EUlSU_E_NS1_11comp_targetILNS1_3genE4ELNS1_11target_archE910ELNS1_3gpuE8ELNS1_3repE0EEENS1_30default_config_static_selectorELNS0_4arch9wavefront6targetE1EEEvT1_,"axG",@progbits,_ZN7rocprim17ROCPRIM_400000_NS6detail17trampoline_kernelINS0_14default_configENS1_33run_length_encode_config_selectorIajNS0_4plusIjEEEEZZNS1_33reduce_by_key_impl_wrapped_configILNS1_25lookback_scan_determinismE0ES3_S7_PKaNS0_17constant_iteratorIjlEEPaPlSF_S6_NS0_8equal_toIaEEEE10hipError_tPvRmT2_T3_mT4_T5_T6_T7_T8_P12ihipStream_tbENKUlT_T0_E_clISt17integral_constantIbLb0EESZ_EEDaSU_SV_EUlSU_E_NS1_11comp_targetILNS1_3genE4ELNS1_11target_archE910ELNS1_3gpuE8ELNS1_3repE0EEENS1_30default_config_static_selectorELNS0_4arch9wavefront6targetE1EEEvT1_,comdat
	.protected	_ZN7rocprim17ROCPRIM_400000_NS6detail17trampoline_kernelINS0_14default_configENS1_33run_length_encode_config_selectorIajNS0_4plusIjEEEEZZNS1_33reduce_by_key_impl_wrapped_configILNS1_25lookback_scan_determinismE0ES3_S7_PKaNS0_17constant_iteratorIjlEEPaPlSF_S6_NS0_8equal_toIaEEEE10hipError_tPvRmT2_T3_mT4_T5_T6_T7_T8_P12ihipStream_tbENKUlT_T0_E_clISt17integral_constantIbLb0EESZ_EEDaSU_SV_EUlSU_E_NS1_11comp_targetILNS1_3genE4ELNS1_11target_archE910ELNS1_3gpuE8ELNS1_3repE0EEENS1_30default_config_static_selectorELNS0_4arch9wavefront6targetE1EEEvT1_ ; -- Begin function _ZN7rocprim17ROCPRIM_400000_NS6detail17trampoline_kernelINS0_14default_configENS1_33run_length_encode_config_selectorIajNS0_4plusIjEEEEZZNS1_33reduce_by_key_impl_wrapped_configILNS1_25lookback_scan_determinismE0ES3_S7_PKaNS0_17constant_iteratorIjlEEPaPlSF_S6_NS0_8equal_toIaEEEE10hipError_tPvRmT2_T3_mT4_T5_T6_T7_T8_P12ihipStream_tbENKUlT_T0_E_clISt17integral_constantIbLb0EESZ_EEDaSU_SV_EUlSU_E_NS1_11comp_targetILNS1_3genE4ELNS1_11target_archE910ELNS1_3gpuE8ELNS1_3repE0EEENS1_30default_config_static_selectorELNS0_4arch9wavefront6targetE1EEEvT1_
	.globl	_ZN7rocprim17ROCPRIM_400000_NS6detail17trampoline_kernelINS0_14default_configENS1_33run_length_encode_config_selectorIajNS0_4plusIjEEEEZZNS1_33reduce_by_key_impl_wrapped_configILNS1_25lookback_scan_determinismE0ES3_S7_PKaNS0_17constant_iteratorIjlEEPaPlSF_S6_NS0_8equal_toIaEEEE10hipError_tPvRmT2_T3_mT4_T5_T6_T7_T8_P12ihipStream_tbENKUlT_T0_E_clISt17integral_constantIbLb0EESZ_EEDaSU_SV_EUlSU_E_NS1_11comp_targetILNS1_3genE4ELNS1_11target_archE910ELNS1_3gpuE8ELNS1_3repE0EEENS1_30default_config_static_selectorELNS0_4arch9wavefront6targetE1EEEvT1_
	.p2align	8
	.type	_ZN7rocprim17ROCPRIM_400000_NS6detail17trampoline_kernelINS0_14default_configENS1_33run_length_encode_config_selectorIajNS0_4plusIjEEEEZZNS1_33reduce_by_key_impl_wrapped_configILNS1_25lookback_scan_determinismE0ES3_S7_PKaNS0_17constant_iteratorIjlEEPaPlSF_S6_NS0_8equal_toIaEEEE10hipError_tPvRmT2_T3_mT4_T5_T6_T7_T8_P12ihipStream_tbENKUlT_T0_E_clISt17integral_constantIbLb0EESZ_EEDaSU_SV_EUlSU_E_NS1_11comp_targetILNS1_3genE4ELNS1_11target_archE910ELNS1_3gpuE8ELNS1_3repE0EEENS1_30default_config_static_selectorELNS0_4arch9wavefront6targetE1EEEvT1_,@function
_ZN7rocprim17ROCPRIM_400000_NS6detail17trampoline_kernelINS0_14default_configENS1_33run_length_encode_config_selectorIajNS0_4plusIjEEEEZZNS1_33reduce_by_key_impl_wrapped_configILNS1_25lookback_scan_determinismE0ES3_S7_PKaNS0_17constant_iteratorIjlEEPaPlSF_S6_NS0_8equal_toIaEEEE10hipError_tPvRmT2_T3_mT4_T5_T6_T7_T8_P12ihipStream_tbENKUlT_T0_E_clISt17integral_constantIbLb0EESZ_EEDaSU_SV_EUlSU_E_NS1_11comp_targetILNS1_3genE4ELNS1_11target_archE910ELNS1_3gpuE8ELNS1_3repE0EEENS1_30default_config_static_selectorELNS0_4arch9wavefront6targetE1EEEvT1_: ; @_ZN7rocprim17ROCPRIM_400000_NS6detail17trampoline_kernelINS0_14default_configENS1_33run_length_encode_config_selectorIajNS0_4plusIjEEEEZZNS1_33reduce_by_key_impl_wrapped_configILNS1_25lookback_scan_determinismE0ES3_S7_PKaNS0_17constant_iteratorIjlEEPaPlSF_S6_NS0_8equal_toIaEEEE10hipError_tPvRmT2_T3_mT4_T5_T6_T7_T8_P12ihipStream_tbENKUlT_T0_E_clISt17integral_constantIbLb0EESZ_EEDaSU_SV_EUlSU_E_NS1_11comp_targetILNS1_3genE4ELNS1_11target_archE910ELNS1_3gpuE8ELNS1_3repE0EEENS1_30default_config_static_selectorELNS0_4arch9wavefront6targetE1EEEvT1_
; %bb.0:
	.section	.rodata,"a",@progbits
	.p2align	6, 0x0
	.amdhsa_kernel _ZN7rocprim17ROCPRIM_400000_NS6detail17trampoline_kernelINS0_14default_configENS1_33run_length_encode_config_selectorIajNS0_4plusIjEEEEZZNS1_33reduce_by_key_impl_wrapped_configILNS1_25lookback_scan_determinismE0ES3_S7_PKaNS0_17constant_iteratorIjlEEPaPlSF_S6_NS0_8equal_toIaEEEE10hipError_tPvRmT2_T3_mT4_T5_T6_T7_T8_P12ihipStream_tbENKUlT_T0_E_clISt17integral_constantIbLb0EESZ_EEDaSU_SV_EUlSU_E_NS1_11comp_targetILNS1_3genE4ELNS1_11target_archE910ELNS1_3gpuE8ELNS1_3repE0EEENS1_30default_config_static_selectorELNS0_4arch9wavefront6targetE1EEEvT1_
		.amdhsa_group_segment_fixed_size 0
		.amdhsa_private_segment_fixed_size 0
		.amdhsa_kernarg_size 128
		.amdhsa_user_sgpr_count 2
		.amdhsa_user_sgpr_dispatch_ptr 0
		.amdhsa_user_sgpr_queue_ptr 0
		.amdhsa_user_sgpr_kernarg_segment_ptr 1
		.amdhsa_user_sgpr_dispatch_id 0
		.amdhsa_user_sgpr_kernarg_preload_length 0
		.amdhsa_user_sgpr_kernarg_preload_offset 0
		.amdhsa_user_sgpr_private_segment_size 0
		.amdhsa_uses_dynamic_stack 0
		.amdhsa_enable_private_segment 0
		.amdhsa_system_sgpr_workgroup_id_x 1
		.amdhsa_system_sgpr_workgroup_id_y 0
		.amdhsa_system_sgpr_workgroup_id_z 0
		.amdhsa_system_sgpr_workgroup_info 0
		.amdhsa_system_vgpr_workitem_id 0
		.amdhsa_next_free_vgpr 1
		.amdhsa_next_free_sgpr 0
		.amdhsa_accum_offset 4
		.amdhsa_reserve_vcc 0
		.amdhsa_float_round_mode_32 0
		.amdhsa_float_round_mode_16_64 0
		.amdhsa_float_denorm_mode_32 3
		.amdhsa_float_denorm_mode_16_64 3
		.amdhsa_dx10_clamp 1
		.amdhsa_ieee_mode 1
		.amdhsa_fp16_overflow 0
		.amdhsa_tg_split 0
		.amdhsa_exception_fp_ieee_invalid_op 0
		.amdhsa_exception_fp_denorm_src 0
		.amdhsa_exception_fp_ieee_div_zero 0
		.amdhsa_exception_fp_ieee_overflow 0
		.amdhsa_exception_fp_ieee_underflow 0
		.amdhsa_exception_fp_ieee_inexact 0
		.amdhsa_exception_int_div_zero 0
	.end_amdhsa_kernel
	.section	.text._ZN7rocprim17ROCPRIM_400000_NS6detail17trampoline_kernelINS0_14default_configENS1_33run_length_encode_config_selectorIajNS0_4plusIjEEEEZZNS1_33reduce_by_key_impl_wrapped_configILNS1_25lookback_scan_determinismE0ES3_S7_PKaNS0_17constant_iteratorIjlEEPaPlSF_S6_NS0_8equal_toIaEEEE10hipError_tPvRmT2_T3_mT4_T5_T6_T7_T8_P12ihipStream_tbENKUlT_T0_E_clISt17integral_constantIbLb0EESZ_EEDaSU_SV_EUlSU_E_NS1_11comp_targetILNS1_3genE4ELNS1_11target_archE910ELNS1_3gpuE8ELNS1_3repE0EEENS1_30default_config_static_selectorELNS0_4arch9wavefront6targetE1EEEvT1_,"axG",@progbits,_ZN7rocprim17ROCPRIM_400000_NS6detail17trampoline_kernelINS0_14default_configENS1_33run_length_encode_config_selectorIajNS0_4plusIjEEEEZZNS1_33reduce_by_key_impl_wrapped_configILNS1_25lookback_scan_determinismE0ES3_S7_PKaNS0_17constant_iteratorIjlEEPaPlSF_S6_NS0_8equal_toIaEEEE10hipError_tPvRmT2_T3_mT4_T5_T6_T7_T8_P12ihipStream_tbENKUlT_T0_E_clISt17integral_constantIbLb0EESZ_EEDaSU_SV_EUlSU_E_NS1_11comp_targetILNS1_3genE4ELNS1_11target_archE910ELNS1_3gpuE8ELNS1_3repE0EEENS1_30default_config_static_selectorELNS0_4arch9wavefront6targetE1EEEvT1_,comdat
.Lfunc_end237:
	.size	_ZN7rocprim17ROCPRIM_400000_NS6detail17trampoline_kernelINS0_14default_configENS1_33run_length_encode_config_selectorIajNS0_4plusIjEEEEZZNS1_33reduce_by_key_impl_wrapped_configILNS1_25lookback_scan_determinismE0ES3_S7_PKaNS0_17constant_iteratorIjlEEPaPlSF_S6_NS0_8equal_toIaEEEE10hipError_tPvRmT2_T3_mT4_T5_T6_T7_T8_P12ihipStream_tbENKUlT_T0_E_clISt17integral_constantIbLb0EESZ_EEDaSU_SV_EUlSU_E_NS1_11comp_targetILNS1_3genE4ELNS1_11target_archE910ELNS1_3gpuE8ELNS1_3repE0EEENS1_30default_config_static_selectorELNS0_4arch9wavefront6targetE1EEEvT1_, .Lfunc_end237-_ZN7rocprim17ROCPRIM_400000_NS6detail17trampoline_kernelINS0_14default_configENS1_33run_length_encode_config_selectorIajNS0_4plusIjEEEEZZNS1_33reduce_by_key_impl_wrapped_configILNS1_25lookback_scan_determinismE0ES3_S7_PKaNS0_17constant_iteratorIjlEEPaPlSF_S6_NS0_8equal_toIaEEEE10hipError_tPvRmT2_T3_mT4_T5_T6_T7_T8_P12ihipStream_tbENKUlT_T0_E_clISt17integral_constantIbLb0EESZ_EEDaSU_SV_EUlSU_E_NS1_11comp_targetILNS1_3genE4ELNS1_11target_archE910ELNS1_3gpuE8ELNS1_3repE0EEENS1_30default_config_static_selectorELNS0_4arch9wavefront6targetE1EEEvT1_
                                        ; -- End function
	.section	.AMDGPU.csdata,"",@progbits
; Kernel info:
; codeLenInByte = 0
; NumSgprs: 6
; NumVgprs: 0
; NumAgprs: 0
; TotalNumVgprs: 0
; ScratchSize: 0
; MemoryBound: 0
; FloatMode: 240
; IeeeMode: 1
; LDSByteSize: 0 bytes/workgroup (compile time only)
; SGPRBlocks: 0
; VGPRBlocks: 0
; NumSGPRsForWavesPerEU: 6
; NumVGPRsForWavesPerEU: 1
; AccumOffset: 4
; Occupancy: 8
; WaveLimiterHint : 0
; COMPUTE_PGM_RSRC2:SCRATCH_EN: 0
; COMPUTE_PGM_RSRC2:USER_SGPR: 2
; COMPUTE_PGM_RSRC2:TRAP_HANDLER: 0
; COMPUTE_PGM_RSRC2:TGID_X_EN: 1
; COMPUTE_PGM_RSRC2:TGID_Y_EN: 0
; COMPUTE_PGM_RSRC2:TGID_Z_EN: 0
; COMPUTE_PGM_RSRC2:TIDIG_COMP_CNT: 0
; COMPUTE_PGM_RSRC3_GFX90A:ACCUM_OFFSET: 0
; COMPUTE_PGM_RSRC3_GFX90A:TG_SPLIT: 0
	.section	.text._ZN7rocprim17ROCPRIM_400000_NS6detail17trampoline_kernelINS0_14default_configENS1_33run_length_encode_config_selectorIajNS0_4plusIjEEEEZZNS1_33reduce_by_key_impl_wrapped_configILNS1_25lookback_scan_determinismE0ES3_S7_PKaNS0_17constant_iteratorIjlEEPaPlSF_S6_NS0_8equal_toIaEEEE10hipError_tPvRmT2_T3_mT4_T5_T6_T7_T8_P12ihipStream_tbENKUlT_T0_E_clISt17integral_constantIbLb0EESZ_EEDaSU_SV_EUlSU_E_NS1_11comp_targetILNS1_3genE3ELNS1_11target_archE908ELNS1_3gpuE7ELNS1_3repE0EEENS1_30default_config_static_selectorELNS0_4arch9wavefront6targetE1EEEvT1_,"axG",@progbits,_ZN7rocprim17ROCPRIM_400000_NS6detail17trampoline_kernelINS0_14default_configENS1_33run_length_encode_config_selectorIajNS0_4plusIjEEEEZZNS1_33reduce_by_key_impl_wrapped_configILNS1_25lookback_scan_determinismE0ES3_S7_PKaNS0_17constant_iteratorIjlEEPaPlSF_S6_NS0_8equal_toIaEEEE10hipError_tPvRmT2_T3_mT4_T5_T6_T7_T8_P12ihipStream_tbENKUlT_T0_E_clISt17integral_constantIbLb0EESZ_EEDaSU_SV_EUlSU_E_NS1_11comp_targetILNS1_3genE3ELNS1_11target_archE908ELNS1_3gpuE7ELNS1_3repE0EEENS1_30default_config_static_selectorELNS0_4arch9wavefront6targetE1EEEvT1_,comdat
	.protected	_ZN7rocprim17ROCPRIM_400000_NS6detail17trampoline_kernelINS0_14default_configENS1_33run_length_encode_config_selectorIajNS0_4plusIjEEEEZZNS1_33reduce_by_key_impl_wrapped_configILNS1_25lookback_scan_determinismE0ES3_S7_PKaNS0_17constant_iteratorIjlEEPaPlSF_S6_NS0_8equal_toIaEEEE10hipError_tPvRmT2_T3_mT4_T5_T6_T7_T8_P12ihipStream_tbENKUlT_T0_E_clISt17integral_constantIbLb0EESZ_EEDaSU_SV_EUlSU_E_NS1_11comp_targetILNS1_3genE3ELNS1_11target_archE908ELNS1_3gpuE7ELNS1_3repE0EEENS1_30default_config_static_selectorELNS0_4arch9wavefront6targetE1EEEvT1_ ; -- Begin function _ZN7rocprim17ROCPRIM_400000_NS6detail17trampoline_kernelINS0_14default_configENS1_33run_length_encode_config_selectorIajNS0_4plusIjEEEEZZNS1_33reduce_by_key_impl_wrapped_configILNS1_25lookback_scan_determinismE0ES3_S7_PKaNS0_17constant_iteratorIjlEEPaPlSF_S6_NS0_8equal_toIaEEEE10hipError_tPvRmT2_T3_mT4_T5_T6_T7_T8_P12ihipStream_tbENKUlT_T0_E_clISt17integral_constantIbLb0EESZ_EEDaSU_SV_EUlSU_E_NS1_11comp_targetILNS1_3genE3ELNS1_11target_archE908ELNS1_3gpuE7ELNS1_3repE0EEENS1_30default_config_static_selectorELNS0_4arch9wavefront6targetE1EEEvT1_
	.globl	_ZN7rocprim17ROCPRIM_400000_NS6detail17trampoline_kernelINS0_14default_configENS1_33run_length_encode_config_selectorIajNS0_4plusIjEEEEZZNS1_33reduce_by_key_impl_wrapped_configILNS1_25lookback_scan_determinismE0ES3_S7_PKaNS0_17constant_iteratorIjlEEPaPlSF_S6_NS0_8equal_toIaEEEE10hipError_tPvRmT2_T3_mT4_T5_T6_T7_T8_P12ihipStream_tbENKUlT_T0_E_clISt17integral_constantIbLb0EESZ_EEDaSU_SV_EUlSU_E_NS1_11comp_targetILNS1_3genE3ELNS1_11target_archE908ELNS1_3gpuE7ELNS1_3repE0EEENS1_30default_config_static_selectorELNS0_4arch9wavefront6targetE1EEEvT1_
	.p2align	8
	.type	_ZN7rocprim17ROCPRIM_400000_NS6detail17trampoline_kernelINS0_14default_configENS1_33run_length_encode_config_selectorIajNS0_4plusIjEEEEZZNS1_33reduce_by_key_impl_wrapped_configILNS1_25lookback_scan_determinismE0ES3_S7_PKaNS0_17constant_iteratorIjlEEPaPlSF_S6_NS0_8equal_toIaEEEE10hipError_tPvRmT2_T3_mT4_T5_T6_T7_T8_P12ihipStream_tbENKUlT_T0_E_clISt17integral_constantIbLb0EESZ_EEDaSU_SV_EUlSU_E_NS1_11comp_targetILNS1_3genE3ELNS1_11target_archE908ELNS1_3gpuE7ELNS1_3repE0EEENS1_30default_config_static_selectorELNS0_4arch9wavefront6targetE1EEEvT1_,@function
_ZN7rocprim17ROCPRIM_400000_NS6detail17trampoline_kernelINS0_14default_configENS1_33run_length_encode_config_selectorIajNS0_4plusIjEEEEZZNS1_33reduce_by_key_impl_wrapped_configILNS1_25lookback_scan_determinismE0ES3_S7_PKaNS0_17constant_iteratorIjlEEPaPlSF_S6_NS0_8equal_toIaEEEE10hipError_tPvRmT2_T3_mT4_T5_T6_T7_T8_P12ihipStream_tbENKUlT_T0_E_clISt17integral_constantIbLb0EESZ_EEDaSU_SV_EUlSU_E_NS1_11comp_targetILNS1_3genE3ELNS1_11target_archE908ELNS1_3gpuE7ELNS1_3repE0EEENS1_30default_config_static_selectorELNS0_4arch9wavefront6targetE1EEEvT1_: ; @_ZN7rocprim17ROCPRIM_400000_NS6detail17trampoline_kernelINS0_14default_configENS1_33run_length_encode_config_selectorIajNS0_4plusIjEEEEZZNS1_33reduce_by_key_impl_wrapped_configILNS1_25lookback_scan_determinismE0ES3_S7_PKaNS0_17constant_iteratorIjlEEPaPlSF_S6_NS0_8equal_toIaEEEE10hipError_tPvRmT2_T3_mT4_T5_T6_T7_T8_P12ihipStream_tbENKUlT_T0_E_clISt17integral_constantIbLb0EESZ_EEDaSU_SV_EUlSU_E_NS1_11comp_targetILNS1_3genE3ELNS1_11target_archE908ELNS1_3gpuE7ELNS1_3repE0EEENS1_30default_config_static_selectorELNS0_4arch9wavefront6targetE1EEEvT1_
; %bb.0:
	.section	.rodata,"a",@progbits
	.p2align	6, 0x0
	.amdhsa_kernel _ZN7rocprim17ROCPRIM_400000_NS6detail17trampoline_kernelINS0_14default_configENS1_33run_length_encode_config_selectorIajNS0_4plusIjEEEEZZNS1_33reduce_by_key_impl_wrapped_configILNS1_25lookback_scan_determinismE0ES3_S7_PKaNS0_17constant_iteratorIjlEEPaPlSF_S6_NS0_8equal_toIaEEEE10hipError_tPvRmT2_T3_mT4_T5_T6_T7_T8_P12ihipStream_tbENKUlT_T0_E_clISt17integral_constantIbLb0EESZ_EEDaSU_SV_EUlSU_E_NS1_11comp_targetILNS1_3genE3ELNS1_11target_archE908ELNS1_3gpuE7ELNS1_3repE0EEENS1_30default_config_static_selectorELNS0_4arch9wavefront6targetE1EEEvT1_
		.amdhsa_group_segment_fixed_size 0
		.amdhsa_private_segment_fixed_size 0
		.amdhsa_kernarg_size 128
		.amdhsa_user_sgpr_count 2
		.amdhsa_user_sgpr_dispatch_ptr 0
		.amdhsa_user_sgpr_queue_ptr 0
		.amdhsa_user_sgpr_kernarg_segment_ptr 1
		.amdhsa_user_sgpr_dispatch_id 0
		.amdhsa_user_sgpr_kernarg_preload_length 0
		.amdhsa_user_sgpr_kernarg_preload_offset 0
		.amdhsa_user_sgpr_private_segment_size 0
		.amdhsa_uses_dynamic_stack 0
		.amdhsa_enable_private_segment 0
		.amdhsa_system_sgpr_workgroup_id_x 1
		.amdhsa_system_sgpr_workgroup_id_y 0
		.amdhsa_system_sgpr_workgroup_id_z 0
		.amdhsa_system_sgpr_workgroup_info 0
		.amdhsa_system_vgpr_workitem_id 0
		.amdhsa_next_free_vgpr 1
		.amdhsa_next_free_sgpr 0
		.amdhsa_accum_offset 4
		.amdhsa_reserve_vcc 0
		.amdhsa_float_round_mode_32 0
		.amdhsa_float_round_mode_16_64 0
		.amdhsa_float_denorm_mode_32 3
		.amdhsa_float_denorm_mode_16_64 3
		.amdhsa_dx10_clamp 1
		.amdhsa_ieee_mode 1
		.amdhsa_fp16_overflow 0
		.amdhsa_tg_split 0
		.amdhsa_exception_fp_ieee_invalid_op 0
		.amdhsa_exception_fp_denorm_src 0
		.amdhsa_exception_fp_ieee_div_zero 0
		.amdhsa_exception_fp_ieee_overflow 0
		.amdhsa_exception_fp_ieee_underflow 0
		.amdhsa_exception_fp_ieee_inexact 0
		.amdhsa_exception_int_div_zero 0
	.end_amdhsa_kernel
	.section	.text._ZN7rocprim17ROCPRIM_400000_NS6detail17trampoline_kernelINS0_14default_configENS1_33run_length_encode_config_selectorIajNS0_4plusIjEEEEZZNS1_33reduce_by_key_impl_wrapped_configILNS1_25lookback_scan_determinismE0ES3_S7_PKaNS0_17constant_iteratorIjlEEPaPlSF_S6_NS0_8equal_toIaEEEE10hipError_tPvRmT2_T3_mT4_T5_T6_T7_T8_P12ihipStream_tbENKUlT_T0_E_clISt17integral_constantIbLb0EESZ_EEDaSU_SV_EUlSU_E_NS1_11comp_targetILNS1_3genE3ELNS1_11target_archE908ELNS1_3gpuE7ELNS1_3repE0EEENS1_30default_config_static_selectorELNS0_4arch9wavefront6targetE1EEEvT1_,"axG",@progbits,_ZN7rocprim17ROCPRIM_400000_NS6detail17trampoline_kernelINS0_14default_configENS1_33run_length_encode_config_selectorIajNS0_4plusIjEEEEZZNS1_33reduce_by_key_impl_wrapped_configILNS1_25lookback_scan_determinismE0ES3_S7_PKaNS0_17constant_iteratorIjlEEPaPlSF_S6_NS0_8equal_toIaEEEE10hipError_tPvRmT2_T3_mT4_T5_T6_T7_T8_P12ihipStream_tbENKUlT_T0_E_clISt17integral_constantIbLb0EESZ_EEDaSU_SV_EUlSU_E_NS1_11comp_targetILNS1_3genE3ELNS1_11target_archE908ELNS1_3gpuE7ELNS1_3repE0EEENS1_30default_config_static_selectorELNS0_4arch9wavefront6targetE1EEEvT1_,comdat
.Lfunc_end238:
	.size	_ZN7rocprim17ROCPRIM_400000_NS6detail17trampoline_kernelINS0_14default_configENS1_33run_length_encode_config_selectorIajNS0_4plusIjEEEEZZNS1_33reduce_by_key_impl_wrapped_configILNS1_25lookback_scan_determinismE0ES3_S7_PKaNS0_17constant_iteratorIjlEEPaPlSF_S6_NS0_8equal_toIaEEEE10hipError_tPvRmT2_T3_mT4_T5_T6_T7_T8_P12ihipStream_tbENKUlT_T0_E_clISt17integral_constantIbLb0EESZ_EEDaSU_SV_EUlSU_E_NS1_11comp_targetILNS1_3genE3ELNS1_11target_archE908ELNS1_3gpuE7ELNS1_3repE0EEENS1_30default_config_static_selectorELNS0_4arch9wavefront6targetE1EEEvT1_, .Lfunc_end238-_ZN7rocprim17ROCPRIM_400000_NS6detail17trampoline_kernelINS0_14default_configENS1_33run_length_encode_config_selectorIajNS0_4plusIjEEEEZZNS1_33reduce_by_key_impl_wrapped_configILNS1_25lookback_scan_determinismE0ES3_S7_PKaNS0_17constant_iteratorIjlEEPaPlSF_S6_NS0_8equal_toIaEEEE10hipError_tPvRmT2_T3_mT4_T5_T6_T7_T8_P12ihipStream_tbENKUlT_T0_E_clISt17integral_constantIbLb0EESZ_EEDaSU_SV_EUlSU_E_NS1_11comp_targetILNS1_3genE3ELNS1_11target_archE908ELNS1_3gpuE7ELNS1_3repE0EEENS1_30default_config_static_selectorELNS0_4arch9wavefront6targetE1EEEvT1_
                                        ; -- End function
	.section	.AMDGPU.csdata,"",@progbits
; Kernel info:
; codeLenInByte = 0
; NumSgprs: 6
; NumVgprs: 0
; NumAgprs: 0
; TotalNumVgprs: 0
; ScratchSize: 0
; MemoryBound: 0
; FloatMode: 240
; IeeeMode: 1
; LDSByteSize: 0 bytes/workgroup (compile time only)
; SGPRBlocks: 0
; VGPRBlocks: 0
; NumSGPRsForWavesPerEU: 6
; NumVGPRsForWavesPerEU: 1
; AccumOffset: 4
; Occupancy: 8
; WaveLimiterHint : 0
; COMPUTE_PGM_RSRC2:SCRATCH_EN: 0
; COMPUTE_PGM_RSRC2:USER_SGPR: 2
; COMPUTE_PGM_RSRC2:TRAP_HANDLER: 0
; COMPUTE_PGM_RSRC2:TGID_X_EN: 1
; COMPUTE_PGM_RSRC2:TGID_Y_EN: 0
; COMPUTE_PGM_RSRC2:TGID_Z_EN: 0
; COMPUTE_PGM_RSRC2:TIDIG_COMP_CNT: 0
; COMPUTE_PGM_RSRC3_GFX90A:ACCUM_OFFSET: 0
; COMPUTE_PGM_RSRC3_GFX90A:TG_SPLIT: 0
	.section	.text._ZN7rocprim17ROCPRIM_400000_NS6detail17trampoline_kernelINS0_14default_configENS1_33run_length_encode_config_selectorIajNS0_4plusIjEEEEZZNS1_33reduce_by_key_impl_wrapped_configILNS1_25lookback_scan_determinismE0ES3_S7_PKaNS0_17constant_iteratorIjlEEPaPlSF_S6_NS0_8equal_toIaEEEE10hipError_tPvRmT2_T3_mT4_T5_T6_T7_T8_P12ihipStream_tbENKUlT_T0_E_clISt17integral_constantIbLb0EESZ_EEDaSU_SV_EUlSU_E_NS1_11comp_targetILNS1_3genE2ELNS1_11target_archE906ELNS1_3gpuE6ELNS1_3repE0EEENS1_30default_config_static_selectorELNS0_4arch9wavefront6targetE1EEEvT1_,"axG",@progbits,_ZN7rocprim17ROCPRIM_400000_NS6detail17trampoline_kernelINS0_14default_configENS1_33run_length_encode_config_selectorIajNS0_4plusIjEEEEZZNS1_33reduce_by_key_impl_wrapped_configILNS1_25lookback_scan_determinismE0ES3_S7_PKaNS0_17constant_iteratorIjlEEPaPlSF_S6_NS0_8equal_toIaEEEE10hipError_tPvRmT2_T3_mT4_T5_T6_T7_T8_P12ihipStream_tbENKUlT_T0_E_clISt17integral_constantIbLb0EESZ_EEDaSU_SV_EUlSU_E_NS1_11comp_targetILNS1_3genE2ELNS1_11target_archE906ELNS1_3gpuE6ELNS1_3repE0EEENS1_30default_config_static_selectorELNS0_4arch9wavefront6targetE1EEEvT1_,comdat
	.protected	_ZN7rocprim17ROCPRIM_400000_NS6detail17trampoline_kernelINS0_14default_configENS1_33run_length_encode_config_selectorIajNS0_4plusIjEEEEZZNS1_33reduce_by_key_impl_wrapped_configILNS1_25lookback_scan_determinismE0ES3_S7_PKaNS0_17constant_iteratorIjlEEPaPlSF_S6_NS0_8equal_toIaEEEE10hipError_tPvRmT2_T3_mT4_T5_T6_T7_T8_P12ihipStream_tbENKUlT_T0_E_clISt17integral_constantIbLb0EESZ_EEDaSU_SV_EUlSU_E_NS1_11comp_targetILNS1_3genE2ELNS1_11target_archE906ELNS1_3gpuE6ELNS1_3repE0EEENS1_30default_config_static_selectorELNS0_4arch9wavefront6targetE1EEEvT1_ ; -- Begin function _ZN7rocprim17ROCPRIM_400000_NS6detail17trampoline_kernelINS0_14default_configENS1_33run_length_encode_config_selectorIajNS0_4plusIjEEEEZZNS1_33reduce_by_key_impl_wrapped_configILNS1_25lookback_scan_determinismE0ES3_S7_PKaNS0_17constant_iteratorIjlEEPaPlSF_S6_NS0_8equal_toIaEEEE10hipError_tPvRmT2_T3_mT4_T5_T6_T7_T8_P12ihipStream_tbENKUlT_T0_E_clISt17integral_constantIbLb0EESZ_EEDaSU_SV_EUlSU_E_NS1_11comp_targetILNS1_3genE2ELNS1_11target_archE906ELNS1_3gpuE6ELNS1_3repE0EEENS1_30default_config_static_selectorELNS0_4arch9wavefront6targetE1EEEvT1_
	.globl	_ZN7rocprim17ROCPRIM_400000_NS6detail17trampoline_kernelINS0_14default_configENS1_33run_length_encode_config_selectorIajNS0_4plusIjEEEEZZNS1_33reduce_by_key_impl_wrapped_configILNS1_25lookback_scan_determinismE0ES3_S7_PKaNS0_17constant_iteratorIjlEEPaPlSF_S6_NS0_8equal_toIaEEEE10hipError_tPvRmT2_T3_mT4_T5_T6_T7_T8_P12ihipStream_tbENKUlT_T0_E_clISt17integral_constantIbLb0EESZ_EEDaSU_SV_EUlSU_E_NS1_11comp_targetILNS1_3genE2ELNS1_11target_archE906ELNS1_3gpuE6ELNS1_3repE0EEENS1_30default_config_static_selectorELNS0_4arch9wavefront6targetE1EEEvT1_
	.p2align	8
	.type	_ZN7rocprim17ROCPRIM_400000_NS6detail17trampoline_kernelINS0_14default_configENS1_33run_length_encode_config_selectorIajNS0_4plusIjEEEEZZNS1_33reduce_by_key_impl_wrapped_configILNS1_25lookback_scan_determinismE0ES3_S7_PKaNS0_17constant_iteratorIjlEEPaPlSF_S6_NS0_8equal_toIaEEEE10hipError_tPvRmT2_T3_mT4_T5_T6_T7_T8_P12ihipStream_tbENKUlT_T0_E_clISt17integral_constantIbLb0EESZ_EEDaSU_SV_EUlSU_E_NS1_11comp_targetILNS1_3genE2ELNS1_11target_archE906ELNS1_3gpuE6ELNS1_3repE0EEENS1_30default_config_static_selectorELNS0_4arch9wavefront6targetE1EEEvT1_,@function
_ZN7rocprim17ROCPRIM_400000_NS6detail17trampoline_kernelINS0_14default_configENS1_33run_length_encode_config_selectorIajNS0_4plusIjEEEEZZNS1_33reduce_by_key_impl_wrapped_configILNS1_25lookback_scan_determinismE0ES3_S7_PKaNS0_17constant_iteratorIjlEEPaPlSF_S6_NS0_8equal_toIaEEEE10hipError_tPvRmT2_T3_mT4_T5_T6_T7_T8_P12ihipStream_tbENKUlT_T0_E_clISt17integral_constantIbLb0EESZ_EEDaSU_SV_EUlSU_E_NS1_11comp_targetILNS1_3genE2ELNS1_11target_archE906ELNS1_3gpuE6ELNS1_3repE0EEENS1_30default_config_static_selectorELNS0_4arch9wavefront6targetE1EEEvT1_: ; @_ZN7rocprim17ROCPRIM_400000_NS6detail17trampoline_kernelINS0_14default_configENS1_33run_length_encode_config_selectorIajNS0_4plusIjEEEEZZNS1_33reduce_by_key_impl_wrapped_configILNS1_25lookback_scan_determinismE0ES3_S7_PKaNS0_17constant_iteratorIjlEEPaPlSF_S6_NS0_8equal_toIaEEEE10hipError_tPvRmT2_T3_mT4_T5_T6_T7_T8_P12ihipStream_tbENKUlT_T0_E_clISt17integral_constantIbLb0EESZ_EEDaSU_SV_EUlSU_E_NS1_11comp_targetILNS1_3genE2ELNS1_11target_archE906ELNS1_3gpuE6ELNS1_3repE0EEENS1_30default_config_static_selectorELNS0_4arch9wavefront6targetE1EEEvT1_
; %bb.0:
	.section	.rodata,"a",@progbits
	.p2align	6, 0x0
	.amdhsa_kernel _ZN7rocprim17ROCPRIM_400000_NS6detail17trampoline_kernelINS0_14default_configENS1_33run_length_encode_config_selectorIajNS0_4plusIjEEEEZZNS1_33reduce_by_key_impl_wrapped_configILNS1_25lookback_scan_determinismE0ES3_S7_PKaNS0_17constant_iteratorIjlEEPaPlSF_S6_NS0_8equal_toIaEEEE10hipError_tPvRmT2_T3_mT4_T5_T6_T7_T8_P12ihipStream_tbENKUlT_T0_E_clISt17integral_constantIbLb0EESZ_EEDaSU_SV_EUlSU_E_NS1_11comp_targetILNS1_3genE2ELNS1_11target_archE906ELNS1_3gpuE6ELNS1_3repE0EEENS1_30default_config_static_selectorELNS0_4arch9wavefront6targetE1EEEvT1_
		.amdhsa_group_segment_fixed_size 0
		.amdhsa_private_segment_fixed_size 0
		.amdhsa_kernarg_size 128
		.amdhsa_user_sgpr_count 2
		.amdhsa_user_sgpr_dispatch_ptr 0
		.amdhsa_user_sgpr_queue_ptr 0
		.amdhsa_user_sgpr_kernarg_segment_ptr 1
		.amdhsa_user_sgpr_dispatch_id 0
		.amdhsa_user_sgpr_kernarg_preload_length 0
		.amdhsa_user_sgpr_kernarg_preload_offset 0
		.amdhsa_user_sgpr_private_segment_size 0
		.amdhsa_uses_dynamic_stack 0
		.amdhsa_enable_private_segment 0
		.amdhsa_system_sgpr_workgroup_id_x 1
		.amdhsa_system_sgpr_workgroup_id_y 0
		.amdhsa_system_sgpr_workgroup_id_z 0
		.amdhsa_system_sgpr_workgroup_info 0
		.amdhsa_system_vgpr_workitem_id 0
		.amdhsa_next_free_vgpr 1
		.amdhsa_next_free_sgpr 0
		.amdhsa_accum_offset 4
		.amdhsa_reserve_vcc 0
		.amdhsa_float_round_mode_32 0
		.amdhsa_float_round_mode_16_64 0
		.amdhsa_float_denorm_mode_32 3
		.amdhsa_float_denorm_mode_16_64 3
		.amdhsa_dx10_clamp 1
		.amdhsa_ieee_mode 1
		.amdhsa_fp16_overflow 0
		.amdhsa_tg_split 0
		.amdhsa_exception_fp_ieee_invalid_op 0
		.amdhsa_exception_fp_denorm_src 0
		.amdhsa_exception_fp_ieee_div_zero 0
		.amdhsa_exception_fp_ieee_overflow 0
		.amdhsa_exception_fp_ieee_underflow 0
		.amdhsa_exception_fp_ieee_inexact 0
		.amdhsa_exception_int_div_zero 0
	.end_amdhsa_kernel
	.section	.text._ZN7rocprim17ROCPRIM_400000_NS6detail17trampoline_kernelINS0_14default_configENS1_33run_length_encode_config_selectorIajNS0_4plusIjEEEEZZNS1_33reduce_by_key_impl_wrapped_configILNS1_25lookback_scan_determinismE0ES3_S7_PKaNS0_17constant_iteratorIjlEEPaPlSF_S6_NS0_8equal_toIaEEEE10hipError_tPvRmT2_T3_mT4_T5_T6_T7_T8_P12ihipStream_tbENKUlT_T0_E_clISt17integral_constantIbLb0EESZ_EEDaSU_SV_EUlSU_E_NS1_11comp_targetILNS1_3genE2ELNS1_11target_archE906ELNS1_3gpuE6ELNS1_3repE0EEENS1_30default_config_static_selectorELNS0_4arch9wavefront6targetE1EEEvT1_,"axG",@progbits,_ZN7rocprim17ROCPRIM_400000_NS6detail17trampoline_kernelINS0_14default_configENS1_33run_length_encode_config_selectorIajNS0_4plusIjEEEEZZNS1_33reduce_by_key_impl_wrapped_configILNS1_25lookback_scan_determinismE0ES3_S7_PKaNS0_17constant_iteratorIjlEEPaPlSF_S6_NS0_8equal_toIaEEEE10hipError_tPvRmT2_T3_mT4_T5_T6_T7_T8_P12ihipStream_tbENKUlT_T0_E_clISt17integral_constantIbLb0EESZ_EEDaSU_SV_EUlSU_E_NS1_11comp_targetILNS1_3genE2ELNS1_11target_archE906ELNS1_3gpuE6ELNS1_3repE0EEENS1_30default_config_static_selectorELNS0_4arch9wavefront6targetE1EEEvT1_,comdat
.Lfunc_end239:
	.size	_ZN7rocprim17ROCPRIM_400000_NS6detail17trampoline_kernelINS0_14default_configENS1_33run_length_encode_config_selectorIajNS0_4plusIjEEEEZZNS1_33reduce_by_key_impl_wrapped_configILNS1_25lookback_scan_determinismE0ES3_S7_PKaNS0_17constant_iteratorIjlEEPaPlSF_S6_NS0_8equal_toIaEEEE10hipError_tPvRmT2_T3_mT4_T5_T6_T7_T8_P12ihipStream_tbENKUlT_T0_E_clISt17integral_constantIbLb0EESZ_EEDaSU_SV_EUlSU_E_NS1_11comp_targetILNS1_3genE2ELNS1_11target_archE906ELNS1_3gpuE6ELNS1_3repE0EEENS1_30default_config_static_selectorELNS0_4arch9wavefront6targetE1EEEvT1_, .Lfunc_end239-_ZN7rocprim17ROCPRIM_400000_NS6detail17trampoline_kernelINS0_14default_configENS1_33run_length_encode_config_selectorIajNS0_4plusIjEEEEZZNS1_33reduce_by_key_impl_wrapped_configILNS1_25lookback_scan_determinismE0ES3_S7_PKaNS0_17constant_iteratorIjlEEPaPlSF_S6_NS0_8equal_toIaEEEE10hipError_tPvRmT2_T3_mT4_T5_T6_T7_T8_P12ihipStream_tbENKUlT_T0_E_clISt17integral_constantIbLb0EESZ_EEDaSU_SV_EUlSU_E_NS1_11comp_targetILNS1_3genE2ELNS1_11target_archE906ELNS1_3gpuE6ELNS1_3repE0EEENS1_30default_config_static_selectorELNS0_4arch9wavefront6targetE1EEEvT1_
                                        ; -- End function
	.section	.AMDGPU.csdata,"",@progbits
; Kernel info:
; codeLenInByte = 0
; NumSgprs: 6
; NumVgprs: 0
; NumAgprs: 0
; TotalNumVgprs: 0
; ScratchSize: 0
; MemoryBound: 0
; FloatMode: 240
; IeeeMode: 1
; LDSByteSize: 0 bytes/workgroup (compile time only)
; SGPRBlocks: 0
; VGPRBlocks: 0
; NumSGPRsForWavesPerEU: 6
; NumVGPRsForWavesPerEU: 1
; AccumOffset: 4
; Occupancy: 8
; WaveLimiterHint : 0
; COMPUTE_PGM_RSRC2:SCRATCH_EN: 0
; COMPUTE_PGM_RSRC2:USER_SGPR: 2
; COMPUTE_PGM_RSRC2:TRAP_HANDLER: 0
; COMPUTE_PGM_RSRC2:TGID_X_EN: 1
; COMPUTE_PGM_RSRC2:TGID_Y_EN: 0
; COMPUTE_PGM_RSRC2:TGID_Z_EN: 0
; COMPUTE_PGM_RSRC2:TIDIG_COMP_CNT: 0
; COMPUTE_PGM_RSRC3_GFX90A:ACCUM_OFFSET: 0
; COMPUTE_PGM_RSRC3_GFX90A:TG_SPLIT: 0
	.section	.text._ZN7rocprim17ROCPRIM_400000_NS6detail17trampoline_kernelINS0_14default_configENS1_33run_length_encode_config_selectorIajNS0_4plusIjEEEEZZNS1_33reduce_by_key_impl_wrapped_configILNS1_25lookback_scan_determinismE0ES3_S7_PKaNS0_17constant_iteratorIjlEEPaPlSF_S6_NS0_8equal_toIaEEEE10hipError_tPvRmT2_T3_mT4_T5_T6_T7_T8_P12ihipStream_tbENKUlT_T0_E_clISt17integral_constantIbLb0EESZ_EEDaSU_SV_EUlSU_E_NS1_11comp_targetILNS1_3genE10ELNS1_11target_archE1201ELNS1_3gpuE5ELNS1_3repE0EEENS1_30default_config_static_selectorELNS0_4arch9wavefront6targetE1EEEvT1_,"axG",@progbits,_ZN7rocprim17ROCPRIM_400000_NS6detail17trampoline_kernelINS0_14default_configENS1_33run_length_encode_config_selectorIajNS0_4plusIjEEEEZZNS1_33reduce_by_key_impl_wrapped_configILNS1_25lookback_scan_determinismE0ES3_S7_PKaNS0_17constant_iteratorIjlEEPaPlSF_S6_NS0_8equal_toIaEEEE10hipError_tPvRmT2_T3_mT4_T5_T6_T7_T8_P12ihipStream_tbENKUlT_T0_E_clISt17integral_constantIbLb0EESZ_EEDaSU_SV_EUlSU_E_NS1_11comp_targetILNS1_3genE10ELNS1_11target_archE1201ELNS1_3gpuE5ELNS1_3repE0EEENS1_30default_config_static_selectorELNS0_4arch9wavefront6targetE1EEEvT1_,comdat
	.protected	_ZN7rocprim17ROCPRIM_400000_NS6detail17trampoline_kernelINS0_14default_configENS1_33run_length_encode_config_selectorIajNS0_4plusIjEEEEZZNS1_33reduce_by_key_impl_wrapped_configILNS1_25lookback_scan_determinismE0ES3_S7_PKaNS0_17constant_iteratorIjlEEPaPlSF_S6_NS0_8equal_toIaEEEE10hipError_tPvRmT2_T3_mT4_T5_T6_T7_T8_P12ihipStream_tbENKUlT_T0_E_clISt17integral_constantIbLb0EESZ_EEDaSU_SV_EUlSU_E_NS1_11comp_targetILNS1_3genE10ELNS1_11target_archE1201ELNS1_3gpuE5ELNS1_3repE0EEENS1_30default_config_static_selectorELNS0_4arch9wavefront6targetE1EEEvT1_ ; -- Begin function _ZN7rocprim17ROCPRIM_400000_NS6detail17trampoline_kernelINS0_14default_configENS1_33run_length_encode_config_selectorIajNS0_4plusIjEEEEZZNS1_33reduce_by_key_impl_wrapped_configILNS1_25lookback_scan_determinismE0ES3_S7_PKaNS0_17constant_iteratorIjlEEPaPlSF_S6_NS0_8equal_toIaEEEE10hipError_tPvRmT2_T3_mT4_T5_T6_T7_T8_P12ihipStream_tbENKUlT_T0_E_clISt17integral_constantIbLb0EESZ_EEDaSU_SV_EUlSU_E_NS1_11comp_targetILNS1_3genE10ELNS1_11target_archE1201ELNS1_3gpuE5ELNS1_3repE0EEENS1_30default_config_static_selectorELNS0_4arch9wavefront6targetE1EEEvT1_
	.globl	_ZN7rocprim17ROCPRIM_400000_NS6detail17trampoline_kernelINS0_14default_configENS1_33run_length_encode_config_selectorIajNS0_4plusIjEEEEZZNS1_33reduce_by_key_impl_wrapped_configILNS1_25lookback_scan_determinismE0ES3_S7_PKaNS0_17constant_iteratorIjlEEPaPlSF_S6_NS0_8equal_toIaEEEE10hipError_tPvRmT2_T3_mT4_T5_T6_T7_T8_P12ihipStream_tbENKUlT_T0_E_clISt17integral_constantIbLb0EESZ_EEDaSU_SV_EUlSU_E_NS1_11comp_targetILNS1_3genE10ELNS1_11target_archE1201ELNS1_3gpuE5ELNS1_3repE0EEENS1_30default_config_static_selectorELNS0_4arch9wavefront6targetE1EEEvT1_
	.p2align	8
	.type	_ZN7rocprim17ROCPRIM_400000_NS6detail17trampoline_kernelINS0_14default_configENS1_33run_length_encode_config_selectorIajNS0_4plusIjEEEEZZNS1_33reduce_by_key_impl_wrapped_configILNS1_25lookback_scan_determinismE0ES3_S7_PKaNS0_17constant_iteratorIjlEEPaPlSF_S6_NS0_8equal_toIaEEEE10hipError_tPvRmT2_T3_mT4_T5_T6_T7_T8_P12ihipStream_tbENKUlT_T0_E_clISt17integral_constantIbLb0EESZ_EEDaSU_SV_EUlSU_E_NS1_11comp_targetILNS1_3genE10ELNS1_11target_archE1201ELNS1_3gpuE5ELNS1_3repE0EEENS1_30default_config_static_selectorELNS0_4arch9wavefront6targetE1EEEvT1_,@function
_ZN7rocprim17ROCPRIM_400000_NS6detail17trampoline_kernelINS0_14default_configENS1_33run_length_encode_config_selectorIajNS0_4plusIjEEEEZZNS1_33reduce_by_key_impl_wrapped_configILNS1_25lookback_scan_determinismE0ES3_S7_PKaNS0_17constant_iteratorIjlEEPaPlSF_S6_NS0_8equal_toIaEEEE10hipError_tPvRmT2_T3_mT4_T5_T6_T7_T8_P12ihipStream_tbENKUlT_T0_E_clISt17integral_constantIbLb0EESZ_EEDaSU_SV_EUlSU_E_NS1_11comp_targetILNS1_3genE10ELNS1_11target_archE1201ELNS1_3gpuE5ELNS1_3repE0EEENS1_30default_config_static_selectorELNS0_4arch9wavefront6targetE1EEEvT1_: ; @_ZN7rocprim17ROCPRIM_400000_NS6detail17trampoline_kernelINS0_14default_configENS1_33run_length_encode_config_selectorIajNS0_4plusIjEEEEZZNS1_33reduce_by_key_impl_wrapped_configILNS1_25lookback_scan_determinismE0ES3_S7_PKaNS0_17constant_iteratorIjlEEPaPlSF_S6_NS0_8equal_toIaEEEE10hipError_tPvRmT2_T3_mT4_T5_T6_T7_T8_P12ihipStream_tbENKUlT_T0_E_clISt17integral_constantIbLb0EESZ_EEDaSU_SV_EUlSU_E_NS1_11comp_targetILNS1_3genE10ELNS1_11target_archE1201ELNS1_3gpuE5ELNS1_3repE0EEENS1_30default_config_static_selectorELNS0_4arch9wavefront6targetE1EEEvT1_
; %bb.0:
	.section	.rodata,"a",@progbits
	.p2align	6, 0x0
	.amdhsa_kernel _ZN7rocprim17ROCPRIM_400000_NS6detail17trampoline_kernelINS0_14default_configENS1_33run_length_encode_config_selectorIajNS0_4plusIjEEEEZZNS1_33reduce_by_key_impl_wrapped_configILNS1_25lookback_scan_determinismE0ES3_S7_PKaNS0_17constant_iteratorIjlEEPaPlSF_S6_NS0_8equal_toIaEEEE10hipError_tPvRmT2_T3_mT4_T5_T6_T7_T8_P12ihipStream_tbENKUlT_T0_E_clISt17integral_constantIbLb0EESZ_EEDaSU_SV_EUlSU_E_NS1_11comp_targetILNS1_3genE10ELNS1_11target_archE1201ELNS1_3gpuE5ELNS1_3repE0EEENS1_30default_config_static_selectorELNS0_4arch9wavefront6targetE1EEEvT1_
		.amdhsa_group_segment_fixed_size 0
		.amdhsa_private_segment_fixed_size 0
		.amdhsa_kernarg_size 128
		.amdhsa_user_sgpr_count 2
		.amdhsa_user_sgpr_dispatch_ptr 0
		.amdhsa_user_sgpr_queue_ptr 0
		.amdhsa_user_sgpr_kernarg_segment_ptr 1
		.amdhsa_user_sgpr_dispatch_id 0
		.amdhsa_user_sgpr_kernarg_preload_length 0
		.amdhsa_user_sgpr_kernarg_preload_offset 0
		.amdhsa_user_sgpr_private_segment_size 0
		.amdhsa_uses_dynamic_stack 0
		.amdhsa_enable_private_segment 0
		.amdhsa_system_sgpr_workgroup_id_x 1
		.amdhsa_system_sgpr_workgroup_id_y 0
		.amdhsa_system_sgpr_workgroup_id_z 0
		.amdhsa_system_sgpr_workgroup_info 0
		.amdhsa_system_vgpr_workitem_id 0
		.amdhsa_next_free_vgpr 1
		.amdhsa_next_free_sgpr 0
		.amdhsa_accum_offset 4
		.amdhsa_reserve_vcc 0
		.amdhsa_float_round_mode_32 0
		.amdhsa_float_round_mode_16_64 0
		.amdhsa_float_denorm_mode_32 3
		.amdhsa_float_denorm_mode_16_64 3
		.amdhsa_dx10_clamp 1
		.amdhsa_ieee_mode 1
		.amdhsa_fp16_overflow 0
		.amdhsa_tg_split 0
		.amdhsa_exception_fp_ieee_invalid_op 0
		.amdhsa_exception_fp_denorm_src 0
		.amdhsa_exception_fp_ieee_div_zero 0
		.amdhsa_exception_fp_ieee_overflow 0
		.amdhsa_exception_fp_ieee_underflow 0
		.amdhsa_exception_fp_ieee_inexact 0
		.amdhsa_exception_int_div_zero 0
	.end_amdhsa_kernel
	.section	.text._ZN7rocprim17ROCPRIM_400000_NS6detail17trampoline_kernelINS0_14default_configENS1_33run_length_encode_config_selectorIajNS0_4plusIjEEEEZZNS1_33reduce_by_key_impl_wrapped_configILNS1_25lookback_scan_determinismE0ES3_S7_PKaNS0_17constant_iteratorIjlEEPaPlSF_S6_NS0_8equal_toIaEEEE10hipError_tPvRmT2_T3_mT4_T5_T6_T7_T8_P12ihipStream_tbENKUlT_T0_E_clISt17integral_constantIbLb0EESZ_EEDaSU_SV_EUlSU_E_NS1_11comp_targetILNS1_3genE10ELNS1_11target_archE1201ELNS1_3gpuE5ELNS1_3repE0EEENS1_30default_config_static_selectorELNS0_4arch9wavefront6targetE1EEEvT1_,"axG",@progbits,_ZN7rocprim17ROCPRIM_400000_NS6detail17trampoline_kernelINS0_14default_configENS1_33run_length_encode_config_selectorIajNS0_4plusIjEEEEZZNS1_33reduce_by_key_impl_wrapped_configILNS1_25lookback_scan_determinismE0ES3_S7_PKaNS0_17constant_iteratorIjlEEPaPlSF_S6_NS0_8equal_toIaEEEE10hipError_tPvRmT2_T3_mT4_T5_T6_T7_T8_P12ihipStream_tbENKUlT_T0_E_clISt17integral_constantIbLb0EESZ_EEDaSU_SV_EUlSU_E_NS1_11comp_targetILNS1_3genE10ELNS1_11target_archE1201ELNS1_3gpuE5ELNS1_3repE0EEENS1_30default_config_static_selectorELNS0_4arch9wavefront6targetE1EEEvT1_,comdat
.Lfunc_end240:
	.size	_ZN7rocprim17ROCPRIM_400000_NS6detail17trampoline_kernelINS0_14default_configENS1_33run_length_encode_config_selectorIajNS0_4plusIjEEEEZZNS1_33reduce_by_key_impl_wrapped_configILNS1_25lookback_scan_determinismE0ES3_S7_PKaNS0_17constant_iteratorIjlEEPaPlSF_S6_NS0_8equal_toIaEEEE10hipError_tPvRmT2_T3_mT4_T5_T6_T7_T8_P12ihipStream_tbENKUlT_T0_E_clISt17integral_constantIbLb0EESZ_EEDaSU_SV_EUlSU_E_NS1_11comp_targetILNS1_3genE10ELNS1_11target_archE1201ELNS1_3gpuE5ELNS1_3repE0EEENS1_30default_config_static_selectorELNS0_4arch9wavefront6targetE1EEEvT1_, .Lfunc_end240-_ZN7rocprim17ROCPRIM_400000_NS6detail17trampoline_kernelINS0_14default_configENS1_33run_length_encode_config_selectorIajNS0_4plusIjEEEEZZNS1_33reduce_by_key_impl_wrapped_configILNS1_25lookback_scan_determinismE0ES3_S7_PKaNS0_17constant_iteratorIjlEEPaPlSF_S6_NS0_8equal_toIaEEEE10hipError_tPvRmT2_T3_mT4_T5_T6_T7_T8_P12ihipStream_tbENKUlT_T0_E_clISt17integral_constantIbLb0EESZ_EEDaSU_SV_EUlSU_E_NS1_11comp_targetILNS1_3genE10ELNS1_11target_archE1201ELNS1_3gpuE5ELNS1_3repE0EEENS1_30default_config_static_selectorELNS0_4arch9wavefront6targetE1EEEvT1_
                                        ; -- End function
	.section	.AMDGPU.csdata,"",@progbits
; Kernel info:
; codeLenInByte = 0
; NumSgprs: 6
; NumVgprs: 0
; NumAgprs: 0
; TotalNumVgprs: 0
; ScratchSize: 0
; MemoryBound: 0
; FloatMode: 240
; IeeeMode: 1
; LDSByteSize: 0 bytes/workgroup (compile time only)
; SGPRBlocks: 0
; VGPRBlocks: 0
; NumSGPRsForWavesPerEU: 6
; NumVGPRsForWavesPerEU: 1
; AccumOffset: 4
; Occupancy: 8
; WaveLimiterHint : 0
; COMPUTE_PGM_RSRC2:SCRATCH_EN: 0
; COMPUTE_PGM_RSRC2:USER_SGPR: 2
; COMPUTE_PGM_RSRC2:TRAP_HANDLER: 0
; COMPUTE_PGM_RSRC2:TGID_X_EN: 1
; COMPUTE_PGM_RSRC2:TGID_Y_EN: 0
; COMPUTE_PGM_RSRC2:TGID_Z_EN: 0
; COMPUTE_PGM_RSRC2:TIDIG_COMP_CNT: 0
; COMPUTE_PGM_RSRC3_GFX90A:ACCUM_OFFSET: 0
; COMPUTE_PGM_RSRC3_GFX90A:TG_SPLIT: 0
	.section	.text._ZN7rocprim17ROCPRIM_400000_NS6detail17trampoline_kernelINS0_14default_configENS1_33run_length_encode_config_selectorIajNS0_4plusIjEEEEZZNS1_33reduce_by_key_impl_wrapped_configILNS1_25lookback_scan_determinismE0ES3_S7_PKaNS0_17constant_iteratorIjlEEPaPlSF_S6_NS0_8equal_toIaEEEE10hipError_tPvRmT2_T3_mT4_T5_T6_T7_T8_P12ihipStream_tbENKUlT_T0_E_clISt17integral_constantIbLb0EESZ_EEDaSU_SV_EUlSU_E_NS1_11comp_targetILNS1_3genE10ELNS1_11target_archE1200ELNS1_3gpuE4ELNS1_3repE0EEENS1_30default_config_static_selectorELNS0_4arch9wavefront6targetE1EEEvT1_,"axG",@progbits,_ZN7rocprim17ROCPRIM_400000_NS6detail17trampoline_kernelINS0_14default_configENS1_33run_length_encode_config_selectorIajNS0_4plusIjEEEEZZNS1_33reduce_by_key_impl_wrapped_configILNS1_25lookback_scan_determinismE0ES3_S7_PKaNS0_17constant_iteratorIjlEEPaPlSF_S6_NS0_8equal_toIaEEEE10hipError_tPvRmT2_T3_mT4_T5_T6_T7_T8_P12ihipStream_tbENKUlT_T0_E_clISt17integral_constantIbLb0EESZ_EEDaSU_SV_EUlSU_E_NS1_11comp_targetILNS1_3genE10ELNS1_11target_archE1200ELNS1_3gpuE4ELNS1_3repE0EEENS1_30default_config_static_selectorELNS0_4arch9wavefront6targetE1EEEvT1_,comdat
	.protected	_ZN7rocprim17ROCPRIM_400000_NS6detail17trampoline_kernelINS0_14default_configENS1_33run_length_encode_config_selectorIajNS0_4plusIjEEEEZZNS1_33reduce_by_key_impl_wrapped_configILNS1_25lookback_scan_determinismE0ES3_S7_PKaNS0_17constant_iteratorIjlEEPaPlSF_S6_NS0_8equal_toIaEEEE10hipError_tPvRmT2_T3_mT4_T5_T6_T7_T8_P12ihipStream_tbENKUlT_T0_E_clISt17integral_constantIbLb0EESZ_EEDaSU_SV_EUlSU_E_NS1_11comp_targetILNS1_3genE10ELNS1_11target_archE1200ELNS1_3gpuE4ELNS1_3repE0EEENS1_30default_config_static_selectorELNS0_4arch9wavefront6targetE1EEEvT1_ ; -- Begin function _ZN7rocprim17ROCPRIM_400000_NS6detail17trampoline_kernelINS0_14default_configENS1_33run_length_encode_config_selectorIajNS0_4plusIjEEEEZZNS1_33reduce_by_key_impl_wrapped_configILNS1_25lookback_scan_determinismE0ES3_S7_PKaNS0_17constant_iteratorIjlEEPaPlSF_S6_NS0_8equal_toIaEEEE10hipError_tPvRmT2_T3_mT4_T5_T6_T7_T8_P12ihipStream_tbENKUlT_T0_E_clISt17integral_constantIbLb0EESZ_EEDaSU_SV_EUlSU_E_NS1_11comp_targetILNS1_3genE10ELNS1_11target_archE1200ELNS1_3gpuE4ELNS1_3repE0EEENS1_30default_config_static_selectorELNS0_4arch9wavefront6targetE1EEEvT1_
	.globl	_ZN7rocprim17ROCPRIM_400000_NS6detail17trampoline_kernelINS0_14default_configENS1_33run_length_encode_config_selectorIajNS0_4plusIjEEEEZZNS1_33reduce_by_key_impl_wrapped_configILNS1_25lookback_scan_determinismE0ES3_S7_PKaNS0_17constant_iteratorIjlEEPaPlSF_S6_NS0_8equal_toIaEEEE10hipError_tPvRmT2_T3_mT4_T5_T6_T7_T8_P12ihipStream_tbENKUlT_T0_E_clISt17integral_constantIbLb0EESZ_EEDaSU_SV_EUlSU_E_NS1_11comp_targetILNS1_3genE10ELNS1_11target_archE1200ELNS1_3gpuE4ELNS1_3repE0EEENS1_30default_config_static_selectorELNS0_4arch9wavefront6targetE1EEEvT1_
	.p2align	8
	.type	_ZN7rocprim17ROCPRIM_400000_NS6detail17trampoline_kernelINS0_14default_configENS1_33run_length_encode_config_selectorIajNS0_4plusIjEEEEZZNS1_33reduce_by_key_impl_wrapped_configILNS1_25lookback_scan_determinismE0ES3_S7_PKaNS0_17constant_iteratorIjlEEPaPlSF_S6_NS0_8equal_toIaEEEE10hipError_tPvRmT2_T3_mT4_T5_T6_T7_T8_P12ihipStream_tbENKUlT_T0_E_clISt17integral_constantIbLb0EESZ_EEDaSU_SV_EUlSU_E_NS1_11comp_targetILNS1_3genE10ELNS1_11target_archE1200ELNS1_3gpuE4ELNS1_3repE0EEENS1_30default_config_static_selectorELNS0_4arch9wavefront6targetE1EEEvT1_,@function
_ZN7rocprim17ROCPRIM_400000_NS6detail17trampoline_kernelINS0_14default_configENS1_33run_length_encode_config_selectorIajNS0_4plusIjEEEEZZNS1_33reduce_by_key_impl_wrapped_configILNS1_25lookback_scan_determinismE0ES3_S7_PKaNS0_17constant_iteratorIjlEEPaPlSF_S6_NS0_8equal_toIaEEEE10hipError_tPvRmT2_T3_mT4_T5_T6_T7_T8_P12ihipStream_tbENKUlT_T0_E_clISt17integral_constantIbLb0EESZ_EEDaSU_SV_EUlSU_E_NS1_11comp_targetILNS1_3genE10ELNS1_11target_archE1200ELNS1_3gpuE4ELNS1_3repE0EEENS1_30default_config_static_selectorELNS0_4arch9wavefront6targetE1EEEvT1_: ; @_ZN7rocprim17ROCPRIM_400000_NS6detail17trampoline_kernelINS0_14default_configENS1_33run_length_encode_config_selectorIajNS0_4plusIjEEEEZZNS1_33reduce_by_key_impl_wrapped_configILNS1_25lookback_scan_determinismE0ES3_S7_PKaNS0_17constant_iteratorIjlEEPaPlSF_S6_NS0_8equal_toIaEEEE10hipError_tPvRmT2_T3_mT4_T5_T6_T7_T8_P12ihipStream_tbENKUlT_T0_E_clISt17integral_constantIbLb0EESZ_EEDaSU_SV_EUlSU_E_NS1_11comp_targetILNS1_3genE10ELNS1_11target_archE1200ELNS1_3gpuE4ELNS1_3repE0EEENS1_30default_config_static_selectorELNS0_4arch9wavefront6targetE1EEEvT1_
; %bb.0:
	.section	.rodata,"a",@progbits
	.p2align	6, 0x0
	.amdhsa_kernel _ZN7rocprim17ROCPRIM_400000_NS6detail17trampoline_kernelINS0_14default_configENS1_33run_length_encode_config_selectorIajNS0_4plusIjEEEEZZNS1_33reduce_by_key_impl_wrapped_configILNS1_25lookback_scan_determinismE0ES3_S7_PKaNS0_17constant_iteratorIjlEEPaPlSF_S6_NS0_8equal_toIaEEEE10hipError_tPvRmT2_T3_mT4_T5_T6_T7_T8_P12ihipStream_tbENKUlT_T0_E_clISt17integral_constantIbLb0EESZ_EEDaSU_SV_EUlSU_E_NS1_11comp_targetILNS1_3genE10ELNS1_11target_archE1200ELNS1_3gpuE4ELNS1_3repE0EEENS1_30default_config_static_selectorELNS0_4arch9wavefront6targetE1EEEvT1_
		.amdhsa_group_segment_fixed_size 0
		.amdhsa_private_segment_fixed_size 0
		.amdhsa_kernarg_size 128
		.amdhsa_user_sgpr_count 2
		.amdhsa_user_sgpr_dispatch_ptr 0
		.amdhsa_user_sgpr_queue_ptr 0
		.amdhsa_user_sgpr_kernarg_segment_ptr 1
		.amdhsa_user_sgpr_dispatch_id 0
		.amdhsa_user_sgpr_kernarg_preload_length 0
		.amdhsa_user_sgpr_kernarg_preload_offset 0
		.amdhsa_user_sgpr_private_segment_size 0
		.amdhsa_uses_dynamic_stack 0
		.amdhsa_enable_private_segment 0
		.amdhsa_system_sgpr_workgroup_id_x 1
		.amdhsa_system_sgpr_workgroup_id_y 0
		.amdhsa_system_sgpr_workgroup_id_z 0
		.amdhsa_system_sgpr_workgroup_info 0
		.amdhsa_system_vgpr_workitem_id 0
		.amdhsa_next_free_vgpr 1
		.amdhsa_next_free_sgpr 0
		.amdhsa_accum_offset 4
		.amdhsa_reserve_vcc 0
		.amdhsa_float_round_mode_32 0
		.amdhsa_float_round_mode_16_64 0
		.amdhsa_float_denorm_mode_32 3
		.amdhsa_float_denorm_mode_16_64 3
		.amdhsa_dx10_clamp 1
		.amdhsa_ieee_mode 1
		.amdhsa_fp16_overflow 0
		.amdhsa_tg_split 0
		.amdhsa_exception_fp_ieee_invalid_op 0
		.amdhsa_exception_fp_denorm_src 0
		.amdhsa_exception_fp_ieee_div_zero 0
		.amdhsa_exception_fp_ieee_overflow 0
		.amdhsa_exception_fp_ieee_underflow 0
		.amdhsa_exception_fp_ieee_inexact 0
		.amdhsa_exception_int_div_zero 0
	.end_amdhsa_kernel
	.section	.text._ZN7rocprim17ROCPRIM_400000_NS6detail17trampoline_kernelINS0_14default_configENS1_33run_length_encode_config_selectorIajNS0_4plusIjEEEEZZNS1_33reduce_by_key_impl_wrapped_configILNS1_25lookback_scan_determinismE0ES3_S7_PKaNS0_17constant_iteratorIjlEEPaPlSF_S6_NS0_8equal_toIaEEEE10hipError_tPvRmT2_T3_mT4_T5_T6_T7_T8_P12ihipStream_tbENKUlT_T0_E_clISt17integral_constantIbLb0EESZ_EEDaSU_SV_EUlSU_E_NS1_11comp_targetILNS1_3genE10ELNS1_11target_archE1200ELNS1_3gpuE4ELNS1_3repE0EEENS1_30default_config_static_selectorELNS0_4arch9wavefront6targetE1EEEvT1_,"axG",@progbits,_ZN7rocprim17ROCPRIM_400000_NS6detail17trampoline_kernelINS0_14default_configENS1_33run_length_encode_config_selectorIajNS0_4plusIjEEEEZZNS1_33reduce_by_key_impl_wrapped_configILNS1_25lookback_scan_determinismE0ES3_S7_PKaNS0_17constant_iteratorIjlEEPaPlSF_S6_NS0_8equal_toIaEEEE10hipError_tPvRmT2_T3_mT4_T5_T6_T7_T8_P12ihipStream_tbENKUlT_T0_E_clISt17integral_constantIbLb0EESZ_EEDaSU_SV_EUlSU_E_NS1_11comp_targetILNS1_3genE10ELNS1_11target_archE1200ELNS1_3gpuE4ELNS1_3repE0EEENS1_30default_config_static_selectorELNS0_4arch9wavefront6targetE1EEEvT1_,comdat
.Lfunc_end241:
	.size	_ZN7rocprim17ROCPRIM_400000_NS6detail17trampoline_kernelINS0_14default_configENS1_33run_length_encode_config_selectorIajNS0_4plusIjEEEEZZNS1_33reduce_by_key_impl_wrapped_configILNS1_25lookback_scan_determinismE0ES3_S7_PKaNS0_17constant_iteratorIjlEEPaPlSF_S6_NS0_8equal_toIaEEEE10hipError_tPvRmT2_T3_mT4_T5_T6_T7_T8_P12ihipStream_tbENKUlT_T0_E_clISt17integral_constantIbLb0EESZ_EEDaSU_SV_EUlSU_E_NS1_11comp_targetILNS1_3genE10ELNS1_11target_archE1200ELNS1_3gpuE4ELNS1_3repE0EEENS1_30default_config_static_selectorELNS0_4arch9wavefront6targetE1EEEvT1_, .Lfunc_end241-_ZN7rocprim17ROCPRIM_400000_NS6detail17trampoline_kernelINS0_14default_configENS1_33run_length_encode_config_selectorIajNS0_4plusIjEEEEZZNS1_33reduce_by_key_impl_wrapped_configILNS1_25lookback_scan_determinismE0ES3_S7_PKaNS0_17constant_iteratorIjlEEPaPlSF_S6_NS0_8equal_toIaEEEE10hipError_tPvRmT2_T3_mT4_T5_T6_T7_T8_P12ihipStream_tbENKUlT_T0_E_clISt17integral_constantIbLb0EESZ_EEDaSU_SV_EUlSU_E_NS1_11comp_targetILNS1_3genE10ELNS1_11target_archE1200ELNS1_3gpuE4ELNS1_3repE0EEENS1_30default_config_static_selectorELNS0_4arch9wavefront6targetE1EEEvT1_
                                        ; -- End function
	.section	.AMDGPU.csdata,"",@progbits
; Kernel info:
; codeLenInByte = 0
; NumSgprs: 6
; NumVgprs: 0
; NumAgprs: 0
; TotalNumVgprs: 0
; ScratchSize: 0
; MemoryBound: 0
; FloatMode: 240
; IeeeMode: 1
; LDSByteSize: 0 bytes/workgroup (compile time only)
; SGPRBlocks: 0
; VGPRBlocks: 0
; NumSGPRsForWavesPerEU: 6
; NumVGPRsForWavesPerEU: 1
; AccumOffset: 4
; Occupancy: 8
; WaveLimiterHint : 0
; COMPUTE_PGM_RSRC2:SCRATCH_EN: 0
; COMPUTE_PGM_RSRC2:USER_SGPR: 2
; COMPUTE_PGM_RSRC2:TRAP_HANDLER: 0
; COMPUTE_PGM_RSRC2:TGID_X_EN: 1
; COMPUTE_PGM_RSRC2:TGID_Y_EN: 0
; COMPUTE_PGM_RSRC2:TGID_Z_EN: 0
; COMPUTE_PGM_RSRC2:TIDIG_COMP_CNT: 0
; COMPUTE_PGM_RSRC3_GFX90A:ACCUM_OFFSET: 0
; COMPUTE_PGM_RSRC3_GFX90A:TG_SPLIT: 0
	.section	.text._ZN7rocprim17ROCPRIM_400000_NS6detail17trampoline_kernelINS0_14default_configENS1_33run_length_encode_config_selectorIajNS0_4plusIjEEEEZZNS1_33reduce_by_key_impl_wrapped_configILNS1_25lookback_scan_determinismE0ES3_S7_PKaNS0_17constant_iteratorIjlEEPaPlSF_S6_NS0_8equal_toIaEEEE10hipError_tPvRmT2_T3_mT4_T5_T6_T7_T8_P12ihipStream_tbENKUlT_T0_E_clISt17integral_constantIbLb0EESZ_EEDaSU_SV_EUlSU_E_NS1_11comp_targetILNS1_3genE9ELNS1_11target_archE1100ELNS1_3gpuE3ELNS1_3repE0EEENS1_30default_config_static_selectorELNS0_4arch9wavefront6targetE1EEEvT1_,"axG",@progbits,_ZN7rocprim17ROCPRIM_400000_NS6detail17trampoline_kernelINS0_14default_configENS1_33run_length_encode_config_selectorIajNS0_4plusIjEEEEZZNS1_33reduce_by_key_impl_wrapped_configILNS1_25lookback_scan_determinismE0ES3_S7_PKaNS0_17constant_iteratorIjlEEPaPlSF_S6_NS0_8equal_toIaEEEE10hipError_tPvRmT2_T3_mT4_T5_T6_T7_T8_P12ihipStream_tbENKUlT_T0_E_clISt17integral_constantIbLb0EESZ_EEDaSU_SV_EUlSU_E_NS1_11comp_targetILNS1_3genE9ELNS1_11target_archE1100ELNS1_3gpuE3ELNS1_3repE0EEENS1_30default_config_static_selectorELNS0_4arch9wavefront6targetE1EEEvT1_,comdat
	.protected	_ZN7rocprim17ROCPRIM_400000_NS6detail17trampoline_kernelINS0_14default_configENS1_33run_length_encode_config_selectorIajNS0_4plusIjEEEEZZNS1_33reduce_by_key_impl_wrapped_configILNS1_25lookback_scan_determinismE0ES3_S7_PKaNS0_17constant_iteratorIjlEEPaPlSF_S6_NS0_8equal_toIaEEEE10hipError_tPvRmT2_T3_mT4_T5_T6_T7_T8_P12ihipStream_tbENKUlT_T0_E_clISt17integral_constantIbLb0EESZ_EEDaSU_SV_EUlSU_E_NS1_11comp_targetILNS1_3genE9ELNS1_11target_archE1100ELNS1_3gpuE3ELNS1_3repE0EEENS1_30default_config_static_selectorELNS0_4arch9wavefront6targetE1EEEvT1_ ; -- Begin function _ZN7rocprim17ROCPRIM_400000_NS6detail17trampoline_kernelINS0_14default_configENS1_33run_length_encode_config_selectorIajNS0_4plusIjEEEEZZNS1_33reduce_by_key_impl_wrapped_configILNS1_25lookback_scan_determinismE0ES3_S7_PKaNS0_17constant_iteratorIjlEEPaPlSF_S6_NS0_8equal_toIaEEEE10hipError_tPvRmT2_T3_mT4_T5_T6_T7_T8_P12ihipStream_tbENKUlT_T0_E_clISt17integral_constantIbLb0EESZ_EEDaSU_SV_EUlSU_E_NS1_11comp_targetILNS1_3genE9ELNS1_11target_archE1100ELNS1_3gpuE3ELNS1_3repE0EEENS1_30default_config_static_selectorELNS0_4arch9wavefront6targetE1EEEvT1_
	.globl	_ZN7rocprim17ROCPRIM_400000_NS6detail17trampoline_kernelINS0_14default_configENS1_33run_length_encode_config_selectorIajNS0_4plusIjEEEEZZNS1_33reduce_by_key_impl_wrapped_configILNS1_25lookback_scan_determinismE0ES3_S7_PKaNS0_17constant_iteratorIjlEEPaPlSF_S6_NS0_8equal_toIaEEEE10hipError_tPvRmT2_T3_mT4_T5_T6_T7_T8_P12ihipStream_tbENKUlT_T0_E_clISt17integral_constantIbLb0EESZ_EEDaSU_SV_EUlSU_E_NS1_11comp_targetILNS1_3genE9ELNS1_11target_archE1100ELNS1_3gpuE3ELNS1_3repE0EEENS1_30default_config_static_selectorELNS0_4arch9wavefront6targetE1EEEvT1_
	.p2align	8
	.type	_ZN7rocprim17ROCPRIM_400000_NS6detail17trampoline_kernelINS0_14default_configENS1_33run_length_encode_config_selectorIajNS0_4plusIjEEEEZZNS1_33reduce_by_key_impl_wrapped_configILNS1_25lookback_scan_determinismE0ES3_S7_PKaNS0_17constant_iteratorIjlEEPaPlSF_S6_NS0_8equal_toIaEEEE10hipError_tPvRmT2_T3_mT4_T5_T6_T7_T8_P12ihipStream_tbENKUlT_T0_E_clISt17integral_constantIbLb0EESZ_EEDaSU_SV_EUlSU_E_NS1_11comp_targetILNS1_3genE9ELNS1_11target_archE1100ELNS1_3gpuE3ELNS1_3repE0EEENS1_30default_config_static_selectorELNS0_4arch9wavefront6targetE1EEEvT1_,@function
_ZN7rocprim17ROCPRIM_400000_NS6detail17trampoline_kernelINS0_14default_configENS1_33run_length_encode_config_selectorIajNS0_4plusIjEEEEZZNS1_33reduce_by_key_impl_wrapped_configILNS1_25lookback_scan_determinismE0ES3_S7_PKaNS0_17constant_iteratorIjlEEPaPlSF_S6_NS0_8equal_toIaEEEE10hipError_tPvRmT2_T3_mT4_T5_T6_T7_T8_P12ihipStream_tbENKUlT_T0_E_clISt17integral_constantIbLb0EESZ_EEDaSU_SV_EUlSU_E_NS1_11comp_targetILNS1_3genE9ELNS1_11target_archE1100ELNS1_3gpuE3ELNS1_3repE0EEENS1_30default_config_static_selectorELNS0_4arch9wavefront6targetE1EEEvT1_: ; @_ZN7rocprim17ROCPRIM_400000_NS6detail17trampoline_kernelINS0_14default_configENS1_33run_length_encode_config_selectorIajNS0_4plusIjEEEEZZNS1_33reduce_by_key_impl_wrapped_configILNS1_25lookback_scan_determinismE0ES3_S7_PKaNS0_17constant_iteratorIjlEEPaPlSF_S6_NS0_8equal_toIaEEEE10hipError_tPvRmT2_T3_mT4_T5_T6_T7_T8_P12ihipStream_tbENKUlT_T0_E_clISt17integral_constantIbLb0EESZ_EEDaSU_SV_EUlSU_E_NS1_11comp_targetILNS1_3genE9ELNS1_11target_archE1100ELNS1_3gpuE3ELNS1_3repE0EEENS1_30default_config_static_selectorELNS0_4arch9wavefront6targetE1EEEvT1_
; %bb.0:
	.section	.rodata,"a",@progbits
	.p2align	6, 0x0
	.amdhsa_kernel _ZN7rocprim17ROCPRIM_400000_NS6detail17trampoline_kernelINS0_14default_configENS1_33run_length_encode_config_selectorIajNS0_4plusIjEEEEZZNS1_33reduce_by_key_impl_wrapped_configILNS1_25lookback_scan_determinismE0ES3_S7_PKaNS0_17constant_iteratorIjlEEPaPlSF_S6_NS0_8equal_toIaEEEE10hipError_tPvRmT2_T3_mT4_T5_T6_T7_T8_P12ihipStream_tbENKUlT_T0_E_clISt17integral_constantIbLb0EESZ_EEDaSU_SV_EUlSU_E_NS1_11comp_targetILNS1_3genE9ELNS1_11target_archE1100ELNS1_3gpuE3ELNS1_3repE0EEENS1_30default_config_static_selectorELNS0_4arch9wavefront6targetE1EEEvT1_
		.amdhsa_group_segment_fixed_size 0
		.amdhsa_private_segment_fixed_size 0
		.amdhsa_kernarg_size 128
		.amdhsa_user_sgpr_count 2
		.amdhsa_user_sgpr_dispatch_ptr 0
		.amdhsa_user_sgpr_queue_ptr 0
		.amdhsa_user_sgpr_kernarg_segment_ptr 1
		.amdhsa_user_sgpr_dispatch_id 0
		.amdhsa_user_sgpr_kernarg_preload_length 0
		.amdhsa_user_sgpr_kernarg_preload_offset 0
		.amdhsa_user_sgpr_private_segment_size 0
		.amdhsa_uses_dynamic_stack 0
		.amdhsa_enable_private_segment 0
		.amdhsa_system_sgpr_workgroup_id_x 1
		.amdhsa_system_sgpr_workgroup_id_y 0
		.amdhsa_system_sgpr_workgroup_id_z 0
		.amdhsa_system_sgpr_workgroup_info 0
		.amdhsa_system_vgpr_workitem_id 0
		.amdhsa_next_free_vgpr 1
		.amdhsa_next_free_sgpr 0
		.amdhsa_accum_offset 4
		.amdhsa_reserve_vcc 0
		.amdhsa_float_round_mode_32 0
		.amdhsa_float_round_mode_16_64 0
		.amdhsa_float_denorm_mode_32 3
		.amdhsa_float_denorm_mode_16_64 3
		.amdhsa_dx10_clamp 1
		.amdhsa_ieee_mode 1
		.amdhsa_fp16_overflow 0
		.amdhsa_tg_split 0
		.amdhsa_exception_fp_ieee_invalid_op 0
		.amdhsa_exception_fp_denorm_src 0
		.amdhsa_exception_fp_ieee_div_zero 0
		.amdhsa_exception_fp_ieee_overflow 0
		.amdhsa_exception_fp_ieee_underflow 0
		.amdhsa_exception_fp_ieee_inexact 0
		.amdhsa_exception_int_div_zero 0
	.end_amdhsa_kernel
	.section	.text._ZN7rocprim17ROCPRIM_400000_NS6detail17trampoline_kernelINS0_14default_configENS1_33run_length_encode_config_selectorIajNS0_4plusIjEEEEZZNS1_33reduce_by_key_impl_wrapped_configILNS1_25lookback_scan_determinismE0ES3_S7_PKaNS0_17constant_iteratorIjlEEPaPlSF_S6_NS0_8equal_toIaEEEE10hipError_tPvRmT2_T3_mT4_T5_T6_T7_T8_P12ihipStream_tbENKUlT_T0_E_clISt17integral_constantIbLb0EESZ_EEDaSU_SV_EUlSU_E_NS1_11comp_targetILNS1_3genE9ELNS1_11target_archE1100ELNS1_3gpuE3ELNS1_3repE0EEENS1_30default_config_static_selectorELNS0_4arch9wavefront6targetE1EEEvT1_,"axG",@progbits,_ZN7rocprim17ROCPRIM_400000_NS6detail17trampoline_kernelINS0_14default_configENS1_33run_length_encode_config_selectorIajNS0_4plusIjEEEEZZNS1_33reduce_by_key_impl_wrapped_configILNS1_25lookback_scan_determinismE0ES3_S7_PKaNS0_17constant_iteratorIjlEEPaPlSF_S6_NS0_8equal_toIaEEEE10hipError_tPvRmT2_T3_mT4_T5_T6_T7_T8_P12ihipStream_tbENKUlT_T0_E_clISt17integral_constantIbLb0EESZ_EEDaSU_SV_EUlSU_E_NS1_11comp_targetILNS1_3genE9ELNS1_11target_archE1100ELNS1_3gpuE3ELNS1_3repE0EEENS1_30default_config_static_selectorELNS0_4arch9wavefront6targetE1EEEvT1_,comdat
.Lfunc_end242:
	.size	_ZN7rocprim17ROCPRIM_400000_NS6detail17trampoline_kernelINS0_14default_configENS1_33run_length_encode_config_selectorIajNS0_4plusIjEEEEZZNS1_33reduce_by_key_impl_wrapped_configILNS1_25lookback_scan_determinismE0ES3_S7_PKaNS0_17constant_iteratorIjlEEPaPlSF_S6_NS0_8equal_toIaEEEE10hipError_tPvRmT2_T3_mT4_T5_T6_T7_T8_P12ihipStream_tbENKUlT_T0_E_clISt17integral_constantIbLb0EESZ_EEDaSU_SV_EUlSU_E_NS1_11comp_targetILNS1_3genE9ELNS1_11target_archE1100ELNS1_3gpuE3ELNS1_3repE0EEENS1_30default_config_static_selectorELNS0_4arch9wavefront6targetE1EEEvT1_, .Lfunc_end242-_ZN7rocprim17ROCPRIM_400000_NS6detail17trampoline_kernelINS0_14default_configENS1_33run_length_encode_config_selectorIajNS0_4plusIjEEEEZZNS1_33reduce_by_key_impl_wrapped_configILNS1_25lookback_scan_determinismE0ES3_S7_PKaNS0_17constant_iteratorIjlEEPaPlSF_S6_NS0_8equal_toIaEEEE10hipError_tPvRmT2_T3_mT4_T5_T6_T7_T8_P12ihipStream_tbENKUlT_T0_E_clISt17integral_constantIbLb0EESZ_EEDaSU_SV_EUlSU_E_NS1_11comp_targetILNS1_3genE9ELNS1_11target_archE1100ELNS1_3gpuE3ELNS1_3repE0EEENS1_30default_config_static_selectorELNS0_4arch9wavefront6targetE1EEEvT1_
                                        ; -- End function
	.section	.AMDGPU.csdata,"",@progbits
; Kernel info:
; codeLenInByte = 0
; NumSgprs: 6
; NumVgprs: 0
; NumAgprs: 0
; TotalNumVgprs: 0
; ScratchSize: 0
; MemoryBound: 0
; FloatMode: 240
; IeeeMode: 1
; LDSByteSize: 0 bytes/workgroup (compile time only)
; SGPRBlocks: 0
; VGPRBlocks: 0
; NumSGPRsForWavesPerEU: 6
; NumVGPRsForWavesPerEU: 1
; AccumOffset: 4
; Occupancy: 8
; WaveLimiterHint : 0
; COMPUTE_PGM_RSRC2:SCRATCH_EN: 0
; COMPUTE_PGM_RSRC2:USER_SGPR: 2
; COMPUTE_PGM_RSRC2:TRAP_HANDLER: 0
; COMPUTE_PGM_RSRC2:TGID_X_EN: 1
; COMPUTE_PGM_RSRC2:TGID_Y_EN: 0
; COMPUTE_PGM_RSRC2:TGID_Z_EN: 0
; COMPUTE_PGM_RSRC2:TIDIG_COMP_CNT: 0
; COMPUTE_PGM_RSRC3_GFX90A:ACCUM_OFFSET: 0
; COMPUTE_PGM_RSRC3_GFX90A:TG_SPLIT: 0
	.section	.text._ZN7rocprim17ROCPRIM_400000_NS6detail17trampoline_kernelINS0_14default_configENS1_33run_length_encode_config_selectorIajNS0_4plusIjEEEEZZNS1_33reduce_by_key_impl_wrapped_configILNS1_25lookback_scan_determinismE0ES3_S7_PKaNS0_17constant_iteratorIjlEEPaPlSF_S6_NS0_8equal_toIaEEEE10hipError_tPvRmT2_T3_mT4_T5_T6_T7_T8_P12ihipStream_tbENKUlT_T0_E_clISt17integral_constantIbLb0EESZ_EEDaSU_SV_EUlSU_E_NS1_11comp_targetILNS1_3genE8ELNS1_11target_archE1030ELNS1_3gpuE2ELNS1_3repE0EEENS1_30default_config_static_selectorELNS0_4arch9wavefront6targetE1EEEvT1_,"axG",@progbits,_ZN7rocprim17ROCPRIM_400000_NS6detail17trampoline_kernelINS0_14default_configENS1_33run_length_encode_config_selectorIajNS0_4plusIjEEEEZZNS1_33reduce_by_key_impl_wrapped_configILNS1_25lookback_scan_determinismE0ES3_S7_PKaNS0_17constant_iteratorIjlEEPaPlSF_S6_NS0_8equal_toIaEEEE10hipError_tPvRmT2_T3_mT4_T5_T6_T7_T8_P12ihipStream_tbENKUlT_T0_E_clISt17integral_constantIbLb0EESZ_EEDaSU_SV_EUlSU_E_NS1_11comp_targetILNS1_3genE8ELNS1_11target_archE1030ELNS1_3gpuE2ELNS1_3repE0EEENS1_30default_config_static_selectorELNS0_4arch9wavefront6targetE1EEEvT1_,comdat
	.protected	_ZN7rocprim17ROCPRIM_400000_NS6detail17trampoline_kernelINS0_14default_configENS1_33run_length_encode_config_selectorIajNS0_4plusIjEEEEZZNS1_33reduce_by_key_impl_wrapped_configILNS1_25lookback_scan_determinismE0ES3_S7_PKaNS0_17constant_iteratorIjlEEPaPlSF_S6_NS0_8equal_toIaEEEE10hipError_tPvRmT2_T3_mT4_T5_T6_T7_T8_P12ihipStream_tbENKUlT_T0_E_clISt17integral_constantIbLb0EESZ_EEDaSU_SV_EUlSU_E_NS1_11comp_targetILNS1_3genE8ELNS1_11target_archE1030ELNS1_3gpuE2ELNS1_3repE0EEENS1_30default_config_static_selectorELNS0_4arch9wavefront6targetE1EEEvT1_ ; -- Begin function _ZN7rocprim17ROCPRIM_400000_NS6detail17trampoline_kernelINS0_14default_configENS1_33run_length_encode_config_selectorIajNS0_4plusIjEEEEZZNS1_33reduce_by_key_impl_wrapped_configILNS1_25lookback_scan_determinismE0ES3_S7_PKaNS0_17constant_iteratorIjlEEPaPlSF_S6_NS0_8equal_toIaEEEE10hipError_tPvRmT2_T3_mT4_T5_T6_T7_T8_P12ihipStream_tbENKUlT_T0_E_clISt17integral_constantIbLb0EESZ_EEDaSU_SV_EUlSU_E_NS1_11comp_targetILNS1_3genE8ELNS1_11target_archE1030ELNS1_3gpuE2ELNS1_3repE0EEENS1_30default_config_static_selectorELNS0_4arch9wavefront6targetE1EEEvT1_
	.globl	_ZN7rocprim17ROCPRIM_400000_NS6detail17trampoline_kernelINS0_14default_configENS1_33run_length_encode_config_selectorIajNS0_4plusIjEEEEZZNS1_33reduce_by_key_impl_wrapped_configILNS1_25lookback_scan_determinismE0ES3_S7_PKaNS0_17constant_iteratorIjlEEPaPlSF_S6_NS0_8equal_toIaEEEE10hipError_tPvRmT2_T3_mT4_T5_T6_T7_T8_P12ihipStream_tbENKUlT_T0_E_clISt17integral_constantIbLb0EESZ_EEDaSU_SV_EUlSU_E_NS1_11comp_targetILNS1_3genE8ELNS1_11target_archE1030ELNS1_3gpuE2ELNS1_3repE0EEENS1_30default_config_static_selectorELNS0_4arch9wavefront6targetE1EEEvT1_
	.p2align	8
	.type	_ZN7rocprim17ROCPRIM_400000_NS6detail17trampoline_kernelINS0_14default_configENS1_33run_length_encode_config_selectorIajNS0_4plusIjEEEEZZNS1_33reduce_by_key_impl_wrapped_configILNS1_25lookback_scan_determinismE0ES3_S7_PKaNS0_17constant_iteratorIjlEEPaPlSF_S6_NS0_8equal_toIaEEEE10hipError_tPvRmT2_T3_mT4_T5_T6_T7_T8_P12ihipStream_tbENKUlT_T0_E_clISt17integral_constantIbLb0EESZ_EEDaSU_SV_EUlSU_E_NS1_11comp_targetILNS1_3genE8ELNS1_11target_archE1030ELNS1_3gpuE2ELNS1_3repE0EEENS1_30default_config_static_selectorELNS0_4arch9wavefront6targetE1EEEvT1_,@function
_ZN7rocprim17ROCPRIM_400000_NS6detail17trampoline_kernelINS0_14default_configENS1_33run_length_encode_config_selectorIajNS0_4plusIjEEEEZZNS1_33reduce_by_key_impl_wrapped_configILNS1_25lookback_scan_determinismE0ES3_S7_PKaNS0_17constant_iteratorIjlEEPaPlSF_S6_NS0_8equal_toIaEEEE10hipError_tPvRmT2_T3_mT4_T5_T6_T7_T8_P12ihipStream_tbENKUlT_T0_E_clISt17integral_constantIbLb0EESZ_EEDaSU_SV_EUlSU_E_NS1_11comp_targetILNS1_3genE8ELNS1_11target_archE1030ELNS1_3gpuE2ELNS1_3repE0EEENS1_30default_config_static_selectorELNS0_4arch9wavefront6targetE1EEEvT1_: ; @_ZN7rocprim17ROCPRIM_400000_NS6detail17trampoline_kernelINS0_14default_configENS1_33run_length_encode_config_selectorIajNS0_4plusIjEEEEZZNS1_33reduce_by_key_impl_wrapped_configILNS1_25lookback_scan_determinismE0ES3_S7_PKaNS0_17constant_iteratorIjlEEPaPlSF_S6_NS0_8equal_toIaEEEE10hipError_tPvRmT2_T3_mT4_T5_T6_T7_T8_P12ihipStream_tbENKUlT_T0_E_clISt17integral_constantIbLb0EESZ_EEDaSU_SV_EUlSU_E_NS1_11comp_targetILNS1_3genE8ELNS1_11target_archE1030ELNS1_3gpuE2ELNS1_3repE0EEENS1_30default_config_static_selectorELNS0_4arch9wavefront6targetE1EEEvT1_
; %bb.0:
	.section	.rodata,"a",@progbits
	.p2align	6, 0x0
	.amdhsa_kernel _ZN7rocprim17ROCPRIM_400000_NS6detail17trampoline_kernelINS0_14default_configENS1_33run_length_encode_config_selectorIajNS0_4plusIjEEEEZZNS1_33reduce_by_key_impl_wrapped_configILNS1_25lookback_scan_determinismE0ES3_S7_PKaNS0_17constant_iteratorIjlEEPaPlSF_S6_NS0_8equal_toIaEEEE10hipError_tPvRmT2_T3_mT4_T5_T6_T7_T8_P12ihipStream_tbENKUlT_T0_E_clISt17integral_constantIbLb0EESZ_EEDaSU_SV_EUlSU_E_NS1_11comp_targetILNS1_3genE8ELNS1_11target_archE1030ELNS1_3gpuE2ELNS1_3repE0EEENS1_30default_config_static_selectorELNS0_4arch9wavefront6targetE1EEEvT1_
		.amdhsa_group_segment_fixed_size 0
		.amdhsa_private_segment_fixed_size 0
		.amdhsa_kernarg_size 128
		.amdhsa_user_sgpr_count 2
		.amdhsa_user_sgpr_dispatch_ptr 0
		.amdhsa_user_sgpr_queue_ptr 0
		.amdhsa_user_sgpr_kernarg_segment_ptr 1
		.amdhsa_user_sgpr_dispatch_id 0
		.amdhsa_user_sgpr_kernarg_preload_length 0
		.amdhsa_user_sgpr_kernarg_preload_offset 0
		.amdhsa_user_sgpr_private_segment_size 0
		.amdhsa_uses_dynamic_stack 0
		.amdhsa_enable_private_segment 0
		.amdhsa_system_sgpr_workgroup_id_x 1
		.amdhsa_system_sgpr_workgroup_id_y 0
		.amdhsa_system_sgpr_workgroup_id_z 0
		.amdhsa_system_sgpr_workgroup_info 0
		.amdhsa_system_vgpr_workitem_id 0
		.amdhsa_next_free_vgpr 1
		.amdhsa_next_free_sgpr 0
		.amdhsa_accum_offset 4
		.amdhsa_reserve_vcc 0
		.amdhsa_float_round_mode_32 0
		.amdhsa_float_round_mode_16_64 0
		.amdhsa_float_denorm_mode_32 3
		.amdhsa_float_denorm_mode_16_64 3
		.amdhsa_dx10_clamp 1
		.amdhsa_ieee_mode 1
		.amdhsa_fp16_overflow 0
		.amdhsa_tg_split 0
		.amdhsa_exception_fp_ieee_invalid_op 0
		.amdhsa_exception_fp_denorm_src 0
		.amdhsa_exception_fp_ieee_div_zero 0
		.amdhsa_exception_fp_ieee_overflow 0
		.amdhsa_exception_fp_ieee_underflow 0
		.amdhsa_exception_fp_ieee_inexact 0
		.amdhsa_exception_int_div_zero 0
	.end_amdhsa_kernel
	.section	.text._ZN7rocprim17ROCPRIM_400000_NS6detail17trampoline_kernelINS0_14default_configENS1_33run_length_encode_config_selectorIajNS0_4plusIjEEEEZZNS1_33reduce_by_key_impl_wrapped_configILNS1_25lookback_scan_determinismE0ES3_S7_PKaNS0_17constant_iteratorIjlEEPaPlSF_S6_NS0_8equal_toIaEEEE10hipError_tPvRmT2_T3_mT4_T5_T6_T7_T8_P12ihipStream_tbENKUlT_T0_E_clISt17integral_constantIbLb0EESZ_EEDaSU_SV_EUlSU_E_NS1_11comp_targetILNS1_3genE8ELNS1_11target_archE1030ELNS1_3gpuE2ELNS1_3repE0EEENS1_30default_config_static_selectorELNS0_4arch9wavefront6targetE1EEEvT1_,"axG",@progbits,_ZN7rocprim17ROCPRIM_400000_NS6detail17trampoline_kernelINS0_14default_configENS1_33run_length_encode_config_selectorIajNS0_4plusIjEEEEZZNS1_33reduce_by_key_impl_wrapped_configILNS1_25lookback_scan_determinismE0ES3_S7_PKaNS0_17constant_iteratorIjlEEPaPlSF_S6_NS0_8equal_toIaEEEE10hipError_tPvRmT2_T3_mT4_T5_T6_T7_T8_P12ihipStream_tbENKUlT_T0_E_clISt17integral_constantIbLb0EESZ_EEDaSU_SV_EUlSU_E_NS1_11comp_targetILNS1_3genE8ELNS1_11target_archE1030ELNS1_3gpuE2ELNS1_3repE0EEENS1_30default_config_static_selectorELNS0_4arch9wavefront6targetE1EEEvT1_,comdat
.Lfunc_end243:
	.size	_ZN7rocprim17ROCPRIM_400000_NS6detail17trampoline_kernelINS0_14default_configENS1_33run_length_encode_config_selectorIajNS0_4plusIjEEEEZZNS1_33reduce_by_key_impl_wrapped_configILNS1_25lookback_scan_determinismE0ES3_S7_PKaNS0_17constant_iteratorIjlEEPaPlSF_S6_NS0_8equal_toIaEEEE10hipError_tPvRmT2_T3_mT4_T5_T6_T7_T8_P12ihipStream_tbENKUlT_T0_E_clISt17integral_constantIbLb0EESZ_EEDaSU_SV_EUlSU_E_NS1_11comp_targetILNS1_3genE8ELNS1_11target_archE1030ELNS1_3gpuE2ELNS1_3repE0EEENS1_30default_config_static_selectorELNS0_4arch9wavefront6targetE1EEEvT1_, .Lfunc_end243-_ZN7rocprim17ROCPRIM_400000_NS6detail17trampoline_kernelINS0_14default_configENS1_33run_length_encode_config_selectorIajNS0_4plusIjEEEEZZNS1_33reduce_by_key_impl_wrapped_configILNS1_25lookback_scan_determinismE0ES3_S7_PKaNS0_17constant_iteratorIjlEEPaPlSF_S6_NS0_8equal_toIaEEEE10hipError_tPvRmT2_T3_mT4_T5_T6_T7_T8_P12ihipStream_tbENKUlT_T0_E_clISt17integral_constantIbLb0EESZ_EEDaSU_SV_EUlSU_E_NS1_11comp_targetILNS1_3genE8ELNS1_11target_archE1030ELNS1_3gpuE2ELNS1_3repE0EEENS1_30default_config_static_selectorELNS0_4arch9wavefront6targetE1EEEvT1_
                                        ; -- End function
	.section	.AMDGPU.csdata,"",@progbits
; Kernel info:
; codeLenInByte = 0
; NumSgprs: 6
; NumVgprs: 0
; NumAgprs: 0
; TotalNumVgprs: 0
; ScratchSize: 0
; MemoryBound: 0
; FloatMode: 240
; IeeeMode: 1
; LDSByteSize: 0 bytes/workgroup (compile time only)
; SGPRBlocks: 0
; VGPRBlocks: 0
; NumSGPRsForWavesPerEU: 6
; NumVGPRsForWavesPerEU: 1
; AccumOffset: 4
; Occupancy: 8
; WaveLimiterHint : 0
; COMPUTE_PGM_RSRC2:SCRATCH_EN: 0
; COMPUTE_PGM_RSRC2:USER_SGPR: 2
; COMPUTE_PGM_RSRC2:TRAP_HANDLER: 0
; COMPUTE_PGM_RSRC2:TGID_X_EN: 1
; COMPUTE_PGM_RSRC2:TGID_Y_EN: 0
; COMPUTE_PGM_RSRC2:TGID_Z_EN: 0
; COMPUTE_PGM_RSRC2:TIDIG_COMP_CNT: 0
; COMPUTE_PGM_RSRC3_GFX90A:ACCUM_OFFSET: 0
; COMPUTE_PGM_RSRC3_GFX90A:TG_SPLIT: 0
	.section	.text._ZN7rocprim17ROCPRIM_400000_NS6detail17trampoline_kernelINS0_14default_configENS1_33run_length_encode_config_selectorIajNS0_4plusIjEEEEZZNS1_33reduce_by_key_impl_wrapped_configILNS1_25lookback_scan_determinismE0ES3_S7_PKaNS0_17constant_iteratorIjlEEPaPlSF_S6_NS0_8equal_toIaEEEE10hipError_tPvRmT2_T3_mT4_T5_T6_T7_T8_P12ihipStream_tbENKUlT_T0_E_clISt17integral_constantIbLb1EESZ_EEDaSU_SV_EUlSU_E_NS1_11comp_targetILNS1_3genE0ELNS1_11target_archE4294967295ELNS1_3gpuE0ELNS1_3repE0EEENS1_30default_config_static_selectorELNS0_4arch9wavefront6targetE1EEEvT1_,"axG",@progbits,_ZN7rocprim17ROCPRIM_400000_NS6detail17trampoline_kernelINS0_14default_configENS1_33run_length_encode_config_selectorIajNS0_4plusIjEEEEZZNS1_33reduce_by_key_impl_wrapped_configILNS1_25lookback_scan_determinismE0ES3_S7_PKaNS0_17constant_iteratorIjlEEPaPlSF_S6_NS0_8equal_toIaEEEE10hipError_tPvRmT2_T3_mT4_T5_T6_T7_T8_P12ihipStream_tbENKUlT_T0_E_clISt17integral_constantIbLb1EESZ_EEDaSU_SV_EUlSU_E_NS1_11comp_targetILNS1_3genE0ELNS1_11target_archE4294967295ELNS1_3gpuE0ELNS1_3repE0EEENS1_30default_config_static_selectorELNS0_4arch9wavefront6targetE1EEEvT1_,comdat
	.protected	_ZN7rocprim17ROCPRIM_400000_NS6detail17trampoline_kernelINS0_14default_configENS1_33run_length_encode_config_selectorIajNS0_4plusIjEEEEZZNS1_33reduce_by_key_impl_wrapped_configILNS1_25lookback_scan_determinismE0ES3_S7_PKaNS0_17constant_iteratorIjlEEPaPlSF_S6_NS0_8equal_toIaEEEE10hipError_tPvRmT2_T3_mT4_T5_T6_T7_T8_P12ihipStream_tbENKUlT_T0_E_clISt17integral_constantIbLb1EESZ_EEDaSU_SV_EUlSU_E_NS1_11comp_targetILNS1_3genE0ELNS1_11target_archE4294967295ELNS1_3gpuE0ELNS1_3repE0EEENS1_30default_config_static_selectorELNS0_4arch9wavefront6targetE1EEEvT1_ ; -- Begin function _ZN7rocprim17ROCPRIM_400000_NS6detail17trampoline_kernelINS0_14default_configENS1_33run_length_encode_config_selectorIajNS0_4plusIjEEEEZZNS1_33reduce_by_key_impl_wrapped_configILNS1_25lookback_scan_determinismE0ES3_S7_PKaNS0_17constant_iteratorIjlEEPaPlSF_S6_NS0_8equal_toIaEEEE10hipError_tPvRmT2_T3_mT4_T5_T6_T7_T8_P12ihipStream_tbENKUlT_T0_E_clISt17integral_constantIbLb1EESZ_EEDaSU_SV_EUlSU_E_NS1_11comp_targetILNS1_3genE0ELNS1_11target_archE4294967295ELNS1_3gpuE0ELNS1_3repE0EEENS1_30default_config_static_selectorELNS0_4arch9wavefront6targetE1EEEvT1_
	.globl	_ZN7rocprim17ROCPRIM_400000_NS6detail17trampoline_kernelINS0_14default_configENS1_33run_length_encode_config_selectorIajNS0_4plusIjEEEEZZNS1_33reduce_by_key_impl_wrapped_configILNS1_25lookback_scan_determinismE0ES3_S7_PKaNS0_17constant_iteratorIjlEEPaPlSF_S6_NS0_8equal_toIaEEEE10hipError_tPvRmT2_T3_mT4_T5_T6_T7_T8_P12ihipStream_tbENKUlT_T0_E_clISt17integral_constantIbLb1EESZ_EEDaSU_SV_EUlSU_E_NS1_11comp_targetILNS1_3genE0ELNS1_11target_archE4294967295ELNS1_3gpuE0ELNS1_3repE0EEENS1_30default_config_static_selectorELNS0_4arch9wavefront6targetE1EEEvT1_
	.p2align	8
	.type	_ZN7rocprim17ROCPRIM_400000_NS6detail17trampoline_kernelINS0_14default_configENS1_33run_length_encode_config_selectorIajNS0_4plusIjEEEEZZNS1_33reduce_by_key_impl_wrapped_configILNS1_25lookback_scan_determinismE0ES3_S7_PKaNS0_17constant_iteratorIjlEEPaPlSF_S6_NS0_8equal_toIaEEEE10hipError_tPvRmT2_T3_mT4_T5_T6_T7_T8_P12ihipStream_tbENKUlT_T0_E_clISt17integral_constantIbLb1EESZ_EEDaSU_SV_EUlSU_E_NS1_11comp_targetILNS1_3genE0ELNS1_11target_archE4294967295ELNS1_3gpuE0ELNS1_3repE0EEENS1_30default_config_static_selectorELNS0_4arch9wavefront6targetE1EEEvT1_,@function
_ZN7rocprim17ROCPRIM_400000_NS6detail17trampoline_kernelINS0_14default_configENS1_33run_length_encode_config_selectorIajNS0_4plusIjEEEEZZNS1_33reduce_by_key_impl_wrapped_configILNS1_25lookback_scan_determinismE0ES3_S7_PKaNS0_17constant_iteratorIjlEEPaPlSF_S6_NS0_8equal_toIaEEEE10hipError_tPvRmT2_T3_mT4_T5_T6_T7_T8_P12ihipStream_tbENKUlT_T0_E_clISt17integral_constantIbLb1EESZ_EEDaSU_SV_EUlSU_E_NS1_11comp_targetILNS1_3genE0ELNS1_11target_archE4294967295ELNS1_3gpuE0ELNS1_3repE0EEENS1_30default_config_static_selectorELNS0_4arch9wavefront6targetE1EEEvT1_: ; @_ZN7rocprim17ROCPRIM_400000_NS6detail17trampoline_kernelINS0_14default_configENS1_33run_length_encode_config_selectorIajNS0_4plusIjEEEEZZNS1_33reduce_by_key_impl_wrapped_configILNS1_25lookback_scan_determinismE0ES3_S7_PKaNS0_17constant_iteratorIjlEEPaPlSF_S6_NS0_8equal_toIaEEEE10hipError_tPvRmT2_T3_mT4_T5_T6_T7_T8_P12ihipStream_tbENKUlT_T0_E_clISt17integral_constantIbLb1EESZ_EEDaSU_SV_EUlSU_E_NS1_11comp_targetILNS1_3genE0ELNS1_11target_archE4294967295ELNS1_3gpuE0ELNS1_3repE0EEENS1_30default_config_static_selectorELNS0_4arch9wavefront6targetE1EEEvT1_
; %bb.0:
	.section	.rodata,"a",@progbits
	.p2align	6, 0x0
	.amdhsa_kernel _ZN7rocprim17ROCPRIM_400000_NS6detail17trampoline_kernelINS0_14default_configENS1_33run_length_encode_config_selectorIajNS0_4plusIjEEEEZZNS1_33reduce_by_key_impl_wrapped_configILNS1_25lookback_scan_determinismE0ES3_S7_PKaNS0_17constant_iteratorIjlEEPaPlSF_S6_NS0_8equal_toIaEEEE10hipError_tPvRmT2_T3_mT4_T5_T6_T7_T8_P12ihipStream_tbENKUlT_T0_E_clISt17integral_constantIbLb1EESZ_EEDaSU_SV_EUlSU_E_NS1_11comp_targetILNS1_3genE0ELNS1_11target_archE4294967295ELNS1_3gpuE0ELNS1_3repE0EEENS1_30default_config_static_selectorELNS0_4arch9wavefront6targetE1EEEvT1_
		.amdhsa_group_segment_fixed_size 0
		.amdhsa_private_segment_fixed_size 0
		.amdhsa_kernarg_size 128
		.amdhsa_user_sgpr_count 2
		.amdhsa_user_sgpr_dispatch_ptr 0
		.amdhsa_user_sgpr_queue_ptr 0
		.amdhsa_user_sgpr_kernarg_segment_ptr 1
		.amdhsa_user_sgpr_dispatch_id 0
		.amdhsa_user_sgpr_kernarg_preload_length 0
		.amdhsa_user_sgpr_kernarg_preload_offset 0
		.amdhsa_user_sgpr_private_segment_size 0
		.amdhsa_uses_dynamic_stack 0
		.amdhsa_enable_private_segment 0
		.amdhsa_system_sgpr_workgroup_id_x 1
		.amdhsa_system_sgpr_workgroup_id_y 0
		.amdhsa_system_sgpr_workgroup_id_z 0
		.amdhsa_system_sgpr_workgroup_info 0
		.amdhsa_system_vgpr_workitem_id 0
		.amdhsa_next_free_vgpr 1
		.amdhsa_next_free_sgpr 0
		.amdhsa_accum_offset 4
		.amdhsa_reserve_vcc 0
		.amdhsa_float_round_mode_32 0
		.amdhsa_float_round_mode_16_64 0
		.amdhsa_float_denorm_mode_32 3
		.amdhsa_float_denorm_mode_16_64 3
		.amdhsa_dx10_clamp 1
		.amdhsa_ieee_mode 1
		.amdhsa_fp16_overflow 0
		.amdhsa_tg_split 0
		.amdhsa_exception_fp_ieee_invalid_op 0
		.amdhsa_exception_fp_denorm_src 0
		.amdhsa_exception_fp_ieee_div_zero 0
		.amdhsa_exception_fp_ieee_overflow 0
		.amdhsa_exception_fp_ieee_underflow 0
		.amdhsa_exception_fp_ieee_inexact 0
		.amdhsa_exception_int_div_zero 0
	.end_amdhsa_kernel
	.section	.text._ZN7rocprim17ROCPRIM_400000_NS6detail17trampoline_kernelINS0_14default_configENS1_33run_length_encode_config_selectorIajNS0_4plusIjEEEEZZNS1_33reduce_by_key_impl_wrapped_configILNS1_25lookback_scan_determinismE0ES3_S7_PKaNS0_17constant_iteratorIjlEEPaPlSF_S6_NS0_8equal_toIaEEEE10hipError_tPvRmT2_T3_mT4_T5_T6_T7_T8_P12ihipStream_tbENKUlT_T0_E_clISt17integral_constantIbLb1EESZ_EEDaSU_SV_EUlSU_E_NS1_11comp_targetILNS1_3genE0ELNS1_11target_archE4294967295ELNS1_3gpuE0ELNS1_3repE0EEENS1_30default_config_static_selectorELNS0_4arch9wavefront6targetE1EEEvT1_,"axG",@progbits,_ZN7rocprim17ROCPRIM_400000_NS6detail17trampoline_kernelINS0_14default_configENS1_33run_length_encode_config_selectorIajNS0_4plusIjEEEEZZNS1_33reduce_by_key_impl_wrapped_configILNS1_25lookback_scan_determinismE0ES3_S7_PKaNS0_17constant_iteratorIjlEEPaPlSF_S6_NS0_8equal_toIaEEEE10hipError_tPvRmT2_T3_mT4_T5_T6_T7_T8_P12ihipStream_tbENKUlT_T0_E_clISt17integral_constantIbLb1EESZ_EEDaSU_SV_EUlSU_E_NS1_11comp_targetILNS1_3genE0ELNS1_11target_archE4294967295ELNS1_3gpuE0ELNS1_3repE0EEENS1_30default_config_static_selectorELNS0_4arch9wavefront6targetE1EEEvT1_,comdat
.Lfunc_end244:
	.size	_ZN7rocprim17ROCPRIM_400000_NS6detail17trampoline_kernelINS0_14default_configENS1_33run_length_encode_config_selectorIajNS0_4plusIjEEEEZZNS1_33reduce_by_key_impl_wrapped_configILNS1_25lookback_scan_determinismE0ES3_S7_PKaNS0_17constant_iteratorIjlEEPaPlSF_S6_NS0_8equal_toIaEEEE10hipError_tPvRmT2_T3_mT4_T5_T6_T7_T8_P12ihipStream_tbENKUlT_T0_E_clISt17integral_constantIbLb1EESZ_EEDaSU_SV_EUlSU_E_NS1_11comp_targetILNS1_3genE0ELNS1_11target_archE4294967295ELNS1_3gpuE0ELNS1_3repE0EEENS1_30default_config_static_selectorELNS0_4arch9wavefront6targetE1EEEvT1_, .Lfunc_end244-_ZN7rocprim17ROCPRIM_400000_NS6detail17trampoline_kernelINS0_14default_configENS1_33run_length_encode_config_selectorIajNS0_4plusIjEEEEZZNS1_33reduce_by_key_impl_wrapped_configILNS1_25lookback_scan_determinismE0ES3_S7_PKaNS0_17constant_iteratorIjlEEPaPlSF_S6_NS0_8equal_toIaEEEE10hipError_tPvRmT2_T3_mT4_T5_T6_T7_T8_P12ihipStream_tbENKUlT_T0_E_clISt17integral_constantIbLb1EESZ_EEDaSU_SV_EUlSU_E_NS1_11comp_targetILNS1_3genE0ELNS1_11target_archE4294967295ELNS1_3gpuE0ELNS1_3repE0EEENS1_30default_config_static_selectorELNS0_4arch9wavefront6targetE1EEEvT1_
                                        ; -- End function
	.section	.AMDGPU.csdata,"",@progbits
; Kernel info:
; codeLenInByte = 0
; NumSgprs: 6
; NumVgprs: 0
; NumAgprs: 0
; TotalNumVgprs: 0
; ScratchSize: 0
; MemoryBound: 0
; FloatMode: 240
; IeeeMode: 1
; LDSByteSize: 0 bytes/workgroup (compile time only)
; SGPRBlocks: 0
; VGPRBlocks: 0
; NumSGPRsForWavesPerEU: 6
; NumVGPRsForWavesPerEU: 1
; AccumOffset: 4
; Occupancy: 8
; WaveLimiterHint : 0
; COMPUTE_PGM_RSRC2:SCRATCH_EN: 0
; COMPUTE_PGM_RSRC2:USER_SGPR: 2
; COMPUTE_PGM_RSRC2:TRAP_HANDLER: 0
; COMPUTE_PGM_RSRC2:TGID_X_EN: 1
; COMPUTE_PGM_RSRC2:TGID_Y_EN: 0
; COMPUTE_PGM_RSRC2:TGID_Z_EN: 0
; COMPUTE_PGM_RSRC2:TIDIG_COMP_CNT: 0
; COMPUTE_PGM_RSRC3_GFX90A:ACCUM_OFFSET: 0
; COMPUTE_PGM_RSRC3_GFX90A:TG_SPLIT: 0
	.section	.text._ZN7rocprim17ROCPRIM_400000_NS6detail17trampoline_kernelINS0_14default_configENS1_33run_length_encode_config_selectorIajNS0_4plusIjEEEEZZNS1_33reduce_by_key_impl_wrapped_configILNS1_25lookback_scan_determinismE0ES3_S7_PKaNS0_17constant_iteratorIjlEEPaPlSF_S6_NS0_8equal_toIaEEEE10hipError_tPvRmT2_T3_mT4_T5_T6_T7_T8_P12ihipStream_tbENKUlT_T0_E_clISt17integral_constantIbLb1EESZ_EEDaSU_SV_EUlSU_E_NS1_11comp_targetILNS1_3genE5ELNS1_11target_archE942ELNS1_3gpuE9ELNS1_3repE0EEENS1_30default_config_static_selectorELNS0_4arch9wavefront6targetE1EEEvT1_,"axG",@progbits,_ZN7rocprim17ROCPRIM_400000_NS6detail17trampoline_kernelINS0_14default_configENS1_33run_length_encode_config_selectorIajNS0_4plusIjEEEEZZNS1_33reduce_by_key_impl_wrapped_configILNS1_25lookback_scan_determinismE0ES3_S7_PKaNS0_17constant_iteratorIjlEEPaPlSF_S6_NS0_8equal_toIaEEEE10hipError_tPvRmT2_T3_mT4_T5_T6_T7_T8_P12ihipStream_tbENKUlT_T0_E_clISt17integral_constantIbLb1EESZ_EEDaSU_SV_EUlSU_E_NS1_11comp_targetILNS1_3genE5ELNS1_11target_archE942ELNS1_3gpuE9ELNS1_3repE0EEENS1_30default_config_static_selectorELNS0_4arch9wavefront6targetE1EEEvT1_,comdat
	.protected	_ZN7rocprim17ROCPRIM_400000_NS6detail17trampoline_kernelINS0_14default_configENS1_33run_length_encode_config_selectorIajNS0_4plusIjEEEEZZNS1_33reduce_by_key_impl_wrapped_configILNS1_25lookback_scan_determinismE0ES3_S7_PKaNS0_17constant_iteratorIjlEEPaPlSF_S6_NS0_8equal_toIaEEEE10hipError_tPvRmT2_T3_mT4_T5_T6_T7_T8_P12ihipStream_tbENKUlT_T0_E_clISt17integral_constantIbLb1EESZ_EEDaSU_SV_EUlSU_E_NS1_11comp_targetILNS1_3genE5ELNS1_11target_archE942ELNS1_3gpuE9ELNS1_3repE0EEENS1_30default_config_static_selectorELNS0_4arch9wavefront6targetE1EEEvT1_ ; -- Begin function _ZN7rocprim17ROCPRIM_400000_NS6detail17trampoline_kernelINS0_14default_configENS1_33run_length_encode_config_selectorIajNS0_4plusIjEEEEZZNS1_33reduce_by_key_impl_wrapped_configILNS1_25lookback_scan_determinismE0ES3_S7_PKaNS0_17constant_iteratorIjlEEPaPlSF_S6_NS0_8equal_toIaEEEE10hipError_tPvRmT2_T3_mT4_T5_T6_T7_T8_P12ihipStream_tbENKUlT_T0_E_clISt17integral_constantIbLb1EESZ_EEDaSU_SV_EUlSU_E_NS1_11comp_targetILNS1_3genE5ELNS1_11target_archE942ELNS1_3gpuE9ELNS1_3repE0EEENS1_30default_config_static_selectorELNS0_4arch9wavefront6targetE1EEEvT1_
	.globl	_ZN7rocprim17ROCPRIM_400000_NS6detail17trampoline_kernelINS0_14default_configENS1_33run_length_encode_config_selectorIajNS0_4plusIjEEEEZZNS1_33reduce_by_key_impl_wrapped_configILNS1_25lookback_scan_determinismE0ES3_S7_PKaNS0_17constant_iteratorIjlEEPaPlSF_S6_NS0_8equal_toIaEEEE10hipError_tPvRmT2_T3_mT4_T5_T6_T7_T8_P12ihipStream_tbENKUlT_T0_E_clISt17integral_constantIbLb1EESZ_EEDaSU_SV_EUlSU_E_NS1_11comp_targetILNS1_3genE5ELNS1_11target_archE942ELNS1_3gpuE9ELNS1_3repE0EEENS1_30default_config_static_selectorELNS0_4arch9wavefront6targetE1EEEvT1_
	.p2align	8
	.type	_ZN7rocprim17ROCPRIM_400000_NS6detail17trampoline_kernelINS0_14default_configENS1_33run_length_encode_config_selectorIajNS0_4plusIjEEEEZZNS1_33reduce_by_key_impl_wrapped_configILNS1_25lookback_scan_determinismE0ES3_S7_PKaNS0_17constant_iteratorIjlEEPaPlSF_S6_NS0_8equal_toIaEEEE10hipError_tPvRmT2_T3_mT4_T5_T6_T7_T8_P12ihipStream_tbENKUlT_T0_E_clISt17integral_constantIbLb1EESZ_EEDaSU_SV_EUlSU_E_NS1_11comp_targetILNS1_3genE5ELNS1_11target_archE942ELNS1_3gpuE9ELNS1_3repE0EEENS1_30default_config_static_selectorELNS0_4arch9wavefront6targetE1EEEvT1_,@function
_ZN7rocprim17ROCPRIM_400000_NS6detail17trampoline_kernelINS0_14default_configENS1_33run_length_encode_config_selectorIajNS0_4plusIjEEEEZZNS1_33reduce_by_key_impl_wrapped_configILNS1_25lookback_scan_determinismE0ES3_S7_PKaNS0_17constant_iteratorIjlEEPaPlSF_S6_NS0_8equal_toIaEEEE10hipError_tPvRmT2_T3_mT4_T5_T6_T7_T8_P12ihipStream_tbENKUlT_T0_E_clISt17integral_constantIbLb1EESZ_EEDaSU_SV_EUlSU_E_NS1_11comp_targetILNS1_3genE5ELNS1_11target_archE942ELNS1_3gpuE9ELNS1_3repE0EEENS1_30default_config_static_selectorELNS0_4arch9wavefront6targetE1EEEvT1_: ; @_ZN7rocprim17ROCPRIM_400000_NS6detail17trampoline_kernelINS0_14default_configENS1_33run_length_encode_config_selectorIajNS0_4plusIjEEEEZZNS1_33reduce_by_key_impl_wrapped_configILNS1_25lookback_scan_determinismE0ES3_S7_PKaNS0_17constant_iteratorIjlEEPaPlSF_S6_NS0_8equal_toIaEEEE10hipError_tPvRmT2_T3_mT4_T5_T6_T7_T8_P12ihipStream_tbENKUlT_T0_E_clISt17integral_constantIbLb1EESZ_EEDaSU_SV_EUlSU_E_NS1_11comp_targetILNS1_3genE5ELNS1_11target_archE942ELNS1_3gpuE9ELNS1_3repE0EEENS1_30default_config_static_selectorELNS0_4arch9wavefront6targetE1EEEvT1_
; %bb.0:
	s_load_dword s10, s[0:1], 0x10
	s_load_dwordx4 s[44:47], s[0:1], 0x20
	s_load_dwordx2 s[48:49], s[0:1], 0x30
	s_load_dwordx2 s[50:51], s[0:1], 0x70
	s_load_dwordx4 s[28:31], s[0:1], 0x60
	s_load_dwordx8 s[36:43], s[0:1], 0x40
	v_cmp_ne_u32_e64 s[2:3], 0, v0
	v_cmp_eq_u32_e64 s[34:35], 0, v0
	s_and_saveexec_b64 s[4:5], s[34:35]
	s_cbranch_execz .LBB245_4
; %bb.1:
	s_mov_b64 s[8:9], exec
	v_mbcnt_lo_u32_b32 v1, s8, 0
	v_mbcnt_hi_u32_b32 v1, s9, v1
	v_cmp_eq_u32_e32 vcc, 0, v1
                                        ; implicit-def: $vgpr2
	s_and_saveexec_b64 s[6:7], vcc
	s_cbranch_execz .LBB245_3
; %bb.2:
	s_load_dwordx2 s[12:13], s[0:1], 0x78
	s_bcnt1_i32_b64 s8, s[8:9]
	v_mov_b32_e32 v2, 0
	v_mov_b32_e32 v3, s8
	s_waitcnt lgkmcnt(0)
	global_atomic_add v2, v2, v3, s[12:13] sc0
.LBB245_3:
	s_or_b64 exec, exec, s[6:7]
	s_waitcnt vmcnt(0)
	v_readfirstlane_b32 s6, v2
	v_mov_b32_e32 v2, 0
	s_nop 0
	v_add_u32_e32 v1, s6, v1
	ds_write_b32 v2, v1
.LBB245_4:
	s_or_b64 exec, exec, s[4:5]
	s_load_dwordx4 s[4:7], s[0:1], 0x0
	v_mov_b32_e32 v5, 0
	s_waitcnt lgkmcnt(0)
	s_barrier
	ds_read_b32 v1, v5
	s_mul_i32 s0, s40, s39
	s_mul_hi_u32 s1, s40, s38
	s_add_i32 s0, s1, s0
	s_mul_i32 s1, s41, s38
	s_add_i32 s8, s0, s1
	s_add_u32 s0, s4, s6
	s_movk_i32 s4, 0x1e00
	s_mul_i32 s9, s40, s38
	s_addc_u32 s1, s5, s7
	s_waitcnt lgkmcnt(0)
	v_readfirstlane_b32 s60, v1
	v_mul_lo_u32 v4, v1, s4
	v_lshl_add_u64 v[2:3], s[0:1], 0, v[4:5]
	s_add_u32 s0, s9, s60
	s_addc_u32 s1, s8, 0
	s_add_u32 s4, s42, -1
	s_addc_u32 s5, s43, -1
	s_cmp_eq_u64 s[0:1], s[4:5]
	s_cselect_b64 s[40:41], -1, 0
	s_cmp_lg_u64 s[0:1], s[4:5]
	s_mov_b64 s[8:9], -1
	s_cselect_b64 s[6:7], -1, 0
	s_mul_i32 s33, s4, 0xffffe200
	s_and_b64 vcc, exec, s[40:41]
	v_mad_u32_u24 v4, v0, 14, v0
	s_barrier
	s_cbranch_vccnz .LBB245_6
; %bb.5:
	v_mov_b32_e32 v1, v5
	v_lshl_add_u64 v[6:7], v[2:3], 0, v[0:1]
	v_add_co_u32_e32 v6, vcc, 0x1000, v6
	v_readfirstlane_b32 s4, v2
	v_readfirstlane_b32 s5, v3
	v_addc_co_u32_e32 v7, vcc, 0, v7, vcc
	s_nop 3
	global_load_ubyte v1, v0, s[4:5]
	global_load_ubyte v5, v0, s[4:5] offset:512
	global_load_ubyte v8, v0, s[4:5] offset:1024
	;; [unrolled: 1-line block ×7, first 2 shown]
	global_load_ubyte v14, v[6:7], off
	global_load_ubyte v15, v[6:7], off offset:512
	global_load_ubyte v16, v[6:7], off offset:1024
	;; [unrolled: 1-line block ×6, first 2 shown]
	s_mov_b64 s[4:5], -1
	s_waitcnt vmcnt(14)
	ds_write_b8 v0, v1
	s_waitcnt vmcnt(13)
	ds_write_b8 v0, v5 offset:512
	s_waitcnt vmcnt(12)
	ds_write_b8 v0, v8 offset:1024
	s_waitcnt vmcnt(11)
	ds_write_b8 v0, v9 offset:1536
	s_waitcnt vmcnt(10)
	ds_write_b8 v0, v10 offset:2048
	s_waitcnt vmcnt(9)
	ds_write_b8 v0, v11 offset:2560
	s_waitcnt vmcnt(8)
	ds_write_b8 v0, v12 offset:3072
	s_waitcnt vmcnt(7)
	ds_write_b8 v0, v13 offset:3584
	s_waitcnt vmcnt(6)
	ds_write_b8 v0, v14 offset:4096
	s_waitcnt vmcnt(5)
	ds_write_b8 v0, v15 offset:4608
	s_waitcnt vmcnt(4)
	ds_write_b8 v0, v16 offset:5120
	s_waitcnt vmcnt(3)
	ds_write_b8 v0, v17 offset:5632
	s_waitcnt vmcnt(2)
	ds_write_b8 v0, v18 offset:6144
	s_waitcnt vmcnt(1)
	ds_write_b8 v0, v19 offset:6656
	s_waitcnt vmcnt(0)
	ds_write_b8 v0, v20 offset:7168
	s_waitcnt lgkmcnt(0)
	s_barrier
	ds_read_b96 v[8:10], v4
	ds_read_u8 v21, v4 offset:12
	ds_read_u8 v11, v4 offset:13
	;; [unrolled: 1-line block ×3, first 2 shown]
	s_waitcnt lgkmcnt(3)
	v_lshrrev_b32_e32 v66, 8, v8
	v_lshrrev_b32_e32 v65, 16, v8
	;; [unrolled: 1-line block ×9, first 2 shown]
	s_add_i32 s33, s33, s28
	s_cbranch_execz .LBB245_7
	s_branch .LBB245_38
.LBB245_6:
	s_mov_b64 s[4:5], 0
                                        ; implicit-def: $vgpr8
                                        ; implicit-def: $vgpr66
                                        ; implicit-def: $vgpr65
                                        ; implicit-def: $vgpr63
                                        ; implicit-def: $vgpr61
                                        ; implicit-def: $vgpr60
                                        ; implicit-def: $vgpr59
                                        ; implicit-def: $vgpr58
                                        ; implicit-def: $vgpr57
                                        ; implicit-def: $vgpr56
                                        ; implicit-def: $vgpr21
                                        ; implicit-def: $vgpr11
                                        ; implicit-def: $vgpr1
	s_add_i32 s33, s33, s28
	s_andn2_b64 vcc, exec, s[8:9]
	s_cbranch_vccnz .LBB245_38
.LBB245_7:
	v_cmp_gt_u32_e32 vcc, s33, v0
                                        ; implicit-def: $vgpr1
	s_and_saveexec_b64 s[4:5], vcc
	s_cbranch_execz .LBB245_9
; %bb.8:
	v_readfirstlane_b32 s8, v2
	v_readfirstlane_b32 s9, v3
	s_waitcnt lgkmcnt(0)
	s_nop 3
	global_load_ubyte v1, v0, s[8:9]
.LBB245_9:
	s_or_b64 exec, exec, s[4:5]
	v_or_b32_e32 v5, 0x200, v0
	v_cmp_gt_u32_e32 vcc, s33, v5
                                        ; implicit-def: $vgpr5
	s_and_saveexec_b64 s[4:5], vcc
	s_cbranch_execz .LBB245_11
; %bb.10:
	v_readfirstlane_b32 s8, v2
	v_readfirstlane_b32 s9, v3
	s_nop 4
	global_load_ubyte v5, v0, s[8:9] offset:512
.LBB245_11:
	s_or_b64 exec, exec, s[4:5]
	v_or_b32_e32 v6, 0x400, v0
	v_cmp_gt_u32_e32 vcc, s33, v6
                                        ; implicit-def: $vgpr6
	s_and_saveexec_b64 s[4:5], vcc
	s_cbranch_execz .LBB245_13
; %bb.12:
	v_readfirstlane_b32 s8, v2
	v_readfirstlane_b32 s9, v3
	s_nop 4
	global_load_ubyte v6, v0, s[8:9] offset:1024
.LBB245_13:
	s_or_b64 exec, exec, s[4:5]
	v_or_b32_e32 v7, 0x600, v0
	v_cmp_gt_u32_e32 vcc, s33, v7
                                        ; implicit-def: $vgpr7
	s_and_saveexec_b64 s[4:5], vcc
	s_cbranch_execz .LBB245_15
; %bb.14:
	v_readfirstlane_b32 s8, v2
	v_readfirstlane_b32 s9, v3
	s_nop 4
	global_load_ubyte v7, v0, s[8:9] offset:1536
.LBB245_15:
	s_or_b64 exec, exec, s[4:5]
	v_or_b32_e32 v8, 0x800, v0
	v_cmp_gt_u32_e32 vcc, s33, v8
                                        ; implicit-def: $vgpr8
	s_and_saveexec_b64 s[4:5], vcc
	s_cbranch_execz .LBB245_17
; %bb.16:
	v_readfirstlane_b32 s8, v2
	v_readfirstlane_b32 s9, v3
	s_nop 4
	global_load_ubyte v8, v0, s[8:9] offset:2048
.LBB245_17:
	s_or_b64 exec, exec, s[4:5]
	v_or_b32_e32 v9, 0xa00, v0
	v_cmp_gt_u32_e32 vcc, s33, v9
                                        ; implicit-def: $vgpr9
	s_and_saveexec_b64 s[4:5], vcc
	s_cbranch_execz .LBB245_19
; %bb.18:
	v_readfirstlane_b32 s8, v2
	v_readfirstlane_b32 s9, v3
	s_nop 4
	global_load_ubyte v9, v0, s[8:9] offset:2560
.LBB245_19:
	s_or_b64 exec, exec, s[4:5]
	v_or_b32_e32 v10, 0xc00, v0
	v_cmp_gt_u32_e32 vcc, s33, v10
                                        ; implicit-def: $vgpr10
	s_and_saveexec_b64 s[4:5], vcc
	s_cbranch_execz .LBB245_21
; %bb.20:
	v_readfirstlane_b32 s8, v2
	v_readfirstlane_b32 s9, v3
	s_nop 4
	global_load_ubyte v10, v0, s[8:9] offset:3072
.LBB245_21:
	s_or_b64 exec, exec, s[4:5]
	s_waitcnt lgkmcnt(1)
	v_or_b32_e32 v11, 0xe00, v0
	v_cmp_gt_u32_e32 vcc, s33, v11
                                        ; implicit-def: $vgpr11
	s_and_saveexec_b64 s[4:5], vcc
	s_cbranch_execz .LBB245_23
; %bb.22:
	v_readfirstlane_b32 s8, v2
	v_readfirstlane_b32 s9, v3
	s_nop 4
	global_load_ubyte v11, v0, s[8:9] offset:3584
.LBB245_23:
	s_or_b64 exec, exec, s[4:5]
	v_or_b32_e32 v13, 0x1000, v0
	v_cmp_gt_u32_e32 vcc, s33, v13
                                        ; implicit-def: $vgpr12
	s_and_saveexec_b64 s[4:5], vcc
	s_cbranch_execz .LBB245_25
; %bb.24:
	v_readfirstlane_b32 s8, v2
	v_readfirstlane_b32 s9, v3
	s_nop 4
	global_load_ubyte v12, v13, s[8:9]
.LBB245_25:
	s_or_b64 exec, exec, s[4:5]
	v_or_b32_e32 v14, 0x1200, v0
	v_cmp_gt_u32_e32 vcc, s33, v14
                                        ; implicit-def: $vgpr13
	s_and_saveexec_b64 s[4:5], vcc
	s_cbranch_execz .LBB245_27
; %bb.26:
	v_readfirstlane_b32 s8, v2
	v_readfirstlane_b32 s9, v3
	s_nop 4
	global_load_ubyte v13, v14, s[8:9]
.LBB245_27:
	s_or_b64 exec, exec, s[4:5]
	v_or_b32_e32 v15, 0x1400, v0
	v_cmp_gt_u32_e32 vcc, s33, v15
                                        ; implicit-def: $vgpr14
	s_and_saveexec_b64 s[4:5], vcc
	s_cbranch_execz .LBB245_29
; %bb.28:
	v_readfirstlane_b32 s8, v2
	v_readfirstlane_b32 s9, v3
	s_nop 4
	global_load_ubyte v14, v15, s[8:9]
.LBB245_29:
	s_or_b64 exec, exec, s[4:5]
	v_or_b32_e32 v16, 0x1600, v0
	v_cmp_gt_u32_e32 vcc, s33, v16
                                        ; implicit-def: $vgpr15
	s_and_saveexec_b64 s[4:5], vcc
	s_cbranch_execz .LBB245_31
; %bb.30:
	v_readfirstlane_b32 s8, v2
	v_readfirstlane_b32 s9, v3
	s_nop 4
	global_load_ubyte v15, v16, s[8:9]
.LBB245_31:
	s_or_b64 exec, exec, s[4:5]
	v_or_b32_e32 v17, 0x1800, v0
	v_cmp_gt_u32_e32 vcc, s33, v17
                                        ; implicit-def: $vgpr16
	s_and_saveexec_b64 s[4:5], vcc
	s_cbranch_execz .LBB245_33
; %bb.32:
	v_readfirstlane_b32 s8, v2
	v_readfirstlane_b32 s9, v3
	s_nop 4
	global_load_ubyte v16, v17, s[8:9]
.LBB245_33:
	s_or_b64 exec, exec, s[4:5]
	v_or_b32_e32 v18, 0x1a00, v0
	v_cmp_gt_u32_e32 vcc, s33, v18
                                        ; implicit-def: $vgpr17
	s_and_saveexec_b64 s[4:5], vcc
	s_cbranch_execz .LBB245_35
; %bb.34:
	v_readfirstlane_b32 s8, v2
	v_readfirstlane_b32 s9, v3
	s_nop 4
	global_load_ubyte v17, v18, s[8:9]
.LBB245_35:
	s_or_b64 exec, exec, s[4:5]
	v_or_b32_e32 v19, 0x1c00, v0
	v_cmp_gt_u32_e32 vcc, s33, v19
                                        ; implicit-def: $vgpr18
	s_and_saveexec_b64 s[4:5], vcc
	s_cbranch_execz .LBB245_37
; %bb.36:
	v_readfirstlane_b32 s8, v2
	v_readfirstlane_b32 s9, v3
	s_nop 4
	global_load_ubyte v18, v19, s[8:9]
.LBB245_37:
	s_or_b64 exec, exec, s[4:5]
	s_waitcnt vmcnt(0) lgkmcnt(0)
	ds_write_b8 v0, v1
	ds_write_b8 v0, v5 offset:512
	ds_write_b8 v0, v6 offset:1024
	;; [unrolled: 1-line block ×14, first 2 shown]
	s_waitcnt lgkmcnt(0)
	s_barrier
	ds_read_b96 v[8:10], v4
	ds_read_u8 v21, v4 offset:12
	ds_read_u8 v11, v4 offset:13
	;; [unrolled: 1-line block ×3, first 2 shown]
	v_mad_u32_u24 v4, v0, 15, 14
	s_waitcnt lgkmcnt(3)
	v_lshrrev_b32_e32 v66, 8, v8
	v_lshrrev_b32_e32 v65, 16, v8
	;; [unrolled: 1-line block ×9, first 2 shown]
	v_cmp_gt_u32_e64 s[4:5], s33, v4
.LBB245_38:
	v_mov_b32_e32 v52, s10
                                        ; implicit-def: $vgpr53
	s_and_saveexec_b64 s[8:9], s[4:5]
; %bb.39:
	v_mov_b32_e32 v53, s10
; %bb.40:
	s_or_b64 exec, exec, s[8:9]
	s_cmp_eq_u64 s[0:1], 0
	s_cselect_b64 s[42:43], -1, 0
	s_cmp_lg_u64 s[0:1], 0
	s_mov_b64 s[4:5], 0
	s_cselect_b64 s[8:9], -1, 0
	s_and_b64 vcc, exec, s[6:7]
	s_waitcnt lgkmcnt(0)
	s_barrier
	s_cbranch_vccz .LBB245_46
; %bb.41:
	s_and_b64 vcc, exec, s[8:9]
	s_cbranch_vccz .LBB245_47
; %bb.42:
	global_load_ubyte v4, v[2:3], off offset:-1
	v_cmp_ne_u16_sdwa s[4:5], v11, v1 src0_sel:BYTE_0 src1_sel:BYTE_0
	v_cmp_ne_u16_sdwa s[6:7], v21, v11 src0_sel:BYTE_0 src1_sel:BYTE_0
	;; [unrolled: 1-line block ×14, first 2 shown]
	ds_write_b8 v0, v1
	s_waitcnt lgkmcnt(0)
	s_barrier
	s_and_saveexec_b64 s[58:59], s[2:3]
	s_cbranch_execz .LBB245_44
; %bb.43:
	s_waitcnt vmcnt(0)
	v_add_u32_e32 v4, -1, v0
	ds_read_u8 v4, v4
.LBB245_44:
	s_or_b64 exec, exec, s[58:59]
	s_waitcnt vmcnt(0) lgkmcnt(0)
	v_and_b32_e32 v4, 0xff, v4
	v_cndmask_b32_e64 v62, 0, 1, s[4:5]
	v_cndmask_b32_e64 v64, 0, 1, s[6:7]
	;; [unrolled: 1-line block ×14, first 2 shown]
	v_cmp_ne_u16_sdwa s[6:7], v4, v8 src0_sel:DWORD src1_sel:BYTE_0
	s_mov_b64 s[4:5], -1
.LBB245_45:
                                        ; implicit-def: $sgpr12
	s_branch .LBB245_59
.LBB245_46:
                                        ; implicit-def: $sgpr6_sgpr7
                                        ; implicit-def: $vgpr62
                                        ; implicit-def: $vgpr64
                                        ; implicit-def: $vgpr67
                                        ; implicit-def: $vgpr68
                                        ; implicit-def: $vgpr69
                                        ; implicit-def: $vgpr70
                                        ; implicit-def: $vgpr71
                                        ; implicit-def: $vgpr72
                                        ; implicit-def: $vgpr73
                                        ; implicit-def: $vgpr74
                                        ; implicit-def: $vgpr75
                                        ; implicit-def: $vgpr76
                                        ; implicit-def: $vgpr77
                                        ; implicit-def: $vgpr78
                                        ; implicit-def: $sgpr12
	s_cbranch_execnz .LBB245_51
	s_branch .LBB245_59
.LBB245_47:
                                        ; implicit-def: $sgpr6_sgpr7
                                        ; implicit-def: $vgpr62
                                        ; implicit-def: $vgpr64
                                        ; implicit-def: $vgpr67
                                        ; implicit-def: $vgpr68
                                        ; implicit-def: $vgpr69
                                        ; implicit-def: $vgpr70
                                        ; implicit-def: $vgpr71
                                        ; implicit-def: $vgpr72
                                        ; implicit-def: $vgpr73
                                        ; implicit-def: $vgpr74
                                        ; implicit-def: $vgpr75
                                        ; implicit-def: $vgpr76
                                        ; implicit-def: $vgpr77
                                        ; implicit-def: $vgpr78
	s_cbranch_execz .LBB245_45
; %bb.48:
	v_cmp_ne_u16_sdwa s[6:7], v11, v1 src0_sel:BYTE_0 src1_sel:BYTE_0
	ds_write_b8 v0, v1
	s_waitcnt lgkmcnt(0)
	v_cndmask_b32_e64 v62, 0, 1, s[6:7]
	v_cmp_ne_u16_sdwa s[6:7], v21, v11 src0_sel:BYTE_0 src1_sel:BYTE_0
	s_barrier
	s_nop 0
	v_cndmask_b32_e64 v64, 0, 1, s[6:7]
	v_cmp_ne_u16_sdwa s[6:7], v56, v21 src0_sel:BYTE_0 src1_sel:BYTE_0
	s_nop 1
	v_cndmask_b32_e64 v67, 0, 1, s[6:7]
	v_cmp_ne_u16_sdwa s[6:7], v57, v56 src0_sel:BYTE_0 src1_sel:BYTE_0
	;; [unrolled: 3-line block ×12, first 2 shown]
	s_nop 1
	v_cndmask_b32_e64 v78, 0, 1, s[6:7]
                                        ; implicit-def: $sgpr6_sgpr7
	s_and_saveexec_b64 s[10:11], s[2:3]
	s_xor_b64 s[10:11], exec, s[10:11]
	s_cbranch_execz .LBB245_50
; %bb.49:
	v_add_u32_e32 v4, -1, v0
	ds_read_u8 v4, v4
	s_or_b64 s[4:5], s[4:5], exec
	s_waitcnt lgkmcnt(0)
	v_cmp_ne_u16_sdwa s[6:7], v4, v8 src0_sel:DWORD src1_sel:BYTE_0
	s_and_b64 s[6:7], s[6:7], exec
.LBB245_50:
	s_or_b64 exec, exec, s[10:11]
	s_mov_b32 s12, 1
	s_branch .LBB245_59
.LBB245_51:
	s_mul_hi_u32 s6, s0, 0xffffe200
	s_mulk_i32 s1, 0xe200
	s_sub_i32 s6, s6, s0
	s_add_i32 s6, s6, s1
	s_mulk_i32 s0, 0xe200
	s_add_u32 s0, s0, s28
	s_addc_u32 s1, s6, s29
	s_and_b64 vcc, exec, s[8:9]
	s_cbranch_vccz .LBB245_56
; %bb.52:
	global_load_ubyte v6, v[2:3], off offset:-1
	v_mad_u32_u24 v4, v0, 15, 14
	v_mov_b32_e32 v5, 0
	v_cmp_gt_u64_e32 vcc, s[0:1], v[4:5]
	v_cmp_ne_u16_sdwa s[4:5], v11, v1 src0_sel:BYTE_0 src1_sel:BYTE_0
	v_mad_u32_u24 v4, v0, 15, 13
	s_and_b64 s[4:5], vcc, s[4:5]
	v_cmp_gt_u64_e32 vcc, s[0:1], v[4:5]
	v_cmp_ne_u16_sdwa s[6:7], v21, v11 src0_sel:BYTE_0 src1_sel:BYTE_0
	v_mad_u32_u24 v4, v0, 15, 12
	s_and_b64 s[6:7], vcc, s[6:7]
	;; [unrolled: 4-line block ×13, first 2 shown]
	v_cmp_gt_u64_e32 vcc, s[0:1], v[4:5]
	v_cmp_ne_u16_sdwa s[52:53], v8, v66 src0_sel:BYTE_0 src1_sel:BYTE_0
	v_mul_u32_u24_e32 v2, 15, v0
	s_and_b64 s[52:53], vcc, s[52:53]
	ds_write_b8 v0, v1
	s_waitcnt lgkmcnt(0)
	s_barrier
	s_and_saveexec_b64 s[54:55], s[2:3]
	s_cbranch_execz .LBB245_54
; %bb.53:
	v_add_u32_e32 v3, -1, v0
	s_waitcnt vmcnt(0)
	ds_read_u8 v6, v3
.LBB245_54:
	s_or_b64 exec, exec, s[54:55]
	v_mov_b32_e32 v3, v5
	v_cmp_gt_u64_e32 vcc, s[0:1], v[2:3]
	s_waitcnt vmcnt(0) lgkmcnt(0)
	v_and_b32_e32 v2, 0xff, v6
	v_cndmask_b32_e64 v62, 0, 1, s[4:5]
	v_cmp_ne_u16_sdwa s[4:5], v2, v8 src0_sel:DWORD src1_sel:BYTE_0
	v_cndmask_b32_e64 v64, 0, 1, s[6:7]
	v_cndmask_b32_e64 v67, 0, 1, s[8:9]
	;; [unrolled: 1-line block ×13, first 2 shown]
	s_and_b64 s[6:7], vcc, s[4:5]
	s_mov_b64 s[4:5], -1
.LBB245_55:
                                        ; implicit-def: $sgpr12
	v_mov_b32_e32 v79, s12
	s_and_saveexec_b64 s[0:1], s[4:5]
	s_cbranch_execnz .LBB245_60
	s_branch .LBB245_61
.LBB245_56:
                                        ; implicit-def: $sgpr6_sgpr7
                                        ; implicit-def: $vgpr62
                                        ; implicit-def: $vgpr64
                                        ; implicit-def: $vgpr67
                                        ; implicit-def: $vgpr68
                                        ; implicit-def: $vgpr69
                                        ; implicit-def: $vgpr70
                                        ; implicit-def: $vgpr71
                                        ; implicit-def: $vgpr72
                                        ; implicit-def: $vgpr73
                                        ; implicit-def: $vgpr74
                                        ; implicit-def: $vgpr75
                                        ; implicit-def: $vgpr76
                                        ; implicit-def: $vgpr77
                                        ; implicit-def: $vgpr78
	s_cbranch_execz .LBB245_55
; %bb.57:
	v_mad_u32_u24 v2, v0, 15, 14
	v_mov_b32_e32 v3, 0
	v_cmp_gt_u64_e32 vcc, s[0:1], v[2:3]
	v_cmp_ne_u16_sdwa s[6:7], v11, v1 src0_sel:BYTE_0 src1_sel:BYTE_0
	s_and_b64 s[6:7], vcc, s[6:7]
	v_mad_u32_u24 v2, v0, 15, 13
	v_cndmask_b32_e64 v62, 0, 1, s[6:7]
	v_cmp_gt_u64_e32 vcc, s[0:1], v[2:3]
	v_cmp_ne_u16_sdwa s[6:7], v21, v11 src0_sel:BYTE_0 src1_sel:BYTE_0
	s_and_b64 s[6:7], vcc, s[6:7]
	v_mad_u32_u24 v2, v0, 15, 12
	v_cndmask_b32_e64 v64, 0, 1, s[6:7]
	;; [unrolled: 5-line block ×13, first 2 shown]
	v_cmp_gt_u64_e32 vcc, s[0:1], v[2:3]
	v_cmp_ne_u16_sdwa s[6:7], v8, v66 src0_sel:BYTE_0 src1_sel:BYTE_0
	s_and_b64 s[6:7], vcc, s[6:7]
	s_mov_b32 s12, 1
	v_cndmask_b32_e64 v78, 0, 1, s[6:7]
	ds_write_b8 v0, v1
	s_waitcnt lgkmcnt(0)
	s_barrier
	s_waitcnt lgkmcnt(0)
                                        ; implicit-def: $sgpr6_sgpr7
	s_and_saveexec_b64 s[8:9], s[2:3]
	s_cbranch_execz .LBB245_153
; %bb.58:
	v_add_u32_e32 v2, -1, v0
	ds_read_u8 v4, v2
	v_mul_u32_u24_e32 v2, 15, v0
	v_cmp_gt_u64_e32 vcc, s[0:1], v[2:3]
	s_or_b64 s[4:5], s[4:5], exec
	s_waitcnt lgkmcnt(0)
	v_and_b32_e32 v2, 0xff, v4
	v_cmp_ne_u16_sdwa s[0:1], v2, v8 src0_sel:DWORD src1_sel:BYTE_0
	s_and_b64 s[0:1], vcc, s[0:1]
	s_and_b64 s[6:7], s[0:1], exec
	s_or_b64 exec, exec, s[8:9]
.LBB245_59:
	v_mov_b32_e32 v79, s12
	s_and_saveexec_b64 s[0:1], s[4:5]
.LBB245_60:
	v_cndmask_b32_e64 v79, 0, 1, s[6:7]
.LBB245_61:
	s_or_b64 exec, exec, s[0:1]
	s_cmp_eq_u64 s[38:39], 0
	v_add3_u32 v2, v78, v79, v77
	s_cselect_b64 s[38:39], -1, 0
	s_cmp_lg_u32 s60, 0
	v_cmp_eq_u32_e64 s[26:27], 0, v78
	v_cmp_eq_u32_e64 s[24:25], 0, v77
	;; [unrolled: 1-line block ×3, first 2 shown]
	v_add3_u32 v81, v2, v76, v75
	v_cmp_eq_u32_e64 s[20:21], 0, v75
	v_cmp_eq_u32_e64 s[18:19], 0, v74
	;; [unrolled: 1-line block ×10, first 2 shown]
	v_cmp_eq_u32_e32 vcc, 0, v62
	v_mbcnt_lo_u32_b32 v80, -1, 0
	v_lshrrev_b32_e32 v54, 6, v0
	v_or_b32_e32 v55, 63, v0
	s_cbranch_scc0 .LBB245_92
; %bb.62:
	v_cndmask_b32_e64 v2, 0, v52, s[26:27]
	v_add_u32_e32 v2, v2, v52
	v_cndmask_b32_e64 v2, 0, v2, s[24:25]
	v_add_u32_e32 v2, v2, v52
	;; [unrolled: 2-line block ×11, first 2 shown]
	v_cndmask_b32_e64 v2, 0, v2, s[4:5]
	v_add3_u32 v3, v81, v74, v73
	v_add_u32_e32 v2, v2, v52
	v_add3_u32 v3, v3, v72, v71
	v_cndmask_b32_e64 v2, 0, v2, s[2:3]
	v_add3_u32 v3, v3, v70, v69
	v_add_u32_e32 v2, v2, v52
	v_add3_u32 v3, v3, v68, v67
	v_cndmask_b32_e32 v2, 0, v2, vcc
	v_add3_u32 v3, v3, v64, v62
	v_add_u32_e32 v2, v2, v53
	v_mbcnt_hi_u32_b32 v15, -1, v80
	v_and_b32_e32 v4, 15, v15
	v_mov_b32_dpp v6, v2 row_shr:1 row_mask:0xf bank_mask:0xf
	v_cmp_eq_u32_e32 vcc, 0, v3
	v_mov_b32_dpp v5, v3 row_shr:1 row_mask:0xf bank_mask:0xf
	v_cmp_lt_u32_e64 s[0:1], 1, v4
	v_cndmask_b32_e32 v6, 0, v6, vcc
	v_cmp_eq_u32_e32 vcc, 0, v4
	s_nop 1
	v_cndmask_b32_e64 v5, v5, 0, vcc
	v_add_u32_e32 v3, v5, v3
	v_cndmask_b32_e64 v5, v6, 0, vcc
	v_add_u32_e32 v2, v5, v2
	v_cmp_eq_u32_e32 vcc, 0, v3
	v_mov_b32_dpp v5, v3 row_shr:2 row_mask:0xf bank_mask:0xf
	v_mov_b32_dpp v6, v2 row_shr:2 row_mask:0xf bank_mask:0xf
	v_cndmask_b32_e64 v5, 0, v5, s[0:1]
	s_and_b64 vcc, s[0:1], vcc
	v_cndmask_b32_e32 v6, 0, v6, vcc
	v_add_u32_e32 v3, v3, v5
	v_add_u32_e32 v2, v6, v2
	v_cmp_eq_u32_e32 vcc, 0, v3
	v_mov_b32_dpp v5, v3 row_shr:4 row_mask:0xf bank_mask:0xf
	v_cmp_lt_u32_e64 s[0:1], 3, v4
	v_mov_b32_dpp v6, v2 row_shr:4 row_mask:0xf bank_mask:0xf
	s_and_b64 vcc, s[0:1], vcc
	v_cndmask_b32_e64 v5, 0, v5, s[0:1]
	v_cndmask_b32_e32 v6, 0, v6, vcc
	v_add_u32_e32 v3, v5, v3
	v_add_u32_e32 v2, v2, v6
	v_cmp_eq_u32_e32 vcc, 0, v3
	v_cmp_lt_u32_e64 s[0:1], 7, v4
	v_mov_b32_dpp v5, v3 row_shr:8 row_mask:0xf bank_mask:0xf
	v_mov_b32_dpp v6, v2 row_shr:8 row_mask:0xf bank_mask:0xf
	s_and_b64 vcc, s[0:1], vcc
	v_cndmask_b32_e64 v4, 0, v5, s[0:1]
	v_cndmask_b32_e32 v5, 0, v6, vcc
	v_add_u32_e32 v2, v5, v2
	v_add_u32_e32 v3, v4, v3
	v_bfe_i32 v6, v15, 4, 1
	v_mov_b32_dpp v5, v2 row_bcast:15 row_mask:0xf bank_mask:0xf
	v_mov_b32_dpp v4, v3 row_bcast:15 row_mask:0xf bank_mask:0xf
	v_cmp_eq_u32_e32 vcc, 0, v3
	v_and_b32_e32 v4, v6, v4
	v_add_u32_e32 v3, v4, v3
	v_cndmask_b32_e32 v5, 0, v5, vcc
	v_and_b32_e32 v4, v6, v5
	v_add_u32_e32 v4, v4, v2
	v_mov_b32_dpp v2, v3 row_bcast:31 row_mask:0xf bank_mask:0xf
	v_cmp_eq_u32_e32 vcc, 0, v3
	v_cmp_lt_u32_e64 s[0:1], 31, v15
	v_mov_b32_dpp v5, v4 row_bcast:31 row_mask:0xf bank_mask:0xf
	s_and_b64 vcc, s[0:1], vcc
	v_cndmask_b32_e64 v2, 0, v2, s[0:1]
	v_add_u32_e32 v2, v2, v3
	v_cndmask_b32_e32 v3, 0, v5, vcc
	v_add_u32_e32 v3, v3, v4
	v_cmp_eq_u32_e32 vcc, v55, v0
	v_lshlrev_b32_e32 v4, 3, v54
	s_and_saveexec_b64 s[0:1], vcc
	s_cbranch_execz .LBB245_64
; %bb.63:
	ds_write_b64 v4, v[2:3] offset:1040
.LBB245_64:
	s_or_b64 exec, exec, s[0:1]
	v_cmp_gt_u32_e32 vcc, 8, v0
	s_waitcnt lgkmcnt(0)
	s_barrier
	s_and_saveexec_b64 s[28:29], vcc
	s_cbranch_execz .LBB245_66
; %bb.65:
	v_lshlrev_b32_e32 v5, 3, v0
	ds_read_b64 v[6:7], v5 offset:1040
	v_and_b32_e32 v12, 7, v15
	v_cmp_lt_u32_e64 s[0:1], 1, v12
	s_waitcnt lgkmcnt(0)
	v_mov_b32_dpp v14, v7 row_shr:1 row_mask:0xf bank_mask:0xf
	v_cmp_eq_u32_e32 vcc, 0, v6
	v_mov_b32_dpp v13, v6 row_shr:1 row_mask:0xf bank_mask:0xf
	s_nop 0
	v_cndmask_b32_e32 v14, 0, v14, vcc
	v_cmp_eq_u32_e32 vcc, 0, v12
	s_nop 1
	v_cndmask_b32_e64 v13, v13, 0, vcc
	v_add_u32_e32 v6, v13, v6
	v_cndmask_b32_e64 v13, v14, 0, vcc
	v_add_u32_e32 v7, v13, v7
	v_cmp_eq_u32_e32 vcc, 0, v6
	v_mov_b32_dpp v13, v6 row_shr:2 row_mask:0xf bank_mask:0xf
	v_mov_b32_dpp v14, v7 row_shr:2 row_mask:0xf bank_mask:0xf
	v_cndmask_b32_e64 v13, 0, v13, s[0:1]
	s_and_b64 vcc, s[0:1], vcc
	v_cndmask_b32_e32 v14, 0, v14, vcc
	v_add_u32_e32 v6, v13, v6
	v_add_u32_e32 v7, v14, v7
	v_cmp_eq_u32_e32 vcc, 0, v6
	v_mov_b32_dpp v13, v6 row_shr:4 row_mask:0xf bank_mask:0xf
	v_cmp_lt_u32_e64 s[0:1], 3, v12
	v_mov_b32_dpp v14, v7 row_shr:4 row_mask:0xf bank_mask:0xf
	s_and_b64 vcc, s[0:1], vcc
	v_cndmask_b32_e64 v12, 0, v13, s[0:1]
	v_add_u32_e32 v6, v12, v6
	v_cndmask_b32_e32 v12, 0, v14, vcc
	v_add_u32_e32 v7, v12, v7
	ds_write_b64 v5, v[6:7] offset:1040
.LBB245_66:
	s_or_b64 exec, exec, s[28:29]
	v_cmp_gt_u32_e32 vcc, 64, v0
	v_cmp_lt_u32_e64 s[0:1], 63, v0
	v_mov_b32_e32 v12, 0
	v_mov_b32_e32 v13, 0
	s_waitcnt lgkmcnt(0)
	s_barrier
	s_and_saveexec_b64 s[28:29], s[0:1]
	s_cbranch_execz .LBB245_68
; %bb.67:
	ds_read_b64 v[12:13], v4 offset:1032
	v_cmp_eq_u32_e64 s[0:1], 0, v2
	s_waitcnt lgkmcnt(0)
	v_add_u32_e32 v4, v12, v2
	v_cndmask_b32_e64 v2, 0, v13, s[0:1]
	v_add_u32_e32 v3, v2, v3
	v_mov_b32_e32 v2, v4
.LBB245_68:
	s_or_b64 exec, exec, s[28:29]
	v_add_u32_e32 v4, -1, v15
	v_and_b32_e32 v5, 64, v15
	v_cmp_lt_i32_e64 s[0:1], v4, v5
	v_cmp_eq_u32_e64 s[28:29], 0, v15
	s_nop 0
	v_cndmask_b32_e64 v4, v4, v15, s[0:1]
	v_lshlrev_b32_e32 v4, 2, v4
	ds_bpermute_b32 v20, v4, v2
	ds_bpermute_b32 v22, v4, v3
	s_and_saveexec_b64 s[52:53], vcc
	s_cbranch_execz .LBB245_91
; %bb.69:
	v_mov_b32_e32 v7, 0
	ds_read_b64 v[2:3], v7 offset:1096
	s_waitcnt lgkmcnt(0)
	v_readfirstlane_b32 s56, v2
	v_readfirstlane_b32 s57, v3
	s_and_saveexec_b64 s[0:1], s[28:29]
	s_cbranch_execz .LBB245_71
; %bb.70:
	s_add_i32 s54, s60, 64
	s_mov_b32 s55, 0
	s_lshl_b64 s[58:59], s[54:55], 4
	s_add_u32 s58, s36, s58
	s_addc_u32 s59, s37, s59
	s_and_b32 s63, s57, 0xff000000
	s_mov_b32 s62, s55
	s_and_b32 s65, s57, 0xff0000
	s_mov_b32 s64, s55
	s_or_b64 s[62:63], s[64:65], s[62:63]
	s_and_b32 s65, s57, 0xff00
	s_or_b64 s[62:63], s[62:63], s[64:65]
	s_and_b32 s65, s57, 0xff
	s_or_b64 s[54:55], s[62:63], s[64:65]
	v_mov_b32_e32 v4, s56
	v_mov_b32_e32 v5, s55
	;; [unrolled: 1-line block ×3, first 2 shown]
	v_mov_b64_e32 v[2:3], s[58:59]
	;;#ASMSTART
	global_store_dwordx4 v[2:3], v[4:7] off sc1	
s_waitcnt vmcnt(0)
	;;#ASMEND
.LBB245_71:
	s_or_b64 exec, exec, s[0:1]
	v_xad_u32 v14, v15, -1, s60
	v_add_u32_e32 v6, 64, v14
	v_lshl_add_u64 v[16:17], v[6:7], 4, s[36:37]
	;;#ASMSTART
	global_load_dwordx4 v[2:5], v[16:17] off sc1	
s_waitcnt vmcnt(0)
	;;#ASMEND
	s_nop 0
	v_and_b32_e32 v5, 0xff, v3
	v_and_b32_e32 v6, 0xff00, v3
	v_or3_b32 v2, v2, 0, 0
	v_and_b32_e32 v18, 0xff000000, v3
	v_or3_b32 v5, 0, v5, v6
	;; [unrolled: 2-line block ×3, first 2 shown]
	v_or3_b32 v2, v2, 0, 0
	v_cmp_eq_u16_sdwa s[54:55], v4, v7 src0_sel:BYTE_0 src1_sel:DWORD
	s_and_saveexec_b64 s[0:1], s[54:55]
	s_cbranch_execz .LBB245_77
; %bb.72:
	s_mov_b32 s58, 1
	s_mov_b64 s[54:55], 0
	v_mov_b32_e32 v6, 0
.LBB245_73:                             ; =>This Loop Header: Depth=1
                                        ;     Child Loop BB245_74 Depth 2
	s_max_u32 s59, s58, 1
.LBB245_74:                             ;   Parent Loop BB245_73 Depth=1
                                        ; =>  This Inner Loop Header: Depth=2
	s_add_i32 s59, s59, -1
	s_cmp_eq_u32 s59, 0
	s_sleep 1
	s_cbranch_scc0 .LBB245_74
; %bb.75:                               ;   in Loop: Header=BB245_73 Depth=1
	s_cmp_lt_u32 s58, 32
	s_cselect_b64 s[62:63], -1, 0
	s_cmp_lg_u64 s[62:63], 0
	s_addc_u32 s58, s58, 0
	;;#ASMSTART
	global_load_dwordx4 v[2:5], v[16:17] off sc1	
s_waitcnt vmcnt(0)
	;;#ASMEND
	s_nop 0
	v_cmp_ne_u16_sdwa s[62:63], v4, v6 src0_sel:BYTE_0 src1_sel:DWORD
	s_or_b64 s[54:55], s[62:63], s[54:55]
	s_andn2_b64 exec, exec, s[54:55]
	s_cbranch_execnz .LBB245_73
; %bb.76:
	s_or_b64 exec, exec, s[54:55]
.LBB245_77:
	s_or_b64 exec, exec, s[0:1]
	v_mov_b32_e32 v23, 2
	v_cmp_eq_u16_sdwa s[0:1], v4, v23 src0_sel:BYTE_0 src1_sel:DWORD
	v_lshlrev_b64 v[16:17], v15, -1
	v_and_b32_e32 v24, 63, v15
	v_and_b32_e32 v5, s1, v17
	v_or_b32_e32 v5, 0x80000000, v5
	v_cmp_ne_u32_e32 vcc, 63, v24
	v_and_b32_e32 v6, s0, v16
	v_ffbl_b32_e32 v5, v5
	v_addc_co_u32_e32 v7, vcc, 0, v15, vcc
	v_add_u32_e32 v5, 32, v5
	v_ffbl_b32_e32 v6, v6
	v_lshlrev_b32_e32 v25, 2, v7
	v_min_u32_e32 v5, v6, v5
	ds_bpermute_b32 v6, v25, v3
	v_cmp_eq_u32_e32 vcc, 0, v2
	v_cmp_lt_u32_e64 s[0:1], v24, v5
	ds_bpermute_b32 v7, v25, v2
	s_and_b64 vcc, s[0:1], vcc
	s_waitcnt lgkmcnt(1)
	v_cndmask_b32_e32 v6, 0, v6, vcc
	v_cmp_gt_u32_e32 vcc, 62, v24
	v_add_u32_e32 v3, v6, v3
	s_waitcnt lgkmcnt(0)
	v_cndmask_b32_e64 v7, 0, v7, s[0:1]
	v_cndmask_b32_e64 v6, 0, 1, vcc
	v_lshlrev_b32_e32 v6, 1, v6
	v_add_lshl_u32 v26, v6, v15, 2
	ds_bpermute_b32 v6, v26, v3
	v_add_u32_e32 v2, v7, v2
	ds_bpermute_b32 v7, v26, v2
	v_add_u32_e32 v27, 2, v24
	v_cmp_eq_u32_e32 vcc, 0, v2
	v_add_u32_e32 v29, 4, v24
	v_add_u32_e32 v31, 8, v24
	s_waitcnt lgkmcnt(1)
	v_cndmask_b32_e32 v6, 0, v6, vcc
	v_cmp_gt_u32_e32 vcc, v27, v5
	v_add_u32_e32 v33, 16, v24
	v_add_u32_e32 v35, 32, v24
	v_cndmask_b32_e64 v6, v6, 0, vcc
	v_add_u32_e32 v3, v6, v3
	s_waitcnt lgkmcnt(0)
	v_cndmask_b32_e64 v6, v7, 0, vcc
	v_cmp_gt_u32_e32 vcc, 60, v24
	v_add_u32_e32 v2, v2, v6
	s_nop 0
	v_cndmask_b32_e64 v7, 0, 1, vcc
	v_lshlrev_b32_e32 v7, 2, v7
	v_add_lshl_u32 v28, v7, v15, 2
	ds_bpermute_b32 v7, v28, v3
	ds_bpermute_b32 v6, v28, v2
	v_cmp_eq_u32_e32 vcc, 0, v2
	s_waitcnt lgkmcnt(1)
	s_nop 0
	v_cndmask_b32_e32 v7, 0, v7, vcc
	v_cmp_gt_u32_e32 vcc, v29, v5
	s_nop 1
	v_cndmask_b32_e64 v7, v7, 0, vcc
	s_waitcnt lgkmcnt(0)
	v_cndmask_b32_e64 v6, v6, 0, vcc
	v_cmp_gt_u32_e32 vcc, 56, v24
	v_add_u32_e32 v3, v3, v7
	v_add_u32_e32 v2, v2, v6
	v_cndmask_b32_e64 v7, 0, 1, vcc
	v_lshlrev_b32_e32 v7, 3, v7
	v_add_lshl_u32 v30, v7, v15, 2
	ds_bpermute_b32 v7, v30, v3
	ds_bpermute_b32 v6, v30, v2
	v_cmp_eq_u32_e32 vcc, 0, v2
	s_waitcnt lgkmcnt(1)
	s_nop 0
	v_cndmask_b32_e32 v7, 0, v7, vcc
	v_cmp_gt_u32_e32 vcc, v31, v5
	s_nop 1
	v_cndmask_b32_e64 v7, v7, 0, vcc
	s_waitcnt lgkmcnt(0)
	v_cndmask_b32_e64 v6, v6, 0, vcc
	v_cmp_gt_u32_e32 vcc, 48, v24
	v_add_u32_e32 v3, v3, v7
	v_add_u32_e32 v2, v2, v6
	;; [unrolled: 17-line block ×3, first 2 shown]
	v_cndmask_b32_e64 v7, 0, 1, vcc
	v_lshlrev_b32_e32 v7, 5, v7
	v_add_lshl_u32 v34, v7, v15, 2
	ds_bpermute_b32 v7, v34, v3
	ds_bpermute_b32 v6, v34, v2
	v_cmp_eq_u32_e32 vcc, 0, v2
	v_mov_b32_e32 v15, 0
	s_waitcnt lgkmcnt(1)
	v_cndmask_b32_e32 v7, 0, v7, vcc
	v_cmp_gt_u32_e32 vcc, v35, v5
	s_nop 1
	v_cndmask_b32_e64 v5, v7, 0, vcc
	v_add_u32_e32 v3, v5, v3
	s_waitcnt lgkmcnt(0)
	v_cndmask_b32_e64 v5, v6, 0, vcc
	v_add_u32_e32 v2, v5, v2
	s_branch .LBB245_79
.LBB245_78:                             ;   in Loop: Header=BB245_79 Depth=1
	s_or_b64 exec, exec, s[0:1]
	v_cmp_eq_u16_sdwa s[0:1], v4, v23 src0_sel:BYTE_0 src1_sel:DWORD
	v_cmp_eq_u32_e32 vcc, 0, v2
	ds_bpermute_b32 v19, v25, v2
	v_and_b32_e32 v5, s1, v17
	v_or_b32_e32 v5, 0x80000000, v5
	v_and_b32_e32 v18, s0, v16
	v_ffbl_b32_e32 v5, v5
	v_add_u32_e32 v5, 32, v5
	v_ffbl_b32_e32 v18, v18
	v_min_u32_e32 v5, v18, v5
	ds_bpermute_b32 v18, v25, v3
	v_cmp_lt_u32_e64 s[0:1], v24, v5
	s_and_b64 vcc, s[0:1], vcc
	v_subrev_u32_e32 v14, 64, v14
	s_waitcnt lgkmcnt(1)
	v_cndmask_b32_e64 v19, 0, v19, s[0:1]
	s_waitcnt lgkmcnt(0)
	v_cndmask_b32_e32 v18, 0, v18, vcc
	v_add_u32_e32 v3, v18, v3
	ds_bpermute_b32 v18, v26, v3
	v_add_u32_e32 v2, v19, v2
	v_cmp_eq_u32_e32 vcc, 0, v2
	ds_bpermute_b32 v19, v26, v2
	s_waitcnt lgkmcnt(1)
	v_cndmask_b32_e32 v18, 0, v18, vcc
	v_cmp_gt_u32_e32 vcc, v27, v5
	s_nop 1
	v_cndmask_b32_e64 v18, v18, 0, vcc
	v_add_u32_e32 v3, v18, v3
	ds_bpermute_b32 v18, v28, v3
	s_waitcnt lgkmcnt(1)
	v_cndmask_b32_e64 v19, v19, 0, vcc
	v_add_u32_e32 v2, v2, v19
	v_cmp_eq_u32_e32 vcc, 0, v2
	ds_bpermute_b32 v19, v28, v2
	s_waitcnt lgkmcnt(1)
	v_cndmask_b32_e32 v18, 0, v18, vcc
	v_cmp_gt_u32_e32 vcc, v29, v5
	s_nop 1
	v_cndmask_b32_e64 v18, v18, 0, vcc
	v_add_u32_e32 v3, v3, v18
	ds_bpermute_b32 v18, v30, v3
	s_waitcnt lgkmcnt(1)
	v_cndmask_b32_e64 v19, v19, 0, vcc
	v_add_u32_e32 v2, v2, v19
	ds_bpermute_b32 v19, v30, v2
	v_cmp_eq_u32_e32 vcc, 0, v2
	s_waitcnt lgkmcnt(1)
	s_nop 0
	v_cndmask_b32_e32 v18, 0, v18, vcc
	v_cmp_gt_u32_e32 vcc, v31, v5
	s_nop 1
	v_cndmask_b32_e64 v18, v18, 0, vcc
	v_add_u32_e32 v3, v3, v18
	ds_bpermute_b32 v18, v32, v3
	s_waitcnt lgkmcnt(1)
	v_cndmask_b32_e64 v19, v19, 0, vcc
	v_add_u32_e32 v2, v2, v19
	ds_bpermute_b32 v19, v32, v2
	v_cmp_eq_u32_e32 vcc, 0, v2
	s_waitcnt lgkmcnt(1)
	s_nop 0
	;; [unrolled: 13-line block ×3, first 2 shown]
	v_cndmask_b32_e32 v18, 0, v18, vcc
	v_cmp_gt_u32_e32 vcc, v35, v5
	s_nop 1
	v_cndmask_b32_e64 v5, v18, 0, vcc
	v_add_u32_e32 v3, v5, v3
	s_waitcnt lgkmcnt(0)
	v_cndmask_b32_e64 v5, v19, 0, vcc
	v_cmp_eq_u32_e32 vcc, 0, v6
	v_add3_u32 v2, v2, v6, v5
	s_nop 0
	v_cndmask_b32_e32 v3, 0, v3, vcc
	v_add_u32_e32 v3, v3, v7
.LBB245_79:                             ; =>This Loop Header: Depth=1
                                        ;     Child Loop BB245_82 Depth 2
                                        ;       Child Loop BB245_83 Depth 3
	v_cmp_ne_u16_sdwa s[0:1], v4, v23 src0_sel:BYTE_0 src1_sel:DWORD
	v_mov_b32_e32 v7, v3
	v_mov_b32_e32 v6, v2
	v_cndmask_b32_e64 v3, 0, 1, s[0:1]
	;;#ASMSTART
	;;#ASMEND
	s_nop 0
	v_cmp_ne_u32_e32 vcc, 0, v3
	s_cmp_lg_u64 vcc, exec
	s_cbranch_scc1 .LBB245_86
; %bb.80:                               ;   in Loop: Header=BB245_79 Depth=1
	v_lshl_add_u64 v[18:19], v[14:15], 4, s[36:37]
	;;#ASMSTART
	global_load_dwordx4 v[2:5], v[18:19] off sc1	
s_waitcnt vmcnt(0)
	;;#ASMEND
	s_nop 0
	v_and_b32_e32 v5, 0xff, v3
	v_and_b32_e32 v36, 0xff00, v3
	v_or3_b32 v2, v2, 0, 0
	v_and_b32_e32 v37, 0xff000000, v3
	v_or3_b32 v5, 0, v5, v36
	;; [unrolled: 2-line block ×3, first 2 shown]
	v_or3_b32 v2, v2, 0, 0
	v_cmp_eq_u16_sdwa s[54:55], v4, v15 src0_sel:BYTE_0 src1_sel:DWORD
	s_and_saveexec_b64 s[0:1], s[54:55]
	s_cbranch_execz .LBB245_78
; %bb.81:                               ;   in Loop: Header=BB245_79 Depth=1
	s_mov_b32 s58, 1
	s_mov_b64 s[54:55], 0
.LBB245_82:                             ;   Parent Loop BB245_79 Depth=1
                                        ; =>  This Loop Header: Depth=2
                                        ;       Child Loop BB245_83 Depth 3
	s_max_u32 s59, s58, 1
.LBB245_83:                             ;   Parent Loop BB245_79 Depth=1
                                        ;     Parent Loop BB245_82 Depth=2
                                        ; =>    This Inner Loop Header: Depth=3
	s_add_i32 s59, s59, -1
	s_cmp_eq_u32 s59, 0
	s_sleep 1
	s_cbranch_scc0 .LBB245_83
; %bb.84:                               ;   in Loop: Header=BB245_82 Depth=2
	s_cmp_lt_u32 s58, 32
	s_cselect_b64 s[62:63], -1, 0
	s_cmp_lg_u64 s[62:63], 0
	s_addc_u32 s58, s58, 0
	;;#ASMSTART
	global_load_dwordx4 v[2:5], v[18:19] off sc1	
s_waitcnt vmcnt(0)
	;;#ASMEND
	s_nop 0
	v_cmp_ne_u16_sdwa s[62:63], v4, v15 src0_sel:BYTE_0 src1_sel:DWORD
	s_or_b64 s[54:55], s[62:63], s[54:55]
	s_andn2_b64 exec, exec, s[54:55]
	s_cbranch_execnz .LBB245_82
; %bb.85:                               ;   in Loop: Header=BB245_79 Depth=1
	s_or_b64 exec, exec, s[54:55]
	s_branch .LBB245_78
.LBB245_86:                             ;   in Loop: Header=BB245_79 Depth=1
                                        ; implicit-def: $vgpr3
                                        ; implicit-def: $vgpr2
                                        ; implicit-def: $vgpr4
	s_cbranch_execz .LBB245_79
; %bb.87:
	s_and_saveexec_b64 s[0:1], s[28:29]
	s_cbranch_execz .LBB245_89
; %bb.88:
	s_cmp_eq_u32 s56, 0
	s_cselect_b64 vcc, -1, 0
	s_mov_b32 s55, 0
	v_cndmask_b32_e32 v2, 0, v7, vcc
	s_add_i32 s54, s60, 64
	v_add_u32_e32 v2, s57, v2
	s_lshl_b64 s[54:55], s[54:55], 4
	s_add_u32 s54, s36, s54
	v_and_b32_e32 v3, 0xff000000, v2
	v_and_b32_e32 v4, 0xff0000, v2
	s_addc_u32 s55, s37, s55
	v_or_b32_e32 v3, v4, v3
	v_and_b32_e32 v4, 0xff00, v2
	v_and_b32_e32 v2, 0xff, v2
	v_add_u32_e32 v14, s56, v6
	v_mov_b32_e32 v17, 0
	v_or3_b32 v15, v3, v4, v2
	v_mov_b32_e32 v16, 2
	v_mov_b64_e32 v[2:3], s[54:55]
	;;#ASMSTART
	global_store_dwordx4 v[2:3], v[14:17] off sc1	
s_waitcnt vmcnt(0)
	;;#ASMEND
	v_mov_b32_e32 v4, s56
	v_mov_b32_e32 v5, s57
	ds_write_b128 v17, v[4:7] offset:1024
.LBB245_89:
	s_or_b64 exec, exec, s[0:1]
	s_and_b64 exec, exec, s[34:35]
	s_cbranch_execz .LBB245_91
; %bb.90:
	v_mov_b32_e32 v2, 0
	ds_write_b64 v2, v[6:7] offset:1096
.LBB245_91:
	s_or_b64 exec, exec, s[52:53]
	v_mov_b32_e32 v4, 0
	s_waitcnt lgkmcnt(0)
	s_barrier
	ds_read_b64 v[2:3], v4 offset:1096
	v_cndmask_b32_e64 v6, v20, v12, s[28:29]
	v_cmp_eq_u32_e32 vcc, 0, v6
	v_cndmask_b32_e64 v5, v22, v13, s[28:29]
	s_waitcnt lgkmcnt(0)
	v_cndmask_b32_e32 v7, 0, v3, vcc
	v_add_u32_e32 v5, v7, v5
	v_cndmask_b32_e64 v51, v5, v3, s[34:35]
	v_cndmask_b32_e64 v3, v6, 0, s[34:35]
	v_cmp_eq_u32_e32 vcc, 0, v79
	v_add_u32_e32 v50, v2, v3
	v_add_u32_e32 v48, v50, v79
	v_cndmask_b32_e32 v2, 0, v51, vcc
	v_add_u32_e32 v49, v2, v52
	v_cndmask_b32_e64 v2, 0, v49, s[26:27]
	v_add_u32_e32 v47, v2, v52
	v_cndmask_b32_e64 v2, 0, v47, s[24:25]
	;; [unrolled: 2-line block ×7, first 2 shown]
	v_add_u32_e32 v35, v2, v52
	v_add_u32_e32 v46, v48, v78
	v_cndmask_b32_e64 v2, 0, v35, s[12:13]
	v_add_u32_e32 v44, v46, v77
	v_add_u32_e32 v33, v2, v52
	v_add_u32_e32 v42, v44, v76
	v_cndmask_b32_e64 v2, 0, v33, s[10:11]
	v_add_u32_e32 v40, v42, v75
	;; [unrolled: 4-line block ×3, first 2 shown]
	v_add_u32_e32 v29, v2, v52
	s_barrier
	ds_read_b128 v[16:19], v4 offset:1024
	v_add_u32_e32 v34, v36, v72
	v_cndmask_b32_e64 v2, 0, v29, s[6:7]
	v_add_u32_e32 v32, v34, v71
	v_add_u32_e32 v27, v2, v52
	;; [unrolled: 1-line block ×3, first 2 shown]
	v_cndmask_b32_e64 v2, 0, v27, s[4:5]
	v_add_u32_e32 v28, v30, v69
	v_add_u32_e32 v23, v2, v52
	;; [unrolled: 1-line block ×3, first 2 shown]
	v_cndmask_b32_e64 v2, 0, v23, s[2:3]
	s_waitcnt lgkmcnt(0)
	v_cmp_eq_u32_e32 vcc, 0, v16
	v_add_u32_e32 v22, v26, v67
	v_add_u32_e32 v25, v2, v52
	v_cndmask_b32_e32 v2, 0, v19, vcc
	v_add_u32_e32 v24, v22, v64
	v_add_u32_e32 v20, v2, v17
	s_branch .LBB245_104
.LBB245_92:
                                        ; implicit-def: $vgpr16
                                        ; implicit-def: $vgpr20
                                        ; implicit-def: $vgpr24_vgpr25
                                        ; implicit-def: $vgpr22_vgpr23
                                        ; implicit-def: $vgpr26_vgpr27
                                        ; implicit-def: $vgpr28_vgpr29
                                        ; implicit-def: $vgpr50_vgpr51
                                        ; implicit-def: $vgpr48_vgpr49
                                        ; implicit-def: $vgpr46_vgpr47
                                        ; implicit-def: $vgpr44_vgpr45
                                        ; implicit-def: $vgpr42_vgpr43
                                        ; implicit-def: $vgpr40_vgpr41
                                        ; implicit-def: $vgpr38_vgpr39
                                        ; implicit-def: $vgpr36_vgpr37
                                        ; implicit-def: $vgpr34_vgpr35
                                        ; implicit-def: $vgpr32_vgpr33
                                        ; implicit-def: $vgpr30_vgpr31
	s_cbranch_execz .LBB245_104
; %bb.93:
	s_and_b64 s[0:1], s[38:39], exec
	s_cselect_b32 s1, 0, s51
	s_cselect_b32 s0, 0, s50
	s_cmp_eq_u64 s[0:1], 0
	v_mov_b32_e32 v6, v52
	s_cbranch_scc1 .LBB245_95
; %bb.94:
	v_mov_b32_e32 v2, 0
	global_load_dword v6, v2, s[0:1]
.LBB245_95:
	v_cmp_eq_u32_e64 s[2:3], 0, v78
	v_cmp_eq_u32_e64 s[4:5], 0, v77
	v_cmp_eq_u32_e64 s[6:7], 0, v76
	v_cndmask_b32_e64 v2, 0, v52, s[2:3]
	v_add_u32_e32 v2, v2, v52
	v_cndmask_b32_e64 v2, 0, v2, s[4:5]
	v_add_u32_e32 v2, v2, v52
	v_cndmask_b32_e64 v2, 0, v2, s[6:7]
	v_add_u32_e32 v2, v2, v52
	v_cmp_eq_u32_e64 s[8:9], 0, v75
	v_cmp_eq_u32_e64 s[10:11], 0, v74
	v_cmp_eq_u32_e64 s[12:13], 0, v73
	v_cndmask_b32_e64 v2, 0, v2, s[8:9]
	v_add_u32_e32 v2, v2, v52
	v_cndmask_b32_e64 v2, 0, v2, s[10:11]
	v_add_u32_e32 v2, v2, v52
	v_cndmask_b32_e64 v2, 0, v2, s[12:13]
	v_add_u32_e32 v2, v2, v52
	v_cmp_eq_u32_e64 s[14:15], 0, v72
	v_cmp_eq_u32_e64 s[16:17], 0, v71
	v_cmp_eq_u32_e64 s[18:19], 0, v70
	v_cndmask_b32_e64 v2, 0, v2, s[14:15]
	v_add_u32_e32 v2, v2, v52
	v_cndmask_b32_e64 v2, 0, v2, s[16:17]
	v_add_u32_e32 v2, v2, v52
	v_cndmask_b32_e64 v2, 0, v2, s[18:19]
	v_add_u32_e32 v2, v2, v52
	v_cmp_eq_u32_e64 s[20:21], 0, v69
	v_cmp_eq_u32_e64 s[22:23], 0, v68
	v_cmp_eq_u32_e64 s[24:25], 0, v67
	v_cndmask_b32_e64 v2, 0, v2, s[20:21]
	v_add_u32_e32 v2, v2, v52
	v_cndmask_b32_e64 v2, 0, v2, s[22:23]
	v_add_u32_e32 v2, v2, v52
	v_cndmask_b32_e64 v2, 0, v2, s[24:25]
	v_add3_u32 v3, v81, v74, v73
	v_add_u32_e32 v2, v2, v52
	v_cmp_eq_u32_e32 vcc, 0, v64
	v_add3_u32 v3, v3, v72, v71
	v_add3_u32 v3, v3, v70, v69
	v_cndmask_b32_e32 v2, 0, v2, vcc
	v_add_u32_e32 v2, v2, v52
	v_cmp_eq_u32_e64 s[0:1], 0, v62
	v_add3_u32 v3, v3, v68, v67
	v_add3_u32 v3, v3, v64, v62
	v_cndmask_b32_e64 v2, 0, v2, s[0:1]
	v_add_u32_e32 v2, v2, v53
	v_mbcnt_hi_u32_b32 v7, -1, v80
	v_and_b32_e32 v4, 15, v7
	v_mov_b32_dpp v12, v2 row_shr:1 row_mask:0xf bank_mask:0xf
	v_cmp_eq_u32_e64 s[0:1], 0, v3
	v_mov_b32_dpp v5, v3 row_shr:1 row_mask:0xf bank_mask:0xf
	v_cmp_lt_u32_e64 s[26:27], 1, v4
	v_cndmask_b32_e64 v12, 0, v12, s[0:1]
	v_cmp_eq_u32_e64 s[0:1], 0, v4
	s_nop 1
	v_cndmask_b32_e64 v5, v5, 0, s[0:1]
	v_add_u32_e32 v3, v5, v3
	v_cndmask_b32_e64 v5, v12, 0, s[0:1]
	v_add_u32_e32 v2, v5, v2
	v_cmp_eq_u32_e64 s[0:1], 0, v3
	v_mov_b32_dpp v5, v3 row_shr:2 row_mask:0xf bank_mask:0xf
	v_mov_b32_dpp v12, v2 row_shr:2 row_mask:0xf bank_mask:0xf
	v_cndmask_b32_e64 v5, 0, v5, s[26:27]
	s_and_b64 s[0:1], s[26:27], s[0:1]
	v_cndmask_b32_e64 v12, 0, v12, s[0:1]
	v_add_u32_e32 v3, v3, v5
	v_add_u32_e32 v2, v12, v2
	v_cmp_eq_u32_e64 s[0:1], 0, v3
	v_mov_b32_dpp v5, v3 row_shr:4 row_mask:0xf bank_mask:0xf
	v_cmp_lt_u32_e64 s[26:27], 3, v4
	v_mov_b32_dpp v12, v2 row_shr:4 row_mask:0xf bank_mask:0xf
	s_and_b64 s[0:1], s[26:27], s[0:1]
	v_cndmask_b32_e64 v5, 0, v5, s[26:27]
	v_cndmask_b32_e64 v12, 0, v12, s[0:1]
	v_add_u32_e32 v3, v5, v3
	v_add_u32_e32 v2, v2, v12
	v_cmp_eq_u32_e64 s[0:1], 0, v3
	v_cmp_lt_u32_e64 s[26:27], 7, v4
	v_mov_b32_dpp v5, v3 row_shr:8 row_mask:0xf bank_mask:0xf
	v_mov_b32_dpp v12, v2 row_shr:8 row_mask:0xf bank_mask:0xf
	s_and_b64 s[0:1], s[26:27], s[0:1]
	v_cndmask_b32_e64 v4, 0, v5, s[26:27]
	v_cndmask_b32_e64 v5, 0, v12, s[0:1]
	v_add_u32_e32 v2, v5, v2
	v_add_u32_e32 v3, v4, v3
	v_bfe_i32 v12, v7, 4, 1
	v_mov_b32_dpp v5, v2 row_bcast:15 row_mask:0xf bank_mask:0xf
	v_mov_b32_dpp v4, v3 row_bcast:15 row_mask:0xf bank_mask:0xf
	v_cmp_eq_u32_e64 s[0:1], 0, v3
	v_and_b32_e32 v4, v12, v4
	v_add_u32_e32 v3, v4, v3
	v_cndmask_b32_e64 v5, 0, v5, s[0:1]
	v_and_b32_e32 v4, v12, v5
	v_add_u32_e32 v4, v4, v2
	v_mov_b32_dpp v2, v3 row_bcast:31 row_mask:0xf bank_mask:0xf
	v_cmp_eq_u32_e64 s[0:1], 0, v3
	v_cmp_lt_u32_e64 s[26:27], 31, v7
	v_mov_b32_dpp v5, v4 row_bcast:31 row_mask:0xf bank_mask:0xf
	s_and_b64 s[0:1], s[26:27], s[0:1]
	v_cndmask_b32_e64 v2, 0, v2, s[26:27]
	v_add_u32_e32 v2, v2, v3
	v_cndmask_b32_e64 v3, 0, v5, s[0:1]
	v_add_u32_e32 v3, v3, v4
	v_cmp_eq_u32_e64 s[0:1], v55, v0
	s_and_saveexec_b64 s[26:27], s[0:1]
	s_cbranch_execz .LBB245_97
; %bb.96:
	v_lshlrev_b32_e32 v4, 3, v54
	ds_write_b64 v4, v[2:3] offset:1040
.LBB245_97:
	s_or_b64 exec, exec, s[26:27]
	v_cmp_gt_u32_e64 s[0:1], 8, v0
	s_waitcnt lgkmcnt(0)
	s_barrier
	s_and_saveexec_b64 s[28:29], s[0:1]
	s_cbranch_execz .LBB245_99
; %bb.98:
	v_lshlrev_b32_e32 v12, 3, v0
	ds_read_b64 v[4:5], v12 offset:1040
	v_and_b32_e32 v13, 7, v7
	v_cmp_lt_u32_e64 s[26:27], 1, v13
	s_waitcnt lgkmcnt(0)
	v_mov_b32_dpp v15, v5 row_shr:1 row_mask:0xf bank_mask:0xf
	v_cmp_eq_u32_e64 s[0:1], 0, v4
	v_mov_b32_dpp v14, v4 row_shr:1 row_mask:0xf bank_mask:0xf
	s_nop 0
	v_cndmask_b32_e64 v15, 0, v15, s[0:1]
	v_cmp_eq_u32_e64 s[0:1], 0, v13
	s_nop 1
	v_cndmask_b32_e64 v14, v14, 0, s[0:1]
	v_add_u32_e32 v4, v14, v4
	v_cndmask_b32_e64 v14, v15, 0, s[0:1]
	v_add_u32_e32 v5, v14, v5
	v_cmp_eq_u32_e64 s[0:1], 0, v4
	v_mov_b32_dpp v14, v4 row_shr:2 row_mask:0xf bank_mask:0xf
	v_mov_b32_dpp v15, v5 row_shr:2 row_mask:0xf bank_mask:0xf
	v_cndmask_b32_e64 v14, 0, v14, s[26:27]
	s_and_b64 s[0:1], s[26:27], s[0:1]
	v_cndmask_b32_e64 v15, 0, v15, s[0:1]
	v_add_u32_e32 v4, v14, v4
	v_add_u32_e32 v5, v15, v5
	v_cmp_eq_u32_e64 s[0:1], 0, v4
	v_mov_b32_dpp v14, v4 row_shr:4 row_mask:0xf bank_mask:0xf
	v_cmp_lt_u32_e64 s[26:27], 3, v13
	v_mov_b32_dpp v15, v5 row_shr:4 row_mask:0xf bank_mask:0xf
	s_and_b64 s[0:1], s[26:27], s[0:1]
	v_cndmask_b32_e64 v13, 0, v14, s[26:27]
	v_add_u32_e32 v4, v13, v4
	v_cndmask_b32_e64 v13, 0, v15, s[0:1]
	v_add_u32_e32 v5, v13, v5
	ds_write_b64 v12, v[4:5] offset:1040
.LBB245_99:
	s_or_b64 exec, exec, s[28:29]
	v_cmp_lt_u32_e64 s[0:1], 63, v0
	v_mov_b32_e32 v12, 0
	v_mov_b32_e32 v4, 0
	s_waitcnt vmcnt(0)
	v_mov_b32_e32 v5, v6
	s_waitcnt lgkmcnt(0)
	s_barrier
	s_and_saveexec_b64 s[26:27], s[0:1]
	s_cbranch_execz .LBB245_101
; %bb.100:
	v_lshlrev_b32_e32 v4, 3, v54
	ds_read_b64 v[4:5], v4 offset:1032
	s_waitcnt lgkmcnt(0)
	v_cmp_eq_u32_e64 s[0:1], 0, v4
	s_nop 1
	v_cndmask_b32_e64 v13, 0, v6, s[0:1]
	v_add_u32_e32 v5, v13, v5
.LBB245_101:
	s_or_b64 exec, exec, s[26:27]
	v_cmp_eq_u32_e64 s[0:1], 0, v2
	v_add_u32_e32 v13, v4, v2
	v_and_b32_e32 v14, 64, v7
	v_cndmask_b32_e64 v2, 0, v5, s[0:1]
	v_add_u32_e32 v2, v2, v3
	v_add_u32_e32 v3, -1, v7
	v_cmp_lt_i32_e64 s[0:1], v3, v14
	ds_read_b64 v[16:17], v12 offset:1096
	s_nop 0
	v_cndmask_b32_e64 v3, v3, v7, s[0:1]
	v_lshlrev_b32_e32 v3, 2, v3
	ds_bpermute_b32 v2, v3, v2
	ds_bpermute_b32 v13, v3, v13
	v_cmp_eq_u32_e64 s[0:1], 0, v7
	s_waitcnt lgkmcnt(1)
	s_nop 0
	v_cndmask_b32_e64 v2, v2, v5, s[0:1]
	s_waitcnt lgkmcnt(0)
	v_cndmask_b32_e64 v3, v13, v4, s[0:1]
	v_cndmask_b32_e64 v51, v2, v6, s[34:35]
	v_cmp_eq_u32_e64 s[0:1], 0, v79
	v_cndmask_b32_e64 v50, v3, 0, s[34:35]
	v_add_u32_e32 v48, v50, v79
	v_cndmask_b32_e64 v2, 0, v51, s[0:1]
	v_add_u32_e32 v49, v2, v52
	;; [unrolled: 2-line block ×9, first 2 shown]
	v_add_u32_e32 v46, v48, v78
	v_cndmask_b32_e64 v2, 0, v35, s[16:17]
	v_add_u32_e32 v44, v46, v77
	v_add_u32_e32 v33, v2, v52
	v_add_u32_e32 v42, v44, v76
	v_cndmask_b32_e64 v2, 0, v33, s[18:19]
	v_add_u32_e32 v40, v42, v75
	v_add_u32_e32 v31, v2, v52
	;; [unrolled: 4-line block ×5, first 2 shown]
	v_add_u32_e32 v26, v28, v68
	v_cndmask_b32_e32 v2, 0, v23, vcc
	v_cmp_eq_u32_e32 vcc, 0, v16
	v_add_u32_e32 v22, v26, v67
	v_add_u32_e32 v25, v2, v52
	v_cndmask_b32_e32 v2, 0, v6, vcc
	v_add_u32_e32 v24, v22, v64
	v_add_u32_e32 v20, v2, v17
	s_and_saveexec_b64 s[0:1], s[34:35]
	s_cbranch_execz .LBB245_103
; %bb.102:
	s_add_u32 s2, s36, 0x400
	v_and_b32_e32 v2, 0xff000000, v20
	v_and_b32_e32 v3, 0xff0000, v20
	s_addc_u32 s3, s37, 0
	v_or_b32_e32 v2, v3, v2
	v_and_b32_e32 v3, 0xff00, v20
	v_and_b32_e32 v4, 0xff, v20
	v_mov_b32_e32 v19, 0
	v_or3_b32 v17, v2, v3, v4
	v_mov_b32_e32 v18, 2
	v_mov_b64_e32 v[2:3], s[2:3]
	;;#ASMSTART
	global_store_dwordx4 v[2:3], v[16:19] off sc1	
s_waitcnt vmcnt(0)
	;;#ASMEND
.LBB245_103:
	s_or_b64 exec, exec, s[0:1]
	v_mov_b32_e32 v18, 0
.LBB245_104:
	s_and_b64 s[0:1], s[38:39], exec
	s_cselect_b32 s1, 0, s31
	s_cselect_b32 s0, 0, s30
	s_cmp_eq_u64 s[0:1], 0
	v_mov_b64_e32 v[52:53], 0
	s_barrier
	s_cbranch_scc1 .LBB245_106
; %bb.105:
	v_mov_b32_e32 v2, 0
	global_load_dwordx2 v[52:53], v2, s[0:1]
.LBB245_106:
	s_waitcnt vmcnt(0)
	v_lshl_add_u64 v[2:3], s[44:45], 0, v[52:53]
	v_mov_b32_e32 v19, 0
	v_cmp_eq_u32_e32 vcc, 0, v79
	v_lshl_add_u64 v[54:55], v[2:3], 0, v[18:19]
	s_movk_i32 s0, 0x200
	v_cndmask_b32_e64 v2, 1, 2, vcc
	v_cmp_eq_u32_e32 vcc, 0, v78
	v_cmp_ne_u32_e64 s[30:31], 0, v79
	v_cmp_ne_u32_e64 s[28:29], 0, v78
	v_cndmask_b32_e64 v3, 1, 2, vcc
	v_cmp_eq_u32_e32 vcc, 0, v77
	v_and_b32_e32 v2, v3, v2
	v_cmp_ne_u32_e64 s[26:27], 0, v77
	v_cndmask_b32_e64 v3, 1, 2, vcc
	v_cmp_eq_u32_e32 vcc, 0, v76
	v_and_b32_e32 v2, v2, v3
	;; [unrolled: 4-line block ×13, first 2 shown]
	v_cmp_ne_u32_e64 s[2:3], 0, v62
	v_cndmask_b32_e64 v3, 1, 2, vcc
	v_and_b32_e32 v2, v2, v3
	v_cmp_gt_u32_e32 vcc, s0, v16
	s_mov_b64 s[36:37], -1
	v_cmp_gt_i16_e64 s[0:1], 2, v2
	s_cbranch_vccz .LBB245_113
; %bb.107:
	s_and_saveexec_b64 s[36:37], s[0:1]
	s_cbranch_execz .LBB245_112
; %bb.108:
	v_cmp_ne_u16_e32 vcc, 1, v2
	s_mov_b64 s[38:39], 0
	s_and_saveexec_b64 s[0:1], vcc
	s_xor_b64 s[0:1], exec, s[0:1]
	s_cbranch_execnz .LBB245_154
; %bb.109:
	s_andn2_saveexec_b64 s[0:1], s[0:1]
	s_cbranch_execnz .LBB245_170
.LBB245_110:
	s_or_b64 exec, exec, s[0:1]
	s_and_b64 exec, exec, s[38:39]
	s_cbranch_execz .LBB245_112
.LBB245_111:
	v_sub_u32_e32 v3, v24, v18
	v_readfirstlane_b32 s0, v54
	v_readfirstlane_b32 s1, v55
	s_nop 4
	global_store_byte v3, v1, s[0:1]
.LBB245_112:
	s_or_b64 exec, exec, s[36:37]
	s_mov_b64 s[36:37], 0
.LBB245_113:
	s_and_b64 vcc, exec, s[36:37]
	s_cbranch_vccz .LBB245_132
; %bb.114:
	v_cmp_gt_i16_e32 vcc, 2, v2
	s_and_saveexec_b64 s[0:1], vcc
	s_cbranch_execz .LBB245_119
; %bb.115:
	v_cmp_ne_u16_e32 vcc, 1, v2
	s_mov_b64 s[38:39], 0
	s_and_saveexec_b64 s[36:37], vcc
	s_xor_b64 s[36:37], exec, s[36:37]
	s_cbranch_execnz .LBB245_171
; %bb.116:
	s_andn2_saveexec_b64 s[2:3], s[36:37]
	s_cbranch_execnz .LBB245_187
.LBB245_117:
	s_or_b64 exec, exec, s[2:3]
	s_and_b64 exec, exec, s[38:39]
	s_cbranch_execz .LBB245_119
.LBB245_118:
	v_sub_u32_e32 v2, v24, v18
	ds_write_b8 v2, v1
.LBB245_119:
	s_or_b64 exec, exec, s[0:1]
	v_cmp_lt_u32_e32 vcc, v0, v16
	s_waitcnt lgkmcnt(0)
	s_barrier
	s_and_saveexec_b64 s[0:1], vcc
	s_cbranch_execz .LBB245_131
; %bb.120:
	v_xad_u32 v2, v0, -1, v16
	s_movk_i32 s2, 0xdff
	v_cmp_lt_u32_e32 vcc, s2, v2
	s_mov_b64 s[4:5], -1
	v_mov_b32_e32 v1, v0
	s_and_saveexec_b64 s[2:3], vcc
	s_cbranch_execz .LBB245_128
; %bb.121:
	v_lshrrev_b32_e32 v17, 9, v2
	v_or_b32_e32 v7, 0xe00, v0
	v_or_b32_e32 v6, 0xc00, v0
	;; [unrolled: 1-line block ×7, first 2 shown]
	v_add_u32_e32 v21, -7, v17
	v_mov_b64_e32 v[14:15], v[6:7]
	v_cmp_lt_u32_e32 vcc, 7, v21
	v_mov_b32_e32 v60, 0
	v_mov_b64_e32 v[12:13], v[4:5]
	v_mov_b64_e32 v[10:11], v[2:3]
	;; [unrolled: 1-line block ×3, first 2 shown]
	s_and_saveexec_b64 s[4:5], vcc
	s_cbranch_execz .LBB245_125
; %bb.122:
	v_lshrrev_b32_e32 v8, 3, v21
	v_add_u32_e32 v8, 1, v8
	v_and_b32_e32 v58, 0x3ffffffe, v8
	v_mov_b64_e32 v[14:15], v[6:7]
	s_mov_b32 s8, 0
	s_mov_b64 s[6:7], 0
	v_mov_b32_e32 v57, 0
	v_mov_b32_e32 v59, v0
	v_mov_b64_e32 v[12:13], v[4:5]
	v_mov_b64_e32 v[10:11], v[2:3]
	;; [unrolled: 1-line block ×3, first 2 shown]
.LBB245_123:                            ; =>This Inner Loop Header: Depth=1
	v_mov_b32_e32 v56, v8
	v_lshl_add_u64 v[86:87], v[54:55], 0, v[56:57]
	v_mov_b32_e32 v56, v9
	v_lshl_add_u64 v[90:91], v[54:55], 0, v[56:57]
	;; [unrolled: 2-line block ×3, first 2 shown]
	v_mov_b32_e32 v56, v11
	ds_read_u8 v1, v59
	ds_read_u8 v63, v59 offset:512
	ds_read_u8 v65, v59 offset:1024
	;; [unrolled: 1-line block ×7, first 2 shown]
	v_lshl_add_u64 v[94:95], v[54:55], 0, v[56:57]
	v_mov_b32_e32 v56, v12
	ds_read_u8 v102, v59 offset:4096
	ds_read_u8 v103, v59 offset:4608
	ds_read_u8 v104, v59 offset:5120
	ds_read_u8 v105, v59 offset:5632
	ds_read_u8 v106, v59 offset:6144
	ds_read_u8 v107, v59 offset:6656
	ds_read_u8 v108, v59 offset:7168
	ds_read_u8 v109, v59 offset:7680
	v_lshl_add_u64 v[96:97], v[54:55], 0, v[56:57]
	v_mov_b32_e32 v56, v13
	s_waitcnt lgkmcnt(14)
	global_store_byte v[86:87], v1, off
	global_store_byte v[90:91], v63, off
	s_waitcnt lgkmcnt(13)
	global_store_byte v[92:93], v65, off
	s_waitcnt lgkmcnt(12)
	global_store_byte v[94:95], v66, off
	v_lshl_add_u64 v[86:87], v[54:55], 0, v[56:57]
	v_mov_b32_e32 v56, v14
	v_add_u32_e32 v58, -2, v58
	v_lshl_add_u64 v[90:91], v[54:55], 0, v[56:57]
	v_mov_b32_e32 v56, v15
	v_add_u32_e32 v60, 0x1000, v12
	v_mov_b32_e32 v61, v57
	s_add_i32 s8, s8, 16
	v_cmp_eq_u32_e32 vcc, 0, v58
	s_waitcnt lgkmcnt(11)
	global_store_byte v[96:97], v98, off
	s_waitcnt lgkmcnt(10)
	global_store_byte v[86:87], v99, off
	v_lshl_add_u64 v[86:87], v[54:55], 0, v[56:57]
	v_add_u32_e32 v56, 0x1000, v8
	v_add_u32_e32 v2, 0x1000, v15
	;; [unrolled: 1-line block ×7, first 2 shown]
	v_mov_b32_e32 v85, v57
	v_mov_b32_e32 v83, v57
	;; [unrolled: 1-line block ×6, first 2 shown]
	v_add_u32_e32 v59, 0x2000, v59
	v_lshl_add_u64 v[88:89], v[54:55], 0, v[60:61]
	v_add_u32_e32 v9, 0x2000, v9
	v_mov_b32_e32 v60, s8
	v_add_u32_e32 v10, 0x2000, v10
	s_or_b64 s[6:7], vcc, s[6:7]
	v_add_u32_e32 v11, 0x2000, v11
	v_add_u32_e32 v12, 0x2000, v12
	;; [unrolled: 1-line block ×5, first 2 shown]
	s_waitcnt lgkmcnt(9)
	global_store_byte v[90:91], v100, off
	v_add_u32_e32 v8, 0x2000, v8
	s_waitcnt lgkmcnt(8)
	global_store_byte v[86:87], v101, off
	v_lshl_add_u64 v[86:87], v[54:55], 0, v[56:57]
	v_lshl_add_u64 v[84:85], v[54:55], 0, v[84:85]
	v_lshl_add_u64 v[82:83], v[54:55], 0, v[82:83]
	v_lshl_add_u64 v[80:81], v[54:55], 0, v[80:81]
	v_lshl_add_u64 v[6:7], v[54:55], 0, v[6:7]
	v_lshl_add_u64 v[4:5], v[54:55], 0, v[4:5]
	v_lshl_add_u64 v[2:3], v[54:55], 0, v[2:3]
	s_waitcnt lgkmcnt(7)
	global_store_byte v[86:87], v102, off
	s_waitcnt lgkmcnt(6)
	global_store_byte v[84:85], v103, off
	s_waitcnt lgkmcnt(5)
	global_store_byte v[82:83], v104, off
	s_waitcnt lgkmcnt(4)
	global_store_byte v[80:81], v105, off
	s_waitcnt lgkmcnt(3)
	global_store_byte v[88:89], v106, off
	s_waitcnt lgkmcnt(2)
	global_store_byte v[6:7], v107, off
	s_waitcnt lgkmcnt(1)
	global_store_byte v[4:5], v108, off
	s_waitcnt lgkmcnt(0)
	global_store_byte v[2:3], v109, off
	s_andn2_b64 exec, exec, s[6:7]
	s_cbranch_execnz .LBB245_123
; %bb.124:
	s_or_b64 exec, exec, s[6:7]
.LBB245_125:
	s_or_b64 exec, exec, s[4:5]
	v_and_b32_e32 v1, 8, v21
	v_cmp_eq_u32_e32 vcc, 0, v1
	s_and_saveexec_b64 s[4:5], vcc
	s_cbranch_execz .LBB245_127
; %bb.126:
	v_mov_b32_e32 v3, 0
	v_mov_b32_e32 v2, v8
	v_lshl_add_u64 v[4:5], v[54:55], 0, v[2:3]
	v_mov_b32_e32 v2, v9
	v_lshl_or_b32 v1, v60, 9, v0
	v_lshl_add_u64 v[6:7], v[54:55], 0, v[2:3]
	v_mov_b32_e32 v2, v10
	ds_read_u8 v21, v1
	ds_read_u8 v60, v1 offset:512
	ds_read_u8 v61, v1 offset:1024
	;; [unrolled: 1-line block ×7, first 2 shown]
	v_lshl_add_u64 v[8:9], v[54:55], 0, v[2:3]
	v_mov_b32_e32 v2, v11
	v_lshl_add_u64 v[10:11], v[54:55], 0, v[2:3]
	v_mov_b32_e32 v2, v12
	;; [unrolled: 2-line block ×5, first 2 shown]
	v_lshl_add_u64 v[2:3], v[54:55], 0, v[2:3]
	s_waitcnt lgkmcnt(7)
	global_store_byte v[4:5], v21, off
	s_waitcnt lgkmcnt(6)
	global_store_byte v[6:7], v60, off
	;; [unrolled: 2-line block ×8, first 2 shown]
.LBB245_127:
	s_or_b64 exec, exec, s[4:5]
	v_add_u32_e32 v2, 1, v17
	v_and_b32_e32 v3, 0xfffff8, v2
	v_cmp_ne_u32_e32 vcc, v2, v3
	v_lshl_or_b32 v1, v3, 9, v0
	s_orn2_b64 s[4:5], vcc, exec
.LBB245_128:
	s_or_b64 exec, exec, s[2:3]
	s_and_b64 exec, exec, s[4:5]
	s_cbranch_execz .LBB245_131
; %bb.129:
	s_mov_b64 s[2:3], 0
.LBB245_130:                            ; =>This Inner Loop Header: Depth=1
	ds_read_u8 v2, v1
	v_readfirstlane_b32 s4, v54
	v_readfirstlane_b32 s5, v55
	s_waitcnt lgkmcnt(0)
	s_nop 3
	global_store_byte v1, v2, s[4:5]
	v_add_u32_e32 v1, 0x200, v1
	v_cmp_ge_u32_e32 vcc, v1, v16
	s_or_b64 s[2:3], vcc, s[2:3]
	s_andn2_b64 exec, exec, s[2:3]
	s_cbranch_execnz .LBB245_130
.LBB245_131:
	s_or_b64 exec, exec, s[0:1]
.LBB245_132:
	s_cmpk_lg_i32 s33, 0x1e00
	s_cselect_b64 s[0:1], -1, 0
	v_cndmask_b32_e64 v10, 0, 1, s[42:43]
	s_and_b64 s[0:1], s[0:1], s[40:41]
	v_sub_u32_e32 v1, v16, v10
	v_cndmask_b32_e64 v2, 0, 1, s[0:1]
	s_and_b64 s[0:1], s[34:35], s[42:43]
	v_add_u32_e32 v1, v1, v2
	v_cndmask_b32_e64 v2, v79, 0, s[0:1]
	s_mul_hi_u32 s0, s33, 0x88888889
	s_lshr_b32 s0, s0, 3
	v_mad_i32_i24 v3, v0, -15, s33
	v_cmp_eq_u32_e32 vcc, s0, v0
	v_cmp_ne_u32_e64 s[0:1], 0, v3
	s_and_b64 vcc, vcc, s[40:41]
	s_mov_b32 s2, 0
	v_cndmask_b32_e64 v4, 1, v2, s[0:1]
	v_cmp_ne_u32_e64 s[0:1], 1, v3
	v_cndmask_b32_e32 v63, v2, v4, vcc
	s_movk_i32 s30, 0x200
	v_cndmask_b32_e64 v5, 1, v78, s[0:1]
	v_cmp_ne_u32_e64 s[0:1], 2, v3
	s_mov_b64 s[34:35], -1
	v_cmp_ne_u32_e64 s[28:29], 0, v63
	v_cndmask_b32_e64 v6, 1, v77, s[0:1]
	v_cmp_ne_u32_e64 s[0:1], 3, v3
	v_cndmask_b32_e32 v61, v77, v6, vcc
	v_cmp_ne_u32_e64 s[24:25], 0, v61
	v_cndmask_b32_e64 v7, 1, v76, s[0:1]
	v_cmp_ne_u32_e64 s[0:1], 4, v3
	v_cndmask_b32_e32 v60, v76, v7, vcc
	v_lshlrev_b64 v[6:7], 3, v[18:19]
	v_cndmask_b32_e64 v8, 1, v75, s[0:1]
	v_cmp_ne_u32_e64 s[0:1], 5, v3
	v_cndmask_b32_e32 v59, v75, v8, vcc
	v_cmp_ne_u32_e64 s[22:23], 0, v60
	v_cndmask_b32_e64 v9, 1, v74, s[0:1]
	v_cmp_ne_u32_e64 s[0:1], 6, v3
	v_cndmask_b32_e32 v58, v74, v9, vcc
	v_cmp_ne_u32_e64 s[20:21], 0, v59
	v_cndmask_b32_e64 v11, 1, v73, s[0:1]
	v_cmp_ne_u32_e64 s[0:1], 7, v3
	v_cndmask_b32_e32 v57, v73, v11, vcc
	v_mov_b32_e32 v11, s2
	v_cndmask_b32_e64 v12, 1, v72, s[0:1]
	v_cmp_ne_u32_e64 s[0:1], 8, v3
	v_cndmask_b32_e32 v56, v72, v12, vcc
	v_lshl_add_u64 v[8:9], v[10:11], 0, -1
	v_cndmask_b32_e64 v13, 1, v71, s[0:1]
	v_cmp_ne_u32_e64 s[0:1], 9, v3
	v_cndmask_b32_e32 v13, v71, v13, vcc
	v_add_u32_e32 v12, v18, v10
	v_cndmask_b32_e64 v14, 1, v70, s[0:1]
	v_cmp_ne_u32_e64 s[0:1], 10, v3
	v_cndmask_b32_e32 v14, v70, v14, vcc
	v_cmp_ne_u32_e64 s[12:13], 0, v13
	v_cndmask_b32_e64 v15, 1, v69, s[0:1]
	v_cmp_ne_u32_e64 s[0:1], 11, v3
	v_cndmask_b32_e32 v15, v69, v15, vcc
	v_cmp_ne_u32_e64 s[18:19], 0, v58
	;; [unrolled: 4-line block ×5, first 2 shown]
	v_cndmask_b32_e64 v3, 1, v62, s[0:1]
	v_cndmask_b32_e32 v55, v62, v3, vcc
	v_cndmask_b32_e32 v62, v78, v5, vcc
	v_cmp_eq_u32_e32 vcc, 0, v63
	v_lshlrev_b64 v[4:5], 3, v[52:53]
	v_lshl_add_u64 v[2:3], s[46:47], 0, v[4:5]
	v_cndmask_b32_e64 v10, 1, 2, vcc
	v_cmp_eq_u32_e32 vcc, 0, v62
	v_lshl_add_u64 v[2:3], v[2:3], 0, v[6:7]
	v_cmp_ne_u32_e64 s[26:27], 0, v62
	v_cndmask_b32_e64 v11, 1, 2, vcc
	v_cmp_eq_u32_e32 vcc, 0, v61
	v_and_b32_e32 v10, v11, v10
	v_cmp_ne_u32_e64 s[8:9], 0, v15
	v_cndmask_b32_e64 v11, 1, 2, vcc
	v_cmp_eq_u32_e32 vcc, 0, v60
	v_and_b32_e32 v10, v10, v11
	;; [unrolled: 4-line block ×6, first 2 shown]
	s_nop 0
	v_cndmask_b32_e64 v11, 1, 2, vcc
	v_cmp_eq_u32_e32 vcc, 0, v13
	v_and_b32_e32 v10, v10, v11
	s_barrier
	v_cndmask_b32_e64 v11, 1, 2, vcc
	v_cmp_eq_u32_e32 vcc, 0, v14
	v_and_b32_e32 v10, v10, v11
	s_nop 0
	v_cndmask_b32_e64 v11, 1, 2, vcc
	v_cmp_eq_u32_e32 vcc, 0, v15
	v_and_b32_e32 v10, v10, v11
	s_nop 0
	;; [unrolled: 4-line block ×6, first 2 shown]
	v_cndmask_b32_e64 v11, 1, 2, vcc
	v_and_b32_e32 v13, v10, v11
	v_cmp_gt_u32_e32 vcc, s30, v1
	v_cmp_gt_i16_e64 s[30:31], 2, v13
	s_cbranch_vccz .LBB245_139
; %bb.133:
	s_and_saveexec_b64 s[34:35], s[30:31]
	s_cbranch_execz .LBB245_138
; %bb.134:
	v_lshlrev_b64 v[10:11], 3, v[8:9]
	v_lshl_add_u64 v[10:11], v[2:3], 0, v[10:11]
	v_cmp_ne_u16_e32 vcc, 1, v13
	s_mov_b64 s[36:37], 0
	s_and_saveexec_b64 s[30:31], vcc
	s_xor_b64 s[30:31], exec, s[30:31]
	s_cbranch_execnz .LBB245_188
; %bb.135:
	s_andn2_saveexec_b64 s[30:31], s[30:31]
	s_cbranch_execnz .LBB245_204
.LBB245_136:
	s_or_b64 exec, exec, s[30:31]
	s_and_b64 exec, exec, s[36:37]
	s_cbranch_execz .LBB245_138
.LBB245_137:
	v_mov_b32_e32 v15, 0
	v_sub_u32_e32 v54, v24, v12
	v_mov_b32_e32 v55, v15
	v_mov_b32_e32 v14, v25
	v_lshl_add_u64 v[10:11], v[54:55], 3, v[10:11]
	global_store_dwordx2 v[10:11], v[14:15], off
.LBB245_138:
	s_or_b64 exec, exec, s[34:35]
	s_mov_b64 s[34:35], 0
.LBB245_139:
	s_and_b64 vcc, exec, s[34:35]
	s_cbranch_vccz .LBB245_149
; %bb.140:
	v_cmp_gt_i16_e32 vcc, 2, v13
	s_and_saveexec_b64 s[30:31], vcc
	s_cbranch_execz .LBB245_145
; %bb.141:
	v_cmp_ne_u16_e32 vcc, 1, v13
	s_mov_b64 s[36:37], 0
	s_and_saveexec_b64 s[34:35], vcc
	s_xor_b64 s[34:35], exec, s[34:35]
	s_cbranch_execnz .LBB245_205
; %bb.142:
	s_andn2_saveexec_b64 s[0:1], s[34:35]
	s_cbranch_execnz .LBB245_221
.LBB245_143:
	s_or_b64 exec, exec, s[0:1]
	s_and_b64 exec, exec, s[36:37]
	s_cbranch_execz .LBB245_145
.LBB245_144:
	v_sub_u32_e32 v10, v24, v12
	v_lshlrev_b32_e32 v10, 2, v10
	ds_write_b32 v10, v25
.LBB245_145:
	s_or_b64 exec, exec, s[30:31]
	v_cmp_lt_u32_e32 vcc, v0, v1
	s_waitcnt lgkmcnt(0)
	s_barrier
	s_and_saveexec_b64 s[0:1], vcc
	s_cbranch_execz .LBB245_148
; %bb.146:
	v_lshlrev_b64 v[8:9], 3, v[8:9]
	v_lshl_add_u64 v[4:5], v[4:5], 0, v[8:9]
	v_lshl_add_u64 v[6:7], v[4:5], 0, v[6:7]
	v_lshlrev_b32_e32 v4, 3, v0
	v_mov_b32_e32 v5, 0
	v_lshl_add_u64 v[6:7], s[46:47], 0, v[6:7]
	v_lshlrev_b32_e32 v10, 2, v0
	v_lshl_add_u64 v[6:7], v[6:7], 0, v[4:5]
	s_mov_b64 s[2:3], 0
	s_mov_b64 s[4:5], 0x1000
	v_mov_b32_e32 v8, v0
.LBB245_147:                            ; =>This Inner Loop Header: Depth=1
	ds_read_b32 v4, v10
	v_add_u32_e32 v8, 0x200, v8
	v_cmp_ge_u32_e32 vcc, v8, v1
	v_add_u32_e32 v10, 0x800, v10
	s_or_b64 s[2:3], vcc, s[2:3]
	s_waitcnt lgkmcnt(0)
	global_store_dwordx2 v[6:7], v[4:5], off
	v_lshl_add_u64 v[6:7], v[6:7], 0, s[4:5]
	s_andn2_b64 exec, exec, s[2:3]
	s_cbranch_execnz .LBB245_147
.LBB245_148:
	s_or_b64 exec, exec, s[0:1]
.LBB245_149:
	s_movk_i32 s0, 0x1ff
	v_cmp_eq_u32_e32 vcc, s0, v0
	s_and_b64 s[0:1], vcc, s[40:41]
	s_and_saveexec_b64 s[2:3], s[0:1]
	s_cbranch_execz .LBB245_152
; %bb.150:
	v_mov_b32_e32 v17, 0
	v_lshl_add_u64 v[0:1], v[16:17], 0, v[18:19]
	v_lshl_add_u64 v[0:1], v[0:1], 0, v[52:53]
	s_cmpk_lg_i32 s33, 0x1e00
	global_store_dwordx2 v17, v[0:1], s[48:49]
	s_cbranch_scc1 .LBB245_152
; %bb.151:
	v_lshlrev_b64 v[0:1], 3, v[16:17]
	v_mov_b32_e32 v21, v17
	v_lshl_add_u64 v[0:1], v[2:3], 0, v[0:1]
	global_store_dwordx2 v[0:1], v[20:21], off offset:-8
.LBB245_152:
	s_endpgm
.LBB245_153:
	s_or_b64 exec, exec, s[8:9]
	v_mov_b32_e32 v79, s12
	s_and_saveexec_b64 s[0:1], s[4:5]
	s_cbranch_execnz .LBB245_60
	s_branch .LBB245_61
.LBB245_154:
	s_and_saveexec_b64 s[38:39], s[30:31]
	s_cbranch_execnz .LBB245_222
; %bb.155:
	s_or_b64 exec, exec, s[38:39]
	s_and_saveexec_b64 s[38:39], s[28:29]
	s_cbranch_execnz .LBB245_223
.LBB245_156:
	s_or_b64 exec, exec, s[38:39]
	s_and_saveexec_b64 s[38:39], s[26:27]
	s_cbranch_execnz .LBB245_224
.LBB245_157:
	s_or_b64 exec, exec, s[38:39]
	s_and_saveexec_b64 s[38:39], s[24:25]
	s_cbranch_execnz .LBB245_225
.LBB245_158:
	s_or_b64 exec, exec, s[38:39]
	s_and_saveexec_b64 s[38:39], s[22:23]
	s_cbranch_execnz .LBB245_226
.LBB245_159:
	s_or_b64 exec, exec, s[38:39]
	s_and_saveexec_b64 s[38:39], s[20:21]
	s_cbranch_execnz .LBB245_227
.LBB245_160:
	s_or_b64 exec, exec, s[38:39]
	s_and_saveexec_b64 s[38:39], s[18:19]
	s_cbranch_execnz .LBB245_228
.LBB245_161:
	s_or_b64 exec, exec, s[38:39]
	s_and_saveexec_b64 s[38:39], s[16:17]
	s_cbranch_execnz .LBB245_229
.LBB245_162:
	s_or_b64 exec, exec, s[38:39]
	s_and_saveexec_b64 s[38:39], s[14:15]
	s_cbranch_execnz .LBB245_230
.LBB245_163:
	s_or_b64 exec, exec, s[38:39]
	s_and_saveexec_b64 s[38:39], s[12:13]
	s_cbranch_execnz .LBB245_231
.LBB245_164:
	s_or_b64 exec, exec, s[38:39]
	s_and_saveexec_b64 s[38:39], s[10:11]
	s_cbranch_execnz .LBB245_232
.LBB245_165:
	s_or_b64 exec, exec, s[38:39]
	s_and_saveexec_b64 s[38:39], s[8:9]
	s_cbranch_execnz .LBB245_233
.LBB245_166:
	s_or_b64 exec, exec, s[38:39]
	s_and_saveexec_b64 s[38:39], s[6:7]
	s_cbranch_execnz .LBB245_234
.LBB245_167:
	s_or_b64 exec, exec, s[38:39]
	s_and_saveexec_b64 s[38:39], s[4:5]
	s_cbranch_execz .LBB245_169
.LBB245_168:
	v_sub_u32_e32 v3, v22, v18
	v_readfirstlane_b32 s44, v54
	v_readfirstlane_b32 s45, v55
	s_nop 4
	global_store_byte v3, v11, s[44:45]
.LBB245_169:
	s_or_b64 exec, exec, s[38:39]
	s_and_b64 s[38:39], s[2:3], exec
	s_andn2_saveexec_b64 s[0:1], s[0:1]
	s_cbranch_execz .LBB245_110
.LBB245_170:
	v_sub_u32_e32 v3, v50, v18
	v_readfirstlane_b32 s44, v54
	v_readfirstlane_b32 s45, v55
	s_or_b64 s[38:39], s[38:39], exec
	s_nop 3
	global_store_byte v3, v8, s[44:45]
	v_sub_u32_e32 v3, v48, v18
	global_store_byte v3, v66, s[44:45]
	v_sub_u32_e32 v3, v46, v18
	;; [unrolled: 2-line block ×13, first 2 shown]
	global_store_byte v3, v11, s[44:45]
	s_or_b64 exec, exec, s[0:1]
	s_and_b64 exec, exec, s[38:39]
	s_cbranch_execnz .LBB245_111
	s_branch .LBB245_112
.LBB245_171:
	s_and_saveexec_b64 s[38:39], s[30:31]
	s_cbranch_execnz .LBB245_235
; %bb.172:
	s_or_b64 exec, exec, s[38:39]
	s_and_saveexec_b64 s[30:31], s[28:29]
	s_cbranch_execnz .LBB245_236
.LBB245_173:
	s_or_b64 exec, exec, s[30:31]
	s_and_saveexec_b64 s[28:29], s[26:27]
	s_cbranch_execnz .LBB245_237
.LBB245_174:
	s_or_b64 exec, exec, s[28:29]
	s_and_saveexec_b64 s[26:27], s[24:25]
	s_cbranch_execnz .LBB245_238
.LBB245_175:
	s_or_b64 exec, exec, s[26:27]
	s_and_saveexec_b64 s[24:25], s[22:23]
	s_cbranch_execnz .LBB245_239
.LBB245_176:
	s_or_b64 exec, exec, s[24:25]
	s_and_saveexec_b64 s[22:23], s[20:21]
	s_cbranch_execnz .LBB245_240
.LBB245_177:
	s_or_b64 exec, exec, s[22:23]
	s_and_saveexec_b64 s[20:21], s[18:19]
	s_cbranch_execnz .LBB245_241
.LBB245_178:
	s_or_b64 exec, exec, s[20:21]
	s_and_saveexec_b64 s[18:19], s[16:17]
	s_cbranch_execnz .LBB245_242
.LBB245_179:
	s_or_b64 exec, exec, s[18:19]
	s_and_saveexec_b64 s[16:17], s[14:15]
	s_cbranch_execnz .LBB245_243
.LBB245_180:
	s_or_b64 exec, exec, s[16:17]
	s_and_saveexec_b64 s[14:15], s[12:13]
	s_cbranch_execnz .LBB245_244
.LBB245_181:
	s_or_b64 exec, exec, s[14:15]
	s_and_saveexec_b64 s[12:13], s[10:11]
	s_cbranch_execnz .LBB245_245
.LBB245_182:
	s_or_b64 exec, exec, s[12:13]
	s_and_saveexec_b64 s[10:11], s[8:9]
	s_cbranch_execnz .LBB245_246
.LBB245_183:
	s_or_b64 exec, exec, s[10:11]
	s_and_saveexec_b64 s[8:9], s[6:7]
	s_cbranch_execnz .LBB245_247
.LBB245_184:
	s_or_b64 exec, exec, s[8:9]
	s_and_saveexec_b64 s[6:7], s[4:5]
	s_cbranch_execz .LBB245_186
.LBB245_185:
	v_sub_u32_e32 v2, v22, v18
	ds_write_b8 v2, v11
.LBB245_186:
	s_or_b64 exec, exec, s[6:7]
	s_and_b64 s[38:39], s[2:3], exec
                                        ; implicit-def: $vgpr11
                                        ; implicit-def: $vgpr21
                                        ; implicit-def: $vgpr56
                                        ; implicit-def: $vgpr57
                                        ; implicit-def: $vgpr58
                                        ; implicit-def: $vgpr10
                                        ; implicit-def: $vgpr59
                                        ; implicit-def: $vgpr60
                                        ; implicit-def: $vgpr61
                                        ; implicit-def: $vgpr63
                                        ; implicit-def: $vgpr65
                                        ; implicit-def: $vgpr66
	s_andn2_saveexec_b64 s[2:3], s[36:37]
	s_cbranch_execz .LBB245_117
.LBB245_187:
	v_sub_u32_e32 v2, v50, v18
	ds_write_b8 v2, v8
	v_sub_u32_e32 v2, v48, v18
	ds_write_b8 v2, v66
	;; [unrolled: 2-line block ×13, first 2 shown]
	v_sub_u32_e32 v2, v22, v18
	s_or_b64 s[38:39], s[38:39], exec
	ds_write_b8 v2, v11
	s_or_b64 exec, exec, s[2:3]
	s_and_b64 exec, exec, s[38:39]
	s_cbranch_execnz .LBB245_118
	s_branch .LBB245_119
.LBB245_188:
	s_and_saveexec_b64 s[36:37], s[28:29]
	s_cbranch_execnz .LBB245_248
; %bb.189:
	s_or_b64 exec, exec, s[36:37]
	s_and_saveexec_b64 s[36:37], s[26:27]
	s_cbranch_execnz .LBB245_249
.LBB245_190:
	s_or_b64 exec, exec, s[36:37]
	s_and_saveexec_b64 s[36:37], s[24:25]
	s_cbranch_execnz .LBB245_250
.LBB245_191:
	s_or_b64 exec, exec, s[36:37]
	s_and_saveexec_b64 s[36:37], s[22:23]
	s_cbranch_execnz .LBB245_251
.LBB245_192:
	s_or_b64 exec, exec, s[36:37]
	s_and_saveexec_b64 s[36:37], s[20:21]
	s_cbranch_execnz .LBB245_252
.LBB245_193:
	s_or_b64 exec, exec, s[36:37]
	s_and_saveexec_b64 s[36:37], s[18:19]
	s_cbranch_execnz .LBB245_253
.LBB245_194:
	s_or_b64 exec, exec, s[36:37]
	s_and_saveexec_b64 s[36:37], s[16:17]
	s_cbranch_execnz .LBB245_254
.LBB245_195:
	s_or_b64 exec, exec, s[36:37]
	s_and_saveexec_b64 s[36:37], s[14:15]
	s_cbranch_execnz .LBB245_255
.LBB245_196:
	s_or_b64 exec, exec, s[36:37]
	s_and_saveexec_b64 s[36:37], s[12:13]
	s_cbranch_execnz .LBB245_256
.LBB245_197:
	s_or_b64 exec, exec, s[36:37]
	s_and_saveexec_b64 s[36:37], s[10:11]
	s_cbranch_execnz .LBB245_257
.LBB245_198:
	s_or_b64 exec, exec, s[36:37]
	s_and_saveexec_b64 s[36:37], s[8:9]
	s_cbranch_execnz .LBB245_258
.LBB245_199:
	s_or_b64 exec, exec, s[36:37]
	s_and_saveexec_b64 s[36:37], s[6:7]
	s_cbranch_execnz .LBB245_259
.LBB245_200:
	s_or_b64 exec, exec, s[36:37]
	s_and_saveexec_b64 s[36:37], s[4:5]
	s_cbranch_execnz .LBB245_260
.LBB245_201:
	s_or_b64 exec, exec, s[36:37]
	s_and_saveexec_b64 s[36:37], s[2:3]
	s_cbranch_execz .LBB245_203
.LBB245_202:
	v_sub_u32_e32 v14, v22, v12
	v_mov_b32_e32 v15, 0
	v_lshl_add_u64 v[54:55], v[14:15], 3, v[10:11]
	v_mov_b32_e32 v14, v23
	global_store_dwordx2 v[54:55], v[14:15], off
.LBB245_203:
	s_or_b64 exec, exec, s[36:37]
	s_and_b64 s[36:37], s[0:1], exec
	s_andn2_saveexec_b64 s[30:31], s[30:31]
	s_cbranch_execz .LBB245_136
.LBB245_204:
	v_mov_b32_e32 v15, 0
	v_sub_u32_e32 v54, v50, v12
	v_mov_b32_e32 v55, v15
	v_mov_b32_e32 v14, v51
	v_lshl_add_u64 v[54:55], v[54:55], 3, v[10:11]
	global_store_dwordx2 v[54:55], v[14:15], off
	v_sub_u32_e32 v54, v48, v12
	v_mov_b32_e32 v55, v15
	v_mov_b32_e32 v14, v49
	v_lshl_add_u64 v[54:55], v[54:55], 3, v[10:11]
	global_store_dwordx2 v[54:55], v[14:15], off
	;; [unrolled: 5-line block ×13, first 2 shown]
	v_sub_u32_e32 v54, v22, v12
	v_mov_b32_e32 v55, v15
	v_mov_b32_e32 v14, v23
	v_lshl_add_u64 v[54:55], v[54:55], 3, v[10:11]
	s_or_b64 s[36:37], s[36:37], exec
	global_store_dwordx2 v[54:55], v[14:15], off
	s_or_b64 exec, exec, s[30:31]
	s_and_b64 exec, exec, s[36:37]
	s_cbranch_execnz .LBB245_137
	s_branch .LBB245_138
.LBB245_205:
	s_and_saveexec_b64 s[36:37], s[28:29]
	s_cbranch_execnz .LBB245_261
; %bb.206:
	s_or_b64 exec, exec, s[36:37]
	s_and_saveexec_b64 s[28:29], s[26:27]
	s_cbranch_execnz .LBB245_262
.LBB245_207:
	s_or_b64 exec, exec, s[28:29]
	s_and_saveexec_b64 s[26:27], s[24:25]
	s_cbranch_execnz .LBB245_263
.LBB245_208:
	s_or_b64 exec, exec, s[26:27]
	s_and_saveexec_b64 s[24:25], s[22:23]
	s_cbranch_execnz .LBB245_264
.LBB245_209:
	s_or_b64 exec, exec, s[24:25]
	s_and_saveexec_b64 s[22:23], s[20:21]
	s_cbranch_execnz .LBB245_265
.LBB245_210:
	s_or_b64 exec, exec, s[22:23]
	s_and_saveexec_b64 s[20:21], s[18:19]
	s_cbranch_execnz .LBB245_266
.LBB245_211:
	s_or_b64 exec, exec, s[20:21]
	s_and_saveexec_b64 s[18:19], s[16:17]
	s_cbranch_execnz .LBB245_267
.LBB245_212:
	s_or_b64 exec, exec, s[18:19]
	s_and_saveexec_b64 s[16:17], s[14:15]
	s_cbranch_execnz .LBB245_268
.LBB245_213:
	s_or_b64 exec, exec, s[16:17]
	s_and_saveexec_b64 s[14:15], s[12:13]
	s_cbranch_execnz .LBB245_269
.LBB245_214:
	s_or_b64 exec, exec, s[14:15]
	s_and_saveexec_b64 s[12:13], s[10:11]
	s_cbranch_execnz .LBB245_270
.LBB245_215:
	s_or_b64 exec, exec, s[12:13]
	s_and_saveexec_b64 s[10:11], s[8:9]
	s_cbranch_execnz .LBB245_271
.LBB245_216:
	s_or_b64 exec, exec, s[10:11]
	s_and_saveexec_b64 s[8:9], s[6:7]
	s_cbranch_execnz .LBB245_272
.LBB245_217:
	s_or_b64 exec, exec, s[8:9]
	s_and_saveexec_b64 s[6:7], s[4:5]
	s_cbranch_execnz .LBB245_273
.LBB245_218:
	s_or_b64 exec, exec, s[6:7]
	s_and_saveexec_b64 s[4:5], s[2:3]
	s_cbranch_execz .LBB245_220
.LBB245_219:
	v_sub_u32_e32 v10, v22, v12
	v_lshlrev_b32_e32 v10, 2, v10
	ds_write_b32 v10, v23
.LBB245_220:
	s_or_b64 exec, exec, s[4:5]
	s_and_b64 s[36:37], s[0:1], exec
                                        ; implicit-def: $vgpr22_vgpr23
                                        ; implicit-def: $vgpr26_vgpr27
                                        ; implicit-def: $vgpr28_vgpr29
                                        ; implicit-def: $vgpr50_vgpr51
                                        ; implicit-def: $vgpr48_vgpr49
                                        ; implicit-def: $vgpr46_vgpr47
                                        ; implicit-def: $vgpr44_vgpr45
                                        ; implicit-def: $vgpr42_vgpr43
                                        ; implicit-def: $vgpr40_vgpr41
                                        ; implicit-def: $vgpr38_vgpr39
                                        ; implicit-def: $vgpr36_vgpr37
                                        ; implicit-def: $vgpr34_vgpr35
                                        ; implicit-def: $vgpr32_vgpr33
                                        ; implicit-def: $vgpr30_vgpr31
	s_andn2_saveexec_b64 s[0:1], s[34:35]
	s_cbranch_execz .LBB245_143
.LBB245_221:
	v_sub_u32_e32 v10, v50, v12
	v_lshlrev_b32_e32 v10, 2, v10
	ds_write_b32 v10, v51
	v_sub_u32_e32 v10, v48, v12
	v_lshlrev_b32_e32 v10, 2, v10
	ds_write_b32 v10, v49
	;; [unrolled: 3-line block ×13, first 2 shown]
	v_sub_u32_e32 v10, v22, v12
	v_lshlrev_b32_e32 v10, 2, v10
	s_or_b64 s[36:37], s[36:37], exec
	ds_write_b32 v10, v23
	s_or_b64 exec, exec, s[0:1]
	s_and_b64 exec, exec, s[36:37]
	s_cbranch_execnz .LBB245_144
	s_branch .LBB245_145
.LBB245_222:
	v_sub_u32_e32 v3, v50, v18
	v_readfirstlane_b32 s44, v54
	v_readfirstlane_b32 s45, v55
	s_nop 4
	global_store_byte v3, v8, s[44:45]
	s_or_b64 exec, exec, s[38:39]
	s_and_saveexec_b64 s[38:39], s[28:29]
	s_cbranch_execz .LBB245_156
.LBB245_223:
	v_sub_u32_e32 v3, v48, v18
	v_readfirstlane_b32 s44, v54
	v_readfirstlane_b32 s45, v55
	s_nop 4
	global_store_byte v3, v66, s[44:45]
	s_or_b64 exec, exec, s[38:39]
	s_and_saveexec_b64 s[38:39], s[26:27]
	s_cbranch_execz .LBB245_157
.LBB245_224:
	v_sub_u32_e32 v3, v46, v18
	v_readfirstlane_b32 s44, v54
	v_readfirstlane_b32 s45, v55
	s_nop 4
	global_store_byte v3, v65, s[44:45]
	s_or_b64 exec, exec, s[38:39]
	s_and_saveexec_b64 s[38:39], s[24:25]
	s_cbranch_execz .LBB245_158
.LBB245_225:
	v_sub_u32_e32 v3, v44, v18
	v_readfirstlane_b32 s44, v54
	v_readfirstlane_b32 s45, v55
	s_nop 4
	global_store_byte v3, v63, s[44:45]
	s_or_b64 exec, exec, s[38:39]
	s_and_saveexec_b64 s[38:39], s[22:23]
	s_cbranch_execz .LBB245_159
.LBB245_226:
	v_sub_u32_e32 v3, v42, v18
	v_readfirstlane_b32 s44, v54
	v_readfirstlane_b32 s45, v55
	s_nop 4
	global_store_byte v3, v9, s[44:45]
	s_or_b64 exec, exec, s[38:39]
	s_and_saveexec_b64 s[38:39], s[20:21]
	s_cbranch_execz .LBB245_160
.LBB245_227:
	v_sub_u32_e32 v3, v40, v18
	v_readfirstlane_b32 s44, v54
	v_readfirstlane_b32 s45, v55
	s_nop 4
	global_store_byte v3, v61, s[44:45]
	s_or_b64 exec, exec, s[38:39]
	s_and_saveexec_b64 s[38:39], s[18:19]
	s_cbranch_execz .LBB245_161
.LBB245_228:
	v_sub_u32_e32 v3, v38, v18
	v_readfirstlane_b32 s44, v54
	v_readfirstlane_b32 s45, v55
	s_nop 4
	global_store_byte v3, v60, s[44:45]
	s_or_b64 exec, exec, s[38:39]
	s_and_saveexec_b64 s[38:39], s[16:17]
	s_cbranch_execz .LBB245_162
.LBB245_229:
	v_sub_u32_e32 v3, v36, v18
	v_readfirstlane_b32 s44, v54
	v_readfirstlane_b32 s45, v55
	s_nop 4
	global_store_byte v3, v59, s[44:45]
	s_or_b64 exec, exec, s[38:39]
	s_and_saveexec_b64 s[38:39], s[14:15]
	s_cbranch_execz .LBB245_163
.LBB245_230:
	v_sub_u32_e32 v3, v34, v18
	v_readfirstlane_b32 s44, v54
	v_readfirstlane_b32 s45, v55
	s_nop 4
	global_store_byte v3, v10, s[44:45]
	s_or_b64 exec, exec, s[38:39]
	s_and_saveexec_b64 s[38:39], s[12:13]
	s_cbranch_execz .LBB245_164
.LBB245_231:
	v_sub_u32_e32 v3, v32, v18
	v_readfirstlane_b32 s44, v54
	v_readfirstlane_b32 s45, v55
	s_nop 4
	global_store_byte v3, v58, s[44:45]
	s_or_b64 exec, exec, s[38:39]
	s_and_saveexec_b64 s[38:39], s[10:11]
	s_cbranch_execz .LBB245_165
.LBB245_232:
	v_sub_u32_e32 v3, v30, v18
	v_readfirstlane_b32 s44, v54
	v_readfirstlane_b32 s45, v55
	s_nop 4
	global_store_byte v3, v57, s[44:45]
	s_or_b64 exec, exec, s[38:39]
	s_and_saveexec_b64 s[38:39], s[8:9]
	s_cbranch_execz .LBB245_166
.LBB245_233:
	v_sub_u32_e32 v3, v28, v18
	v_readfirstlane_b32 s44, v54
	v_readfirstlane_b32 s45, v55
	s_nop 4
	global_store_byte v3, v56, s[44:45]
	s_or_b64 exec, exec, s[38:39]
	s_and_saveexec_b64 s[38:39], s[6:7]
	s_cbranch_execz .LBB245_167
.LBB245_234:
	v_sub_u32_e32 v3, v26, v18
	v_readfirstlane_b32 s44, v54
	v_readfirstlane_b32 s45, v55
	s_nop 4
	global_store_byte v3, v21, s[44:45]
	s_or_b64 exec, exec, s[38:39]
	s_and_saveexec_b64 s[38:39], s[4:5]
	s_cbranch_execnz .LBB245_168
	s_branch .LBB245_169
.LBB245_235:
	v_sub_u32_e32 v2, v50, v18
	ds_write_b8 v2, v8
	s_or_b64 exec, exec, s[38:39]
	s_and_saveexec_b64 s[30:31], s[28:29]
	s_cbranch_execz .LBB245_173
.LBB245_236:
	v_sub_u32_e32 v2, v48, v18
	ds_write_b8 v2, v66
	s_or_b64 exec, exec, s[30:31]
	s_and_saveexec_b64 s[28:29], s[26:27]
	s_cbranch_execz .LBB245_174
.LBB245_237:
	v_sub_u32_e32 v2, v46, v18
	ds_write_b8 v2, v65
	s_or_b64 exec, exec, s[28:29]
	s_and_saveexec_b64 s[26:27], s[24:25]
	s_cbranch_execz .LBB245_175
.LBB245_238:
	v_sub_u32_e32 v2, v44, v18
	ds_write_b8 v2, v63
	s_or_b64 exec, exec, s[26:27]
	s_and_saveexec_b64 s[24:25], s[22:23]
	s_cbranch_execz .LBB245_176
.LBB245_239:
	v_sub_u32_e32 v2, v42, v18
	ds_write_b8 v2, v9
	s_or_b64 exec, exec, s[24:25]
	s_and_saveexec_b64 s[22:23], s[20:21]
	s_cbranch_execz .LBB245_177
.LBB245_240:
	v_sub_u32_e32 v2, v40, v18
	ds_write_b8 v2, v61
	s_or_b64 exec, exec, s[22:23]
	s_and_saveexec_b64 s[20:21], s[18:19]
	s_cbranch_execz .LBB245_178
.LBB245_241:
	v_sub_u32_e32 v2, v38, v18
	ds_write_b8 v2, v60
	s_or_b64 exec, exec, s[20:21]
	s_and_saveexec_b64 s[18:19], s[16:17]
	s_cbranch_execz .LBB245_179
.LBB245_242:
	v_sub_u32_e32 v2, v36, v18
	ds_write_b8 v2, v59
	s_or_b64 exec, exec, s[18:19]
	s_and_saveexec_b64 s[16:17], s[14:15]
	s_cbranch_execz .LBB245_180
.LBB245_243:
	v_sub_u32_e32 v2, v34, v18
	ds_write_b8 v2, v10
	s_or_b64 exec, exec, s[16:17]
	s_and_saveexec_b64 s[14:15], s[12:13]
	s_cbranch_execz .LBB245_181
.LBB245_244:
	v_sub_u32_e32 v2, v32, v18
	ds_write_b8 v2, v58
	s_or_b64 exec, exec, s[14:15]
	s_and_saveexec_b64 s[12:13], s[10:11]
	s_cbranch_execz .LBB245_182
.LBB245_245:
	v_sub_u32_e32 v2, v30, v18
	ds_write_b8 v2, v57
	s_or_b64 exec, exec, s[12:13]
	s_and_saveexec_b64 s[10:11], s[8:9]
	s_cbranch_execz .LBB245_183
.LBB245_246:
	v_sub_u32_e32 v2, v28, v18
	ds_write_b8 v2, v56
	s_or_b64 exec, exec, s[10:11]
	s_and_saveexec_b64 s[8:9], s[6:7]
	s_cbranch_execz .LBB245_184
.LBB245_247:
	v_sub_u32_e32 v2, v26, v18
	ds_write_b8 v2, v21
	s_or_b64 exec, exec, s[8:9]
	s_and_saveexec_b64 s[6:7], s[4:5]
	s_cbranch_execnz .LBB245_185
	s_branch .LBB245_186
.LBB245_248:
	v_sub_u32_e32 v14, v50, v12
	v_mov_b32_e32 v15, 0
	v_lshl_add_u64 v[54:55], v[14:15], 3, v[10:11]
	v_mov_b32_e32 v14, v51
	global_store_dwordx2 v[54:55], v[14:15], off
	s_or_b64 exec, exec, s[36:37]
	s_and_saveexec_b64 s[36:37], s[26:27]
	s_cbranch_execz .LBB245_190
.LBB245_249:
	v_sub_u32_e32 v14, v48, v12
	v_mov_b32_e32 v15, 0
	v_lshl_add_u64 v[54:55], v[14:15], 3, v[10:11]
	v_mov_b32_e32 v14, v49
	global_store_dwordx2 v[54:55], v[14:15], off
	s_or_b64 exec, exec, s[36:37]
	s_and_saveexec_b64 s[36:37], s[24:25]
	s_cbranch_execz .LBB245_191
.LBB245_250:
	v_sub_u32_e32 v14, v46, v12
	v_mov_b32_e32 v15, 0
	v_lshl_add_u64 v[54:55], v[14:15], 3, v[10:11]
	v_mov_b32_e32 v14, v47
	global_store_dwordx2 v[54:55], v[14:15], off
	s_or_b64 exec, exec, s[36:37]
	s_and_saveexec_b64 s[36:37], s[22:23]
	s_cbranch_execz .LBB245_192
.LBB245_251:
	v_sub_u32_e32 v14, v44, v12
	v_mov_b32_e32 v15, 0
	v_lshl_add_u64 v[54:55], v[14:15], 3, v[10:11]
	v_mov_b32_e32 v14, v45
	global_store_dwordx2 v[54:55], v[14:15], off
	s_or_b64 exec, exec, s[36:37]
	s_and_saveexec_b64 s[36:37], s[20:21]
	s_cbranch_execz .LBB245_193
.LBB245_252:
	v_sub_u32_e32 v14, v42, v12
	v_mov_b32_e32 v15, 0
	v_lshl_add_u64 v[54:55], v[14:15], 3, v[10:11]
	v_mov_b32_e32 v14, v43
	global_store_dwordx2 v[54:55], v[14:15], off
	s_or_b64 exec, exec, s[36:37]
	s_and_saveexec_b64 s[36:37], s[18:19]
	s_cbranch_execz .LBB245_194
.LBB245_253:
	v_sub_u32_e32 v14, v40, v12
	v_mov_b32_e32 v15, 0
	v_lshl_add_u64 v[54:55], v[14:15], 3, v[10:11]
	v_mov_b32_e32 v14, v41
	global_store_dwordx2 v[54:55], v[14:15], off
	s_or_b64 exec, exec, s[36:37]
	s_and_saveexec_b64 s[36:37], s[16:17]
	s_cbranch_execz .LBB245_195
.LBB245_254:
	v_sub_u32_e32 v14, v38, v12
	v_mov_b32_e32 v15, 0
	v_lshl_add_u64 v[54:55], v[14:15], 3, v[10:11]
	v_mov_b32_e32 v14, v39
	global_store_dwordx2 v[54:55], v[14:15], off
	s_or_b64 exec, exec, s[36:37]
	s_and_saveexec_b64 s[36:37], s[14:15]
	s_cbranch_execz .LBB245_196
.LBB245_255:
	v_sub_u32_e32 v14, v36, v12
	v_mov_b32_e32 v15, 0
	v_lshl_add_u64 v[54:55], v[14:15], 3, v[10:11]
	v_mov_b32_e32 v14, v37
	global_store_dwordx2 v[54:55], v[14:15], off
	s_or_b64 exec, exec, s[36:37]
	s_and_saveexec_b64 s[36:37], s[12:13]
	s_cbranch_execz .LBB245_197
.LBB245_256:
	v_sub_u32_e32 v14, v34, v12
	v_mov_b32_e32 v15, 0
	v_lshl_add_u64 v[54:55], v[14:15], 3, v[10:11]
	v_mov_b32_e32 v14, v35
	global_store_dwordx2 v[54:55], v[14:15], off
	s_or_b64 exec, exec, s[36:37]
	s_and_saveexec_b64 s[36:37], s[10:11]
	s_cbranch_execz .LBB245_198
.LBB245_257:
	v_sub_u32_e32 v14, v32, v12
	v_mov_b32_e32 v15, 0
	v_lshl_add_u64 v[54:55], v[14:15], 3, v[10:11]
	v_mov_b32_e32 v14, v33
	global_store_dwordx2 v[54:55], v[14:15], off
	s_or_b64 exec, exec, s[36:37]
	s_and_saveexec_b64 s[36:37], s[8:9]
	s_cbranch_execz .LBB245_199
.LBB245_258:
	v_sub_u32_e32 v14, v30, v12
	v_mov_b32_e32 v15, 0
	v_lshl_add_u64 v[54:55], v[14:15], 3, v[10:11]
	v_mov_b32_e32 v14, v31
	global_store_dwordx2 v[54:55], v[14:15], off
	s_or_b64 exec, exec, s[36:37]
	s_and_saveexec_b64 s[36:37], s[6:7]
	s_cbranch_execz .LBB245_200
.LBB245_259:
	v_sub_u32_e32 v14, v28, v12
	v_mov_b32_e32 v15, 0
	v_lshl_add_u64 v[54:55], v[14:15], 3, v[10:11]
	v_mov_b32_e32 v14, v29
	global_store_dwordx2 v[54:55], v[14:15], off
	s_or_b64 exec, exec, s[36:37]
	s_and_saveexec_b64 s[36:37], s[4:5]
	s_cbranch_execz .LBB245_201
.LBB245_260:
	v_sub_u32_e32 v14, v26, v12
	v_mov_b32_e32 v15, 0
	v_lshl_add_u64 v[54:55], v[14:15], 3, v[10:11]
	v_mov_b32_e32 v14, v27
	global_store_dwordx2 v[54:55], v[14:15], off
	s_or_b64 exec, exec, s[36:37]
	s_and_saveexec_b64 s[36:37], s[2:3]
	s_cbranch_execnz .LBB245_202
	s_branch .LBB245_203
.LBB245_261:
	v_sub_u32_e32 v10, v50, v12
	v_lshlrev_b32_e32 v10, 2, v10
	ds_write_b32 v10, v51
	s_or_b64 exec, exec, s[36:37]
	s_and_saveexec_b64 s[28:29], s[26:27]
	s_cbranch_execz .LBB245_207
.LBB245_262:
	v_sub_u32_e32 v10, v48, v12
	v_lshlrev_b32_e32 v10, 2, v10
	ds_write_b32 v10, v49
	s_or_b64 exec, exec, s[28:29]
	s_and_saveexec_b64 s[26:27], s[24:25]
	s_cbranch_execz .LBB245_208
.LBB245_263:
	v_sub_u32_e32 v10, v46, v12
	v_lshlrev_b32_e32 v10, 2, v10
	ds_write_b32 v10, v47
	s_or_b64 exec, exec, s[26:27]
	s_and_saveexec_b64 s[24:25], s[22:23]
	s_cbranch_execz .LBB245_209
.LBB245_264:
	v_sub_u32_e32 v10, v44, v12
	v_lshlrev_b32_e32 v10, 2, v10
	ds_write_b32 v10, v45
	s_or_b64 exec, exec, s[24:25]
	s_and_saveexec_b64 s[22:23], s[20:21]
	s_cbranch_execz .LBB245_210
.LBB245_265:
	v_sub_u32_e32 v10, v42, v12
	v_lshlrev_b32_e32 v10, 2, v10
	ds_write_b32 v10, v43
	s_or_b64 exec, exec, s[22:23]
	s_and_saveexec_b64 s[20:21], s[18:19]
	s_cbranch_execz .LBB245_211
.LBB245_266:
	v_sub_u32_e32 v10, v40, v12
	v_lshlrev_b32_e32 v10, 2, v10
	ds_write_b32 v10, v41
	s_or_b64 exec, exec, s[20:21]
	s_and_saveexec_b64 s[18:19], s[16:17]
	s_cbranch_execz .LBB245_212
.LBB245_267:
	v_sub_u32_e32 v10, v38, v12
	v_lshlrev_b32_e32 v10, 2, v10
	ds_write_b32 v10, v39
	s_or_b64 exec, exec, s[18:19]
	s_and_saveexec_b64 s[16:17], s[14:15]
	s_cbranch_execz .LBB245_213
.LBB245_268:
	v_sub_u32_e32 v10, v36, v12
	v_lshlrev_b32_e32 v10, 2, v10
	ds_write_b32 v10, v37
	s_or_b64 exec, exec, s[16:17]
	s_and_saveexec_b64 s[14:15], s[12:13]
	s_cbranch_execz .LBB245_214
.LBB245_269:
	v_sub_u32_e32 v10, v34, v12
	v_lshlrev_b32_e32 v10, 2, v10
	ds_write_b32 v10, v35
	s_or_b64 exec, exec, s[14:15]
	s_and_saveexec_b64 s[12:13], s[10:11]
	s_cbranch_execz .LBB245_215
.LBB245_270:
	v_sub_u32_e32 v10, v32, v12
	v_lshlrev_b32_e32 v10, 2, v10
	ds_write_b32 v10, v33
	s_or_b64 exec, exec, s[12:13]
	s_and_saveexec_b64 s[10:11], s[8:9]
	s_cbranch_execz .LBB245_216
.LBB245_271:
	v_sub_u32_e32 v10, v30, v12
	v_lshlrev_b32_e32 v10, 2, v10
	ds_write_b32 v10, v31
	s_or_b64 exec, exec, s[10:11]
	s_and_saveexec_b64 s[8:9], s[6:7]
	s_cbranch_execz .LBB245_217
.LBB245_272:
	v_sub_u32_e32 v10, v28, v12
	v_lshlrev_b32_e32 v10, 2, v10
	ds_write_b32 v10, v29
	s_or_b64 exec, exec, s[8:9]
	s_and_saveexec_b64 s[6:7], s[4:5]
	s_cbranch_execz .LBB245_218
.LBB245_273:
	v_sub_u32_e32 v10, v26, v12
	v_lshlrev_b32_e32 v10, 2, v10
	ds_write_b32 v10, v27
	s_or_b64 exec, exec, s[6:7]
	s_and_saveexec_b64 s[4:5], s[2:3]
	s_cbranch_execnz .LBB245_219
	s_branch .LBB245_220
	.section	.rodata,"a",@progbits
	.p2align	6, 0x0
	.amdhsa_kernel _ZN7rocprim17ROCPRIM_400000_NS6detail17trampoline_kernelINS0_14default_configENS1_33run_length_encode_config_selectorIajNS0_4plusIjEEEEZZNS1_33reduce_by_key_impl_wrapped_configILNS1_25lookback_scan_determinismE0ES3_S7_PKaNS0_17constant_iteratorIjlEEPaPlSF_S6_NS0_8equal_toIaEEEE10hipError_tPvRmT2_T3_mT4_T5_T6_T7_T8_P12ihipStream_tbENKUlT_T0_E_clISt17integral_constantIbLb1EESZ_EEDaSU_SV_EUlSU_E_NS1_11comp_targetILNS1_3genE5ELNS1_11target_archE942ELNS1_3gpuE9ELNS1_3repE0EEENS1_30default_config_static_selectorELNS0_4arch9wavefront6targetE1EEEvT1_
		.amdhsa_group_segment_fixed_size 30720
		.amdhsa_private_segment_fixed_size 0
		.amdhsa_kernarg_size 128
		.amdhsa_user_sgpr_count 2
		.amdhsa_user_sgpr_dispatch_ptr 0
		.amdhsa_user_sgpr_queue_ptr 0
		.amdhsa_user_sgpr_kernarg_segment_ptr 1
		.amdhsa_user_sgpr_dispatch_id 0
		.amdhsa_user_sgpr_kernarg_preload_length 0
		.amdhsa_user_sgpr_kernarg_preload_offset 0
		.amdhsa_user_sgpr_private_segment_size 0
		.amdhsa_uses_dynamic_stack 0
		.amdhsa_enable_private_segment 0
		.amdhsa_system_sgpr_workgroup_id_x 1
		.amdhsa_system_sgpr_workgroup_id_y 0
		.amdhsa_system_sgpr_workgroup_id_z 0
		.amdhsa_system_sgpr_workgroup_info 0
		.amdhsa_system_vgpr_workitem_id 0
		.amdhsa_next_free_vgpr 110
		.amdhsa_next_free_sgpr 66
		.amdhsa_accum_offset 112
		.amdhsa_reserve_vcc 1
		.amdhsa_float_round_mode_32 0
		.amdhsa_float_round_mode_16_64 0
		.amdhsa_float_denorm_mode_32 3
		.amdhsa_float_denorm_mode_16_64 3
		.amdhsa_dx10_clamp 1
		.amdhsa_ieee_mode 1
		.amdhsa_fp16_overflow 0
		.amdhsa_tg_split 0
		.amdhsa_exception_fp_ieee_invalid_op 0
		.amdhsa_exception_fp_denorm_src 0
		.amdhsa_exception_fp_ieee_div_zero 0
		.amdhsa_exception_fp_ieee_overflow 0
		.amdhsa_exception_fp_ieee_underflow 0
		.amdhsa_exception_fp_ieee_inexact 0
		.amdhsa_exception_int_div_zero 0
	.end_amdhsa_kernel
	.section	.text._ZN7rocprim17ROCPRIM_400000_NS6detail17trampoline_kernelINS0_14default_configENS1_33run_length_encode_config_selectorIajNS0_4plusIjEEEEZZNS1_33reduce_by_key_impl_wrapped_configILNS1_25lookback_scan_determinismE0ES3_S7_PKaNS0_17constant_iteratorIjlEEPaPlSF_S6_NS0_8equal_toIaEEEE10hipError_tPvRmT2_T3_mT4_T5_T6_T7_T8_P12ihipStream_tbENKUlT_T0_E_clISt17integral_constantIbLb1EESZ_EEDaSU_SV_EUlSU_E_NS1_11comp_targetILNS1_3genE5ELNS1_11target_archE942ELNS1_3gpuE9ELNS1_3repE0EEENS1_30default_config_static_selectorELNS0_4arch9wavefront6targetE1EEEvT1_,"axG",@progbits,_ZN7rocprim17ROCPRIM_400000_NS6detail17trampoline_kernelINS0_14default_configENS1_33run_length_encode_config_selectorIajNS0_4plusIjEEEEZZNS1_33reduce_by_key_impl_wrapped_configILNS1_25lookback_scan_determinismE0ES3_S7_PKaNS0_17constant_iteratorIjlEEPaPlSF_S6_NS0_8equal_toIaEEEE10hipError_tPvRmT2_T3_mT4_T5_T6_T7_T8_P12ihipStream_tbENKUlT_T0_E_clISt17integral_constantIbLb1EESZ_EEDaSU_SV_EUlSU_E_NS1_11comp_targetILNS1_3genE5ELNS1_11target_archE942ELNS1_3gpuE9ELNS1_3repE0EEENS1_30default_config_static_selectorELNS0_4arch9wavefront6targetE1EEEvT1_,comdat
.Lfunc_end245:
	.size	_ZN7rocprim17ROCPRIM_400000_NS6detail17trampoline_kernelINS0_14default_configENS1_33run_length_encode_config_selectorIajNS0_4plusIjEEEEZZNS1_33reduce_by_key_impl_wrapped_configILNS1_25lookback_scan_determinismE0ES3_S7_PKaNS0_17constant_iteratorIjlEEPaPlSF_S6_NS0_8equal_toIaEEEE10hipError_tPvRmT2_T3_mT4_T5_T6_T7_T8_P12ihipStream_tbENKUlT_T0_E_clISt17integral_constantIbLb1EESZ_EEDaSU_SV_EUlSU_E_NS1_11comp_targetILNS1_3genE5ELNS1_11target_archE942ELNS1_3gpuE9ELNS1_3repE0EEENS1_30default_config_static_selectorELNS0_4arch9wavefront6targetE1EEEvT1_, .Lfunc_end245-_ZN7rocprim17ROCPRIM_400000_NS6detail17trampoline_kernelINS0_14default_configENS1_33run_length_encode_config_selectorIajNS0_4plusIjEEEEZZNS1_33reduce_by_key_impl_wrapped_configILNS1_25lookback_scan_determinismE0ES3_S7_PKaNS0_17constant_iteratorIjlEEPaPlSF_S6_NS0_8equal_toIaEEEE10hipError_tPvRmT2_T3_mT4_T5_T6_T7_T8_P12ihipStream_tbENKUlT_T0_E_clISt17integral_constantIbLb1EESZ_EEDaSU_SV_EUlSU_E_NS1_11comp_targetILNS1_3genE5ELNS1_11target_archE942ELNS1_3gpuE9ELNS1_3repE0EEENS1_30default_config_static_selectorELNS0_4arch9wavefront6targetE1EEEvT1_
                                        ; -- End function
	.section	.AMDGPU.csdata,"",@progbits
; Kernel info:
; codeLenInByte = 15012
; NumSgprs: 72
; NumVgprs: 110
; NumAgprs: 0
; TotalNumVgprs: 110
; ScratchSize: 0
; MemoryBound: 0
; FloatMode: 240
; IeeeMode: 1
; LDSByteSize: 30720 bytes/workgroup (compile time only)
; SGPRBlocks: 8
; VGPRBlocks: 13
; NumSGPRsForWavesPerEU: 72
; NumVGPRsForWavesPerEU: 110
; AccumOffset: 112
; Occupancy: 4
; WaveLimiterHint : 1
; COMPUTE_PGM_RSRC2:SCRATCH_EN: 0
; COMPUTE_PGM_RSRC2:USER_SGPR: 2
; COMPUTE_PGM_RSRC2:TRAP_HANDLER: 0
; COMPUTE_PGM_RSRC2:TGID_X_EN: 1
; COMPUTE_PGM_RSRC2:TGID_Y_EN: 0
; COMPUTE_PGM_RSRC2:TGID_Z_EN: 0
; COMPUTE_PGM_RSRC2:TIDIG_COMP_CNT: 0
; COMPUTE_PGM_RSRC3_GFX90A:ACCUM_OFFSET: 27
; COMPUTE_PGM_RSRC3_GFX90A:TG_SPLIT: 0
	.section	.text._ZN7rocprim17ROCPRIM_400000_NS6detail17trampoline_kernelINS0_14default_configENS1_33run_length_encode_config_selectorIajNS0_4plusIjEEEEZZNS1_33reduce_by_key_impl_wrapped_configILNS1_25lookback_scan_determinismE0ES3_S7_PKaNS0_17constant_iteratorIjlEEPaPlSF_S6_NS0_8equal_toIaEEEE10hipError_tPvRmT2_T3_mT4_T5_T6_T7_T8_P12ihipStream_tbENKUlT_T0_E_clISt17integral_constantIbLb1EESZ_EEDaSU_SV_EUlSU_E_NS1_11comp_targetILNS1_3genE4ELNS1_11target_archE910ELNS1_3gpuE8ELNS1_3repE0EEENS1_30default_config_static_selectorELNS0_4arch9wavefront6targetE1EEEvT1_,"axG",@progbits,_ZN7rocprim17ROCPRIM_400000_NS6detail17trampoline_kernelINS0_14default_configENS1_33run_length_encode_config_selectorIajNS0_4plusIjEEEEZZNS1_33reduce_by_key_impl_wrapped_configILNS1_25lookback_scan_determinismE0ES3_S7_PKaNS0_17constant_iteratorIjlEEPaPlSF_S6_NS0_8equal_toIaEEEE10hipError_tPvRmT2_T3_mT4_T5_T6_T7_T8_P12ihipStream_tbENKUlT_T0_E_clISt17integral_constantIbLb1EESZ_EEDaSU_SV_EUlSU_E_NS1_11comp_targetILNS1_3genE4ELNS1_11target_archE910ELNS1_3gpuE8ELNS1_3repE0EEENS1_30default_config_static_selectorELNS0_4arch9wavefront6targetE1EEEvT1_,comdat
	.protected	_ZN7rocprim17ROCPRIM_400000_NS6detail17trampoline_kernelINS0_14default_configENS1_33run_length_encode_config_selectorIajNS0_4plusIjEEEEZZNS1_33reduce_by_key_impl_wrapped_configILNS1_25lookback_scan_determinismE0ES3_S7_PKaNS0_17constant_iteratorIjlEEPaPlSF_S6_NS0_8equal_toIaEEEE10hipError_tPvRmT2_T3_mT4_T5_T6_T7_T8_P12ihipStream_tbENKUlT_T0_E_clISt17integral_constantIbLb1EESZ_EEDaSU_SV_EUlSU_E_NS1_11comp_targetILNS1_3genE4ELNS1_11target_archE910ELNS1_3gpuE8ELNS1_3repE0EEENS1_30default_config_static_selectorELNS0_4arch9wavefront6targetE1EEEvT1_ ; -- Begin function _ZN7rocprim17ROCPRIM_400000_NS6detail17trampoline_kernelINS0_14default_configENS1_33run_length_encode_config_selectorIajNS0_4plusIjEEEEZZNS1_33reduce_by_key_impl_wrapped_configILNS1_25lookback_scan_determinismE0ES3_S7_PKaNS0_17constant_iteratorIjlEEPaPlSF_S6_NS0_8equal_toIaEEEE10hipError_tPvRmT2_T3_mT4_T5_T6_T7_T8_P12ihipStream_tbENKUlT_T0_E_clISt17integral_constantIbLb1EESZ_EEDaSU_SV_EUlSU_E_NS1_11comp_targetILNS1_3genE4ELNS1_11target_archE910ELNS1_3gpuE8ELNS1_3repE0EEENS1_30default_config_static_selectorELNS0_4arch9wavefront6targetE1EEEvT1_
	.globl	_ZN7rocprim17ROCPRIM_400000_NS6detail17trampoline_kernelINS0_14default_configENS1_33run_length_encode_config_selectorIajNS0_4plusIjEEEEZZNS1_33reduce_by_key_impl_wrapped_configILNS1_25lookback_scan_determinismE0ES3_S7_PKaNS0_17constant_iteratorIjlEEPaPlSF_S6_NS0_8equal_toIaEEEE10hipError_tPvRmT2_T3_mT4_T5_T6_T7_T8_P12ihipStream_tbENKUlT_T0_E_clISt17integral_constantIbLb1EESZ_EEDaSU_SV_EUlSU_E_NS1_11comp_targetILNS1_3genE4ELNS1_11target_archE910ELNS1_3gpuE8ELNS1_3repE0EEENS1_30default_config_static_selectorELNS0_4arch9wavefront6targetE1EEEvT1_
	.p2align	8
	.type	_ZN7rocprim17ROCPRIM_400000_NS6detail17trampoline_kernelINS0_14default_configENS1_33run_length_encode_config_selectorIajNS0_4plusIjEEEEZZNS1_33reduce_by_key_impl_wrapped_configILNS1_25lookback_scan_determinismE0ES3_S7_PKaNS0_17constant_iteratorIjlEEPaPlSF_S6_NS0_8equal_toIaEEEE10hipError_tPvRmT2_T3_mT4_T5_T6_T7_T8_P12ihipStream_tbENKUlT_T0_E_clISt17integral_constantIbLb1EESZ_EEDaSU_SV_EUlSU_E_NS1_11comp_targetILNS1_3genE4ELNS1_11target_archE910ELNS1_3gpuE8ELNS1_3repE0EEENS1_30default_config_static_selectorELNS0_4arch9wavefront6targetE1EEEvT1_,@function
_ZN7rocprim17ROCPRIM_400000_NS6detail17trampoline_kernelINS0_14default_configENS1_33run_length_encode_config_selectorIajNS0_4plusIjEEEEZZNS1_33reduce_by_key_impl_wrapped_configILNS1_25lookback_scan_determinismE0ES3_S7_PKaNS0_17constant_iteratorIjlEEPaPlSF_S6_NS0_8equal_toIaEEEE10hipError_tPvRmT2_T3_mT4_T5_T6_T7_T8_P12ihipStream_tbENKUlT_T0_E_clISt17integral_constantIbLb1EESZ_EEDaSU_SV_EUlSU_E_NS1_11comp_targetILNS1_3genE4ELNS1_11target_archE910ELNS1_3gpuE8ELNS1_3repE0EEENS1_30default_config_static_selectorELNS0_4arch9wavefront6targetE1EEEvT1_: ; @_ZN7rocprim17ROCPRIM_400000_NS6detail17trampoline_kernelINS0_14default_configENS1_33run_length_encode_config_selectorIajNS0_4plusIjEEEEZZNS1_33reduce_by_key_impl_wrapped_configILNS1_25lookback_scan_determinismE0ES3_S7_PKaNS0_17constant_iteratorIjlEEPaPlSF_S6_NS0_8equal_toIaEEEE10hipError_tPvRmT2_T3_mT4_T5_T6_T7_T8_P12ihipStream_tbENKUlT_T0_E_clISt17integral_constantIbLb1EESZ_EEDaSU_SV_EUlSU_E_NS1_11comp_targetILNS1_3genE4ELNS1_11target_archE910ELNS1_3gpuE8ELNS1_3repE0EEENS1_30default_config_static_selectorELNS0_4arch9wavefront6targetE1EEEvT1_
; %bb.0:
	.section	.rodata,"a",@progbits
	.p2align	6, 0x0
	.amdhsa_kernel _ZN7rocprim17ROCPRIM_400000_NS6detail17trampoline_kernelINS0_14default_configENS1_33run_length_encode_config_selectorIajNS0_4plusIjEEEEZZNS1_33reduce_by_key_impl_wrapped_configILNS1_25lookback_scan_determinismE0ES3_S7_PKaNS0_17constant_iteratorIjlEEPaPlSF_S6_NS0_8equal_toIaEEEE10hipError_tPvRmT2_T3_mT4_T5_T6_T7_T8_P12ihipStream_tbENKUlT_T0_E_clISt17integral_constantIbLb1EESZ_EEDaSU_SV_EUlSU_E_NS1_11comp_targetILNS1_3genE4ELNS1_11target_archE910ELNS1_3gpuE8ELNS1_3repE0EEENS1_30default_config_static_selectorELNS0_4arch9wavefront6targetE1EEEvT1_
		.amdhsa_group_segment_fixed_size 0
		.amdhsa_private_segment_fixed_size 0
		.amdhsa_kernarg_size 128
		.amdhsa_user_sgpr_count 2
		.amdhsa_user_sgpr_dispatch_ptr 0
		.amdhsa_user_sgpr_queue_ptr 0
		.amdhsa_user_sgpr_kernarg_segment_ptr 1
		.amdhsa_user_sgpr_dispatch_id 0
		.amdhsa_user_sgpr_kernarg_preload_length 0
		.amdhsa_user_sgpr_kernarg_preload_offset 0
		.amdhsa_user_sgpr_private_segment_size 0
		.amdhsa_uses_dynamic_stack 0
		.amdhsa_enable_private_segment 0
		.amdhsa_system_sgpr_workgroup_id_x 1
		.amdhsa_system_sgpr_workgroup_id_y 0
		.amdhsa_system_sgpr_workgroup_id_z 0
		.amdhsa_system_sgpr_workgroup_info 0
		.amdhsa_system_vgpr_workitem_id 0
		.amdhsa_next_free_vgpr 1
		.amdhsa_next_free_sgpr 0
		.amdhsa_accum_offset 4
		.amdhsa_reserve_vcc 0
		.amdhsa_float_round_mode_32 0
		.amdhsa_float_round_mode_16_64 0
		.amdhsa_float_denorm_mode_32 3
		.amdhsa_float_denorm_mode_16_64 3
		.amdhsa_dx10_clamp 1
		.amdhsa_ieee_mode 1
		.amdhsa_fp16_overflow 0
		.amdhsa_tg_split 0
		.amdhsa_exception_fp_ieee_invalid_op 0
		.amdhsa_exception_fp_denorm_src 0
		.amdhsa_exception_fp_ieee_div_zero 0
		.amdhsa_exception_fp_ieee_overflow 0
		.amdhsa_exception_fp_ieee_underflow 0
		.amdhsa_exception_fp_ieee_inexact 0
		.amdhsa_exception_int_div_zero 0
	.end_amdhsa_kernel
	.section	.text._ZN7rocprim17ROCPRIM_400000_NS6detail17trampoline_kernelINS0_14default_configENS1_33run_length_encode_config_selectorIajNS0_4plusIjEEEEZZNS1_33reduce_by_key_impl_wrapped_configILNS1_25lookback_scan_determinismE0ES3_S7_PKaNS0_17constant_iteratorIjlEEPaPlSF_S6_NS0_8equal_toIaEEEE10hipError_tPvRmT2_T3_mT4_T5_T6_T7_T8_P12ihipStream_tbENKUlT_T0_E_clISt17integral_constantIbLb1EESZ_EEDaSU_SV_EUlSU_E_NS1_11comp_targetILNS1_3genE4ELNS1_11target_archE910ELNS1_3gpuE8ELNS1_3repE0EEENS1_30default_config_static_selectorELNS0_4arch9wavefront6targetE1EEEvT1_,"axG",@progbits,_ZN7rocprim17ROCPRIM_400000_NS6detail17trampoline_kernelINS0_14default_configENS1_33run_length_encode_config_selectorIajNS0_4plusIjEEEEZZNS1_33reduce_by_key_impl_wrapped_configILNS1_25lookback_scan_determinismE0ES3_S7_PKaNS0_17constant_iteratorIjlEEPaPlSF_S6_NS0_8equal_toIaEEEE10hipError_tPvRmT2_T3_mT4_T5_T6_T7_T8_P12ihipStream_tbENKUlT_T0_E_clISt17integral_constantIbLb1EESZ_EEDaSU_SV_EUlSU_E_NS1_11comp_targetILNS1_3genE4ELNS1_11target_archE910ELNS1_3gpuE8ELNS1_3repE0EEENS1_30default_config_static_selectorELNS0_4arch9wavefront6targetE1EEEvT1_,comdat
.Lfunc_end246:
	.size	_ZN7rocprim17ROCPRIM_400000_NS6detail17trampoline_kernelINS0_14default_configENS1_33run_length_encode_config_selectorIajNS0_4plusIjEEEEZZNS1_33reduce_by_key_impl_wrapped_configILNS1_25lookback_scan_determinismE0ES3_S7_PKaNS0_17constant_iteratorIjlEEPaPlSF_S6_NS0_8equal_toIaEEEE10hipError_tPvRmT2_T3_mT4_T5_T6_T7_T8_P12ihipStream_tbENKUlT_T0_E_clISt17integral_constantIbLb1EESZ_EEDaSU_SV_EUlSU_E_NS1_11comp_targetILNS1_3genE4ELNS1_11target_archE910ELNS1_3gpuE8ELNS1_3repE0EEENS1_30default_config_static_selectorELNS0_4arch9wavefront6targetE1EEEvT1_, .Lfunc_end246-_ZN7rocprim17ROCPRIM_400000_NS6detail17trampoline_kernelINS0_14default_configENS1_33run_length_encode_config_selectorIajNS0_4plusIjEEEEZZNS1_33reduce_by_key_impl_wrapped_configILNS1_25lookback_scan_determinismE0ES3_S7_PKaNS0_17constant_iteratorIjlEEPaPlSF_S6_NS0_8equal_toIaEEEE10hipError_tPvRmT2_T3_mT4_T5_T6_T7_T8_P12ihipStream_tbENKUlT_T0_E_clISt17integral_constantIbLb1EESZ_EEDaSU_SV_EUlSU_E_NS1_11comp_targetILNS1_3genE4ELNS1_11target_archE910ELNS1_3gpuE8ELNS1_3repE0EEENS1_30default_config_static_selectorELNS0_4arch9wavefront6targetE1EEEvT1_
                                        ; -- End function
	.section	.AMDGPU.csdata,"",@progbits
; Kernel info:
; codeLenInByte = 0
; NumSgprs: 6
; NumVgprs: 0
; NumAgprs: 0
; TotalNumVgprs: 0
; ScratchSize: 0
; MemoryBound: 0
; FloatMode: 240
; IeeeMode: 1
; LDSByteSize: 0 bytes/workgroup (compile time only)
; SGPRBlocks: 0
; VGPRBlocks: 0
; NumSGPRsForWavesPerEU: 6
; NumVGPRsForWavesPerEU: 1
; AccumOffset: 4
; Occupancy: 8
; WaveLimiterHint : 0
; COMPUTE_PGM_RSRC2:SCRATCH_EN: 0
; COMPUTE_PGM_RSRC2:USER_SGPR: 2
; COMPUTE_PGM_RSRC2:TRAP_HANDLER: 0
; COMPUTE_PGM_RSRC2:TGID_X_EN: 1
; COMPUTE_PGM_RSRC2:TGID_Y_EN: 0
; COMPUTE_PGM_RSRC2:TGID_Z_EN: 0
; COMPUTE_PGM_RSRC2:TIDIG_COMP_CNT: 0
; COMPUTE_PGM_RSRC3_GFX90A:ACCUM_OFFSET: 0
; COMPUTE_PGM_RSRC3_GFX90A:TG_SPLIT: 0
	.section	.text._ZN7rocprim17ROCPRIM_400000_NS6detail17trampoline_kernelINS0_14default_configENS1_33run_length_encode_config_selectorIajNS0_4plusIjEEEEZZNS1_33reduce_by_key_impl_wrapped_configILNS1_25lookback_scan_determinismE0ES3_S7_PKaNS0_17constant_iteratorIjlEEPaPlSF_S6_NS0_8equal_toIaEEEE10hipError_tPvRmT2_T3_mT4_T5_T6_T7_T8_P12ihipStream_tbENKUlT_T0_E_clISt17integral_constantIbLb1EESZ_EEDaSU_SV_EUlSU_E_NS1_11comp_targetILNS1_3genE3ELNS1_11target_archE908ELNS1_3gpuE7ELNS1_3repE0EEENS1_30default_config_static_selectorELNS0_4arch9wavefront6targetE1EEEvT1_,"axG",@progbits,_ZN7rocprim17ROCPRIM_400000_NS6detail17trampoline_kernelINS0_14default_configENS1_33run_length_encode_config_selectorIajNS0_4plusIjEEEEZZNS1_33reduce_by_key_impl_wrapped_configILNS1_25lookback_scan_determinismE0ES3_S7_PKaNS0_17constant_iteratorIjlEEPaPlSF_S6_NS0_8equal_toIaEEEE10hipError_tPvRmT2_T3_mT4_T5_T6_T7_T8_P12ihipStream_tbENKUlT_T0_E_clISt17integral_constantIbLb1EESZ_EEDaSU_SV_EUlSU_E_NS1_11comp_targetILNS1_3genE3ELNS1_11target_archE908ELNS1_3gpuE7ELNS1_3repE0EEENS1_30default_config_static_selectorELNS0_4arch9wavefront6targetE1EEEvT1_,comdat
	.protected	_ZN7rocprim17ROCPRIM_400000_NS6detail17trampoline_kernelINS0_14default_configENS1_33run_length_encode_config_selectorIajNS0_4plusIjEEEEZZNS1_33reduce_by_key_impl_wrapped_configILNS1_25lookback_scan_determinismE0ES3_S7_PKaNS0_17constant_iteratorIjlEEPaPlSF_S6_NS0_8equal_toIaEEEE10hipError_tPvRmT2_T3_mT4_T5_T6_T7_T8_P12ihipStream_tbENKUlT_T0_E_clISt17integral_constantIbLb1EESZ_EEDaSU_SV_EUlSU_E_NS1_11comp_targetILNS1_3genE3ELNS1_11target_archE908ELNS1_3gpuE7ELNS1_3repE0EEENS1_30default_config_static_selectorELNS0_4arch9wavefront6targetE1EEEvT1_ ; -- Begin function _ZN7rocprim17ROCPRIM_400000_NS6detail17trampoline_kernelINS0_14default_configENS1_33run_length_encode_config_selectorIajNS0_4plusIjEEEEZZNS1_33reduce_by_key_impl_wrapped_configILNS1_25lookback_scan_determinismE0ES3_S7_PKaNS0_17constant_iteratorIjlEEPaPlSF_S6_NS0_8equal_toIaEEEE10hipError_tPvRmT2_T3_mT4_T5_T6_T7_T8_P12ihipStream_tbENKUlT_T0_E_clISt17integral_constantIbLb1EESZ_EEDaSU_SV_EUlSU_E_NS1_11comp_targetILNS1_3genE3ELNS1_11target_archE908ELNS1_3gpuE7ELNS1_3repE0EEENS1_30default_config_static_selectorELNS0_4arch9wavefront6targetE1EEEvT1_
	.globl	_ZN7rocprim17ROCPRIM_400000_NS6detail17trampoline_kernelINS0_14default_configENS1_33run_length_encode_config_selectorIajNS0_4plusIjEEEEZZNS1_33reduce_by_key_impl_wrapped_configILNS1_25lookback_scan_determinismE0ES3_S7_PKaNS0_17constant_iteratorIjlEEPaPlSF_S6_NS0_8equal_toIaEEEE10hipError_tPvRmT2_T3_mT4_T5_T6_T7_T8_P12ihipStream_tbENKUlT_T0_E_clISt17integral_constantIbLb1EESZ_EEDaSU_SV_EUlSU_E_NS1_11comp_targetILNS1_3genE3ELNS1_11target_archE908ELNS1_3gpuE7ELNS1_3repE0EEENS1_30default_config_static_selectorELNS0_4arch9wavefront6targetE1EEEvT1_
	.p2align	8
	.type	_ZN7rocprim17ROCPRIM_400000_NS6detail17trampoline_kernelINS0_14default_configENS1_33run_length_encode_config_selectorIajNS0_4plusIjEEEEZZNS1_33reduce_by_key_impl_wrapped_configILNS1_25lookback_scan_determinismE0ES3_S7_PKaNS0_17constant_iteratorIjlEEPaPlSF_S6_NS0_8equal_toIaEEEE10hipError_tPvRmT2_T3_mT4_T5_T6_T7_T8_P12ihipStream_tbENKUlT_T0_E_clISt17integral_constantIbLb1EESZ_EEDaSU_SV_EUlSU_E_NS1_11comp_targetILNS1_3genE3ELNS1_11target_archE908ELNS1_3gpuE7ELNS1_3repE0EEENS1_30default_config_static_selectorELNS0_4arch9wavefront6targetE1EEEvT1_,@function
_ZN7rocprim17ROCPRIM_400000_NS6detail17trampoline_kernelINS0_14default_configENS1_33run_length_encode_config_selectorIajNS0_4plusIjEEEEZZNS1_33reduce_by_key_impl_wrapped_configILNS1_25lookback_scan_determinismE0ES3_S7_PKaNS0_17constant_iteratorIjlEEPaPlSF_S6_NS0_8equal_toIaEEEE10hipError_tPvRmT2_T3_mT4_T5_T6_T7_T8_P12ihipStream_tbENKUlT_T0_E_clISt17integral_constantIbLb1EESZ_EEDaSU_SV_EUlSU_E_NS1_11comp_targetILNS1_3genE3ELNS1_11target_archE908ELNS1_3gpuE7ELNS1_3repE0EEENS1_30default_config_static_selectorELNS0_4arch9wavefront6targetE1EEEvT1_: ; @_ZN7rocprim17ROCPRIM_400000_NS6detail17trampoline_kernelINS0_14default_configENS1_33run_length_encode_config_selectorIajNS0_4plusIjEEEEZZNS1_33reduce_by_key_impl_wrapped_configILNS1_25lookback_scan_determinismE0ES3_S7_PKaNS0_17constant_iteratorIjlEEPaPlSF_S6_NS0_8equal_toIaEEEE10hipError_tPvRmT2_T3_mT4_T5_T6_T7_T8_P12ihipStream_tbENKUlT_T0_E_clISt17integral_constantIbLb1EESZ_EEDaSU_SV_EUlSU_E_NS1_11comp_targetILNS1_3genE3ELNS1_11target_archE908ELNS1_3gpuE7ELNS1_3repE0EEENS1_30default_config_static_selectorELNS0_4arch9wavefront6targetE1EEEvT1_
; %bb.0:
	.section	.rodata,"a",@progbits
	.p2align	6, 0x0
	.amdhsa_kernel _ZN7rocprim17ROCPRIM_400000_NS6detail17trampoline_kernelINS0_14default_configENS1_33run_length_encode_config_selectorIajNS0_4plusIjEEEEZZNS1_33reduce_by_key_impl_wrapped_configILNS1_25lookback_scan_determinismE0ES3_S7_PKaNS0_17constant_iteratorIjlEEPaPlSF_S6_NS0_8equal_toIaEEEE10hipError_tPvRmT2_T3_mT4_T5_T6_T7_T8_P12ihipStream_tbENKUlT_T0_E_clISt17integral_constantIbLb1EESZ_EEDaSU_SV_EUlSU_E_NS1_11comp_targetILNS1_3genE3ELNS1_11target_archE908ELNS1_3gpuE7ELNS1_3repE0EEENS1_30default_config_static_selectorELNS0_4arch9wavefront6targetE1EEEvT1_
		.amdhsa_group_segment_fixed_size 0
		.amdhsa_private_segment_fixed_size 0
		.amdhsa_kernarg_size 128
		.amdhsa_user_sgpr_count 2
		.amdhsa_user_sgpr_dispatch_ptr 0
		.amdhsa_user_sgpr_queue_ptr 0
		.amdhsa_user_sgpr_kernarg_segment_ptr 1
		.amdhsa_user_sgpr_dispatch_id 0
		.amdhsa_user_sgpr_kernarg_preload_length 0
		.amdhsa_user_sgpr_kernarg_preload_offset 0
		.amdhsa_user_sgpr_private_segment_size 0
		.amdhsa_uses_dynamic_stack 0
		.amdhsa_enable_private_segment 0
		.amdhsa_system_sgpr_workgroup_id_x 1
		.amdhsa_system_sgpr_workgroup_id_y 0
		.amdhsa_system_sgpr_workgroup_id_z 0
		.amdhsa_system_sgpr_workgroup_info 0
		.amdhsa_system_vgpr_workitem_id 0
		.amdhsa_next_free_vgpr 1
		.amdhsa_next_free_sgpr 0
		.amdhsa_accum_offset 4
		.amdhsa_reserve_vcc 0
		.amdhsa_float_round_mode_32 0
		.amdhsa_float_round_mode_16_64 0
		.amdhsa_float_denorm_mode_32 3
		.amdhsa_float_denorm_mode_16_64 3
		.amdhsa_dx10_clamp 1
		.amdhsa_ieee_mode 1
		.amdhsa_fp16_overflow 0
		.amdhsa_tg_split 0
		.amdhsa_exception_fp_ieee_invalid_op 0
		.amdhsa_exception_fp_denorm_src 0
		.amdhsa_exception_fp_ieee_div_zero 0
		.amdhsa_exception_fp_ieee_overflow 0
		.amdhsa_exception_fp_ieee_underflow 0
		.amdhsa_exception_fp_ieee_inexact 0
		.amdhsa_exception_int_div_zero 0
	.end_amdhsa_kernel
	.section	.text._ZN7rocprim17ROCPRIM_400000_NS6detail17trampoline_kernelINS0_14default_configENS1_33run_length_encode_config_selectorIajNS0_4plusIjEEEEZZNS1_33reduce_by_key_impl_wrapped_configILNS1_25lookback_scan_determinismE0ES3_S7_PKaNS0_17constant_iteratorIjlEEPaPlSF_S6_NS0_8equal_toIaEEEE10hipError_tPvRmT2_T3_mT4_T5_T6_T7_T8_P12ihipStream_tbENKUlT_T0_E_clISt17integral_constantIbLb1EESZ_EEDaSU_SV_EUlSU_E_NS1_11comp_targetILNS1_3genE3ELNS1_11target_archE908ELNS1_3gpuE7ELNS1_3repE0EEENS1_30default_config_static_selectorELNS0_4arch9wavefront6targetE1EEEvT1_,"axG",@progbits,_ZN7rocprim17ROCPRIM_400000_NS6detail17trampoline_kernelINS0_14default_configENS1_33run_length_encode_config_selectorIajNS0_4plusIjEEEEZZNS1_33reduce_by_key_impl_wrapped_configILNS1_25lookback_scan_determinismE0ES3_S7_PKaNS0_17constant_iteratorIjlEEPaPlSF_S6_NS0_8equal_toIaEEEE10hipError_tPvRmT2_T3_mT4_T5_T6_T7_T8_P12ihipStream_tbENKUlT_T0_E_clISt17integral_constantIbLb1EESZ_EEDaSU_SV_EUlSU_E_NS1_11comp_targetILNS1_3genE3ELNS1_11target_archE908ELNS1_3gpuE7ELNS1_3repE0EEENS1_30default_config_static_selectorELNS0_4arch9wavefront6targetE1EEEvT1_,comdat
.Lfunc_end247:
	.size	_ZN7rocprim17ROCPRIM_400000_NS6detail17trampoline_kernelINS0_14default_configENS1_33run_length_encode_config_selectorIajNS0_4plusIjEEEEZZNS1_33reduce_by_key_impl_wrapped_configILNS1_25lookback_scan_determinismE0ES3_S7_PKaNS0_17constant_iteratorIjlEEPaPlSF_S6_NS0_8equal_toIaEEEE10hipError_tPvRmT2_T3_mT4_T5_T6_T7_T8_P12ihipStream_tbENKUlT_T0_E_clISt17integral_constantIbLb1EESZ_EEDaSU_SV_EUlSU_E_NS1_11comp_targetILNS1_3genE3ELNS1_11target_archE908ELNS1_3gpuE7ELNS1_3repE0EEENS1_30default_config_static_selectorELNS0_4arch9wavefront6targetE1EEEvT1_, .Lfunc_end247-_ZN7rocprim17ROCPRIM_400000_NS6detail17trampoline_kernelINS0_14default_configENS1_33run_length_encode_config_selectorIajNS0_4plusIjEEEEZZNS1_33reduce_by_key_impl_wrapped_configILNS1_25lookback_scan_determinismE0ES3_S7_PKaNS0_17constant_iteratorIjlEEPaPlSF_S6_NS0_8equal_toIaEEEE10hipError_tPvRmT2_T3_mT4_T5_T6_T7_T8_P12ihipStream_tbENKUlT_T0_E_clISt17integral_constantIbLb1EESZ_EEDaSU_SV_EUlSU_E_NS1_11comp_targetILNS1_3genE3ELNS1_11target_archE908ELNS1_3gpuE7ELNS1_3repE0EEENS1_30default_config_static_selectorELNS0_4arch9wavefront6targetE1EEEvT1_
                                        ; -- End function
	.section	.AMDGPU.csdata,"",@progbits
; Kernel info:
; codeLenInByte = 0
; NumSgprs: 6
; NumVgprs: 0
; NumAgprs: 0
; TotalNumVgprs: 0
; ScratchSize: 0
; MemoryBound: 0
; FloatMode: 240
; IeeeMode: 1
; LDSByteSize: 0 bytes/workgroup (compile time only)
; SGPRBlocks: 0
; VGPRBlocks: 0
; NumSGPRsForWavesPerEU: 6
; NumVGPRsForWavesPerEU: 1
; AccumOffset: 4
; Occupancy: 8
; WaveLimiterHint : 0
; COMPUTE_PGM_RSRC2:SCRATCH_EN: 0
; COMPUTE_PGM_RSRC2:USER_SGPR: 2
; COMPUTE_PGM_RSRC2:TRAP_HANDLER: 0
; COMPUTE_PGM_RSRC2:TGID_X_EN: 1
; COMPUTE_PGM_RSRC2:TGID_Y_EN: 0
; COMPUTE_PGM_RSRC2:TGID_Z_EN: 0
; COMPUTE_PGM_RSRC2:TIDIG_COMP_CNT: 0
; COMPUTE_PGM_RSRC3_GFX90A:ACCUM_OFFSET: 0
; COMPUTE_PGM_RSRC3_GFX90A:TG_SPLIT: 0
	.section	.text._ZN7rocprim17ROCPRIM_400000_NS6detail17trampoline_kernelINS0_14default_configENS1_33run_length_encode_config_selectorIajNS0_4plusIjEEEEZZNS1_33reduce_by_key_impl_wrapped_configILNS1_25lookback_scan_determinismE0ES3_S7_PKaNS0_17constant_iteratorIjlEEPaPlSF_S6_NS0_8equal_toIaEEEE10hipError_tPvRmT2_T3_mT4_T5_T6_T7_T8_P12ihipStream_tbENKUlT_T0_E_clISt17integral_constantIbLb1EESZ_EEDaSU_SV_EUlSU_E_NS1_11comp_targetILNS1_3genE2ELNS1_11target_archE906ELNS1_3gpuE6ELNS1_3repE0EEENS1_30default_config_static_selectorELNS0_4arch9wavefront6targetE1EEEvT1_,"axG",@progbits,_ZN7rocprim17ROCPRIM_400000_NS6detail17trampoline_kernelINS0_14default_configENS1_33run_length_encode_config_selectorIajNS0_4plusIjEEEEZZNS1_33reduce_by_key_impl_wrapped_configILNS1_25lookback_scan_determinismE0ES3_S7_PKaNS0_17constant_iteratorIjlEEPaPlSF_S6_NS0_8equal_toIaEEEE10hipError_tPvRmT2_T3_mT4_T5_T6_T7_T8_P12ihipStream_tbENKUlT_T0_E_clISt17integral_constantIbLb1EESZ_EEDaSU_SV_EUlSU_E_NS1_11comp_targetILNS1_3genE2ELNS1_11target_archE906ELNS1_3gpuE6ELNS1_3repE0EEENS1_30default_config_static_selectorELNS0_4arch9wavefront6targetE1EEEvT1_,comdat
	.protected	_ZN7rocprim17ROCPRIM_400000_NS6detail17trampoline_kernelINS0_14default_configENS1_33run_length_encode_config_selectorIajNS0_4plusIjEEEEZZNS1_33reduce_by_key_impl_wrapped_configILNS1_25lookback_scan_determinismE0ES3_S7_PKaNS0_17constant_iteratorIjlEEPaPlSF_S6_NS0_8equal_toIaEEEE10hipError_tPvRmT2_T3_mT4_T5_T6_T7_T8_P12ihipStream_tbENKUlT_T0_E_clISt17integral_constantIbLb1EESZ_EEDaSU_SV_EUlSU_E_NS1_11comp_targetILNS1_3genE2ELNS1_11target_archE906ELNS1_3gpuE6ELNS1_3repE0EEENS1_30default_config_static_selectorELNS0_4arch9wavefront6targetE1EEEvT1_ ; -- Begin function _ZN7rocprim17ROCPRIM_400000_NS6detail17trampoline_kernelINS0_14default_configENS1_33run_length_encode_config_selectorIajNS0_4plusIjEEEEZZNS1_33reduce_by_key_impl_wrapped_configILNS1_25lookback_scan_determinismE0ES3_S7_PKaNS0_17constant_iteratorIjlEEPaPlSF_S6_NS0_8equal_toIaEEEE10hipError_tPvRmT2_T3_mT4_T5_T6_T7_T8_P12ihipStream_tbENKUlT_T0_E_clISt17integral_constantIbLb1EESZ_EEDaSU_SV_EUlSU_E_NS1_11comp_targetILNS1_3genE2ELNS1_11target_archE906ELNS1_3gpuE6ELNS1_3repE0EEENS1_30default_config_static_selectorELNS0_4arch9wavefront6targetE1EEEvT1_
	.globl	_ZN7rocprim17ROCPRIM_400000_NS6detail17trampoline_kernelINS0_14default_configENS1_33run_length_encode_config_selectorIajNS0_4plusIjEEEEZZNS1_33reduce_by_key_impl_wrapped_configILNS1_25lookback_scan_determinismE0ES3_S7_PKaNS0_17constant_iteratorIjlEEPaPlSF_S6_NS0_8equal_toIaEEEE10hipError_tPvRmT2_T3_mT4_T5_T6_T7_T8_P12ihipStream_tbENKUlT_T0_E_clISt17integral_constantIbLb1EESZ_EEDaSU_SV_EUlSU_E_NS1_11comp_targetILNS1_3genE2ELNS1_11target_archE906ELNS1_3gpuE6ELNS1_3repE0EEENS1_30default_config_static_selectorELNS0_4arch9wavefront6targetE1EEEvT1_
	.p2align	8
	.type	_ZN7rocprim17ROCPRIM_400000_NS6detail17trampoline_kernelINS0_14default_configENS1_33run_length_encode_config_selectorIajNS0_4plusIjEEEEZZNS1_33reduce_by_key_impl_wrapped_configILNS1_25lookback_scan_determinismE0ES3_S7_PKaNS0_17constant_iteratorIjlEEPaPlSF_S6_NS0_8equal_toIaEEEE10hipError_tPvRmT2_T3_mT4_T5_T6_T7_T8_P12ihipStream_tbENKUlT_T0_E_clISt17integral_constantIbLb1EESZ_EEDaSU_SV_EUlSU_E_NS1_11comp_targetILNS1_3genE2ELNS1_11target_archE906ELNS1_3gpuE6ELNS1_3repE0EEENS1_30default_config_static_selectorELNS0_4arch9wavefront6targetE1EEEvT1_,@function
_ZN7rocprim17ROCPRIM_400000_NS6detail17trampoline_kernelINS0_14default_configENS1_33run_length_encode_config_selectorIajNS0_4plusIjEEEEZZNS1_33reduce_by_key_impl_wrapped_configILNS1_25lookback_scan_determinismE0ES3_S7_PKaNS0_17constant_iteratorIjlEEPaPlSF_S6_NS0_8equal_toIaEEEE10hipError_tPvRmT2_T3_mT4_T5_T6_T7_T8_P12ihipStream_tbENKUlT_T0_E_clISt17integral_constantIbLb1EESZ_EEDaSU_SV_EUlSU_E_NS1_11comp_targetILNS1_3genE2ELNS1_11target_archE906ELNS1_3gpuE6ELNS1_3repE0EEENS1_30default_config_static_selectorELNS0_4arch9wavefront6targetE1EEEvT1_: ; @_ZN7rocprim17ROCPRIM_400000_NS6detail17trampoline_kernelINS0_14default_configENS1_33run_length_encode_config_selectorIajNS0_4plusIjEEEEZZNS1_33reduce_by_key_impl_wrapped_configILNS1_25lookback_scan_determinismE0ES3_S7_PKaNS0_17constant_iteratorIjlEEPaPlSF_S6_NS0_8equal_toIaEEEE10hipError_tPvRmT2_T3_mT4_T5_T6_T7_T8_P12ihipStream_tbENKUlT_T0_E_clISt17integral_constantIbLb1EESZ_EEDaSU_SV_EUlSU_E_NS1_11comp_targetILNS1_3genE2ELNS1_11target_archE906ELNS1_3gpuE6ELNS1_3repE0EEENS1_30default_config_static_selectorELNS0_4arch9wavefront6targetE1EEEvT1_
; %bb.0:
	.section	.rodata,"a",@progbits
	.p2align	6, 0x0
	.amdhsa_kernel _ZN7rocprim17ROCPRIM_400000_NS6detail17trampoline_kernelINS0_14default_configENS1_33run_length_encode_config_selectorIajNS0_4plusIjEEEEZZNS1_33reduce_by_key_impl_wrapped_configILNS1_25lookback_scan_determinismE0ES3_S7_PKaNS0_17constant_iteratorIjlEEPaPlSF_S6_NS0_8equal_toIaEEEE10hipError_tPvRmT2_T3_mT4_T5_T6_T7_T8_P12ihipStream_tbENKUlT_T0_E_clISt17integral_constantIbLb1EESZ_EEDaSU_SV_EUlSU_E_NS1_11comp_targetILNS1_3genE2ELNS1_11target_archE906ELNS1_3gpuE6ELNS1_3repE0EEENS1_30default_config_static_selectorELNS0_4arch9wavefront6targetE1EEEvT1_
		.amdhsa_group_segment_fixed_size 0
		.amdhsa_private_segment_fixed_size 0
		.amdhsa_kernarg_size 128
		.amdhsa_user_sgpr_count 2
		.amdhsa_user_sgpr_dispatch_ptr 0
		.amdhsa_user_sgpr_queue_ptr 0
		.amdhsa_user_sgpr_kernarg_segment_ptr 1
		.amdhsa_user_sgpr_dispatch_id 0
		.amdhsa_user_sgpr_kernarg_preload_length 0
		.amdhsa_user_sgpr_kernarg_preload_offset 0
		.amdhsa_user_sgpr_private_segment_size 0
		.amdhsa_uses_dynamic_stack 0
		.amdhsa_enable_private_segment 0
		.amdhsa_system_sgpr_workgroup_id_x 1
		.amdhsa_system_sgpr_workgroup_id_y 0
		.amdhsa_system_sgpr_workgroup_id_z 0
		.amdhsa_system_sgpr_workgroup_info 0
		.amdhsa_system_vgpr_workitem_id 0
		.amdhsa_next_free_vgpr 1
		.amdhsa_next_free_sgpr 0
		.amdhsa_accum_offset 4
		.amdhsa_reserve_vcc 0
		.amdhsa_float_round_mode_32 0
		.amdhsa_float_round_mode_16_64 0
		.amdhsa_float_denorm_mode_32 3
		.amdhsa_float_denorm_mode_16_64 3
		.amdhsa_dx10_clamp 1
		.amdhsa_ieee_mode 1
		.amdhsa_fp16_overflow 0
		.amdhsa_tg_split 0
		.amdhsa_exception_fp_ieee_invalid_op 0
		.amdhsa_exception_fp_denorm_src 0
		.amdhsa_exception_fp_ieee_div_zero 0
		.amdhsa_exception_fp_ieee_overflow 0
		.amdhsa_exception_fp_ieee_underflow 0
		.amdhsa_exception_fp_ieee_inexact 0
		.amdhsa_exception_int_div_zero 0
	.end_amdhsa_kernel
	.section	.text._ZN7rocprim17ROCPRIM_400000_NS6detail17trampoline_kernelINS0_14default_configENS1_33run_length_encode_config_selectorIajNS0_4plusIjEEEEZZNS1_33reduce_by_key_impl_wrapped_configILNS1_25lookback_scan_determinismE0ES3_S7_PKaNS0_17constant_iteratorIjlEEPaPlSF_S6_NS0_8equal_toIaEEEE10hipError_tPvRmT2_T3_mT4_T5_T6_T7_T8_P12ihipStream_tbENKUlT_T0_E_clISt17integral_constantIbLb1EESZ_EEDaSU_SV_EUlSU_E_NS1_11comp_targetILNS1_3genE2ELNS1_11target_archE906ELNS1_3gpuE6ELNS1_3repE0EEENS1_30default_config_static_selectorELNS0_4arch9wavefront6targetE1EEEvT1_,"axG",@progbits,_ZN7rocprim17ROCPRIM_400000_NS6detail17trampoline_kernelINS0_14default_configENS1_33run_length_encode_config_selectorIajNS0_4plusIjEEEEZZNS1_33reduce_by_key_impl_wrapped_configILNS1_25lookback_scan_determinismE0ES3_S7_PKaNS0_17constant_iteratorIjlEEPaPlSF_S6_NS0_8equal_toIaEEEE10hipError_tPvRmT2_T3_mT4_T5_T6_T7_T8_P12ihipStream_tbENKUlT_T0_E_clISt17integral_constantIbLb1EESZ_EEDaSU_SV_EUlSU_E_NS1_11comp_targetILNS1_3genE2ELNS1_11target_archE906ELNS1_3gpuE6ELNS1_3repE0EEENS1_30default_config_static_selectorELNS0_4arch9wavefront6targetE1EEEvT1_,comdat
.Lfunc_end248:
	.size	_ZN7rocprim17ROCPRIM_400000_NS6detail17trampoline_kernelINS0_14default_configENS1_33run_length_encode_config_selectorIajNS0_4plusIjEEEEZZNS1_33reduce_by_key_impl_wrapped_configILNS1_25lookback_scan_determinismE0ES3_S7_PKaNS0_17constant_iteratorIjlEEPaPlSF_S6_NS0_8equal_toIaEEEE10hipError_tPvRmT2_T3_mT4_T5_T6_T7_T8_P12ihipStream_tbENKUlT_T0_E_clISt17integral_constantIbLb1EESZ_EEDaSU_SV_EUlSU_E_NS1_11comp_targetILNS1_3genE2ELNS1_11target_archE906ELNS1_3gpuE6ELNS1_3repE0EEENS1_30default_config_static_selectorELNS0_4arch9wavefront6targetE1EEEvT1_, .Lfunc_end248-_ZN7rocprim17ROCPRIM_400000_NS6detail17trampoline_kernelINS0_14default_configENS1_33run_length_encode_config_selectorIajNS0_4plusIjEEEEZZNS1_33reduce_by_key_impl_wrapped_configILNS1_25lookback_scan_determinismE0ES3_S7_PKaNS0_17constant_iteratorIjlEEPaPlSF_S6_NS0_8equal_toIaEEEE10hipError_tPvRmT2_T3_mT4_T5_T6_T7_T8_P12ihipStream_tbENKUlT_T0_E_clISt17integral_constantIbLb1EESZ_EEDaSU_SV_EUlSU_E_NS1_11comp_targetILNS1_3genE2ELNS1_11target_archE906ELNS1_3gpuE6ELNS1_3repE0EEENS1_30default_config_static_selectorELNS0_4arch9wavefront6targetE1EEEvT1_
                                        ; -- End function
	.section	.AMDGPU.csdata,"",@progbits
; Kernel info:
; codeLenInByte = 0
; NumSgprs: 6
; NumVgprs: 0
; NumAgprs: 0
; TotalNumVgprs: 0
; ScratchSize: 0
; MemoryBound: 0
; FloatMode: 240
; IeeeMode: 1
; LDSByteSize: 0 bytes/workgroup (compile time only)
; SGPRBlocks: 0
; VGPRBlocks: 0
; NumSGPRsForWavesPerEU: 6
; NumVGPRsForWavesPerEU: 1
; AccumOffset: 4
; Occupancy: 8
; WaveLimiterHint : 0
; COMPUTE_PGM_RSRC2:SCRATCH_EN: 0
; COMPUTE_PGM_RSRC2:USER_SGPR: 2
; COMPUTE_PGM_RSRC2:TRAP_HANDLER: 0
; COMPUTE_PGM_RSRC2:TGID_X_EN: 1
; COMPUTE_PGM_RSRC2:TGID_Y_EN: 0
; COMPUTE_PGM_RSRC2:TGID_Z_EN: 0
; COMPUTE_PGM_RSRC2:TIDIG_COMP_CNT: 0
; COMPUTE_PGM_RSRC3_GFX90A:ACCUM_OFFSET: 0
; COMPUTE_PGM_RSRC3_GFX90A:TG_SPLIT: 0
	.section	.text._ZN7rocprim17ROCPRIM_400000_NS6detail17trampoline_kernelINS0_14default_configENS1_33run_length_encode_config_selectorIajNS0_4plusIjEEEEZZNS1_33reduce_by_key_impl_wrapped_configILNS1_25lookback_scan_determinismE0ES3_S7_PKaNS0_17constant_iteratorIjlEEPaPlSF_S6_NS0_8equal_toIaEEEE10hipError_tPvRmT2_T3_mT4_T5_T6_T7_T8_P12ihipStream_tbENKUlT_T0_E_clISt17integral_constantIbLb1EESZ_EEDaSU_SV_EUlSU_E_NS1_11comp_targetILNS1_3genE10ELNS1_11target_archE1201ELNS1_3gpuE5ELNS1_3repE0EEENS1_30default_config_static_selectorELNS0_4arch9wavefront6targetE1EEEvT1_,"axG",@progbits,_ZN7rocprim17ROCPRIM_400000_NS6detail17trampoline_kernelINS0_14default_configENS1_33run_length_encode_config_selectorIajNS0_4plusIjEEEEZZNS1_33reduce_by_key_impl_wrapped_configILNS1_25lookback_scan_determinismE0ES3_S7_PKaNS0_17constant_iteratorIjlEEPaPlSF_S6_NS0_8equal_toIaEEEE10hipError_tPvRmT2_T3_mT4_T5_T6_T7_T8_P12ihipStream_tbENKUlT_T0_E_clISt17integral_constantIbLb1EESZ_EEDaSU_SV_EUlSU_E_NS1_11comp_targetILNS1_3genE10ELNS1_11target_archE1201ELNS1_3gpuE5ELNS1_3repE0EEENS1_30default_config_static_selectorELNS0_4arch9wavefront6targetE1EEEvT1_,comdat
	.protected	_ZN7rocprim17ROCPRIM_400000_NS6detail17trampoline_kernelINS0_14default_configENS1_33run_length_encode_config_selectorIajNS0_4plusIjEEEEZZNS1_33reduce_by_key_impl_wrapped_configILNS1_25lookback_scan_determinismE0ES3_S7_PKaNS0_17constant_iteratorIjlEEPaPlSF_S6_NS0_8equal_toIaEEEE10hipError_tPvRmT2_T3_mT4_T5_T6_T7_T8_P12ihipStream_tbENKUlT_T0_E_clISt17integral_constantIbLb1EESZ_EEDaSU_SV_EUlSU_E_NS1_11comp_targetILNS1_3genE10ELNS1_11target_archE1201ELNS1_3gpuE5ELNS1_3repE0EEENS1_30default_config_static_selectorELNS0_4arch9wavefront6targetE1EEEvT1_ ; -- Begin function _ZN7rocprim17ROCPRIM_400000_NS6detail17trampoline_kernelINS0_14default_configENS1_33run_length_encode_config_selectorIajNS0_4plusIjEEEEZZNS1_33reduce_by_key_impl_wrapped_configILNS1_25lookback_scan_determinismE0ES3_S7_PKaNS0_17constant_iteratorIjlEEPaPlSF_S6_NS0_8equal_toIaEEEE10hipError_tPvRmT2_T3_mT4_T5_T6_T7_T8_P12ihipStream_tbENKUlT_T0_E_clISt17integral_constantIbLb1EESZ_EEDaSU_SV_EUlSU_E_NS1_11comp_targetILNS1_3genE10ELNS1_11target_archE1201ELNS1_3gpuE5ELNS1_3repE0EEENS1_30default_config_static_selectorELNS0_4arch9wavefront6targetE1EEEvT1_
	.globl	_ZN7rocprim17ROCPRIM_400000_NS6detail17trampoline_kernelINS0_14default_configENS1_33run_length_encode_config_selectorIajNS0_4plusIjEEEEZZNS1_33reduce_by_key_impl_wrapped_configILNS1_25lookback_scan_determinismE0ES3_S7_PKaNS0_17constant_iteratorIjlEEPaPlSF_S6_NS0_8equal_toIaEEEE10hipError_tPvRmT2_T3_mT4_T5_T6_T7_T8_P12ihipStream_tbENKUlT_T0_E_clISt17integral_constantIbLb1EESZ_EEDaSU_SV_EUlSU_E_NS1_11comp_targetILNS1_3genE10ELNS1_11target_archE1201ELNS1_3gpuE5ELNS1_3repE0EEENS1_30default_config_static_selectorELNS0_4arch9wavefront6targetE1EEEvT1_
	.p2align	8
	.type	_ZN7rocprim17ROCPRIM_400000_NS6detail17trampoline_kernelINS0_14default_configENS1_33run_length_encode_config_selectorIajNS0_4plusIjEEEEZZNS1_33reduce_by_key_impl_wrapped_configILNS1_25lookback_scan_determinismE0ES3_S7_PKaNS0_17constant_iteratorIjlEEPaPlSF_S6_NS0_8equal_toIaEEEE10hipError_tPvRmT2_T3_mT4_T5_T6_T7_T8_P12ihipStream_tbENKUlT_T0_E_clISt17integral_constantIbLb1EESZ_EEDaSU_SV_EUlSU_E_NS1_11comp_targetILNS1_3genE10ELNS1_11target_archE1201ELNS1_3gpuE5ELNS1_3repE0EEENS1_30default_config_static_selectorELNS0_4arch9wavefront6targetE1EEEvT1_,@function
_ZN7rocprim17ROCPRIM_400000_NS6detail17trampoline_kernelINS0_14default_configENS1_33run_length_encode_config_selectorIajNS0_4plusIjEEEEZZNS1_33reduce_by_key_impl_wrapped_configILNS1_25lookback_scan_determinismE0ES3_S7_PKaNS0_17constant_iteratorIjlEEPaPlSF_S6_NS0_8equal_toIaEEEE10hipError_tPvRmT2_T3_mT4_T5_T6_T7_T8_P12ihipStream_tbENKUlT_T0_E_clISt17integral_constantIbLb1EESZ_EEDaSU_SV_EUlSU_E_NS1_11comp_targetILNS1_3genE10ELNS1_11target_archE1201ELNS1_3gpuE5ELNS1_3repE0EEENS1_30default_config_static_selectorELNS0_4arch9wavefront6targetE1EEEvT1_: ; @_ZN7rocprim17ROCPRIM_400000_NS6detail17trampoline_kernelINS0_14default_configENS1_33run_length_encode_config_selectorIajNS0_4plusIjEEEEZZNS1_33reduce_by_key_impl_wrapped_configILNS1_25lookback_scan_determinismE0ES3_S7_PKaNS0_17constant_iteratorIjlEEPaPlSF_S6_NS0_8equal_toIaEEEE10hipError_tPvRmT2_T3_mT4_T5_T6_T7_T8_P12ihipStream_tbENKUlT_T0_E_clISt17integral_constantIbLb1EESZ_EEDaSU_SV_EUlSU_E_NS1_11comp_targetILNS1_3genE10ELNS1_11target_archE1201ELNS1_3gpuE5ELNS1_3repE0EEENS1_30default_config_static_selectorELNS0_4arch9wavefront6targetE1EEEvT1_
; %bb.0:
	.section	.rodata,"a",@progbits
	.p2align	6, 0x0
	.amdhsa_kernel _ZN7rocprim17ROCPRIM_400000_NS6detail17trampoline_kernelINS0_14default_configENS1_33run_length_encode_config_selectorIajNS0_4plusIjEEEEZZNS1_33reduce_by_key_impl_wrapped_configILNS1_25lookback_scan_determinismE0ES3_S7_PKaNS0_17constant_iteratorIjlEEPaPlSF_S6_NS0_8equal_toIaEEEE10hipError_tPvRmT2_T3_mT4_T5_T6_T7_T8_P12ihipStream_tbENKUlT_T0_E_clISt17integral_constantIbLb1EESZ_EEDaSU_SV_EUlSU_E_NS1_11comp_targetILNS1_3genE10ELNS1_11target_archE1201ELNS1_3gpuE5ELNS1_3repE0EEENS1_30default_config_static_selectorELNS0_4arch9wavefront6targetE1EEEvT1_
		.amdhsa_group_segment_fixed_size 0
		.amdhsa_private_segment_fixed_size 0
		.amdhsa_kernarg_size 128
		.amdhsa_user_sgpr_count 2
		.amdhsa_user_sgpr_dispatch_ptr 0
		.amdhsa_user_sgpr_queue_ptr 0
		.amdhsa_user_sgpr_kernarg_segment_ptr 1
		.amdhsa_user_sgpr_dispatch_id 0
		.amdhsa_user_sgpr_kernarg_preload_length 0
		.amdhsa_user_sgpr_kernarg_preload_offset 0
		.amdhsa_user_sgpr_private_segment_size 0
		.amdhsa_uses_dynamic_stack 0
		.amdhsa_enable_private_segment 0
		.amdhsa_system_sgpr_workgroup_id_x 1
		.amdhsa_system_sgpr_workgroup_id_y 0
		.amdhsa_system_sgpr_workgroup_id_z 0
		.amdhsa_system_sgpr_workgroup_info 0
		.amdhsa_system_vgpr_workitem_id 0
		.amdhsa_next_free_vgpr 1
		.amdhsa_next_free_sgpr 0
		.amdhsa_accum_offset 4
		.amdhsa_reserve_vcc 0
		.amdhsa_float_round_mode_32 0
		.amdhsa_float_round_mode_16_64 0
		.amdhsa_float_denorm_mode_32 3
		.amdhsa_float_denorm_mode_16_64 3
		.amdhsa_dx10_clamp 1
		.amdhsa_ieee_mode 1
		.amdhsa_fp16_overflow 0
		.amdhsa_tg_split 0
		.amdhsa_exception_fp_ieee_invalid_op 0
		.amdhsa_exception_fp_denorm_src 0
		.amdhsa_exception_fp_ieee_div_zero 0
		.amdhsa_exception_fp_ieee_overflow 0
		.amdhsa_exception_fp_ieee_underflow 0
		.amdhsa_exception_fp_ieee_inexact 0
		.amdhsa_exception_int_div_zero 0
	.end_amdhsa_kernel
	.section	.text._ZN7rocprim17ROCPRIM_400000_NS6detail17trampoline_kernelINS0_14default_configENS1_33run_length_encode_config_selectorIajNS0_4plusIjEEEEZZNS1_33reduce_by_key_impl_wrapped_configILNS1_25lookback_scan_determinismE0ES3_S7_PKaNS0_17constant_iteratorIjlEEPaPlSF_S6_NS0_8equal_toIaEEEE10hipError_tPvRmT2_T3_mT4_T5_T6_T7_T8_P12ihipStream_tbENKUlT_T0_E_clISt17integral_constantIbLb1EESZ_EEDaSU_SV_EUlSU_E_NS1_11comp_targetILNS1_3genE10ELNS1_11target_archE1201ELNS1_3gpuE5ELNS1_3repE0EEENS1_30default_config_static_selectorELNS0_4arch9wavefront6targetE1EEEvT1_,"axG",@progbits,_ZN7rocprim17ROCPRIM_400000_NS6detail17trampoline_kernelINS0_14default_configENS1_33run_length_encode_config_selectorIajNS0_4plusIjEEEEZZNS1_33reduce_by_key_impl_wrapped_configILNS1_25lookback_scan_determinismE0ES3_S7_PKaNS0_17constant_iteratorIjlEEPaPlSF_S6_NS0_8equal_toIaEEEE10hipError_tPvRmT2_T3_mT4_T5_T6_T7_T8_P12ihipStream_tbENKUlT_T0_E_clISt17integral_constantIbLb1EESZ_EEDaSU_SV_EUlSU_E_NS1_11comp_targetILNS1_3genE10ELNS1_11target_archE1201ELNS1_3gpuE5ELNS1_3repE0EEENS1_30default_config_static_selectorELNS0_4arch9wavefront6targetE1EEEvT1_,comdat
.Lfunc_end249:
	.size	_ZN7rocprim17ROCPRIM_400000_NS6detail17trampoline_kernelINS0_14default_configENS1_33run_length_encode_config_selectorIajNS0_4plusIjEEEEZZNS1_33reduce_by_key_impl_wrapped_configILNS1_25lookback_scan_determinismE0ES3_S7_PKaNS0_17constant_iteratorIjlEEPaPlSF_S6_NS0_8equal_toIaEEEE10hipError_tPvRmT2_T3_mT4_T5_T6_T7_T8_P12ihipStream_tbENKUlT_T0_E_clISt17integral_constantIbLb1EESZ_EEDaSU_SV_EUlSU_E_NS1_11comp_targetILNS1_3genE10ELNS1_11target_archE1201ELNS1_3gpuE5ELNS1_3repE0EEENS1_30default_config_static_selectorELNS0_4arch9wavefront6targetE1EEEvT1_, .Lfunc_end249-_ZN7rocprim17ROCPRIM_400000_NS6detail17trampoline_kernelINS0_14default_configENS1_33run_length_encode_config_selectorIajNS0_4plusIjEEEEZZNS1_33reduce_by_key_impl_wrapped_configILNS1_25lookback_scan_determinismE0ES3_S7_PKaNS0_17constant_iteratorIjlEEPaPlSF_S6_NS0_8equal_toIaEEEE10hipError_tPvRmT2_T3_mT4_T5_T6_T7_T8_P12ihipStream_tbENKUlT_T0_E_clISt17integral_constantIbLb1EESZ_EEDaSU_SV_EUlSU_E_NS1_11comp_targetILNS1_3genE10ELNS1_11target_archE1201ELNS1_3gpuE5ELNS1_3repE0EEENS1_30default_config_static_selectorELNS0_4arch9wavefront6targetE1EEEvT1_
                                        ; -- End function
	.section	.AMDGPU.csdata,"",@progbits
; Kernel info:
; codeLenInByte = 0
; NumSgprs: 6
; NumVgprs: 0
; NumAgprs: 0
; TotalNumVgprs: 0
; ScratchSize: 0
; MemoryBound: 0
; FloatMode: 240
; IeeeMode: 1
; LDSByteSize: 0 bytes/workgroup (compile time only)
; SGPRBlocks: 0
; VGPRBlocks: 0
; NumSGPRsForWavesPerEU: 6
; NumVGPRsForWavesPerEU: 1
; AccumOffset: 4
; Occupancy: 8
; WaveLimiterHint : 0
; COMPUTE_PGM_RSRC2:SCRATCH_EN: 0
; COMPUTE_PGM_RSRC2:USER_SGPR: 2
; COMPUTE_PGM_RSRC2:TRAP_HANDLER: 0
; COMPUTE_PGM_RSRC2:TGID_X_EN: 1
; COMPUTE_PGM_RSRC2:TGID_Y_EN: 0
; COMPUTE_PGM_RSRC2:TGID_Z_EN: 0
; COMPUTE_PGM_RSRC2:TIDIG_COMP_CNT: 0
; COMPUTE_PGM_RSRC3_GFX90A:ACCUM_OFFSET: 0
; COMPUTE_PGM_RSRC3_GFX90A:TG_SPLIT: 0
	.section	.text._ZN7rocprim17ROCPRIM_400000_NS6detail17trampoline_kernelINS0_14default_configENS1_33run_length_encode_config_selectorIajNS0_4plusIjEEEEZZNS1_33reduce_by_key_impl_wrapped_configILNS1_25lookback_scan_determinismE0ES3_S7_PKaNS0_17constant_iteratorIjlEEPaPlSF_S6_NS0_8equal_toIaEEEE10hipError_tPvRmT2_T3_mT4_T5_T6_T7_T8_P12ihipStream_tbENKUlT_T0_E_clISt17integral_constantIbLb1EESZ_EEDaSU_SV_EUlSU_E_NS1_11comp_targetILNS1_3genE10ELNS1_11target_archE1200ELNS1_3gpuE4ELNS1_3repE0EEENS1_30default_config_static_selectorELNS0_4arch9wavefront6targetE1EEEvT1_,"axG",@progbits,_ZN7rocprim17ROCPRIM_400000_NS6detail17trampoline_kernelINS0_14default_configENS1_33run_length_encode_config_selectorIajNS0_4plusIjEEEEZZNS1_33reduce_by_key_impl_wrapped_configILNS1_25lookback_scan_determinismE0ES3_S7_PKaNS0_17constant_iteratorIjlEEPaPlSF_S6_NS0_8equal_toIaEEEE10hipError_tPvRmT2_T3_mT4_T5_T6_T7_T8_P12ihipStream_tbENKUlT_T0_E_clISt17integral_constantIbLb1EESZ_EEDaSU_SV_EUlSU_E_NS1_11comp_targetILNS1_3genE10ELNS1_11target_archE1200ELNS1_3gpuE4ELNS1_3repE0EEENS1_30default_config_static_selectorELNS0_4arch9wavefront6targetE1EEEvT1_,comdat
	.protected	_ZN7rocprim17ROCPRIM_400000_NS6detail17trampoline_kernelINS0_14default_configENS1_33run_length_encode_config_selectorIajNS0_4plusIjEEEEZZNS1_33reduce_by_key_impl_wrapped_configILNS1_25lookback_scan_determinismE0ES3_S7_PKaNS0_17constant_iteratorIjlEEPaPlSF_S6_NS0_8equal_toIaEEEE10hipError_tPvRmT2_T3_mT4_T5_T6_T7_T8_P12ihipStream_tbENKUlT_T0_E_clISt17integral_constantIbLb1EESZ_EEDaSU_SV_EUlSU_E_NS1_11comp_targetILNS1_3genE10ELNS1_11target_archE1200ELNS1_3gpuE4ELNS1_3repE0EEENS1_30default_config_static_selectorELNS0_4arch9wavefront6targetE1EEEvT1_ ; -- Begin function _ZN7rocprim17ROCPRIM_400000_NS6detail17trampoline_kernelINS0_14default_configENS1_33run_length_encode_config_selectorIajNS0_4plusIjEEEEZZNS1_33reduce_by_key_impl_wrapped_configILNS1_25lookback_scan_determinismE0ES3_S7_PKaNS0_17constant_iteratorIjlEEPaPlSF_S6_NS0_8equal_toIaEEEE10hipError_tPvRmT2_T3_mT4_T5_T6_T7_T8_P12ihipStream_tbENKUlT_T0_E_clISt17integral_constantIbLb1EESZ_EEDaSU_SV_EUlSU_E_NS1_11comp_targetILNS1_3genE10ELNS1_11target_archE1200ELNS1_3gpuE4ELNS1_3repE0EEENS1_30default_config_static_selectorELNS0_4arch9wavefront6targetE1EEEvT1_
	.globl	_ZN7rocprim17ROCPRIM_400000_NS6detail17trampoline_kernelINS0_14default_configENS1_33run_length_encode_config_selectorIajNS0_4plusIjEEEEZZNS1_33reduce_by_key_impl_wrapped_configILNS1_25lookback_scan_determinismE0ES3_S7_PKaNS0_17constant_iteratorIjlEEPaPlSF_S6_NS0_8equal_toIaEEEE10hipError_tPvRmT2_T3_mT4_T5_T6_T7_T8_P12ihipStream_tbENKUlT_T0_E_clISt17integral_constantIbLb1EESZ_EEDaSU_SV_EUlSU_E_NS1_11comp_targetILNS1_3genE10ELNS1_11target_archE1200ELNS1_3gpuE4ELNS1_3repE0EEENS1_30default_config_static_selectorELNS0_4arch9wavefront6targetE1EEEvT1_
	.p2align	8
	.type	_ZN7rocprim17ROCPRIM_400000_NS6detail17trampoline_kernelINS0_14default_configENS1_33run_length_encode_config_selectorIajNS0_4plusIjEEEEZZNS1_33reduce_by_key_impl_wrapped_configILNS1_25lookback_scan_determinismE0ES3_S7_PKaNS0_17constant_iteratorIjlEEPaPlSF_S6_NS0_8equal_toIaEEEE10hipError_tPvRmT2_T3_mT4_T5_T6_T7_T8_P12ihipStream_tbENKUlT_T0_E_clISt17integral_constantIbLb1EESZ_EEDaSU_SV_EUlSU_E_NS1_11comp_targetILNS1_3genE10ELNS1_11target_archE1200ELNS1_3gpuE4ELNS1_3repE0EEENS1_30default_config_static_selectorELNS0_4arch9wavefront6targetE1EEEvT1_,@function
_ZN7rocprim17ROCPRIM_400000_NS6detail17trampoline_kernelINS0_14default_configENS1_33run_length_encode_config_selectorIajNS0_4plusIjEEEEZZNS1_33reduce_by_key_impl_wrapped_configILNS1_25lookback_scan_determinismE0ES3_S7_PKaNS0_17constant_iteratorIjlEEPaPlSF_S6_NS0_8equal_toIaEEEE10hipError_tPvRmT2_T3_mT4_T5_T6_T7_T8_P12ihipStream_tbENKUlT_T0_E_clISt17integral_constantIbLb1EESZ_EEDaSU_SV_EUlSU_E_NS1_11comp_targetILNS1_3genE10ELNS1_11target_archE1200ELNS1_3gpuE4ELNS1_3repE0EEENS1_30default_config_static_selectorELNS0_4arch9wavefront6targetE1EEEvT1_: ; @_ZN7rocprim17ROCPRIM_400000_NS6detail17trampoline_kernelINS0_14default_configENS1_33run_length_encode_config_selectorIajNS0_4plusIjEEEEZZNS1_33reduce_by_key_impl_wrapped_configILNS1_25lookback_scan_determinismE0ES3_S7_PKaNS0_17constant_iteratorIjlEEPaPlSF_S6_NS0_8equal_toIaEEEE10hipError_tPvRmT2_T3_mT4_T5_T6_T7_T8_P12ihipStream_tbENKUlT_T0_E_clISt17integral_constantIbLb1EESZ_EEDaSU_SV_EUlSU_E_NS1_11comp_targetILNS1_3genE10ELNS1_11target_archE1200ELNS1_3gpuE4ELNS1_3repE0EEENS1_30default_config_static_selectorELNS0_4arch9wavefront6targetE1EEEvT1_
; %bb.0:
	.section	.rodata,"a",@progbits
	.p2align	6, 0x0
	.amdhsa_kernel _ZN7rocprim17ROCPRIM_400000_NS6detail17trampoline_kernelINS0_14default_configENS1_33run_length_encode_config_selectorIajNS0_4plusIjEEEEZZNS1_33reduce_by_key_impl_wrapped_configILNS1_25lookback_scan_determinismE0ES3_S7_PKaNS0_17constant_iteratorIjlEEPaPlSF_S6_NS0_8equal_toIaEEEE10hipError_tPvRmT2_T3_mT4_T5_T6_T7_T8_P12ihipStream_tbENKUlT_T0_E_clISt17integral_constantIbLb1EESZ_EEDaSU_SV_EUlSU_E_NS1_11comp_targetILNS1_3genE10ELNS1_11target_archE1200ELNS1_3gpuE4ELNS1_3repE0EEENS1_30default_config_static_selectorELNS0_4arch9wavefront6targetE1EEEvT1_
		.amdhsa_group_segment_fixed_size 0
		.amdhsa_private_segment_fixed_size 0
		.amdhsa_kernarg_size 128
		.amdhsa_user_sgpr_count 2
		.amdhsa_user_sgpr_dispatch_ptr 0
		.amdhsa_user_sgpr_queue_ptr 0
		.amdhsa_user_sgpr_kernarg_segment_ptr 1
		.amdhsa_user_sgpr_dispatch_id 0
		.amdhsa_user_sgpr_kernarg_preload_length 0
		.amdhsa_user_sgpr_kernarg_preload_offset 0
		.amdhsa_user_sgpr_private_segment_size 0
		.amdhsa_uses_dynamic_stack 0
		.amdhsa_enable_private_segment 0
		.amdhsa_system_sgpr_workgroup_id_x 1
		.amdhsa_system_sgpr_workgroup_id_y 0
		.amdhsa_system_sgpr_workgroup_id_z 0
		.amdhsa_system_sgpr_workgroup_info 0
		.amdhsa_system_vgpr_workitem_id 0
		.amdhsa_next_free_vgpr 1
		.amdhsa_next_free_sgpr 0
		.amdhsa_accum_offset 4
		.amdhsa_reserve_vcc 0
		.amdhsa_float_round_mode_32 0
		.amdhsa_float_round_mode_16_64 0
		.amdhsa_float_denorm_mode_32 3
		.amdhsa_float_denorm_mode_16_64 3
		.amdhsa_dx10_clamp 1
		.amdhsa_ieee_mode 1
		.amdhsa_fp16_overflow 0
		.amdhsa_tg_split 0
		.amdhsa_exception_fp_ieee_invalid_op 0
		.amdhsa_exception_fp_denorm_src 0
		.amdhsa_exception_fp_ieee_div_zero 0
		.amdhsa_exception_fp_ieee_overflow 0
		.amdhsa_exception_fp_ieee_underflow 0
		.amdhsa_exception_fp_ieee_inexact 0
		.amdhsa_exception_int_div_zero 0
	.end_amdhsa_kernel
	.section	.text._ZN7rocprim17ROCPRIM_400000_NS6detail17trampoline_kernelINS0_14default_configENS1_33run_length_encode_config_selectorIajNS0_4plusIjEEEEZZNS1_33reduce_by_key_impl_wrapped_configILNS1_25lookback_scan_determinismE0ES3_S7_PKaNS0_17constant_iteratorIjlEEPaPlSF_S6_NS0_8equal_toIaEEEE10hipError_tPvRmT2_T3_mT4_T5_T6_T7_T8_P12ihipStream_tbENKUlT_T0_E_clISt17integral_constantIbLb1EESZ_EEDaSU_SV_EUlSU_E_NS1_11comp_targetILNS1_3genE10ELNS1_11target_archE1200ELNS1_3gpuE4ELNS1_3repE0EEENS1_30default_config_static_selectorELNS0_4arch9wavefront6targetE1EEEvT1_,"axG",@progbits,_ZN7rocprim17ROCPRIM_400000_NS6detail17trampoline_kernelINS0_14default_configENS1_33run_length_encode_config_selectorIajNS0_4plusIjEEEEZZNS1_33reduce_by_key_impl_wrapped_configILNS1_25lookback_scan_determinismE0ES3_S7_PKaNS0_17constant_iteratorIjlEEPaPlSF_S6_NS0_8equal_toIaEEEE10hipError_tPvRmT2_T3_mT4_T5_T6_T7_T8_P12ihipStream_tbENKUlT_T0_E_clISt17integral_constantIbLb1EESZ_EEDaSU_SV_EUlSU_E_NS1_11comp_targetILNS1_3genE10ELNS1_11target_archE1200ELNS1_3gpuE4ELNS1_3repE0EEENS1_30default_config_static_selectorELNS0_4arch9wavefront6targetE1EEEvT1_,comdat
.Lfunc_end250:
	.size	_ZN7rocprim17ROCPRIM_400000_NS6detail17trampoline_kernelINS0_14default_configENS1_33run_length_encode_config_selectorIajNS0_4plusIjEEEEZZNS1_33reduce_by_key_impl_wrapped_configILNS1_25lookback_scan_determinismE0ES3_S7_PKaNS0_17constant_iteratorIjlEEPaPlSF_S6_NS0_8equal_toIaEEEE10hipError_tPvRmT2_T3_mT4_T5_T6_T7_T8_P12ihipStream_tbENKUlT_T0_E_clISt17integral_constantIbLb1EESZ_EEDaSU_SV_EUlSU_E_NS1_11comp_targetILNS1_3genE10ELNS1_11target_archE1200ELNS1_3gpuE4ELNS1_3repE0EEENS1_30default_config_static_selectorELNS0_4arch9wavefront6targetE1EEEvT1_, .Lfunc_end250-_ZN7rocprim17ROCPRIM_400000_NS6detail17trampoline_kernelINS0_14default_configENS1_33run_length_encode_config_selectorIajNS0_4plusIjEEEEZZNS1_33reduce_by_key_impl_wrapped_configILNS1_25lookback_scan_determinismE0ES3_S7_PKaNS0_17constant_iteratorIjlEEPaPlSF_S6_NS0_8equal_toIaEEEE10hipError_tPvRmT2_T3_mT4_T5_T6_T7_T8_P12ihipStream_tbENKUlT_T0_E_clISt17integral_constantIbLb1EESZ_EEDaSU_SV_EUlSU_E_NS1_11comp_targetILNS1_3genE10ELNS1_11target_archE1200ELNS1_3gpuE4ELNS1_3repE0EEENS1_30default_config_static_selectorELNS0_4arch9wavefront6targetE1EEEvT1_
                                        ; -- End function
	.section	.AMDGPU.csdata,"",@progbits
; Kernel info:
; codeLenInByte = 0
; NumSgprs: 6
; NumVgprs: 0
; NumAgprs: 0
; TotalNumVgprs: 0
; ScratchSize: 0
; MemoryBound: 0
; FloatMode: 240
; IeeeMode: 1
; LDSByteSize: 0 bytes/workgroup (compile time only)
; SGPRBlocks: 0
; VGPRBlocks: 0
; NumSGPRsForWavesPerEU: 6
; NumVGPRsForWavesPerEU: 1
; AccumOffset: 4
; Occupancy: 8
; WaveLimiterHint : 0
; COMPUTE_PGM_RSRC2:SCRATCH_EN: 0
; COMPUTE_PGM_RSRC2:USER_SGPR: 2
; COMPUTE_PGM_RSRC2:TRAP_HANDLER: 0
; COMPUTE_PGM_RSRC2:TGID_X_EN: 1
; COMPUTE_PGM_RSRC2:TGID_Y_EN: 0
; COMPUTE_PGM_RSRC2:TGID_Z_EN: 0
; COMPUTE_PGM_RSRC2:TIDIG_COMP_CNT: 0
; COMPUTE_PGM_RSRC3_GFX90A:ACCUM_OFFSET: 0
; COMPUTE_PGM_RSRC3_GFX90A:TG_SPLIT: 0
	.section	.text._ZN7rocprim17ROCPRIM_400000_NS6detail17trampoline_kernelINS0_14default_configENS1_33run_length_encode_config_selectorIajNS0_4plusIjEEEEZZNS1_33reduce_by_key_impl_wrapped_configILNS1_25lookback_scan_determinismE0ES3_S7_PKaNS0_17constant_iteratorIjlEEPaPlSF_S6_NS0_8equal_toIaEEEE10hipError_tPvRmT2_T3_mT4_T5_T6_T7_T8_P12ihipStream_tbENKUlT_T0_E_clISt17integral_constantIbLb1EESZ_EEDaSU_SV_EUlSU_E_NS1_11comp_targetILNS1_3genE9ELNS1_11target_archE1100ELNS1_3gpuE3ELNS1_3repE0EEENS1_30default_config_static_selectorELNS0_4arch9wavefront6targetE1EEEvT1_,"axG",@progbits,_ZN7rocprim17ROCPRIM_400000_NS6detail17trampoline_kernelINS0_14default_configENS1_33run_length_encode_config_selectorIajNS0_4plusIjEEEEZZNS1_33reduce_by_key_impl_wrapped_configILNS1_25lookback_scan_determinismE0ES3_S7_PKaNS0_17constant_iteratorIjlEEPaPlSF_S6_NS0_8equal_toIaEEEE10hipError_tPvRmT2_T3_mT4_T5_T6_T7_T8_P12ihipStream_tbENKUlT_T0_E_clISt17integral_constantIbLb1EESZ_EEDaSU_SV_EUlSU_E_NS1_11comp_targetILNS1_3genE9ELNS1_11target_archE1100ELNS1_3gpuE3ELNS1_3repE0EEENS1_30default_config_static_selectorELNS0_4arch9wavefront6targetE1EEEvT1_,comdat
	.protected	_ZN7rocprim17ROCPRIM_400000_NS6detail17trampoline_kernelINS0_14default_configENS1_33run_length_encode_config_selectorIajNS0_4plusIjEEEEZZNS1_33reduce_by_key_impl_wrapped_configILNS1_25lookback_scan_determinismE0ES3_S7_PKaNS0_17constant_iteratorIjlEEPaPlSF_S6_NS0_8equal_toIaEEEE10hipError_tPvRmT2_T3_mT4_T5_T6_T7_T8_P12ihipStream_tbENKUlT_T0_E_clISt17integral_constantIbLb1EESZ_EEDaSU_SV_EUlSU_E_NS1_11comp_targetILNS1_3genE9ELNS1_11target_archE1100ELNS1_3gpuE3ELNS1_3repE0EEENS1_30default_config_static_selectorELNS0_4arch9wavefront6targetE1EEEvT1_ ; -- Begin function _ZN7rocprim17ROCPRIM_400000_NS6detail17trampoline_kernelINS0_14default_configENS1_33run_length_encode_config_selectorIajNS0_4plusIjEEEEZZNS1_33reduce_by_key_impl_wrapped_configILNS1_25lookback_scan_determinismE0ES3_S7_PKaNS0_17constant_iteratorIjlEEPaPlSF_S6_NS0_8equal_toIaEEEE10hipError_tPvRmT2_T3_mT4_T5_T6_T7_T8_P12ihipStream_tbENKUlT_T0_E_clISt17integral_constantIbLb1EESZ_EEDaSU_SV_EUlSU_E_NS1_11comp_targetILNS1_3genE9ELNS1_11target_archE1100ELNS1_3gpuE3ELNS1_3repE0EEENS1_30default_config_static_selectorELNS0_4arch9wavefront6targetE1EEEvT1_
	.globl	_ZN7rocprim17ROCPRIM_400000_NS6detail17trampoline_kernelINS0_14default_configENS1_33run_length_encode_config_selectorIajNS0_4plusIjEEEEZZNS1_33reduce_by_key_impl_wrapped_configILNS1_25lookback_scan_determinismE0ES3_S7_PKaNS0_17constant_iteratorIjlEEPaPlSF_S6_NS0_8equal_toIaEEEE10hipError_tPvRmT2_T3_mT4_T5_T6_T7_T8_P12ihipStream_tbENKUlT_T0_E_clISt17integral_constantIbLb1EESZ_EEDaSU_SV_EUlSU_E_NS1_11comp_targetILNS1_3genE9ELNS1_11target_archE1100ELNS1_3gpuE3ELNS1_3repE0EEENS1_30default_config_static_selectorELNS0_4arch9wavefront6targetE1EEEvT1_
	.p2align	8
	.type	_ZN7rocprim17ROCPRIM_400000_NS6detail17trampoline_kernelINS0_14default_configENS1_33run_length_encode_config_selectorIajNS0_4plusIjEEEEZZNS1_33reduce_by_key_impl_wrapped_configILNS1_25lookback_scan_determinismE0ES3_S7_PKaNS0_17constant_iteratorIjlEEPaPlSF_S6_NS0_8equal_toIaEEEE10hipError_tPvRmT2_T3_mT4_T5_T6_T7_T8_P12ihipStream_tbENKUlT_T0_E_clISt17integral_constantIbLb1EESZ_EEDaSU_SV_EUlSU_E_NS1_11comp_targetILNS1_3genE9ELNS1_11target_archE1100ELNS1_3gpuE3ELNS1_3repE0EEENS1_30default_config_static_selectorELNS0_4arch9wavefront6targetE1EEEvT1_,@function
_ZN7rocprim17ROCPRIM_400000_NS6detail17trampoline_kernelINS0_14default_configENS1_33run_length_encode_config_selectorIajNS0_4plusIjEEEEZZNS1_33reduce_by_key_impl_wrapped_configILNS1_25lookback_scan_determinismE0ES3_S7_PKaNS0_17constant_iteratorIjlEEPaPlSF_S6_NS0_8equal_toIaEEEE10hipError_tPvRmT2_T3_mT4_T5_T6_T7_T8_P12ihipStream_tbENKUlT_T0_E_clISt17integral_constantIbLb1EESZ_EEDaSU_SV_EUlSU_E_NS1_11comp_targetILNS1_3genE9ELNS1_11target_archE1100ELNS1_3gpuE3ELNS1_3repE0EEENS1_30default_config_static_selectorELNS0_4arch9wavefront6targetE1EEEvT1_: ; @_ZN7rocprim17ROCPRIM_400000_NS6detail17trampoline_kernelINS0_14default_configENS1_33run_length_encode_config_selectorIajNS0_4plusIjEEEEZZNS1_33reduce_by_key_impl_wrapped_configILNS1_25lookback_scan_determinismE0ES3_S7_PKaNS0_17constant_iteratorIjlEEPaPlSF_S6_NS0_8equal_toIaEEEE10hipError_tPvRmT2_T3_mT4_T5_T6_T7_T8_P12ihipStream_tbENKUlT_T0_E_clISt17integral_constantIbLb1EESZ_EEDaSU_SV_EUlSU_E_NS1_11comp_targetILNS1_3genE9ELNS1_11target_archE1100ELNS1_3gpuE3ELNS1_3repE0EEENS1_30default_config_static_selectorELNS0_4arch9wavefront6targetE1EEEvT1_
; %bb.0:
	.section	.rodata,"a",@progbits
	.p2align	6, 0x0
	.amdhsa_kernel _ZN7rocprim17ROCPRIM_400000_NS6detail17trampoline_kernelINS0_14default_configENS1_33run_length_encode_config_selectorIajNS0_4plusIjEEEEZZNS1_33reduce_by_key_impl_wrapped_configILNS1_25lookback_scan_determinismE0ES3_S7_PKaNS0_17constant_iteratorIjlEEPaPlSF_S6_NS0_8equal_toIaEEEE10hipError_tPvRmT2_T3_mT4_T5_T6_T7_T8_P12ihipStream_tbENKUlT_T0_E_clISt17integral_constantIbLb1EESZ_EEDaSU_SV_EUlSU_E_NS1_11comp_targetILNS1_3genE9ELNS1_11target_archE1100ELNS1_3gpuE3ELNS1_3repE0EEENS1_30default_config_static_selectorELNS0_4arch9wavefront6targetE1EEEvT1_
		.amdhsa_group_segment_fixed_size 0
		.amdhsa_private_segment_fixed_size 0
		.amdhsa_kernarg_size 128
		.amdhsa_user_sgpr_count 2
		.amdhsa_user_sgpr_dispatch_ptr 0
		.amdhsa_user_sgpr_queue_ptr 0
		.amdhsa_user_sgpr_kernarg_segment_ptr 1
		.amdhsa_user_sgpr_dispatch_id 0
		.amdhsa_user_sgpr_kernarg_preload_length 0
		.amdhsa_user_sgpr_kernarg_preload_offset 0
		.amdhsa_user_sgpr_private_segment_size 0
		.amdhsa_uses_dynamic_stack 0
		.amdhsa_enable_private_segment 0
		.amdhsa_system_sgpr_workgroup_id_x 1
		.amdhsa_system_sgpr_workgroup_id_y 0
		.amdhsa_system_sgpr_workgroup_id_z 0
		.amdhsa_system_sgpr_workgroup_info 0
		.amdhsa_system_vgpr_workitem_id 0
		.amdhsa_next_free_vgpr 1
		.amdhsa_next_free_sgpr 0
		.amdhsa_accum_offset 4
		.amdhsa_reserve_vcc 0
		.amdhsa_float_round_mode_32 0
		.amdhsa_float_round_mode_16_64 0
		.amdhsa_float_denorm_mode_32 3
		.amdhsa_float_denorm_mode_16_64 3
		.amdhsa_dx10_clamp 1
		.amdhsa_ieee_mode 1
		.amdhsa_fp16_overflow 0
		.amdhsa_tg_split 0
		.amdhsa_exception_fp_ieee_invalid_op 0
		.amdhsa_exception_fp_denorm_src 0
		.amdhsa_exception_fp_ieee_div_zero 0
		.amdhsa_exception_fp_ieee_overflow 0
		.amdhsa_exception_fp_ieee_underflow 0
		.amdhsa_exception_fp_ieee_inexact 0
		.amdhsa_exception_int_div_zero 0
	.end_amdhsa_kernel
	.section	.text._ZN7rocprim17ROCPRIM_400000_NS6detail17trampoline_kernelINS0_14default_configENS1_33run_length_encode_config_selectorIajNS0_4plusIjEEEEZZNS1_33reduce_by_key_impl_wrapped_configILNS1_25lookback_scan_determinismE0ES3_S7_PKaNS0_17constant_iteratorIjlEEPaPlSF_S6_NS0_8equal_toIaEEEE10hipError_tPvRmT2_T3_mT4_T5_T6_T7_T8_P12ihipStream_tbENKUlT_T0_E_clISt17integral_constantIbLb1EESZ_EEDaSU_SV_EUlSU_E_NS1_11comp_targetILNS1_3genE9ELNS1_11target_archE1100ELNS1_3gpuE3ELNS1_3repE0EEENS1_30default_config_static_selectorELNS0_4arch9wavefront6targetE1EEEvT1_,"axG",@progbits,_ZN7rocprim17ROCPRIM_400000_NS6detail17trampoline_kernelINS0_14default_configENS1_33run_length_encode_config_selectorIajNS0_4plusIjEEEEZZNS1_33reduce_by_key_impl_wrapped_configILNS1_25lookback_scan_determinismE0ES3_S7_PKaNS0_17constant_iteratorIjlEEPaPlSF_S6_NS0_8equal_toIaEEEE10hipError_tPvRmT2_T3_mT4_T5_T6_T7_T8_P12ihipStream_tbENKUlT_T0_E_clISt17integral_constantIbLb1EESZ_EEDaSU_SV_EUlSU_E_NS1_11comp_targetILNS1_3genE9ELNS1_11target_archE1100ELNS1_3gpuE3ELNS1_3repE0EEENS1_30default_config_static_selectorELNS0_4arch9wavefront6targetE1EEEvT1_,comdat
.Lfunc_end251:
	.size	_ZN7rocprim17ROCPRIM_400000_NS6detail17trampoline_kernelINS0_14default_configENS1_33run_length_encode_config_selectorIajNS0_4plusIjEEEEZZNS1_33reduce_by_key_impl_wrapped_configILNS1_25lookback_scan_determinismE0ES3_S7_PKaNS0_17constant_iteratorIjlEEPaPlSF_S6_NS0_8equal_toIaEEEE10hipError_tPvRmT2_T3_mT4_T5_T6_T7_T8_P12ihipStream_tbENKUlT_T0_E_clISt17integral_constantIbLb1EESZ_EEDaSU_SV_EUlSU_E_NS1_11comp_targetILNS1_3genE9ELNS1_11target_archE1100ELNS1_3gpuE3ELNS1_3repE0EEENS1_30default_config_static_selectorELNS0_4arch9wavefront6targetE1EEEvT1_, .Lfunc_end251-_ZN7rocprim17ROCPRIM_400000_NS6detail17trampoline_kernelINS0_14default_configENS1_33run_length_encode_config_selectorIajNS0_4plusIjEEEEZZNS1_33reduce_by_key_impl_wrapped_configILNS1_25lookback_scan_determinismE0ES3_S7_PKaNS0_17constant_iteratorIjlEEPaPlSF_S6_NS0_8equal_toIaEEEE10hipError_tPvRmT2_T3_mT4_T5_T6_T7_T8_P12ihipStream_tbENKUlT_T0_E_clISt17integral_constantIbLb1EESZ_EEDaSU_SV_EUlSU_E_NS1_11comp_targetILNS1_3genE9ELNS1_11target_archE1100ELNS1_3gpuE3ELNS1_3repE0EEENS1_30default_config_static_selectorELNS0_4arch9wavefront6targetE1EEEvT1_
                                        ; -- End function
	.section	.AMDGPU.csdata,"",@progbits
; Kernel info:
; codeLenInByte = 0
; NumSgprs: 6
; NumVgprs: 0
; NumAgprs: 0
; TotalNumVgprs: 0
; ScratchSize: 0
; MemoryBound: 0
; FloatMode: 240
; IeeeMode: 1
; LDSByteSize: 0 bytes/workgroup (compile time only)
; SGPRBlocks: 0
; VGPRBlocks: 0
; NumSGPRsForWavesPerEU: 6
; NumVGPRsForWavesPerEU: 1
; AccumOffset: 4
; Occupancy: 8
; WaveLimiterHint : 0
; COMPUTE_PGM_RSRC2:SCRATCH_EN: 0
; COMPUTE_PGM_RSRC2:USER_SGPR: 2
; COMPUTE_PGM_RSRC2:TRAP_HANDLER: 0
; COMPUTE_PGM_RSRC2:TGID_X_EN: 1
; COMPUTE_PGM_RSRC2:TGID_Y_EN: 0
; COMPUTE_PGM_RSRC2:TGID_Z_EN: 0
; COMPUTE_PGM_RSRC2:TIDIG_COMP_CNT: 0
; COMPUTE_PGM_RSRC3_GFX90A:ACCUM_OFFSET: 0
; COMPUTE_PGM_RSRC3_GFX90A:TG_SPLIT: 0
	.section	.text._ZN7rocprim17ROCPRIM_400000_NS6detail17trampoline_kernelINS0_14default_configENS1_33run_length_encode_config_selectorIajNS0_4plusIjEEEEZZNS1_33reduce_by_key_impl_wrapped_configILNS1_25lookback_scan_determinismE0ES3_S7_PKaNS0_17constant_iteratorIjlEEPaPlSF_S6_NS0_8equal_toIaEEEE10hipError_tPvRmT2_T3_mT4_T5_T6_T7_T8_P12ihipStream_tbENKUlT_T0_E_clISt17integral_constantIbLb1EESZ_EEDaSU_SV_EUlSU_E_NS1_11comp_targetILNS1_3genE8ELNS1_11target_archE1030ELNS1_3gpuE2ELNS1_3repE0EEENS1_30default_config_static_selectorELNS0_4arch9wavefront6targetE1EEEvT1_,"axG",@progbits,_ZN7rocprim17ROCPRIM_400000_NS6detail17trampoline_kernelINS0_14default_configENS1_33run_length_encode_config_selectorIajNS0_4plusIjEEEEZZNS1_33reduce_by_key_impl_wrapped_configILNS1_25lookback_scan_determinismE0ES3_S7_PKaNS0_17constant_iteratorIjlEEPaPlSF_S6_NS0_8equal_toIaEEEE10hipError_tPvRmT2_T3_mT4_T5_T6_T7_T8_P12ihipStream_tbENKUlT_T0_E_clISt17integral_constantIbLb1EESZ_EEDaSU_SV_EUlSU_E_NS1_11comp_targetILNS1_3genE8ELNS1_11target_archE1030ELNS1_3gpuE2ELNS1_3repE0EEENS1_30default_config_static_selectorELNS0_4arch9wavefront6targetE1EEEvT1_,comdat
	.protected	_ZN7rocprim17ROCPRIM_400000_NS6detail17trampoline_kernelINS0_14default_configENS1_33run_length_encode_config_selectorIajNS0_4plusIjEEEEZZNS1_33reduce_by_key_impl_wrapped_configILNS1_25lookback_scan_determinismE0ES3_S7_PKaNS0_17constant_iteratorIjlEEPaPlSF_S6_NS0_8equal_toIaEEEE10hipError_tPvRmT2_T3_mT4_T5_T6_T7_T8_P12ihipStream_tbENKUlT_T0_E_clISt17integral_constantIbLb1EESZ_EEDaSU_SV_EUlSU_E_NS1_11comp_targetILNS1_3genE8ELNS1_11target_archE1030ELNS1_3gpuE2ELNS1_3repE0EEENS1_30default_config_static_selectorELNS0_4arch9wavefront6targetE1EEEvT1_ ; -- Begin function _ZN7rocprim17ROCPRIM_400000_NS6detail17trampoline_kernelINS0_14default_configENS1_33run_length_encode_config_selectorIajNS0_4plusIjEEEEZZNS1_33reduce_by_key_impl_wrapped_configILNS1_25lookback_scan_determinismE0ES3_S7_PKaNS0_17constant_iteratorIjlEEPaPlSF_S6_NS0_8equal_toIaEEEE10hipError_tPvRmT2_T3_mT4_T5_T6_T7_T8_P12ihipStream_tbENKUlT_T0_E_clISt17integral_constantIbLb1EESZ_EEDaSU_SV_EUlSU_E_NS1_11comp_targetILNS1_3genE8ELNS1_11target_archE1030ELNS1_3gpuE2ELNS1_3repE0EEENS1_30default_config_static_selectorELNS0_4arch9wavefront6targetE1EEEvT1_
	.globl	_ZN7rocprim17ROCPRIM_400000_NS6detail17trampoline_kernelINS0_14default_configENS1_33run_length_encode_config_selectorIajNS0_4plusIjEEEEZZNS1_33reduce_by_key_impl_wrapped_configILNS1_25lookback_scan_determinismE0ES3_S7_PKaNS0_17constant_iteratorIjlEEPaPlSF_S6_NS0_8equal_toIaEEEE10hipError_tPvRmT2_T3_mT4_T5_T6_T7_T8_P12ihipStream_tbENKUlT_T0_E_clISt17integral_constantIbLb1EESZ_EEDaSU_SV_EUlSU_E_NS1_11comp_targetILNS1_3genE8ELNS1_11target_archE1030ELNS1_3gpuE2ELNS1_3repE0EEENS1_30default_config_static_selectorELNS0_4arch9wavefront6targetE1EEEvT1_
	.p2align	8
	.type	_ZN7rocprim17ROCPRIM_400000_NS6detail17trampoline_kernelINS0_14default_configENS1_33run_length_encode_config_selectorIajNS0_4plusIjEEEEZZNS1_33reduce_by_key_impl_wrapped_configILNS1_25lookback_scan_determinismE0ES3_S7_PKaNS0_17constant_iteratorIjlEEPaPlSF_S6_NS0_8equal_toIaEEEE10hipError_tPvRmT2_T3_mT4_T5_T6_T7_T8_P12ihipStream_tbENKUlT_T0_E_clISt17integral_constantIbLb1EESZ_EEDaSU_SV_EUlSU_E_NS1_11comp_targetILNS1_3genE8ELNS1_11target_archE1030ELNS1_3gpuE2ELNS1_3repE0EEENS1_30default_config_static_selectorELNS0_4arch9wavefront6targetE1EEEvT1_,@function
_ZN7rocprim17ROCPRIM_400000_NS6detail17trampoline_kernelINS0_14default_configENS1_33run_length_encode_config_selectorIajNS0_4plusIjEEEEZZNS1_33reduce_by_key_impl_wrapped_configILNS1_25lookback_scan_determinismE0ES3_S7_PKaNS0_17constant_iteratorIjlEEPaPlSF_S6_NS0_8equal_toIaEEEE10hipError_tPvRmT2_T3_mT4_T5_T6_T7_T8_P12ihipStream_tbENKUlT_T0_E_clISt17integral_constantIbLb1EESZ_EEDaSU_SV_EUlSU_E_NS1_11comp_targetILNS1_3genE8ELNS1_11target_archE1030ELNS1_3gpuE2ELNS1_3repE0EEENS1_30default_config_static_selectorELNS0_4arch9wavefront6targetE1EEEvT1_: ; @_ZN7rocprim17ROCPRIM_400000_NS6detail17trampoline_kernelINS0_14default_configENS1_33run_length_encode_config_selectorIajNS0_4plusIjEEEEZZNS1_33reduce_by_key_impl_wrapped_configILNS1_25lookback_scan_determinismE0ES3_S7_PKaNS0_17constant_iteratorIjlEEPaPlSF_S6_NS0_8equal_toIaEEEE10hipError_tPvRmT2_T3_mT4_T5_T6_T7_T8_P12ihipStream_tbENKUlT_T0_E_clISt17integral_constantIbLb1EESZ_EEDaSU_SV_EUlSU_E_NS1_11comp_targetILNS1_3genE8ELNS1_11target_archE1030ELNS1_3gpuE2ELNS1_3repE0EEENS1_30default_config_static_selectorELNS0_4arch9wavefront6targetE1EEEvT1_
; %bb.0:
	.section	.rodata,"a",@progbits
	.p2align	6, 0x0
	.amdhsa_kernel _ZN7rocprim17ROCPRIM_400000_NS6detail17trampoline_kernelINS0_14default_configENS1_33run_length_encode_config_selectorIajNS0_4plusIjEEEEZZNS1_33reduce_by_key_impl_wrapped_configILNS1_25lookback_scan_determinismE0ES3_S7_PKaNS0_17constant_iteratorIjlEEPaPlSF_S6_NS0_8equal_toIaEEEE10hipError_tPvRmT2_T3_mT4_T5_T6_T7_T8_P12ihipStream_tbENKUlT_T0_E_clISt17integral_constantIbLb1EESZ_EEDaSU_SV_EUlSU_E_NS1_11comp_targetILNS1_3genE8ELNS1_11target_archE1030ELNS1_3gpuE2ELNS1_3repE0EEENS1_30default_config_static_selectorELNS0_4arch9wavefront6targetE1EEEvT1_
		.amdhsa_group_segment_fixed_size 0
		.amdhsa_private_segment_fixed_size 0
		.amdhsa_kernarg_size 128
		.amdhsa_user_sgpr_count 2
		.amdhsa_user_sgpr_dispatch_ptr 0
		.amdhsa_user_sgpr_queue_ptr 0
		.amdhsa_user_sgpr_kernarg_segment_ptr 1
		.amdhsa_user_sgpr_dispatch_id 0
		.amdhsa_user_sgpr_kernarg_preload_length 0
		.amdhsa_user_sgpr_kernarg_preload_offset 0
		.amdhsa_user_sgpr_private_segment_size 0
		.amdhsa_uses_dynamic_stack 0
		.amdhsa_enable_private_segment 0
		.amdhsa_system_sgpr_workgroup_id_x 1
		.amdhsa_system_sgpr_workgroup_id_y 0
		.amdhsa_system_sgpr_workgroup_id_z 0
		.amdhsa_system_sgpr_workgroup_info 0
		.amdhsa_system_vgpr_workitem_id 0
		.amdhsa_next_free_vgpr 1
		.amdhsa_next_free_sgpr 0
		.amdhsa_accum_offset 4
		.amdhsa_reserve_vcc 0
		.amdhsa_float_round_mode_32 0
		.amdhsa_float_round_mode_16_64 0
		.amdhsa_float_denorm_mode_32 3
		.amdhsa_float_denorm_mode_16_64 3
		.amdhsa_dx10_clamp 1
		.amdhsa_ieee_mode 1
		.amdhsa_fp16_overflow 0
		.amdhsa_tg_split 0
		.amdhsa_exception_fp_ieee_invalid_op 0
		.amdhsa_exception_fp_denorm_src 0
		.amdhsa_exception_fp_ieee_div_zero 0
		.amdhsa_exception_fp_ieee_overflow 0
		.amdhsa_exception_fp_ieee_underflow 0
		.amdhsa_exception_fp_ieee_inexact 0
		.amdhsa_exception_int_div_zero 0
	.end_amdhsa_kernel
	.section	.text._ZN7rocprim17ROCPRIM_400000_NS6detail17trampoline_kernelINS0_14default_configENS1_33run_length_encode_config_selectorIajNS0_4plusIjEEEEZZNS1_33reduce_by_key_impl_wrapped_configILNS1_25lookback_scan_determinismE0ES3_S7_PKaNS0_17constant_iteratorIjlEEPaPlSF_S6_NS0_8equal_toIaEEEE10hipError_tPvRmT2_T3_mT4_T5_T6_T7_T8_P12ihipStream_tbENKUlT_T0_E_clISt17integral_constantIbLb1EESZ_EEDaSU_SV_EUlSU_E_NS1_11comp_targetILNS1_3genE8ELNS1_11target_archE1030ELNS1_3gpuE2ELNS1_3repE0EEENS1_30default_config_static_selectorELNS0_4arch9wavefront6targetE1EEEvT1_,"axG",@progbits,_ZN7rocprim17ROCPRIM_400000_NS6detail17trampoline_kernelINS0_14default_configENS1_33run_length_encode_config_selectorIajNS0_4plusIjEEEEZZNS1_33reduce_by_key_impl_wrapped_configILNS1_25lookback_scan_determinismE0ES3_S7_PKaNS0_17constant_iteratorIjlEEPaPlSF_S6_NS0_8equal_toIaEEEE10hipError_tPvRmT2_T3_mT4_T5_T6_T7_T8_P12ihipStream_tbENKUlT_T0_E_clISt17integral_constantIbLb1EESZ_EEDaSU_SV_EUlSU_E_NS1_11comp_targetILNS1_3genE8ELNS1_11target_archE1030ELNS1_3gpuE2ELNS1_3repE0EEENS1_30default_config_static_selectorELNS0_4arch9wavefront6targetE1EEEvT1_,comdat
.Lfunc_end252:
	.size	_ZN7rocprim17ROCPRIM_400000_NS6detail17trampoline_kernelINS0_14default_configENS1_33run_length_encode_config_selectorIajNS0_4plusIjEEEEZZNS1_33reduce_by_key_impl_wrapped_configILNS1_25lookback_scan_determinismE0ES3_S7_PKaNS0_17constant_iteratorIjlEEPaPlSF_S6_NS0_8equal_toIaEEEE10hipError_tPvRmT2_T3_mT4_T5_T6_T7_T8_P12ihipStream_tbENKUlT_T0_E_clISt17integral_constantIbLb1EESZ_EEDaSU_SV_EUlSU_E_NS1_11comp_targetILNS1_3genE8ELNS1_11target_archE1030ELNS1_3gpuE2ELNS1_3repE0EEENS1_30default_config_static_selectorELNS0_4arch9wavefront6targetE1EEEvT1_, .Lfunc_end252-_ZN7rocprim17ROCPRIM_400000_NS6detail17trampoline_kernelINS0_14default_configENS1_33run_length_encode_config_selectorIajNS0_4plusIjEEEEZZNS1_33reduce_by_key_impl_wrapped_configILNS1_25lookback_scan_determinismE0ES3_S7_PKaNS0_17constant_iteratorIjlEEPaPlSF_S6_NS0_8equal_toIaEEEE10hipError_tPvRmT2_T3_mT4_T5_T6_T7_T8_P12ihipStream_tbENKUlT_T0_E_clISt17integral_constantIbLb1EESZ_EEDaSU_SV_EUlSU_E_NS1_11comp_targetILNS1_3genE8ELNS1_11target_archE1030ELNS1_3gpuE2ELNS1_3repE0EEENS1_30default_config_static_selectorELNS0_4arch9wavefront6targetE1EEEvT1_
                                        ; -- End function
	.section	.AMDGPU.csdata,"",@progbits
; Kernel info:
; codeLenInByte = 0
; NumSgprs: 6
; NumVgprs: 0
; NumAgprs: 0
; TotalNumVgprs: 0
; ScratchSize: 0
; MemoryBound: 0
; FloatMode: 240
; IeeeMode: 1
; LDSByteSize: 0 bytes/workgroup (compile time only)
; SGPRBlocks: 0
; VGPRBlocks: 0
; NumSGPRsForWavesPerEU: 6
; NumVGPRsForWavesPerEU: 1
; AccumOffset: 4
; Occupancy: 8
; WaveLimiterHint : 0
; COMPUTE_PGM_RSRC2:SCRATCH_EN: 0
; COMPUTE_PGM_RSRC2:USER_SGPR: 2
; COMPUTE_PGM_RSRC2:TRAP_HANDLER: 0
; COMPUTE_PGM_RSRC2:TGID_X_EN: 1
; COMPUTE_PGM_RSRC2:TGID_Y_EN: 0
; COMPUTE_PGM_RSRC2:TGID_Z_EN: 0
; COMPUTE_PGM_RSRC2:TIDIG_COMP_CNT: 0
; COMPUTE_PGM_RSRC3_GFX90A:ACCUM_OFFSET: 0
; COMPUTE_PGM_RSRC3_GFX90A:TG_SPLIT: 0
	.section	.text._ZN7rocprim17ROCPRIM_400000_NS6detail17trampoline_kernelINS0_14default_configENS1_33run_length_encode_config_selectorIajNS0_4plusIjEEEEZZNS1_33reduce_by_key_impl_wrapped_configILNS1_25lookback_scan_determinismE0ES3_S7_PKaNS0_17constant_iteratorIjlEEPaPlSF_S6_NS0_8equal_toIaEEEE10hipError_tPvRmT2_T3_mT4_T5_T6_T7_T8_P12ihipStream_tbENKUlT_T0_E_clISt17integral_constantIbLb1EESY_IbLb0EEEEDaSU_SV_EUlSU_E_NS1_11comp_targetILNS1_3genE0ELNS1_11target_archE4294967295ELNS1_3gpuE0ELNS1_3repE0EEENS1_30default_config_static_selectorELNS0_4arch9wavefront6targetE1EEEvT1_,"axG",@progbits,_ZN7rocprim17ROCPRIM_400000_NS6detail17trampoline_kernelINS0_14default_configENS1_33run_length_encode_config_selectorIajNS0_4plusIjEEEEZZNS1_33reduce_by_key_impl_wrapped_configILNS1_25lookback_scan_determinismE0ES3_S7_PKaNS0_17constant_iteratorIjlEEPaPlSF_S6_NS0_8equal_toIaEEEE10hipError_tPvRmT2_T3_mT4_T5_T6_T7_T8_P12ihipStream_tbENKUlT_T0_E_clISt17integral_constantIbLb1EESY_IbLb0EEEEDaSU_SV_EUlSU_E_NS1_11comp_targetILNS1_3genE0ELNS1_11target_archE4294967295ELNS1_3gpuE0ELNS1_3repE0EEENS1_30default_config_static_selectorELNS0_4arch9wavefront6targetE1EEEvT1_,comdat
	.protected	_ZN7rocprim17ROCPRIM_400000_NS6detail17trampoline_kernelINS0_14default_configENS1_33run_length_encode_config_selectorIajNS0_4plusIjEEEEZZNS1_33reduce_by_key_impl_wrapped_configILNS1_25lookback_scan_determinismE0ES3_S7_PKaNS0_17constant_iteratorIjlEEPaPlSF_S6_NS0_8equal_toIaEEEE10hipError_tPvRmT2_T3_mT4_T5_T6_T7_T8_P12ihipStream_tbENKUlT_T0_E_clISt17integral_constantIbLb1EESY_IbLb0EEEEDaSU_SV_EUlSU_E_NS1_11comp_targetILNS1_3genE0ELNS1_11target_archE4294967295ELNS1_3gpuE0ELNS1_3repE0EEENS1_30default_config_static_selectorELNS0_4arch9wavefront6targetE1EEEvT1_ ; -- Begin function _ZN7rocprim17ROCPRIM_400000_NS6detail17trampoline_kernelINS0_14default_configENS1_33run_length_encode_config_selectorIajNS0_4plusIjEEEEZZNS1_33reduce_by_key_impl_wrapped_configILNS1_25lookback_scan_determinismE0ES3_S7_PKaNS0_17constant_iteratorIjlEEPaPlSF_S6_NS0_8equal_toIaEEEE10hipError_tPvRmT2_T3_mT4_T5_T6_T7_T8_P12ihipStream_tbENKUlT_T0_E_clISt17integral_constantIbLb1EESY_IbLb0EEEEDaSU_SV_EUlSU_E_NS1_11comp_targetILNS1_3genE0ELNS1_11target_archE4294967295ELNS1_3gpuE0ELNS1_3repE0EEENS1_30default_config_static_selectorELNS0_4arch9wavefront6targetE1EEEvT1_
	.globl	_ZN7rocprim17ROCPRIM_400000_NS6detail17trampoline_kernelINS0_14default_configENS1_33run_length_encode_config_selectorIajNS0_4plusIjEEEEZZNS1_33reduce_by_key_impl_wrapped_configILNS1_25lookback_scan_determinismE0ES3_S7_PKaNS0_17constant_iteratorIjlEEPaPlSF_S6_NS0_8equal_toIaEEEE10hipError_tPvRmT2_T3_mT4_T5_T6_T7_T8_P12ihipStream_tbENKUlT_T0_E_clISt17integral_constantIbLb1EESY_IbLb0EEEEDaSU_SV_EUlSU_E_NS1_11comp_targetILNS1_3genE0ELNS1_11target_archE4294967295ELNS1_3gpuE0ELNS1_3repE0EEENS1_30default_config_static_selectorELNS0_4arch9wavefront6targetE1EEEvT1_
	.p2align	8
	.type	_ZN7rocprim17ROCPRIM_400000_NS6detail17trampoline_kernelINS0_14default_configENS1_33run_length_encode_config_selectorIajNS0_4plusIjEEEEZZNS1_33reduce_by_key_impl_wrapped_configILNS1_25lookback_scan_determinismE0ES3_S7_PKaNS0_17constant_iteratorIjlEEPaPlSF_S6_NS0_8equal_toIaEEEE10hipError_tPvRmT2_T3_mT4_T5_T6_T7_T8_P12ihipStream_tbENKUlT_T0_E_clISt17integral_constantIbLb1EESY_IbLb0EEEEDaSU_SV_EUlSU_E_NS1_11comp_targetILNS1_3genE0ELNS1_11target_archE4294967295ELNS1_3gpuE0ELNS1_3repE0EEENS1_30default_config_static_selectorELNS0_4arch9wavefront6targetE1EEEvT1_,@function
_ZN7rocprim17ROCPRIM_400000_NS6detail17trampoline_kernelINS0_14default_configENS1_33run_length_encode_config_selectorIajNS0_4plusIjEEEEZZNS1_33reduce_by_key_impl_wrapped_configILNS1_25lookback_scan_determinismE0ES3_S7_PKaNS0_17constant_iteratorIjlEEPaPlSF_S6_NS0_8equal_toIaEEEE10hipError_tPvRmT2_T3_mT4_T5_T6_T7_T8_P12ihipStream_tbENKUlT_T0_E_clISt17integral_constantIbLb1EESY_IbLb0EEEEDaSU_SV_EUlSU_E_NS1_11comp_targetILNS1_3genE0ELNS1_11target_archE4294967295ELNS1_3gpuE0ELNS1_3repE0EEENS1_30default_config_static_selectorELNS0_4arch9wavefront6targetE1EEEvT1_: ; @_ZN7rocprim17ROCPRIM_400000_NS6detail17trampoline_kernelINS0_14default_configENS1_33run_length_encode_config_selectorIajNS0_4plusIjEEEEZZNS1_33reduce_by_key_impl_wrapped_configILNS1_25lookback_scan_determinismE0ES3_S7_PKaNS0_17constant_iteratorIjlEEPaPlSF_S6_NS0_8equal_toIaEEEE10hipError_tPvRmT2_T3_mT4_T5_T6_T7_T8_P12ihipStream_tbENKUlT_T0_E_clISt17integral_constantIbLb1EESY_IbLb0EEEEDaSU_SV_EUlSU_E_NS1_11comp_targetILNS1_3genE0ELNS1_11target_archE4294967295ELNS1_3gpuE0ELNS1_3repE0EEENS1_30default_config_static_selectorELNS0_4arch9wavefront6targetE1EEEvT1_
; %bb.0:
	.section	.rodata,"a",@progbits
	.p2align	6, 0x0
	.amdhsa_kernel _ZN7rocprim17ROCPRIM_400000_NS6detail17trampoline_kernelINS0_14default_configENS1_33run_length_encode_config_selectorIajNS0_4plusIjEEEEZZNS1_33reduce_by_key_impl_wrapped_configILNS1_25lookback_scan_determinismE0ES3_S7_PKaNS0_17constant_iteratorIjlEEPaPlSF_S6_NS0_8equal_toIaEEEE10hipError_tPvRmT2_T3_mT4_T5_T6_T7_T8_P12ihipStream_tbENKUlT_T0_E_clISt17integral_constantIbLb1EESY_IbLb0EEEEDaSU_SV_EUlSU_E_NS1_11comp_targetILNS1_3genE0ELNS1_11target_archE4294967295ELNS1_3gpuE0ELNS1_3repE0EEENS1_30default_config_static_selectorELNS0_4arch9wavefront6targetE1EEEvT1_
		.amdhsa_group_segment_fixed_size 0
		.amdhsa_private_segment_fixed_size 0
		.amdhsa_kernarg_size 128
		.amdhsa_user_sgpr_count 2
		.amdhsa_user_sgpr_dispatch_ptr 0
		.amdhsa_user_sgpr_queue_ptr 0
		.amdhsa_user_sgpr_kernarg_segment_ptr 1
		.amdhsa_user_sgpr_dispatch_id 0
		.amdhsa_user_sgpr_kernarg_preload_length 0
		.amdhsa_user_sgpr_kernarg_preload_offset 0
		.amdhsa_user_sgpr_private_segment_size 0
		.amdhsa_uses_dynamic_stack 0
		.amdhsa_enable_private_segment 0
		.amdhsa_system_sgpr_workgroup_id_x 1
		.amdhsa_system_sgpr_workgroup_id_y 0
		.amdhsa_system_sgpr_workgroup_id_z 0
		.amdhsa_system_sgpr_workgroup_info 0
		.amdhsa_system_vgpr_workitem_id 0
		.amdhsa_next_free_vgpr 1
		.amdhsa_next_free_sgpr 0
		.amdhsa_accum_offset 4
		.amdhsa_reserve_vcc 0
		.amdhsa_float_round_mode_32 0
		.amdhsa_float_round_mode_16_64 0
		.amdhsa_float_denorm_mode_32 3
		.amdhsa_float_denorm_mode_16_64 3
		.amdhsa_dx10_clamp 1
		.amdhsa_ieee_mode 1
		.amdhsa_fp16_overflow 0
		.amdhsa_tg_split 0
		.amdhsa_exception_fp_ieee_invalid_op 0
		.amdhsa_exception_fp_denorm_src 0
		.amdhsa_exception_fp_ieee_div_zero 0
		.amdhsa_exception_fp_ieee_overflow 0
		.amdhsa_exception_fp_ieee_underflow 0
		.amdhsa_exception_fp_ieee_inexact 0
		.amdhsa_exception_int_div_zero 0
	.end_amdhsa_kernel
	.section	.text._ZN7rocprim17ROCPRIM_400000_NS6detail17trampoline_kernelINS0_14default_configENS1_33run_length_encode_config_selectorIajNS0_4plusIjEEEEZZNS1_33reduce_by_key_impl_wrapped_configILNS1_25lookback_scan_determinismE0ES3_S7_PKaNS0_17constant_iteratorIjlEEPaPlSF_S6_NS0_8equal_toIaEEEE10hipError_tPvRmT2_T3_mT4_T5_T6_T7_T8_P12ihipStream_tbENKUlT_T0_E_clISt17integral_constantIbLb1EESY_IbLb0EEEEDaSU_SV_EUlSU_E_NS1_11comp_targetILNS1_3genE0ELNS1_11target_archE4294967295ELNS1_3gpuE0ELNS1_3repE0EEENS1_30default_config_static_selectorELNS0_4arch9wavefront6targetE1EEEvT1_,"axG",@progbits,_ZN7rocprim17ROCPRIM_400000_NS6detail17trampoline_kernelINS0_14default_configENS1_33run_length_encode_config_selectorIajNS0_4plusIjEEEEZZNS1_33reduce_by_key_impl_wrapped_configILNS1_25lookback_scan_determinismE0ES3_S7_PKaNS0_17constant_iteratorIjlEEPaPlSF_S6_NS0_8equal_toIaEEEE10hipError_tPvRmT2_T3_mT4_T5_T6_T7_T8_P12ihipStream_tbENKUlT_T0_E_clISt17integral_constantIbLb1EESY_IbLb0EEEEDaSU_SV_EUlSU_E_NS1_11comp_targetILNS1_3genE0ELNS1_11target_archE4294967295ELNS1_3gpuE0ELNS1_3repE0EEENS1_30default_config_static_selectorELNS0_4arch9wavefront6targetE1EEEvT1_,comdat
.Lfunc_end253:
	.size	_ZN7rocprim17ROCPRIM_400000_NS6detail17trampoline_kernelINS0_14default_configENS1_33run_length_encode_config_selectorIajNS0_4plusIjEEEEZZNS1_33reduce_by_key_impl_wrapped_configILNS1_25lookback_scan_determinismE0ES3_S7_PKaNS0_17constant_iteratorIjlEEPaPlSF_S6_NS0_8equal_toIaEEEE10hipError_tPvRmT2_T3_mT4_T5_T6_T7_T8_P12ihipStream_tbENKUlT_T0_E_clISt17integral_constantIbLb1EESY_IbLb0EEEEDaSU_SV_EUlSU_E_NS1_11comp_targetILNS1_3genE0ELNS1_11target_archE4294967295ELNS1_3gpuE0ELNS1_3repE0EEENS1_30default_config_static_selectorELNS0_4arch9wavefront6targetE1EEEvT1_, .Lfunc_end253-_ZN7rocprim17ROCPRIM_400000_NS6detail17trampoline_kernelINS0_14default_configENS1_33run_length_encode_config_selectorIajNS0_4plusIjEEEEZZNS1_33reduce_by_key_impl_wrapped_configILNS1_25lookback_scan_determinismE0ES3_S7_PKaNS0_17constant_iteratorIjlEEPaPlSF_S6_NS0_8equal_toIaEEEE10hipError_tPvRmT2_T3_mT4_T5_T6_T7_T8_P12ihipStream_tbENKUlT_T0_E_clISt17integral_constantIbLb1EESY_IbLb0EEEEDaSU_SV_EUlSU_E_NS1_11comp_targetILNS1_3genE0ELNS1_11target_archE4294967295ELNS1_3gpuE0ELNS1_3repE0EEENS1_30default_config_static_selectorELNS0_4arch9wavefront6targetE1EEEvT1_
                                        ; -- End function
	.section	.AMDGPU.csdata,"",@progbits
; Kernel info:
; codeLenInByte = 0
; NumSgprs: 6
; NumVgprs: 0
; NumAgprs: 0
; TotalNumVgprs: 0
; ScratchSize: 0
; MemoryBound: 0
; FloatMode: 240
; IeeeMode: 1
; LDSByteSize: 0 bytes/workgroup (compile time only)
; SGPRBlocks: 0
; VGPRBlocks: 0
; NumSGPRsForWavesPerEU: 6
; NumVGPRsForWavesPerEU: 1
; AccumOffset: 4
; Occupancy: 8
; WaveLimiterHint : 0
; COMPUTE_PGM_RSRC2:SCRATCH_EN: 0
; COMPUTE_PGM_RSRC2:USER_SGPR: 2
; COMPUTE_PGM_RSRC2:TRAP_HANDLER: 0
; COMPUTE_PGM_RSRC2:TGID_X_EN: 1
; COMPUTE_PGM_RSRC2:TGID_Y_EN: 0
; COMPUTE_PGM_RSRC2:TGID_Z_EN: 0
; COMPUTE_PGM_RSRC2:TIDIG_COMP_CNT: 0
; COMPUTE_PGM_RSRC3_GFX90A:ACCUM_OFFSET: 0
; COMPUTE_PGM_RSRC3_GFX90A:TG_SPLIT: 0
	.section	.text._ZN7rocprim17ROCPRIM_400000_NS6detail17trampoline_kernelINS0_14default_configENS1_33run_length_encode_config_selectorIajNS0_4plusIjEEEEZZNS1_33reduce_by_key_impl_wrapped_configILNS1_25lookback_scan_determinismE0ES3_S7_PKaNS0_17constant_iteratorIjlEEPaPlSF_S6_NS0_8equal_toIaEEEE10hipError_tPvRmT2_T3_mT4_T5_T6_T7_T8_P12ihipStream_tbENKUlT_T0_E_clISt17integral_constantIbLb1EESY_IbLb0EEEEDaSU_SV_EUlSU_E_NS1_11comp_targetILNS1_3genE5ELNS1_11target_archE942ELNS1_3gpuE9ELNS1_3repE0EEENS1_30default_config_static_selectorELNS0_4arch9wavefront6targetE1EEEvT1_,"axG",@progbits,_ZN7rocprim17ROCPRIM_400000_NS6detail17trampoline_kernelINS0_14default_configENS1_33run_length_encode_config_selectorIajNS0_4plusIjEEEEZZNS1_33reduce_by_key_impl_wrapped_configILNS1_25lookback_scan_determinismE0ES3_S7_PKaNS0_17constant_iteratorIjlEEPaPlSF_S6_NS0_8equal_toIaEEEE10hipError_tPvRmT2_T3_mT4_T5_T6_T7_T8_P12ihipStream_tbENKUlT_T0_E_clISt17integral_constantIbLb1EESY_IbLb0EEEEDaSU_SV_EUlSU_E_NS1_11comp_targetILNS1_3genE5ELNS1_11target_archE942ELNS1_3gpuE9ELNS1_3repE0EEENS1_30default_config_static_selectorELNS0_4arch9wavefront6targetE1EEEvT1_,comdat
	.protected	_ZN7rocprim17ROCPRIM_400000_NS6detail17trampoline_kernelINS0_14default_configENS1_33run_length_encode_config_selectorIajNS0_4plusIjEEEEZZNS1_33reduce_by_key_impl_wrapped_configILNS1_25lookback_scan_determinismE0ES3_S7_PKaNS0_17constant_iteratorIjlEEPaPlSF_S6_NS0_8equal_toIaEEEE10hipError_tPvRmT2_T3_mT4_T5_T6_T7_T8_P12ihipStream_tbENKUlT_T0_E_clISt17integral_constantIbLb1EESY_IbLb0EEEEDaSU_SV_EUlSU_E_NS1_11comp_targetILNS1_3genE5ELNS1_11target_archE942ELNS1_3gpuE9ELNS1_3repE0EEENS1_30default_config_static_selectorELNS0_4arch9wavefront6targetE1EEEvT1_ ; -- Begin function _ZN7rocprim17ROCPRIM_400000_NS6detail17trampoline_kernelINS0_14default_configENS1_33run_length_encode_config_selectorIajNS0_4plusIjEEEEZZNS1_33reduce_by_key_impl_wrapped_configILNS1_25lookback_scan_determinismE0ES3_S7_PKaNS0_17constant_iteratorIjlEEPaPlSF_S6_NS0_8equal_toIaEEEE10hipError_tPvRmT2_T3_mT4_T5_T6_T7_T8_P12ihipStream_tbENKUlT_T0_E_clISt17integral_constantIbLb1EESY_IbLb0EEEEDaSU_SV_EUlSU_E_NS1_11comp_targetILNS1_3genE5ELNS1_11target_archE942ELNS1_3gpuE9ELNS1_3repE0EEENS1_30default_config_static_selectorELNS0_4arch9wavefront6targetE1EEEvT1_
	.globl	_ZN7rocprim17ROCPRIM_400000_NS6detail17trampoline_kernelINS0_14default_configENS1_33run_length_encode_config_selectorIajNS0_4plusIjEEEEZZNS1_33reduce_by_key_impl_wrapped_configILNS1_25lookback_scan_determinismE0ES3_S7_PKaNS0_17constant_iteratorIjlEEPaPlSF_S6_NS0_8equal_toIaEEEE10hipError_tPvRmT2_T3_mT4_T5_T6_T7_T8_P12ihipStream_tbENKUlT_T0_E_clISt17integral_constantIbLb1EESY_IbLb0EEEEDaSU_SV_EUlSU_E_NS1_11comp_targetILNS1_3genE5ELNS1_11target_archE942ELNS1_3gpuE9ELNS1_3repE0EEENS1_30default_config_static_selectorELNS0_4arch9wavefront6targetE1EEEvT1_
	.p2align	8
	.type	_ZN7rocprim17ROCPRIM_400000_NS6detail17trampoline_kernelINS0_14default_configENS1_33run_length_encode_config_selectorIajNS0_4plusIjEEEEZZNS1_33reduce_by_key_impl_wrapped_configILNS1_25lookback_scan_determinismE0ES3_S7_PKaNS0_17constant_iteratorIjlEEPaPlSF_S6_NS0_8equal_toIaEEEE10hipError_tPvRmT2_T3_mT4_T5_T6_T7_T8_P12ihipStream_tbENKUlT_T0_E_clISt17integral_constantIbLb1EESY_IbLb0EEEEDaSU_SV_EUlSU_E_NS1_11comp_targetILNS1_3genE5ELNS1_11target_archE942ELNS1_3gpuE9ELNS1_3repE0EEENS1_30default_config_static_selectorELNS0_4arch9wavefront6targetE1EEEvT1_,@function
_ZN7rocprim17ROCPRIM_400000_NS6detail17trampoline_kernelINS0_14default_configENS1_33run_length_encode_config_selectorIajNS0_4plusIjEEEEZZNS1_33reduce_by_key_impl_wrapped_configILNS1_25lookback_scan_determinismE0ES3_S7_PKaNS0_17constant_iteratorIjlEEPaPlSF_S6_NS0_8equal_toIaEEEE10hipError_tPvRmT2_T3_mT4_T5_T6_T7_T8_P12ihipStream_tbENKUlT_T0_E_clISt17integral_constantIbLb1EESY_IbLb0EEEEDaSU_SV_EUlSU_E_NS1_11comp_targetILNS1_3genE5ELNS1_11target_archE942ELNS1_3gpuE9ELNS1_3repE0EEENS1_30default_config_static_selectorELNS0_4arch9wavefront6targetE1EEEvT1_: ; @_ZN7rocprim17ROCPRIM_400000_NS6detail17trampoline_kernelINS0_14default_configENS1_33run_length_encode_config_selectorIajNS0_4plusIjEEEEZZNS1_33reduce_by_key_impl_wrapped_configILNS1_25lookback_scan_determinismE0ES3_S7_PKaNS0_17constant_iteratorIjlEEPaPlSF_S6_NS0_8equal_toIaEEEE10hipError_tPvRmT2_T3_mT4_T5_T6_T7_T8_P12ihipStream_tbENKUlT_T0_E_clISt17integral_constantIbLb1EESY_IbLb0EEEEDaSU_SV_EUlSU_E_NS1_11comp_targetILNS1_3genE5ELNS1_11target_archE942ELNS1_3gpuE9ELNS1_3repE0EEENS1_30default_config_static_selectorELNS0_4arch9wavefront6targetE1EEEvT1_
; %bb.0:
	s_load_dwordx8 s[36:43], s[0:1], 0x40
	s_load_dwordx4 s[4:7], s[0:1], 0x0
	s_load_dword s3, s[0:1], 0x10
	s_load_dwordx4 s[44:47], s[0:1], 0x60
	s_mov_b64 s[12:13], -1
	s_waitcnt lgkmcnt(0)
	s_mul_i32 s8, s40, s39
	s_mul_hi_u32 s9, s40, s38
	s_add_i32 s8, s9, s8
	s_mul_i32 s9, s41, s38
	s_add_i32 s8, s8, s9
	s_add_u32 s4, s4, s6
	s_addc_u32 s5, s5, s7
	s_mul_i32 s6, s2, 0x1e00
	s_add_u32 s4, s4, s6
	s_mul_i32 s9, s40, s38
	s_addc_u32 s5, s5, 0
	s_add_u32 s6, s9, s2
	s_addc_u32 s7, s8, 0
	s_add_u32 s8, s42, -1
	s_addc_u32 s9, s43, -1
	s_cmp_eq_u64 s[6:7], s[8:9]
	s_cselect_b64 s[34:35], -1, 0
	s_cmp_lg_u64 s[6:7], s[8:9]
	s_cselect_b64 s[10:11], -1, 0
	s_mul_i32 s33, s8, 0xffffe200
	s_and_b64 vcc, exec, s[34:35]
	v_mad_u32_u24 v2, v0, 14, v0
	s_cbranch_vccnz .LBB254_2
; %bb.1:
	v_mov_b32_e32 v1, 0
	v_lshl_add_u64 v[4:5], s[4:5], 0, v[0:1]
	v_add_co_u32_e32 v4, vcc, 0x1000, v4
	global_load_ubyte v1, v0, s[4:5]
	global_load_ubyte v3, v0, s[4:5] offset:512
	global_load_ubyte v6, v0, s[4:5] offset:1024
	;; [unrolled: 1-line block ×7, first 2 shown]
	v_addc_co_u32_e32 v5, vcc, 0, v5, vcc
	global_load_ubyte v12, v[4:5], off
	global_load_ubyte v13, v[4:5], off offset:512
	global_load_ubyte v14, v[4:5], off offset:1024
	;; [unrolled: 1-line block ×6, first 2 shown]
	s_mov_b64 s[8:9], -1
	s_waitcnt vmcnt(14)
	ds_write_b8 v0, v1
	s_waitcnt vmcnt(13)
	ds_write_b8 v0, v3 offset:512
	s_waitcnt vmcnt(12)
	ds_write_b8 v0, v6 offset:1024
	;; [unrolled: 2-line block ×14, first 2 shown]
	s_waitcnt lgkmcnt(0)
	s_barrier
	ds_read_b96 v[8:10], v2
	ds_read_u8 v21, v2 offset:12
	ds_read_u8 v11, v2 offset:13
	;; [unrolled: 1-line block ×3, first 2 shown]
	s_waitcnt lgkmcnt(3)
	v_lshrrev_b32_e32 v66, 8, v8
	v_lshrrev_b32_e32 v64, 16, v8
	;; [unrolled: 1-line block ×9, first 2 shown]
	s_add_i32 s33, s33, s44
	s_cbranch_execz .LBB254_3
	s_branch .LBB254_34
.LBB254_2:
	s_mov_b64 s[8:9], 0
                                        ; implicit-def: $vgpr8
                                        ; implicit-def: $vgpr66
                                        ; implicit-def: $vgpr64
                                        ; implicit-def: $vgpr63
                                        ; implicit-def: $vgpr61
                                        ; implicit-def: $vgpr60
                                        ; implicit-def: $vgpr59
                                        ; implicit-def: $vgpr58
                                        ; implicit-def: $vgpr57
                                        ; implicit-def: $vgpr56
                                        ; implicit-def: $vgpr21
                                        ; implicit-def: $vgpr11
                                        ; implicit-def: $vgpr1
	s_add_i32 s33, s33, s44
	s_andn2_b64 vcc, exec, s[12:13]
	s_cbranch_vccnz .LBB254_34
.LBB254_3:
	v_cmp_gt_u32_e32 vcc, s33, v0
                                        ; implicit-def: $vgpr1
	s_and_saveexec_b64 s[8:9], vcc
	s_cbranch_execz .LBB254_5
; %bb.4:
	s_waitcnt lgkmcnt(0)
	global_load_ubyte v1, v0, s[4:5]
.LBB254_5:
	s_or_b64 exec, exec, s[8:9]
	v_or_b32_e32 v3, 0x200, v0
	v_cmp_gt_u32_e32 vcc, s33, v3
                                        ; implicit-def: $vgpr3
	s_and_saveexec_b64 s[8:9], vcc
	s_cbranch_execz .LBB254_7
; %bb.6:
	global_load_ubyte v3, v0, s[4:5] offset:512
.LBB254_7:
	s_or_b64 exec, exec, s[8:9]
	v_or_b32_e32 v4, 0x400, v0
	v_cmp_gt_u32_e32 vcc, s33, v4
                                        ; implicit-def: $vgpr4
	s_and_saveexec_b64 s[8:9], vcc
	s_cbranch_execz .LBB254_9
; %bb.8:
	global_load_ubyte v4, v0, s[4:5] offset:1024
.LBB254_9:
	s_or_b64 exec, exec, s[8:9]
	v_or_b32_e32 v5, 0x600, v0
	v_cmp_gt_u32_e32 vcc, s33, v5
                                        ; implicit-def: $vgpr5
	s_and_saveexec_b64 s[8:9], vcc
	s_cbranch_execz .LBB254_11
; %bb.10:
	global_load_ubyte v5, v0, s[4:5] offset:1536
.LBB254_11:
	s_or_b64 exec, exec, s[8:9]
	v_or_b32_e32 v6, 0x800, v0
	v_cmp_gt_u32_e32 vcc, s33, v6
                                        ; implicit-def: $vgpr6
	s_and_saveexec_b64 s[8:9], vcc
	s_cbranch_execz .LBB254_13
; %bb.12:
	global_load_ubyte v6, v0, s[4:5] offset:2048
.LBB254_13:
	s_or_b64 exec, exec, s[8:9]
	v_or_b32_e32 v7, 0xa00, v0
	v_cmp_gt_u32_e32 vcc, s33, v7
                                        ; implicit-def: $vgpr7
	s_and_saveexec_b64 s[8:9], vcc
	s_cbranch_execz .LBB254_15
; %bb.14:
	global_load_ubyte v7, v0, s[4:5] offset:2560
.LBB254_15:
	s_or_b64 exec, exec, s[8:9]
	v_or_b32_e32 v8, 0xc00, v0
	v_cmp_gt_u32_e32 vcc, s33, v8
                                        ; implicit-def: $vgpr8
	s_and_saveexec_b64 s[8:9], vcc
	s_cbranch_execz .LBB254_17
; %bb.16:
	global_load_ubyte v8, v0, s[4:5] offset:3072
.LBB254_17:
	s_or_b64 exec, exec, s[8:9]
	v_or_b32_e32 v9, 0xe00, v0
	v_cmp_gt_u32_e32 vcc, s33, v9
                                        ; implicit-def: $vgpr9
	s_and_saveexec_b64 s[8:9], vcc
	s_cbranch_execz .LBB254_19
; %bb.18:
	global_load_ubyte v9, v0, s[4:5] offset:3584
.LBB254_19:
	s_or_b64 exec, exec, s[8:9]
	s_waitcnt lgkmcnt(1)
	v_or_b32_e32 v11, 0x1000, v0
	v_cmp_gt_u32_e32 vcc, s33, v11
                                        ; implicit-def: $vgpr10
	s_and_saveexec_b64 s[8:9], vcc
	s_cbranch_execz .LBB254_21
; %bb.20:
	global_load_ubyte v10, v11, s[4:5]
.LBB254_21:
	s_or_b64 exec, exec, s[8:9]
	v_or_b32_e32 v12, 0x1200, v0
	v_cmp_gt_u32_e32 vcc, s33, v12
                                        ; implicit-def: $vgpr11
	s_and_saveexec_b64 s[8:9], vcc
	s_cbranch_execz .LBB254_23
; %bb.22:
	global_load_ubyte v11, v12, s[4:5]
.LBB254_23:
	s_or_b64 exec, exec, s[8:9]
	v_or_b32_e32 v13, 0x1400, v0
	v_cmp_gt_u32_e32 vcc, s33, v13
                                        ; implicit-def: $vgpr12
	s_and_saveexec_b64 s[8:9], vcc
	s_cbranch_execz .LBB254_25
; %bb.24:
	global_load_ubyte v12, v13, s[4:5]
.LBB254_25:
	s_or_b64 exec, exec, s[8:9]
	v_or_b32_e32 v14, 0x1600, v0
	v_cmp_gt_u32_e32 vcc, s33, v14
                                        ; implicit-def: $vgpr13
	s_and_saveexec_b64 s[8:9], vcc
	s_cbranch_execz .LBB254_27
; %bb.26:
	global_load_ubyte v13, v14, s[4:5]
.LBB254_27:
	s_or_b64 exec, exec, s[8:9]
	v_or_b32_e32 v15, 0x1800, v0
	v_cmp_gt_u32_e32 vcc, s33, v15
                                        ; implicit-def: $vgpr14
	s_and_saveexec_b64 s[8:9], vcc
	s_cbranch_execz .LBB254_29
; %bb.28:
	global_load_ubyte v14, v15, s[4:5]
.LBB254_29:
	s_or_b64 exec, exec, s[8:9]
	v_or_b32_e32 v16, 0x1a00, v0
	v_cmp_gt_u32_e32 vcc, s33, v16
                                        ; implicit-def: $vgpr15
	s_and_saveexec_b64 s[8:9], vcc
	s_cbranch_execz .LBB254_31
; %bb.30:
	global_load_ubyte v15, v16, s[4:5]
.LBB254_31:
	s_or_b64 exec, exec, s[8:9]
	v_or_b32_e32 v17, 0x1c00, v0
	v_cmp_gt_u32_e32 vcc, s33, v17
                                        ; implicit-def: $vgpr16
	s_and_saveexec_b64 s[8:9], vcc
	s_cbranch_execz .LBB254_33
; %bb.32:
	global_load_ubyte v16, v17, s[4:5]
.LBB254_33:
	s_or_b64 exec, exec, s[8:9]
	s_waitcnt vmcnt(0) lgkmcnt(0)
	ds_write_b8 v0, v1
	ds_write_b8 v0, v3 offset:512
	ds_write_b8 v0, v4 offset:1024
	;; [unrolled: 1-line block ×14, first 2 shown]
	s_waitcnt lgkmcnt(0)
	s_barrier
	ds_read_b96 v[8:10], v2
	ds_read_u8 v21, v2 offset:12
	ds_read_u8 v11, v2 offset:13
	;; [unrolled: 1-line block ×3, first 2 shown]
	v_mad_u32_u24 v2, v0, 15, 14
	s_waitcnt lgkmcnt(3)
	v_lshrrev_b32_e32 v66, 8, v8
	v_lshrrev_b32_e32 v64, 16, v8
	;; [unrolled: 1-line block ×9, first 2 shown]
	v_cmp_gt_u32_e64 s[8:9], s33, v2
.LBB254_34:
	v_mov_b32_e32 v52, s3
                                        ; implicit-def: $vgpr53
	s_and_saveexec_b64 s[12:13], s[8:9]
; %bb.35:
	v_mov_b32_e32 v53, s3
; %bb.36:
	s_or_b64 exec, exec, s[12:13]
	s_load_dwordx2 s[50:51], s[0:1], 0x70
	s_cmp_eq_u64 s[6:7], 0
	s_cselect_b64 s[48:49], -1, 0
	s_cmp_lg_u64 s[6:7], 0
	s_mov_b64 s[8:9], 0
	s_cselect_b64 s[12:13], -1, 0
	s_and_b64 vcc, exec, s[10:11]
	s_waitcnt lgkmcnt(0)
	s_barrier
	s_cbranch_vccz .LBB254_42
; %bb.37:
	s_and_b64 vcc, exec, s[12:13]
	s_cbranch_vccz .LBB254_43
; %bb.38:
	v_mov_b32_e32 v2, 0
	global_load_ubyte v2, v2, s[4:5] offset:-1
	v_cmp_ne_u16_sdwa s[8:9], v11, v1 src0_sel:BYTE_0 src1_sel:BYTE_0
	v_cmp_ne_u16_sdwa s[10:11], v21, v11 src0_sel:BYTE_0 src1_sel:BYTE_0
	;; [unrolled: 1-line block ×14, first 2 shown]
	v_cmp_ne_u32_e32 vcc, 0, v0
	ds_write_b8 v0, v1
	s_waitcnt lgkmcnt(0)
	s_barrier
	s_and_saveexec_b64 s[54:55], vcc
	s_cbranch_execz .LBB254_40
; %bb.39:
	s_waitcnt vmcnt(0)
	v_add_u32_e32 v2, -1, v0
	ds_read_u8 v2, v2
.LBB254_40:
	s_or_b64 exec, exec, s[54:55]
	s_waitcnt vmcnt(0) lgkmcnt(0)
	v_and_b32_e32 v2, 0xff, v2
	v_cndmask_b32_e64 v62, 0, 1, s[8:9]
	v_cndmask_b32_e64 v65, 0, 1, s[10:11]
	;; [unrolled: 1-line block ×14, first 2 shown]
	v_cmp_ne_u16_sdwa s[10:11], v2, v8 src0_sel:DWORD src1_sel:BYTE_0
	s_mov_b64 s[8:9], -1
.LBB254_41:
                                        ; implicit-def: $sgpr3
	s_branch .LBB254_55
.LBB254_42:
                                        ; implicit-def: $sgpr10_sgpr11
                                        ; implicit-def: $vgpr62
                                        ; implicit-def: $vgpr65
                                        ; implicit-def: $vgpr67
                                        ; implicit-def: $vgpr68
                                        ; implicit-def: $vgpr69
                                        ; implicit-def: $vgpr70
                                        ; implicit-def: $vgpr71
                                        ; implicit-def: $vgpr72
                                        ; implicit-def: $vgpr73
                                        ; implicit-def: $vgpr74
                                        ; implicit-def: $vgpr75
                                        ; implicit-def: $vgpr76
                                        ; implicit-def: $vgpr77
                                        ; implicit-def: $vgpr78
                                        ; implicit-def: $sgpr3
	s_cbranch_execnz .LBB254_47
	s_branch .LBB254_55
.LBB254_43:
                                        ; implicit-def: $sgpr10_sgpr11
                                        ; implicit-def: $vgpr62
                                        ; implicit-def: $vgpr65
                                        ; implicit-def: $vgpr67
                                        ; implicit-def: $vgpr68
                                        ; implicit-def: $vgpr69
                                        ; implicit-def: $vgpr70
                                        ; implicit-def: $vgpr71
                                        ; implicit-def: $vgpr72
                                        ; implicit-def: $vgpr73
                                        ; implicit-def: $vgpr74
                                        ; implicit-def: $vgpr75
                                        ; implicit-def: $vgpr76
                                        ; implicit-def: $vgpr77
                                        ; implicit-def: $vgpr78
	s_cbranch_execz .LBB254_41
; %bb.44:
	v_cmp_ne_u16_sdwa s[10:11], v11, v1 src0_sel:BYTE_0 src1_sel:BYTE_0
	v_cmp_ne_u32_e32 vcc, 0, v0
	ds_write_b8 v0, v1
	v_cndmask_b32_e64 v62, 0, 1, s[10:11]
	v_cmp_ne_u16_sdwa s[10:11], v21, v11 src0_sel:BYTE_0 src1_sel:BYTE_0
	s_waitcnt lgkmcnt(0)
	s_barrier
	v_cndmask_b32_e64 v65, 0, 1, s[10:11]
	v_cmp_ne_u16_sdwa s[10:11], v56, v21 src0_sel:BYTE_0 src1_sel:BYTE_0
	s_nop 1
	v_cndmask_b32_e64 v67, 0, 1, s[10:11]
	v_cmp_ne_u16_sdwa s[10:11], v57, v56 src0_sel:BYTE_0 src1_sel:BYTE_0
	s_nop 1
	;; [unrolled: 3-line block ×12, first 2 shown]
	v_cndmask_b32_e64 v78, 0, 1, s[10:11]
                                        ; implicit-def: $sgpr10_sgpr11
	s_and_saveexec_b64 s[14:15], vcc
	s_xor_b64 s[14:15], exec, s[14:15]
	s_cbranch_execz .LBB254_46
; %bb.45:
	v_add_u32_e32 v2, -1, v0
	ds_read_u8 v2, v2
	s_or_b64 s[8:9], s[8:9], exec
	s_waitcnt lgkmcnt(0)
	v_cmp_ne_u16_sdwa s[10:11], v2, v8 src0_sel:DWORD src1_sel:BYTE_0
	s_and_b64 s[10:11], s[10:11], exec
.LBB254_46:
	s_or_b64 exec, exec, s[14:15]
	s_mov_b32 s3, 1
	s_branch .LBB254_55
.LBB254_47:
	s_mul_i32 s3, s7, 0xffffe200
	s_mul_hi_u32 s7, s6, 0xffffe200
	s_sub_i32 s7, s7, s6
	s_add_i32 s7, s7, s3
	s_mul_i32 s3, s6, 0xffffe200
	s_add_u32 s6, s3, s44
	s_addc_u32 s7, s7, s45
	s_and_b64 vcc, exec, s[12:13]
	s_cbranch_vccz .LBB254_52
; %bb.48:
	v_mov_b32_e32 v3, 0
	global_load_ubyte v6, v3, s[4:5] offset:-1
	v_mad_u32_u24 v2, v0, 15, 14
	v_cmp_gt_u64_e32 vcc, s[6:7], v[2:3]
	v_cmp_ne_u16_sdwa s[4:5], v11, v1 src0_sel:BYTE_0 src1_sel:BYTE_0
	v_mad_u32_u24 v2, v0, 15, 13
	s_and_b64 s[4:5], vcc, s[4:5]
	v_cmp_gt_u64_e32 vcc, s[6:7], v[2:3]
	v_cmp_ne_u16_sdwa s[8:9], v21, v11 src0_sel:BYTE_0 src1_sel:BYTE_0
	v_mad_u32_u24 v2, v0, 15, 12
	s_and_b64 s[8:9], vcc, s[8:9]
	;; [unrolled: 4-line block ×13, first 2 shown]
	v_cmp_gt_u64_e32 vcc, s[6:7], v[2:3]
	v_cmp_ne_u16_sdwa s[40:41], v8, v66 src0_sel:BYTE_0 src1_sel:BYTE_0
	v_mul_u32_u24_e32 v4, 15, v0
	s_and_b64 s[40:41], vcc, s[40:41]
	v_cmp_ne_u32_e32 vcc, 0, v0
	ds_write_b8 v0, v1
	s_waitcnt lgkmcnt(0)
	s_barrier
	s_and_saveexec_b64 s[42:43], vcc
	s_cbranch_execz .LBB254_50
; %bb.49:
	v_add_u32_e32 v2, -1, v0
	s_waitcnt vmcnt(0)
	ds_read_u8 v6, v2
.LBB254_50:
	s_or_b64 exec, exec, s[42:43]
	v_mov_b32_e32 v5, v3
	s_waitcnt vmcnt(0) lgkmcnt(0)
	v_and_b32_e32 v2, 0xff, v6
	v_cndmask_b32_e64 v62, 0, 1, s[4:5]
	v_cmp_gt_u64_e32 vcc, s[6:7], v[4:5]
	v_cmp_ne_u16_sdwa s[4:5], v2, v8 src0_sel:DWORD src1_sel:BYTE_0
	v_cndmask_b32_e64 v65, 0, 1, s[8:9]
	v_cndmask_b32_e64 v67, 0, 1, s[10:11]
	;; [unrolled: 1-line block ×13, first 2 shown]
	s_and_b64 s[10:11], vcc, s[4:5]
	s_mov_b64 s[8:9], -1
.LBB254_51:
                                        ; implicit-def: $sgpr3
	v_mov_b32_e32 v79, s3
	s_and_saveexec_b64 s[4:5], s[8:9]
	s_cbranch_execnz .LBB254_56
	s_branch .LBB254_57
.LBB254_52:
                                        ; implicit-def: $sgpr10_sgpr11
                                        ; implicit-def: $vgpr62
                                        ; implicit-def: $vgpr65
                                        ; implicit-def: $vgpr67
                                        ; implicit-def: $vgpr68
                                        ; implicit-def: $vgpr69
                                        ; implicit-def: $vgpr70
                                        ; implicit-def: $vgpr71
                                        ; implicit-def: $vgpr72
                                        ; implicit-def: $vgpr73
                                        ; implicit-def: $vgpr74
                                        ; implicit-def: $vgpr75
                                        ; implicit-def: $vgpr76
                                        ; implicit-def: $vgpr77
                                        ; implicit-def: $vgpr78
	s_cbranch_execz .LBB254_51
; %bb.53:
	v_mad_u32_u24 v2, v0, 15, 14
	v_mov_b32_e32 v3, 0
	v_cmp_gt_u64_e32 vcc, s[6:7], v[2:3]
	v_cmp_ne_u16_sdwa s[4:5], v11, v1 src0_sel:BYTE_0 src1_sel:BYTE_0
	s_and_b64 s[4:5], vcc, s[4:5]
	v_mad_u32_u24 v2, v0, 15, 13
	v_cndmask_b32_e64 v62, 0, 1, s[4:5]
	v_cmp_gt_u64_e32 vcc, s[6:7], v[2:3]
	v_cmp_ne_u16_sdwa s[4:5], v21, v11 src0_sel:BYTE_0 src1_sel:BYTE_0
	s_and_b64 s[4:5], vcc, s[4:5]
	v_mad_u32_u24 v2, v0, 15, 12
	v_cndmask_b32_e64 v65, 0, 1, s[4:5]
	v_cmp_gt_u64_e32 vcc, s[6:7], v[2:3]
	v_cmp_ne_u16_sdwa s[4:5], v56, v21 src0_sel:BYTE_0 src1_sel:BYTE_0
	s_and_b64 s[4:5], vcc, s[4:5]
	v_mad_u32_u24 v2, v0, 15, 11
	v_cndmask_b32_e64 v67, 0, 1, s[4:5]
	v_cmp_gt_u64_e32 vcc, s[6:7], v[2:3]
	v_cmp_ne_u16_sdwa s[4:5], v57, v56 src0_sel:BYTE_0 src1_sel:BYTE_0
	s_and_b64 s[4:5], vcc, s[4:5]
	v_mad_u32_u24 v2, v0, 15, 10
	v_cndmask_b32_e64 v68, 0, 1, s[4:5]
	v_cmp_gt_u64_e32 vcc, s[6:7], v[2:3]
	v_cmp_ne_u16_sdwa s[4:5], v58, v57 src0_sel:BYTE_0 src1_sel:BYTE_0
	s_and_b64 s[4:5], vcc, s[4:5]
	v_mad_u32_u24 v2, v0, 15, 9
	v_cndmask_b32_e64 v69, 0, 1, s[4:5]
	v_cmp_gt_u64_e32 vcc, s[6:7], v[2:3]
	v_cmp_ne_u16_sdwa s[4:5], v10, v58 src0_sel:BYTE_0 src1_sel:BYTE_0
	s_and_b64 s[4:5], vcc, s[4:5]
	v_mad_u32_u24 v2, v0, 15, 8
	v_cndmask_b32_e64 v70, 0, 1, s[4:5]
	v_cmp_gt_u64_e32 vcc, s[6:7], v[2:3]
	v_cmp_ne_u16_sdwa s[4:5], v59, v10 src0_sel:BYTE_0 src1_sel:BYTE_0
	s_and_b64 s[4:5], vcc, s[4:5]
	v_mad_u32_u24 v2, v0, 15, 7
	v_cndmask_b32_e64 v71, 0, 1, s[4:5]
	v_cmp_gt_u64_e32 vcc, s[6:7], v[2:3]
	v_cmp_ne_u16_sdwa s[4:5], v60, v59 src0_sel:BYTE_0 src1_sel:BYTE_0
	s_and_b64 s[4:5], vcc, s[4:5]
	v_mad_u32_u24 v2, v0, 15, 6
	v_cndmask_b32_e64 v72, 0, 1, s[4:5]
	v_cmp_gt_u64_e32 vcc, s[6:7], v[2:3]
	v_cmp_ne_u16_sdwa s[4:5], v61, v60 src0_sel:BYTE_0 src1_sel:BYTE_0
	s_and_b64 s[4:5], vcc, s[4:5]
	v_mad_u32_u24 v2, v0, 15, 5
	v_cndmask_b32_e64 v73, 0, 1, s[4:5]
	v_cmp_gt_u64_e32 vcc, s[6:7], v[2:3]
	v_cmp_ne_u16_sdwa s[4:5], v9, v61 src0_sel:BYTE_0 src1_sel:BYTE_0
	s_and_b64 s[4:5], vcc, s[4:5]
	v_mad_u32_u24 v2, v0, 15, 4
	v_cndmask_b32_e64 v74, 0, 1, s[4:5]
	v_cmp_gt_u64_e32 vcc, s[6:7], v[2:3]
	v_cmp_ne_u16_sdwa s[4:5], v63, v9 src0_sel:BYTE_0 src1_sel:BYTE_0
	s_and_b64 s[4:5], vcc, s[4:5]
	v_mad_u32_u24 v2, v0, 15, 3
	v_cndmask_b32_e64 v75, 0, 1, s[4:5]
	v_cmp_gt_u64_e32 vcc, s[6:7], v[2:3]
	v_cmp_ne_u16_sdwa s[4:5], v64, v63 src0_sel:BYTE_0 src1_sel:BYTE_0
	s_and_b64 s[4:5], vcc, s[4:5]
	v_mad_u32_u24 v2, v0, 15, 2
	v_cndmask_b32_e64 v76, 0, 1, s[4:5]
	v_cmp_gt_u64_e32 vcc, s[6:7], v[2:3]
	v_cmp_ne_u16_sdwa s[4:5], v66, v64 src0_sel:BYTE_0 src1_sel:BYTE_0
	s_and_b64 s[4:5], vcc, s[4:5]
	v_mad_u32_u24 v2, v0, 15, 1
	v_cndmask_b32_e64 v77, 0, 1, s[4:5]
	v_cmp_gt_u64_e32 vcc, s[6:7], v[2:3]
	v_cmp_ne_u16_sdwa s[4:5], v8, v66 src0_sel:BYTE_0 src1_sel:BYTE_0
	s_and_b64 s[4:5], vcc, s[4:5]
	s_mov_b32 s3, 1
	v_cndmask_b32_e64 v78, 0, 1, s[4:5]
	v_cmp_ne_u32_e32 vcc, 0, v0
	ds_write_b8 v0, v1
	s_waitcnt lgkmcnt(0)
	s_barrier
	s_waitcnt lgkmcnt(0)
                                        ; implicit-def: $sgpr10_sgpr11
	s_and_saveexec_b64 s[4:5], vcc
	s_cbranch_execz .LBB254_149
; %bb.54:
	v_add_u32_e32 v2, -1, v0
	ds_read_u8 v4, v2
	v_mul_u32_u24_e32 v2, 15, v0
	v_cmp_gt_u64_e32 vcc, s[6:7], v[2:3]
	s_or_b64 s[8:9], s[8:9], exec
	s_waitcnt lgkmcnt(0)
	v_and_b32_e32 v2, 0xff, v4
	v_cmp_ne_u16_sdwa s[6:7], v2, v8 src0_sel:DWORD src1_sel:BYTE_0
	s_and_b64 s[6:7], vcc, s[6:7]
	s_and_b64 s[10:11], s[6:7], exec
	s_or_b64 exec, exec, s[4:5]
.LBB254_55:
	v_mov_b32_e32 v79, s3
	s_and_saveexec_b64 s[4:5], s[8:9]
.LBB254_56:
	v_cndmask_b32_e64 v79, 0, 1, s[10:11]
.LBB254_57:
	s_or_b64 exec, exec, s[4:5]
	s_load_dwordx4 s[40:43], s[0:1], 0x20
	s_load_dwordx2 s[44:45], s[0:1], 0x30
	s_cmp_eq_u64 s[38:39], 0
	v_add3_u32 v2, v78, v79, v77
	s_cselect_b64 s[38:39], -1, 0
	s_cmp_lg_u32 s2, 0
	v_cmp_eq_u32_e64 s[24:25], 0, v78
	v_cmp_eq_u32_e64 s[22:23], 0, v77
	;; [unrolled: 1-line block ×3, first 2 shown]
	v_add3_u32 v81, v2, v76, v75
	v_cmp_eq_u32_e64 s[18:19], 0, v75
	v_cmp_eq_u32_e64 s[16:17], 0, v74
	;; [unrolled: 1-line block ×10, first 2 shown]
	v_cmp_eq_u32_e32 vcc, 0, v62
	v_mbcnt_lo_u32_b32 v80, -1, 0
	v_lshrrev_b32_e32 v54, 6, v0
	v_or_b32_e32 v55, 63, v0
	s_cbranch_scc0 .LBB254_88
; %bb.58:
	v_cndmask_b32_e64 v2, 0, v52, s[24:25]
	v_add_u32_e32 v2, v2, v52
	v_cndmask_b32_e64 v2, 0, v2, s[22:23]
	v_add_u32_e32 v2, v2, v52
	;; [unrolled: 2-line block ×11, first 2 shown]
	v_cndmask_b32_e64 v2, 0, v2, s[28:29]
	v_add3_u32 v3, v81, v74, v73
	v_add_u32_e32 v2, v2, v52
	v_add3_u32 v3, v3, v72, v71
	v_cndmask_b32_e64 v2, 0, v2, s[0:1]
	v_add3_u32 v3, v3, v70, v69
	v_add_u32_e32 v2, v2, v52
	v_add3_u32 v3, v3, v68, v67
	v_cndmask_b32_e32 v2, 0, v2, vcc
	v_add3_u32 v3, v3, v65, v62
	v_add_u32_e32 v2, v2, v53
	v_mbcnt_hi_u32_b32 v15, -1, v80
	v_and_b32_e32 v4, 15, v15
	v_mov_b32_dpp v6, v2 row_shr:1 row_mask:0xf bank_mask:0xf
	v_cmp_eq_u32_e32 vcc, 0, v3
	v_mov_b32_dpp v5, v3 row_shr:1 row_mask:0xf bank_mask:0xf
	v_cmp_lt_u32_e64 s[26:27], 1, v4
	v_cndmask_b32_e32 v6, 0, v6, vcc
	v_cmp_eq_u32_e32 vcc, 0, v4
	s_nop 1
	v_cndmask_b32_e64 v5, v5, 0, vcc
	v_add_u32_e32 v3, v5, v3
	v_cndmask_b32_e64 v5, v6, 0, vcc
	v_add_u32_e32 v2, v5, v2
	v_cmp_eq_u32_e32 vcc, 0, v3
	v_mov_b32_dpp v5, v3 row_shr:2 row_mask:0xf bank_mask:0xf
	v_mov_b32_dpp v6, v2 row_shr:2 row_mask:0xf bank_mask:0xf
	v_cndmask_b32_e64 v5, 0, v5, s[26:27]
	s_and_b64 vcc, s[26:27], vcc
	v_cndmask_b32_e32 v6, 0, v6, vcc
	v_add_u32_e32 v3, v3, v5
	v_add_u32_e32 v2, v6, v2
	v_cmp_eq_u32_e32 vcc, 0, v3
	v_mov_b32_dpp v5, v3 row_shr:4 row_mask:0xf bank_mask:0xf
	v_cmp_lt_u32_e64 s[26:27], 3, v4
	v_mov_b32_dpp v6, v2 row_shr:4 row_mask:0xf bank_mask:0xf
	s_and_b64 vcc, s[26:27], vcc
	v_cndmask_b32_e64 v5, 0, v5, s[26:27]
	v_cndmask_b32_e32 v6, 0, v6, vcc
	v_add_u32_e32 v3, v5, v3
	v_add_u32_e32 v2, v2, v6
	v_cmp_eq_u32_e32 vcc, 0, v3
	v_cmp_lt_u32_e64 s[26:27], 7, v4
	v_mov_b32_dpp v5, v3 row_shr:8 row_mask:0xf bank_mask:0xf
	v_mov_b32_dpp v6, v2 row_shr:8 row_mask:0xf bank_mask:0xf
	s_and_b64 vcc, s[26:27], vcc
	v_cndmask_b32_e64 v4, 0, v5, s[26:27]
	v_cndmask_b32_e32 v5, 0, v6, vcc
	v_add_u32_e32 v2, v5, v2
	v_add_u32_e32 v3, v4, v3
	v_bfe_i32 v6, v15, 4, 1
	v_mov_b32_dpp v5, v2 row_bcast:15 row_mask:0xf bank_mask:0xf
	v_mov_b32_dpp v4, v3 row_bcast:15 row_mask:0xf bank_mask:0xf
	v_cmp_eq_u32_e32 vcc, 0, v3
	v_and_b32_e32 v4, v6, v4
	v_add_u32_e32 v3, v4, v3
	v_cndmask_b32_e32 v5, 0, v5, vcc
	v_and_b32_e32 v4, v6, v5
	v_add_u32_e32 v4, v4, v2
	v_mov_b32_dpp v2, v3 row_bcast:31 row_mask:0xf bank_mask:0xf
	v_cmp_eq_u32_e32 vcc, 0, v3
	v_cmp_lt_u32_e64 s[26:27], 31, v15
	v_mov_b32_dpp v5, v4 row_bcast:31 row_mask:0xf bank_mask:0xf
	s_and_b64 vcc, s[26:27], vcc
	v_cndmask_b32_e64 v2, 0, v2, s[26:27]
	v_add_u32_e32 v2, v2, v3
	v_cndmask_b32_e32 v3, 0, v5, vcc
	v_add_u32_e32 v3, v3, v4
	v_cmp_eq_u32_e32 vcc, v55, v0
	v_lshlrev_b32_e32 v4, 3, v54
	s_and_saveexec_b64 s[26:27], vcc
	s_cbranch_execz .LBB254_60
; %bb.59:
	ds_write_b64 v4, v[2:3] offset:1040
.LBB254_60:
	s_or_b64 exec, exec, s[26:27]
	v_cmp_gt_u32_e32 vcc, 8, v0
	s_waitcnt lgkmcnt(0)
	s_barrier
	s_and_saveexec_b64 s[30:31], vcc
	s_cbranch_execz .LBB254_62
; %bb.61:
	v_lshlrev_b32_e32 v5, 3, v0
	ds_read_b64 v[6:7], v5 offset:1040
	v_and_b32_e32 v12, 7, v15
	v_cmp_lt_u32_e64 s[26:27], 1, v12
	s_waitcnt lgkmcnt(0)
	v_mov_b32_dpp v14, v7 row_shr:1 row_mask:0xf bank_mask:0xf
	v_cmp_eq_u32_e32 vcc, 0, v6
	v_mov_b32_dpp v13, v6 row_shr:1 row_mask:0xf bank_mask:0xf
	s_nop 0
	v_cndmask_b32_e32 v14, 0, v14, vcc
	v_cmp_eq_u32_e32 vcc, 0, v12
	s_nop 1
	v_cndmask_b32_e64 v13, v13, 0, vcc
	v_add_u32_e32 v6, v13, v6
	v_cndmask_b32_e64 v13, v14, 0, vcc
	v_add_u32_e32 v7, v13, v7
	v_cmp_eq_u32_e32 vcc, 0, v6
	v_mov_b32_dpp v13, v6 row_shr:2 row_mask:0xf bank_mask:0xf
	v_mov_b32_dpp v14, v7 row_shr:2 row_mask:0xf bank_mask:0xf
	v_cndmask_b32_e64 v13, 0, v13, s[26:27]
	s_and_b64 vcc, s[26:27], vcc
	v_cndmask_b32_e32 v14, 0, v14, vcc
	v_add_u32_e32 v6, v13, v6
	v_add_u32_e32 v7, v14, v7
	v_cmp_eq_u32_e32 vcc, 0, v6
	v_mov_b32_dpp v13, v6 row_shr:4 row_mask:0xf bank_mask:0xf
	v_cmp_lt_u32_e64 s[26:27], 3, v12
	v_mov_b32_dpp v14, v7 row_shr:4 row_mask:0xf bank_mask:0xf
	s_and_b64 vcc, s[26:27], vcc
	v_cndmask_b32_e64 v12, 0, v13, s[26:27]
	v_add_u32_e32 v6, v12, v6
	v_cndmask_b32_e32 v12, 0, v14, vcc
	v_add_u32_e32 v7, v12, v7
	ds_write_b64 v5, v[6:7] offset:1040
.LBB254_62:
	s_or_b64 exec, exec, s[30:31]
	v_cmp_gt_u32_e32 vcc, 64, v0
	v_cmp_lt_u32_e64 s[26:27], 63, v0
	v_mov_b32_e32 v12, 0
	v_mov_b32_e32 v13, 0
	s_waitcnt lgkmcnt(0)
	s_barrier
	s_and_saveexec_b64 s[30:31], s[26:27]
	s_cbranch_execz .LBB254_64
; %bb.63:
	ds_read_b64 v[12:13], v4 offset:1032
	v_cmp_eq_u32_e64 s[26:27], 0, v2
	s_waitcnt lgkmcnt(0)
	v_add_u32_e32 v4, v12, v2
	v_cndmask_b32_e64 v2, 0, v13, s[26:27]
	v_add_u32_e32 v3, v2, v3
	v_mov_b32_e32 v2, v4
.LBB254_64:
	s_or_b64 exec, exec, s[30:31]
	v_add_u32_e32 v4, -1, v15
	v_and_b32_e32 v5, 64, v15
	v_cmp_lt_i32_e64 s[26:27], v4, v5
	s_nop 1
	v_cndmask_b32_e64 v4, v4, v15, s[26:27]
	v_lshlrev_b32_e32 v4, 2, v4
	ds_bpermute_b32 v20, v4, v2
	ds_bpermute_b32 v22, v4, v3
	v_cmp_eq_u32_e64 s[26:27], 0, v15
	s_and_saveexec_b64 s[52:53], vcc
	s_cbranch_execz .LBB254_87
; %bb.65:
	v_mov_b32_e32 v7, 0
	ds_read_b64 v[2:3], v7 offset:1096
	s_waitcnt lgkmcnt(0)
	v_readfirstlane_b32 s3, v2
	v_readfirstlane_b32 s56, v3
	s_and_saveexec_b64 s[30:31], s[26:27]
	s_cbranch_execz .LBB254_67
; %bb.66:
	s_add_i32 s54, s2, 64
	s_mov_b32 s55, 0
	s_lshl_b64 s[58:59], s[54:55], 4
	s_add_u32 s58, s36, s58
	s_addc_u32 s59, s37, s59
	s_and_b32 s61, s56, 0xff000000
	s_mov_b32 s60, s55
	s_and_b32 s63, s56, 0xff0000
	s_mov_b32 s62, s55
	s_or_b64 s[60:61], s[62:63], s[60:61]
	s_and_b32 s63, s56, 0xff00
	s_or_b64 s[60:61], s[60:61], s[62:63]
	s_and_b32 s63, s56, 0xff
	s_or_b64 s[54:55], s[60:61], s[62:63]
	v_mov_b32_e32 v4, s3
	v_mov_b32_e32 v5, s55
	;; [unrolled: 1-line block ×3, first 2 shown]
	v_mov_b64_e32 v[2:3], s[58:59]
	;;#ASMSTART
	global_store_dwordx4 v[2:3], v[4:7] off sc1	
s_waitcnt vmcnt(0)
	;;#ASMEND
.LBB254_67:
	s_or_b64 exec, exec, s[30:31]
	v_xad_u32 v14, v15, -1, s2
	v_add_u32_e32 v6, 64, v14
	v_lshl_add_u64 v[16:17], v[6:7], 4, s[36:37]
	;;#ASMSTART
	global_load_dwordx4 v[2:5], v[16:17] off sc1	
s_waitcnt vmcnt(0)
	;;#ASMEND
	s_nop 0
	v_and_b32_e32 v5, 0xff, v3
	v_and_b32_e32 v6, 0xff00, v3
	v_or3_b32 v2, v2, 0, 0
	v_and_b32_e32 v18, 0xff000000, v3
	v_or3_b32 v5, 0, v5, v6
	;; [unrolled: 2-line block ×3, first 2 shown]
	v_or3_b32 v2, v2, 0, 0
	v_cmp_eq_u16_sdwa s[54:55], v4, v7 src0_sel:BYTE_0 src1_sel:DWORD
	s_and_saveexec_b64 s[30:31], s[54:55]
	s_cbranch_execz .LBB254_73
; %bb.68:
	s_mov_b32 s57, 1
	s_mov_b64 s[54:55], 0
	v_mov_b32_e32 v6, 0
.LBB254_69:                             ; =>This Loop Header: Depth=1
                                        ;     Child Loop BB254_70 Depth 2
	s_max_u32 s58, s57, 1
.LBB254_70:                             ;   Parent Loop BB254_69 Depth=1
                                        ; =>  This Inner Loop Header: Depth=2
	s_add_i32 s58, s58, -1
	s_cmp_eq_u32 s58, 0
	s_sleep 1
	s_cbranch_scc0 .LBB254_70
; %bb.71:                               ;   in Loop: Header=BB254_69 Depth=1
	s_cmp_lt_u32 s57, 32
	s_cselect_b64 s[58:59], -1, 0
	s_cmp_lg_u64 s[58:59], 0
	s_addc_u32 s57, s57, 0
	;;#ASMSTART
	global_load_dwordx4 v[2:5], v[16:17] off sc1	
s_waitcnt vmcnt(0)
	;;#ASMEND
	s_nop 0
	v_cmp_ne_u16_sdwa s[58:59], v4, v6 src0_sel:BYTE_0 src1_sel:DWORD
	s_or_b64 s[54:55], s[58:59], s[54:55]
	s_andn2_b64 exec, exec, s[54:55]
	s_cbranch_execnz .LBB254_69
; %bb.72:
	s_or_b64 exec, exec, s[54:55]
.LBB254_73:
	s_or_b64 exec, exec, s[30:31]
	v_mov_b32_e32 v23, 2
	v_cmp_eq_u16_sdwa s[30:31], v4, v23 src0_sel:BYTE_0 src1_sel:DWORD
	v_lshlrev_b64 v[16:17], v15, -1
	v_and_b32_e32 v24, 63, v15
	v_and_b32_e32 v5, s31, v17
	v_or_b32_e32 v5, 0x80000000, v5
	v_cmp_ne_u32_e32 vcc, 63, v24
	v_and_b32_e32 v6, s30, v16
	v_ffbl_b32_e32 v5, v5
	v_addc_co_u32_e32 v7, vcc, 0, v15, vcc
	v_add_u32_e32 v5, 32, v5
	v_ffbl_b32_e32 v6, v6
	v_lshlrev_b32_e32 v25, 2, v7
	v_min_u32_e32 v5, v6, v5
	ds_bpermute_b32 v6, v25, v3
	v_cmp_eq_u32_e32 vcc, 0, v2
	v_cmp_lt_u32_e64 s[30:31], v24, v5
	ds_bpermute_b32 v7, v25, v2
	s_and_b64 vcc, s[30:31], vcc
	s_waitcnt lgkmcnt(1)
	v_cndmask_b32_e32 v6, 0, v6, vcc
	v_cmp_gt_u32_e32 vcc, 62, v24
	v_add_u32_e32 v3, v6, v3
	s_waitcnt lgkmcnt(0)
	v_cndmask_b32_e64 v7, 0, v7, s[30:31]
	v_cndmask_b32_e64 v6, 0, 1, vcc
	v_lshlrev_b32_e32 v6, 1, v6
	v_add_lshl_u32 v26, v6, v15, 2
	ds_bpermute_b32 v6, v26, v3
	v_add_u32_e32 v2, v7, v2
	ds_bpermute_b32 v7, v26, v2
	v_add_u32_e32 v27, 2, v24
	v_cmp_eq_u32_e32 vcc, 0, v2
	v_add_u32_e32 v29, 4, v24
	v_add_u32_e32 v31, 8, v24
	s_waitcnt lgkmcnt(1)
	v_cndmask_b32_e32 v6, 0, v6, vcc
	v_cmp_gt_u32_e32 vcc, v27, v5
	v_add_u32_e32 v33, 16, v24
	v_add_u32_e32 v35, 32, v24
	v_cndmask_b32_e64 v6, v6, 0, vcc
	v_add_u32_e32 v3, v6, v3
	s_waitcnt lgkmcnt(0)
	v_cndmask_b32_e64 v6, v7, 0, vcc
	v_cmp_gt_u32_e32 vcc, 60, v24
	v_add_u32_e32 v2, v2, v6
	s_nop 0
	v_cndmask_b32_e64 v7, 0, 1, vcc
	v_lshlrev_b32_e32 v7, 2, v7
	v_add_lshl_u32 v28, v7, v15, 2
	ds_bpermute_b32 v7, v28, v3
	ds_bpermute_b32 v6, v28, v2
	v_cmp_eq_u32_e32 vcc, 0, v2
	s_waitcnt lgkmcnt(1)
	s_nop 0
	v_cndmask_b32_e32 v7, 0, v7, vcc
	v_cmp_gt_u32_e32 vcc, v29, v5
	s_nop 1
	v_cndmask_b32_e64 v7, v7, 0, vcc
	s_waitcnt lgkmcnt(0)
	v_cndmask_b32_e64 v6, v6, 0, vcc
	v_cmp_gt_u32_e32 vcc, 56, v24
	v_add_u32_e32 v3, v3, v7
	v_add_u32_e32 v2, v2, v6
	v_cndmask_b32_e64 v7, 0, 1, vcc
	v_lshlrev_b32_e32 v7, 3, v7
	v_add_lshl_u32 v30, v7, v15, 2
	ds_bpermute_b32 v7, v30, v3
	ds_bpermute_b32 v6, v30, v2
	v_cmp_eq_u32_e32 vcc, 0, v2
	s_waitcnt lgkmcnt(1)
	s_nop 0
	v_cndmask_b32_e32 v7, 0, v7, vcc
	v_cmp_gt_u32_e32 vcc, v31, v5
	s_nop 1
	v_cndmask_b32_e64 v7, v7, 0, vcc
	s_waitcnt lgkmcnt(0)
	v_cndmask_b32_e64 v6, v6, 0, vcc
	v_cmp_gt_u32_e32 vcc, 48, v24
	v_add_u32_e32 v3, v3, v7
	v_add_u32_e32 v2, v2, v6
	;; [unrolled: 17-line block ×3, first 2 shown]
	v_cndmask_b32_e64 v7, 0, 1, vcc
	v_lshlrev_b32_e32 v7, 5, v7
	v_add_lshl_u32 v34, v7, v15, 2
	ds_bpermute_b32 v7, v34, v3
	ds_bpermute_b32 v6, v34, v2
	v_cmp_eq_u32_e32 vcc, 0, v2
	v_mov_b32_e32 v15, 0
	s_waitcnt lgkmcnt(1)
	v_cndmask_b32_e32 v7, 0, v7, vcc
	v_cmp_gt_u32_e32 vcc, v35, v5
	s_nop 1
	v_cndmask_b32_e64 v5, v7, 0, vcc
	v_add_u32_e32 v3, v5, v3
	s_waitcnt lgkmcnt(0)
	v_cndmask_b32_e64 v5, v6, 0, vcc
	v_add_u32_e32 v2, v5, v2
	s_branch .LBB254_75
.LBB254_74:                             ;   in Loop: Header=BB254_75 Depth=1
	s_or_b64 exec, exec, s[30:31]
	v_cmp_eq_u16_sdwa s[30:31], v4, v23 src0_sel:BYTE_0 src1_sel:DWORD
	v_cmp_eq_u32_e32 vcc, 0, v2
	ds_bpermute_b32 v19, v25, v2
	v_and_b32_e32 v5, s31, v17
	v_or_b32_e32 v5, 0x80000000, v5
	v_and_b32_e32 v18, s30, v16
	v_ffbl_b32_e32 v5, v5
	v_add_u32_e32 v5, 32, v5
	v_ffbl_b32_e32 v18, v18
	v_min_u32_e32 v5, v18, v5
	ds_bpermute_b32 v18, v25, v3
	v_cmp_lt_u32_e64 s[30:31], v24, v5
	s_and_b64 vcc, s[30:31], vcc
	v_subrev_u32_e32 v14, 64, v14
	s_waitcnt lgkmcnt(1)
	v_cndmask_b32_e64 v19, 0, v19, s[30:31]
	s_waitcnt lgkmcnt(0)
	v_cndmask_b32_e32 v18, 0, v18, vcc
	v_add_u32_e32 v3, v18, v3
	ds_bpermute_b32 v18, v26, v3
	v_add_u32_e32 v2, v19, v2
	v_cmp_eq_u32_e32 vcc, 0, v2
	ds_bpermute_b32 v19, v26, v2
	s_waitcnt lgkmcnt(1)
	v_cndmask_b32_e32 v18, 0, v18, vcc
	v_cmp_gt_u32_e32 vcc, v27, v5
	s_nop 1
	v_cndmask_b32_e64 v18, v18, 0, vcc
	v_add_u32_e32 v3, v18, v3
	ds_bpermute_b32 v18, v28, v3
	s_waitcnt lgkmcnt(1)
	v_cndmask_b32_e64 v19, v19, 0, vcc
	v_add_u32_e32 v2, v2, v19
	v_cmp_eq_u32_e32 vcc, 0, v2
	ds_bpermute_b32 v19, v28, v2
	s_waitcnt lgkmcnt(1)
	v_cndmask_b32_e32 v18, 0, v18, vcc
	v_cmp_gt_u32_e32 vcc, v29, v5
	s_nop 1
	v_cndmask_b32_e64 v18, v18, 0, vcc
	v_add_u32_e32 v3, v3, v18
	ds_bpermute_b32 v18, v30, v3
	s_waitcnt lgkmcnt(1)
	v_cndmask_b32_e64 v19, v19, 0, vcc
	v_add_u32_e32 v2, v2, v19
	ds_bpermute_b32 v19, v30, v2
	v_cmp_eq_u32_e32 vcc, 0, v2
	s_waitcnt lgkmcnt(1)
	s_nop 0
	v_cndmask_b32_e32 v18, 0, v18, vcc
	v_cmp_gt_u32_e32 vcc, v31, v5
	s_nop 1
	v_cndmask_b32_e64 v18, v18, 0, vcc
	v_add_u32_e32 v3, v3, v18
	ds_bpermute_b32 v18, v32, v3
	s_waitcnt lgkmcnt(1)
	v_cndmask_b32_e64 v19, v19, 0, vcc
	v_add_u32_e32 v2, v2, v19
	ds_bpermute_b32 v19, v32, v2
	v_cmp_eq_u32_e32 vcc, 0, v2
	s_waitcnt lgkmcnt(1)
	s_nop 0
	;; [unrolled: 13-line block ×3, first 2 shown]
	v_cndmask_b32_e32 v18, 0, v18, vcc
	v_cmp_gt_u32_e32 vcc, v35, v5
	s_nop 1
	v_cndmask_b32_e64 v5, v18, 0, vcc
	v_add_u32_e32 v3, v5, v3
	s_waitcnt lgkmcnt(0)
	v_cndmask_b32_e64 v5, v19, 0, vcc
	v_cmp_eq_u32_e32 vcc, 0, v6
	v_add3_u32 v2, v2, v6, v5
	s_nop 0
	v_cndmask_b32_e32 v3, 0, v3, vcc
	v_add_u32_e32 v3, v3, v7
.LBB254_75:                             ; =>This Loop Header: Depth=1
                                        ;     Child Loop BB254_78 Depth 2
                                        ;       Child Loop BB254_79 Depth 3
	v_cmp_ne_u16_sdwa s[30:31], v4, v23 src0_sel:BYTE_0 src1_sel:DWORD
	v_mov_b32_e32 v7, v3
	v_mov_b32_e32 v6, v2
	v_cndmask_b32_e64 v3, 0, 1, s[30:31]
	;;#ASMSTART
	;;#ASMEND
	s_nop 0
	v_cmp_ne_u32_e32 vcc, 0, v3
	s_cmp_lg_u64 vcc, exec
	s_cbranch_scc1 .LBB254_82
; %bb.76:                               ;   in Loop: Header=BB254_75 Depth=1
	v_lshl_add_u64 v[18:19], v[14:15], 4, s[36:37]
	;;#ASMSTART
	global_load_dwordx4 v[2:5], v[18:19] off sc1	
s_waitcnt vmcnt(0)
	;;#ASMEND
	s_nop 0
	v_and_b32_e32 v5, 0xff, v3
	v_and_b32_e32 v36, 0xff00, v3
	v_or3_b32 v2, v2, 0, 0
	v_and_b32_e32 v37, 0xff000000, v3
	v_or3_b32 v5, 0, v5, v36
	;; [unrolled: 2-line block ×3, first 2 shown]
	v_or3_b32 v2, v2, 0, 0
	v_cmp_eq_u16_sdwa s[54:55], v4, v15 src0_sel:BYTE_0 src1_sel:DWORD
	s_and_saveexec_b64 s[30:31], s[54:55]
	s_cbranch_execz .LBB254_74
; %bb.77:                               ;   in Loop: Header=BB254_75 Depth=1
	s_mov_b32 s57, 1
	s_mov_b64 s[54:55], 0
.LBB254_78:                             ;   Parent Loop BB254_75 Depth=1
                                        ; =>  This Loop Header: Depth=2
                                        ;       Child Loop BB254_79 Depth 3
	s_max_u32 s58, s57, 1
.LBB254_79:                             ;   Parent Loop BB254_75 Depth=1
                                        ;     Parent Loop BB254_78 Depth=2
                                        ; =>    This Inner Loop Header: Depth=3
	s_add_i32 s58, s58, -1
	s_cmp_eq_u32 s58, 0
	s_sleep 1
	s_cbranch_scc0 .LBB254_79
; %bb.80:                               ;   in Loop: Header=BB254_78 Depth=2
	s_cmp_lt_u32 s57, 32
	s_cselect_b64 s[58:59], -1, 0
	s_cmp_lg_u64 s[58:59], 0
	s_addc_u32 s57, s57, 0
	;;#ASMSTART
	global_load_dwordx4 v[2:5], v[18:19] off sc1	
s_waitcnt vmcnt(0)
	;;#ASMEND
	s_nop 0
	v_cmp_ne_u16_sdwa s[58:59], v4, v15 src0_sel:BYTE_0 src1_sel:DWORD
	s_or_b64 s[54:55], s[58:59], s[54:55]
	s_andn2_b64 exec, exec, s[54:55]
	s_cbranch_execnz .LBB254_78
; %bb.81:                               ;   in Loop: Header=BB254_75 Depth=1
	s_or_b64 exec, exec, s[54:55]
	s_branch .LBB254_74
.LBB254_82:                             ;   in Loop: Header=BB254_75 Depth=1
                                        ; implicit-def: $vgpr3
                                        ; implicit-def: $vgpr2
                                        ; implicit-def: $vgpr4
	s_cbranch_execz .LBB254_75
; %bb.83:
	s_and_saveexec_b64 s[30:31], s[26:27]
	s_cbranch_execz .LBB254_85
; %bb.84:
	s_cmp_eq_u32 s3, 0
	s_cselect_b64 vcc, -1, 0
	s_mov_b32 s55, 0
	v_cndmask_b32_e32 v2, 0, v7, vcc
	s_add_i32 s54, s2, 64
	v_add_u32_e32 v2, s56, v2
	s_lshl_b64 s[54:55], s[54:55], 4
	s_add_u32 s54, s36, s54
	v_and_b32_e32 v3, 0xff000000, v2
	v_and_b32_e32 v4, 0xff0000, v2
	s_addc_u32 s55, s37, s55
	v_or_b32_e32 v3, v4, v3
	v_and_b32_e32 v4, 0xff00, v2
	v_and_b32_e32 v2, 0xff, v2
	v_add_u32_e32 v14, s3, v6
	v_mov_b32_e32 v17, 0
	v_or3_b32 v15, v3, v4, v2
	v_mov_b32_e32 v16, 2
	v_mov_b64_e32 v[2:3], s[54:55]
	;;#ASMSTART
	global_store_dwordx4 v[2:3], v[14:17] off sc1	
s_waitcnt vmcnt(0)
	;;#ASMEND
	v_mov_b32_e32 v4, s3
	v_mov_b32_e32 v5, s56
	ds_write_b128 v17, v[4:7] offset:1024
.LBB254_85:
	s_or_b64 exec, exec, s[30:31]
	v_cmp_eq_u32_e32 vcc, 0, v0
	s_and_b64 exec, exec, vcc
	s_cbranch_execz .LBB254_87
; %bb.86:
	v_mov_b32_e32 v2, 0
	ds_write_b64 v2, v[6:7] offset:1096
.LBB254_87:
	s_or_b64 exec, exec, s[52:53]
	v_mov_b32_e32 v4, 0
	s_waitcnt lgkmcnt(0)
	s_barrier
	ds_read_b64 v[2:3], v4 offset:1096
	v_cndmask_b32_e64 v6, v20, v12, s[26:27]
	v_cmp_eq_u32_e32 vcc, 0, v6
	v_cndmask_b32_e64 v5, v22, v13, s[26:27]
	s_waitcnt lgkmcnt(0)
	v_cndmask_b32_e32 v7, 0, v3, vcc
	v_add_u32_e32 v5, v7, v5
	v_cmp_eq_u32_e32 vcc, 0, v0
	s_barrier
	s_nop 0
	v_cndmask_b32_e32 v51, v5, v3, vcc
	v_cndmask_b32_e64 v3, v6, 0, vcc
	v_cmp_eq_u32_e32 vcc, 0, v79
	v_add_u32_e32 v50, v2, v3
	v_add_u32_e32 v48, v50, v79
	v_cndmask_b32_e32 v2, 0, v51, vcc
	v_add_u32_e32 v49, v2, v52
	v_cndmask_b32_e64 v2, 0, v49, s[24:25]
	v_add_u32_e32 v47, v2, v52
	v_cndmask_b32_e64 v2, 0, v47, s[22:23]
	;; [unrolled: 2-line block ×7, first 2 shown]
	v_add_u32_e32 v35, v2, v52
	v_add_u32_e32 v46, v48, v78
	v_cndmask_b32_e64 v2, 0, v35, s[10:11]
	v_add_u32_e32 v44, v46, v77
	v_add_u32_e32 v33, v2, v52
	v_add_u32_e32 v42, v44, v76
	v_cndmask_b32_e64 v2, 0, v33, s[8:9]
	v_add_u32_e32 v40, v42, v75
	;; [unrolled: 4-line block ×3, first 2 shown]
	v_add_u32_e32 v29, v2, v52
	ds_read_b128 v[16:19], v4 offset:1024
	v_add_u32_e32 v34, v36, v72
	v_cndmask_b32_e64 v2, 0, v29, s[4:5]
	v_add_u32_e32 v32, v34, v71
	v_add_u32_e32 v27, v2, v52
	;; [unrolled: 1-line block ×3, first 2 shown]
	v_cndmask_b32_e64 v2, 0, v27, s[28:29]
	v_add_u32_e32 v28, v30, v69
	v_add_u32_e32 v23, v2, v52
	;; [unrolled: 1-line block ×3, first 2 shown]
	v_cndmask_b32_e64 v2, 0, v23, s[0:1]
	s_waitcnt lgkmcnt(0)
	v_cmp_eq_u32_e32 vcc, 0, v16
	v_add_u32_e32 v22, v26, v67
	v_add_u32_e32 v25, v2, v52
	v_cndmask_b32_e32 v2, 0, v19, vcc
	v_add_u32_e32 v24, v22, v65
	v_add_u32_e32 v20, v2, v17
	s_branch .LBB254_100
.LBB254_88:
                                        ; implicit-def: $vgpr16
                                        ; implicit-def: $vgpr20
                                        ; implicit-def: $vgpr24_vgpr25
                                        ; implicit-def: $vgpr22_vgpr23
                                        ; implicit-def: $vgpr26_vgpr27
                                        ; implicit-def: $vgpr28_vgpr29
                                        ; implicit-def: $vgpr50_vgpr51
                                        ; implicit-def: $vgpr48_vgpr49
                                        ; implicit-def: $vgpr46_vgpr47
                                        ; implicit-def: $vgpr44_vgpr45
                                        ; implicit-def: $vgpr42_vgpr43
                                        ; implicit-def: $vgpr40_vgpr41
                                        ; implicit-def: $vgpr38_vgpr39
                                        ; implicit-def: $vgpr36_vgpr37
                                        ; implicit-def: $vgpr34_vgpr35
                                        ; implicit-def: $vgpr32_vgpr33
                                        ; implicit-def: $vgpr30_vgpr31
	s_cbranch_execz .LBB254_100
; %bb.89:
	s_and_b64 s[0:1], s[38:39], exec
	s_cselect_b32 s1, 0, s51
	s_cselect_b32 s0, 0, s50
	s_cmp_eq_u64 s[0:1], 0
	v_mov_b32_e32 v6, v52
	s_cbranch_scc1 .LBB254_91
; %bb.90:
	v_mov_b32_e32 v2, 0
	global_load_dword v6, v2, s[0:1]
.LBB254_91:
	v_cmp_eq_u32_e64 s[0:1], 0, v78
	v_cmp_eq_u32_e64 s[2:3], 0, v77
	v_cmp_eq_u32_e64 s[4:5], 0, v76
	v_cndmask_b32_e64 v2, 0, v52, s[0:1]
	v_add_u32_e32 v2, v2, v52
	v_cndmask_b32_e64 v2, 0, v2, s[2:3]
	v_add_u32_e32 v2, v2, v52
	v_cndmask_b32_e64 v2, 0, v2, s[4:5]
	v_add_u32_e32 v2, v2, v52
	v_cmp_eq_u32_e64 s[6:7], 0, v75
	v_cmp_eq_u32_e64 s[8:9], 0, v74
	v_cmp_eq_u32_e64 s[10:11], 0, v73
	v_cndmask_b32_e64 v2, 0, v2, s[6:7]
	v_add_u32_e32 v2, v2, v52
	v_cndmask_b32_e64 v2, 0, v2, s[8:9]
	v_add_u32_e32 v2, v2, v52
	v_cndmask_b32_e64 v2, 0, v2, s[10:11]
	v_add_u32_e32 v2, v2, v52
	;; [unrolled: 9-line block ×3, first 2 shown]
	v_cmp_eq_u32_e64 s[18:19], 0, v69
	v_cmp_eq_u32_e64 s[20:21], 0, v68
	;; [unrolled: 1-line block ×3, first 2 shown]
	v_cndmask_b32_e64 v2, 0, v2, s[18:19]
	v_add_u32_e32 v2, v2, v52
	v_cndmask_b32_e64 v2, 0, v2, s[20:21]
	v_add_u32_e32 v2, v2, v52
	v_cndmask_b32_e64 v2, 0, v2, s[22:23]
	v_add3_u32 v3, v81, v74, v73
	v_add_u32_e32 v2, v2, v52
	v_cmp_eq_u32_e32 vcc, 0, v65
	v_add3_u32 v3, v3, v72, v71
	v_add3_u32 v3, v3, v70, v69
	v_cndmask_b32_e32 v2, 0, v2, vcc
	v_add_u32_e32 v2, v2, v52
	v_cmp_eq_u32_e64 s[24:25], 0, v62
	v_add3_u32 v3, v3, v68, v67
	v_add3_u32 v3, v3, v65, v62
	v_cndmask_b32_e64 v2, 0, v2, s[24:25]
	v_add_u32_e32 v2, v2, v53
	v_mbcnt_hi_u32_b32 v7, -1, v80
	v_and_b32_e32 v4, 15, v7
	v_mov_b32_dpp v12, v2 row_shr:1 row_mask:0xf bank_mask:0xf
	v_cmp_eq_u32_e64 s[24:25], 0, v3
	v_mov_b32_dpp v5, v3 row_shr:1 row_mask:0xf bank_mask:0xf
	v_cmp_lt_u32_e64 s[26:27], 1, v4
	v_cndmask_b32_e64 v12, 0, v12, s[24:25]
	v_cmp_eq_u32_e64 s[24:25], 0, v4
	s_nop 1
	v_cndmask_b32_e64 v5, v5, 0, s[24:25]
	v_add_u32_e32 v3, v5, v3
	v_cndmask_b32_e64 v5, v12, 0, s[24:25]
	v_add_u32_e32 v2, v5, v2
	v_cmp_eq_u32_e64 s[24:25], 0, v3
	v_mov_b32_dpp v5, v3 row_shr:2 row_mask:0xf bank_mask:0xf
	v_mov_b32_dpp v12, v2 row_shr:2 row_mask:0xf bank_mask:0xf
	v_cndmask_b32_e64 v5, 0, v5, s[26:27]
	s_and_b64 s[24:25], s[26:27], s[24:25]
	v_cndmask_b32_e64 v12, 0, v12, s[24:25]
	v_add_u32_e32 v3, v3, v5
	v_add_u32_e32 v2, v12, v2
	v_cmp_eq_u32_e64 s[24:25], 0, v3
	v_mov_b32_dpp v5, v3 row_shr:4 row_mask:0xf bank_mask:0xf
	v_cmp_lt_u32_e64 s[26:27], 3, v4
	v_mov_b32_dpp v12, v2 row_shr:4 row_mask:0xf bank_mask:0xf
	s_and_b64 s[24:25], s[26:27], s[24:25]
	v_cndmask_b32_e64 v5, 0, v5, s[26:27]
	v_cndmask_b32_e64 v12, 0, v12, s[24:25]
	v_add_u32_e32 v3, v5, v3
	v_add_u32_e32 v2, v2, v12
	v_cmp_eq_u32_e64 s[24:25], 0, v3
	v_cmp_lt_u32_e64 s[26:27], 7, v4
	v_mov_b32_dpp v5, v3 row_shr:8 row_mask:0xf bank_mask:0xf
	v_mov_b32_dpp v12, v2 row_shr:8 row_mask:0xf bank_mask:0xf
	s_and_b64 s[24:25], s[26:27], s[24:25]
	v_cndmask_b32_e64 v4, 0, v5, s[26:27]
	v_cndmask_b32_e64 v5, 0, v12, s[24:25]
	v_add_u32_e32 v2, v5, v2
	v_add_u32_e32 v3, v4, v3
	v_bfe_i32 v12, v7, 4, 1
	v_mov_b32_dpp v5, v2 row_bcast:15 row_mask:0xf bank_mask:0xf
	v_mov_b32_dpp v4, v3 row_bcast:15 row_mask:0xf bank_mask:0xf
	v_cmp_eq_u32_e64 s[24:25], 0, v3
	v_and_b32_e32 v4, v12, v4
	v_add_u32_e32 v3, v4, v3
	v_cndmask_b32_e64 v5, 0, v5, s[24:25]
	v_and_b32_e32 v4, v12, v5
	v_add_u32_e32 v4, v4, v2
	v_mov_b32_dpp v2, v3 row_bcast:31 row_mask:0xf bank_mask:0xf
	v_cmp_eq_u32_e64 s[24:25], 0, v3
	v_cmp_lt_u32_e64 s[26:27], 31, v7
	v_mov_b32_dpp v5, v4 row_bcast:31 row_mask:0xf bank_mask:0xf
	s_and_b64 s[24:25], s[26:27], s[24:25]
	v_cndmask_b32_e64 v2, 0, v2, s[26:27]
	v_add_u32_e32 v2, v2, v3
	v_cndmask_b32_e64 v3, 0, v5, s[24:25]
	v_add_u32_e32 v3, v3, v4
	v_cmp_eq_u32_e64 s[24:25], v55, v0
	s_and_saveexec_b64 s[26:27], s[24:25]
	s_cbranch_execz .LBB254_93
; %bb.92:
	v_lshlrev_b32_e32 v4, 3, v54
	ds_write_b64 v4, v[2:3] offset:1040
.LBB254_93:
	s_or_b64 exec, exec, s[26:27]
	v_cmp_gt_u32_e64 s[24:25], 8, v0
	s_waitcnt lgkmcnt(0)
	s_barrier
	s_and_saveexec_b64 s[28:29], s[24:25]
	s_cbranch_execz .LBB254_95
; %bb.94:
	v_lshlrev_b32_e32 v12, 3, v0
	ds_read_b64 v[4:5], v12 offset:1040
	v_and_b32_e32 v13, 7, v7
	v_cmp_lt_u32_e64 s[26:27], 1, v13
	s_waitcnt lgkmcnt(0)
	v_mov_b32_dpp v15, v5 row_shr:1 row_mask:0xf bank_mask:0xf
	v_cmp_eq_u32_e64 s[24:25], 0, v4
	v_mov_b32_dpp v14, v4 row_shr:1 row_mask:0xf bank_mask:0xf
	s_nop 0
	v_cndmask_b32_e64 v15, 0, v15, s[24:25]
	v_cmp_eq_u32_e64 s[24:25], 0, v13
	s_nop 1
	v_cndmask_b32_e64 v14, v14, 0, s[24:25]
	v_add_u32_e32 v4, v14, v4
	v_cndmask_b32_e64 v14, v15, 0, s[24:25]
	v_add_u32_e32 v5, v14, v5
	v_cmp_eq_u32_e64 s[24:25], 0, v4
	v_mov_b32_dpp v14, v4 row_shr:2 row_mask:0xf bank_mask:0xf
	v_mov_b32_dpp v15, v5 row_shr:2 row_mask:0xf bank_mask:0xf
	v_cndmask_b32_e64 v14, 0, v14, s[26:27]
	s_and_b64 s[24:25], s[26:27], s[24:25]
	v_cndmask_b32_e64 v15, 0, v15, s[24:25]
	v_add_u32_e32 v4, v14, v4
	v_add_u32_e32 v5, v15, v5
	v_cmp_eq_u32_e64 s[24:25], 0, v4
	v_mov_b32_dpp v14, v4 row_shr:4 row_mask:0xf bank_mask:0xf
	v_cmp_lt_u32_e64 s[26:27], 3, v13
	v_mov_b32_dpp v15, v5 row_shr:4 row_mask:0xf bank_mask:0xf
	s_and_b64 s[24:25], s[26:27], s[24:25]
	v_cndmask_b32_e64 v13, 0, v14, s[26:27]
	v_add_u32_e32 v4, v13, v4
	v_cndmask_b32_e64 v13, 0, v15, s[24:25]
	v_add_u32_e32 v5, v13, v5
	ds_write_b64 v12, v[4:5] offset:1040
.LBB254_95:
	s_or_b64 exec, exec, s[28:29]
	v_cmp_lt_u32_e64 s[24:25], 63, v0
	v_mov_b32_e32 v12, 0
	v_mov_b32_e32 v4, 0
	s_waitcnt vmcnt(0)
	v_mov_b32_e32 v5, v6
	s_waitcnt lgkmcnt(0)
	s_barrier
	s_and_saveexec_b64 s[26:27], s[24:25]
	s_cbranch_execz .LBB254_97
; %bb.96:
	v_lshlrev_b32_e32 v4, 3, v54
	ds_read_b64 v[4:5], v4 offset:1032
	s_waitcnt lgkmcnt(0)
	v_cmp_eq_u32_e64 s[24:25], 0, v4
	s_nop 1
	v_cndmask_b32_e64 v13, 0, v6, s[24:25]
	v_add_u32_e32 v5, v13, v5
.LBB254_97:
	s_or_b64 exec, exec, s[26:27]
	v_cmp_eq_u32_e64 s[24:25], 0, v2
	v_add_u32_e32 v13, v4, v2
	v_and_b32_e32 v14, 64, v7
	v_cndmask_b32_e64 v2, 0, v5, s[24:25]
	v_add_u32_e32 v2, v2, v3
	v_add_u32_e32 v3, -1, v7
	v_cmp_lt_i32_e64 s[24:25], v3, v14
	v_cmp_eq_u32_e64 s[26:27], 0, v79
	ds_read_b64 v[16:17], v12 offset:1096
	v_cndmask_b32_e64 v3, v3, v7, s[24:25]
	v_lshlrev_b32_e32 v3, 2, v3
	ds_bpermute_b32 v13, v3, v13
	ds_bpermute_b32 v2, v3, v2
	v_cmp_eq_u32_e64 s[24:25], 0, v7
	s_waitcnt lgkmcnt(1)
	s_nop 0
	v_cndmask_b32_e64 v3, v13, v4, s[24:25]
	s_waitcnt lgkmcnt(0)
	v_cndmask_b32_e64 v2, v2, v5, s[24:25]
	v_cmp_eq_u32_e64 s[24:25], 0, v0
	s_nop 1
	v_cndmask_b32_e64 v51, v2, v6, s[24:25]
	v_cndmask_b32_e64 v2, 0, v51, s[26:27]
	v_add_u32_e32 v49, v2, v52
	v_cndmask_b32_e64 v2, 0, v49, s[0:1]
	v_add_u32_e32 v47, v2, v52
	;; [unrolled: 2-line block ×7, first 2 shown]
	v_cndmask_b32_e64 v50, v3, 0, s[24:25]
	v_cndmask_b32_e64 v2, 0, v37, s[12:13]
	v_add_u32_e32 v48, v50, v79
	v_add_u32_e32 v35, v2, v52
	v_add_u32_e32 v46, v48, v78
	v_cndmask_b32_e64 v2, 0, v35, s[14:15]
	v_add_u32_e32 v44, v46, v77
	v_add_u32_e32 v33, v2, v52
	v_add_u32_e32 v42, v44, v76
	;; [unrolled: 4-line block ×6, first 2 shown]
	v_cndmask_b32_e32 v2, 0, v23, vcc
	v_cmp_eq_u32_e32 vcc, 0, v16
	v_add_u32_e32 v22, v26, v67
	v_add_u32_e32 v25, v2, v52
	v_cndmask_b32_e32 v2, 0, v6, vcc
	v_add_u32_e32 v24, v22, v65
	v_add_u32_e32 v20, v2, v17
	s_and_saveexec_b64 s[0:1], s[24:25]
	s_cbranch_execz .LBB254_99
; %bb.98:
	s_add_u32 s2, s36, 0x400
	v_and_b32_e32 v2, 0xff000000, v20
	v_and_b32_e32 v3, 0xff0000, v20
	s_addc_u32 s3, s37, 0
	v_or_b32_e32 v2, v3, v2
	v_and_b32_e32 v3, 0xff00, v20
	v_and_b32_e32 v4, 0xff, v20
	v_mov_b32_e32 v19, 0
	v_or3_b32 v17, v2, v3, v4
	v_mov_b32_e32 v18, 2
	v_mov_b64_e32 v[2:3], s[2:3]
	;;#ASMSTART
	global_store_dwordx4 v[2:3], v[16:19] off sc1	
s_waitcnt vmcnt(0)
	;;#ASMEND
.LBB254_99:
	s_or_b64 exec, exec, s[0:1]
	v_mov_b32_e32 v18, 0
.LBB254_100:
	s_and_b64 s[0:1], s[38:39], exec
	s_cselect_b32 s1, 0, s47
	s_cselect_b32 s0, 0, s46
	s_cmp_eq_u64 s[0:1], 0
	v_mov_b64_e32 v[52:53], 0
	s_waitcnt lgkmcnt(0)
	s_barrier
	s_cbranch_scc1 .LBB254_102
; %bb.101:
	v_mov_b32_e32 v2, 0
	global_load_dwordx2 v[52:53], v2, s[0:1]
.LBB254_102:
	s_waitcnt vmcnt(0)
	v_lshl_add_u64 v[2:3], s[40:41], 0, v[52:53]
	v_mov_b32_e32 v19, 0
	v_cmp_eq_u32_e32 vcc, 0, v79
	v_lshl_add_u64 v[54:55], v[2:3], 0, v[18:19]
	s_movk_i32 s30, 0x200
	v_cndmask_b32_e64 v2, 1, 2, vcc
	v_cmp_eq_u32_e32 vcc, 0, v78
	v_cmp_ne_u32_e64 s[28:29], 0, v79
	v_cmp_ne_u32_e64 s[26:27], 0, v78
	v_cndmask_b32_e64 v3, 1, 2, vcc
	v_cmp_eq_u32_e32 vcc, 0, v77
	v_and_b32_e32 v2, v3, v2
	v_cmp_ne_u32_e64 s[24:25], 0, v77
	v_cndmask_b32_e64 v3, 1, 2, vcc
	v_cmp_eq_u32_e32 vcc, 0, v76
	v_and_b32_e32 v2, v2, v3
	;; [unrolled: 4-line block ×13, first 2 shown]
	v_cmp_ne_u32_e64 s[0:1], 0, v62
	v_cndmask_b32_e64 v3, 1, 2, vcc
	v_and_b32_e32 v2, v2, v3
	v_cmp_gt_u32_e32 vcc, s30, v16
	s_mov_b64 s[36:37], -1
	v_cmp_gt_i16_e64 s[30:31], 2, v2
	s_cbranch_vccz .LBB254_109
; %bb.103:
	s_and_saveexec_b64 s[36:37], s[30:31]
	s_cbranch_execz .LBB254_108
; %bb.104:
	v_cmp_ne_u16_e32 vcc, 1, v2
	s_mov_b64 s[38:39], 0
	s_and_saveexec_b64 s[30:31], vcc
	s_xor_b64 s[30:31], exec, s[30:31]
	s_cbranch_execnz .LBB254_150
; %bb.105:
	s_andn2_saveexec_b64 s[30:31], s[30:31]
	s_cbranch_execnz .LBB254_166
.LBB254_106:
	s_or_b64 exec, exec, s[30:31]
	s_and_b64 exec, exec, s[38:39]
	s_cbranch_execz .LBB254_108
.LBB254_107:
	v_sub_u32_e32 v3, v24, v18
	v_readfirstlane_b32 s30, v54
	v_readfirstlane_b32 s31, v55
	s_nop 4
	global_store_byte v3, v1, s[30:31]
.LBB254_108:
	s_or_b64 exec, exec, s[36:37]
	s_mov_b64 s[36:37], 0
.LBB254_109:
	s_and_b64 vcc, exec, s[36:37]
	s_cbranch_vccz .LBB254_128
; %bb.110:
	v_cmp_gt_i16_e32 vcc, 2, v2
	s_and_saveexec_b64 s[30:31], vcc
	s_cbranch_execz .LBB254_115
; %bb.111:
	v_cmp_ne_u16_e32 vcc, 1, v2
	s_mov_b64 s[38:39], 0
	s_and_saveexec_b64 s[36:37], vcc
	s_xor_b64 s[36:37], exec, s[36:37]
	s_cbranch_execnz .LBB254_167
; %bb.112:
	s_andn2_saveexec_b64 s[0:1], s[36:37]
	s_cbranch_execnz .LBB254_183
.LBB254_113:
	s_or_b64 exec, exec, s[0:1]
	s_and_b64 exec, exec, s[38:39]
	s_cbranch_execz .LBB254_115
.LBB254_114:
	v_sub_u32_e32 v2, v24, v18
	ds_write_b8 v2, v1
.LBB254_115:
	s_or_b64 exec, exec, s[30:31]
	v_cmp_lt_u32_e32 vcc, v0, v16
	s_waitcnt lgkmcnt(0)
	s_barrier
	s_and_saveexec_b64 s[0:1], vcc
	s_cbranch_execz .LBB254_127
; %bb.116:
	v_xad_u32 v2, v0, -1, v16
	s_movk_i32 s2, 0xdff
	v_cmp_lt_u32_e32 vcc, s2, v2
	s_mov_b64 s[4:5], -1
	v_mov_b32_e32 v1, v0
	s_and_saveexec_b64 s[2:3], vcc
	s_cbranch_execz .LBB254_124
; %bb.117:
	v_lshrrev_b32_e32 v17, 9, v2
	v_or_b32_e32 v7, 0xe00, v0
	v_or_b32_e32 v6, 0xc00, v0
	;; [unrolled: 1-line block ×7, first 2 shown]
	v_add_u32_e32 v21, -7, v17
	v_mov_b64_e32 v[14:15], v[6:7]
	v_cmp_lt_u32_e32 vcc, 7, v21
	v_mov_b32_e32 v60, 0
	v_mov_b64_e32 v[12:13], v[4:5]
	v_mov_b64_e32 v[10:11], v[2:3]
	;; [unrolled: 1-line block ×3, first 2 shown]
	s_and_saveexec_b64 s[4:5], vcc
	s_cbranch_execz .LBB254_121
; %bb.118:
	v_lshrrev_b32_e32 v8, 3, v21
	v_add_u32_e32 v8, 1, v8
	v_and_b32_e32 v58, 0x3ffffffe, v8
	v_mov_b64_e32 v[14:15], v[6:7]
	s_mov_b32 s8, 0
	s_mov_b64 s[6:7], 0
	v_mov_b32_e32 v57, 0
	v_mov_b32_e32 v59, v0
	v_mov_b64_e32 v[12:13], v[4:5]
	v_mov_b64_e32 v[10:11], v[2:3]
	;; [unrolled: 1-line block ×3, first 2 shown]
.LBB254_119:                            ; =>This Inner Loop Header: Depth=1
	v_mov_b32_e32 v56, v8
	v_lshl_add_u64 v[86:87], v[54:55], 0, v[56:57]
	v_mov_b32_e32 v56, v9
	v_lshl_add_u64 v[90:91], v[54:55], 0, v[56:57]
	;; [unrolled: 2-line block ×3, first 2 shown]
	v_mov_b32_e32 v56, v11
	ds_read_u8 v1, v59
	ds_read_u8 v63, v59 offset:512
	ds_read_u8 v64, v59 offset:1024
	;; [unrolled: 1-line block ×7, first 2 shown]
	v_lshl_add_u64 v[94:95], v[54:55], 0, v[56:57]
	v_mov_b32_e32 v56, v12
	ds_read_u8 v102, v59 offset:4096
	ds_read_u8 v103, v59 offset:4608
	;; [unrolled: 1-line block ×8, first 2 shown]
	v_lshl_add_u64 v[96:97], v[54:55], 0, v[56:57]
	v_mov_b32_e32 v56, v13
	s_waitcnt lgkmcnt(14)
	global_store_byte v[86:87], v1, off
	global_store_byte v[90:91], v63, off
	s_waitcnt lgkmcnt(13)
	global_store_byte v[92:93], v64, off
	s_waitcnt lgkmcnt(12)
	global_store_byte v[94:95], v66, off
	v_lshl_add_u64 v[86:87], v[54:55], 0, v[56:57]
	v_mov_b32_e32 v56, v14
	v_add_u32_e32 v58, -2, v58
	v_lshl_add_u64 v[90:91], v[54:55], 0, v[56:57]
	v_mov_b32_e32 v56, v15
	v_add_u32_e32 v60, 0x1000, v12
	v_mov_b32_e32 v61, v57
	s_add_i32 s8, s8, 16
	v_cmp_eq_u32_e32 vcc, 0, v58
	s_waitcnt lgkmcnt(11)
	global_store_byte v[96:97], v98, off
	s_waitcnt lgkmcnt(10)
	global_store_byte v[86:87], v99, off
	v_lshl_add_u64 v[86:87], v[54:55], 0, v[56:57]
	v_add_u32_e32 v56, 0x1000, v8
	v_add_u32_e32 v2, 0x1000, v15
	;; [unrolled: 1-line block ×7, first 2 shown]
	v_mov_b32_e32 v85, v57
	v_mov_b32_e32 v83, v57
	;; [unrolled: 1-line block ×6, first 2 shown]
	v_add_u32_e32 v59, 0x2000, v59
	v_lshl_add_u64 v[88:89], v[54:55], 0, v[60:61]
	v_add_u32_e32 v9, 0x2000, v9
	v_mov_b32_e32 v60, s8
	v_add_u32_e32 v10, 0x2000, v10
	s_or_b64 s[6:7], vcc, s[6:7]
	v_add_u32_e32 v11, 0x2000, v11
	v_add_u32_e32 v12, 0x2000, v12
	;; [unrolled: 1-line block ×5, first 2 shown]
	s_waitcnt lgkmcnt(9)
	global_store_byte v[90:91], v100, off
	v_add_u32_e32 v8, 0x2000, v8
	s_waitcnt lgkmcnt(8)
	global_store_byte v[86:87], v101, off
	v_lshl_add_u64 v[86:87], v[54:55], 0, v[56:57]
	v_lshl_add_u64 v[84:85], v[54:55], 0, v[84:85]
	;; [unrolled: 1-line block ×7, first 2 shown]
	s_waitcnt lgkmcnt(7)
	global_store_byte v[86:87], v102, off
	s_waitcnt lgkmcnt(6)
	global_store_byte v[84:85], v103, off
	;; [unrolled: 2-line block ×8, first 2 shown]
	s_andn2_b64 exec, exec, s[6:7]
	s_cbranch_execnz .LBB254_119
; %bb.120:
	s_or_b64 exec, exec, s[6:7]
.LBB254_121:
	s_or_b64 exec, exec, s[4:5]
	v_and_b32_e32 v1, 8, v21
	v_cmp_eq_u32_e32 vcc, 0, v1
	s_and_saveexec_b64 s[4:5], vcc
	s_cbranch_execz .LBB254_123
; %bb.122:
	v_mov_b32_e32 v3, 0
	v_mov_b32_e32 v2, v8
	v_lshl_add_u64 v[4:5], v[54:55], 0, v[2:3]
	v_mov_b32_e32 v2, v9
	v_lshl_or_b32 v1, v60, 9, v0
	v_lshl_add_u64 v[6:7], v[54:55], 0, v[2:3]
	v_mov_b32_e32 v2, v10
	ds_read_u8 v21, v1
	ds_read_u8 v60, v1 offset:512
	ds_read_u8 v61, v1 offset:1024
	;; [unrolled: 1-line block ×7, first 2 shown]
	v_lshl_add_u64 v[8:9], v[54:55], 0, v[2:3]
	v_mov_b32_e32 v2, v11
	v_lshl_add_u64 v[10:11], v[54:55], 0, v[2:3]
	v_mov_b32_e32 v2, v12
	;; [unrolled: 2-line block ×5, first 2 shown]
	v_lshl_add_u64 v[2:3], v[54:55], 0, v[2:3]
	s_waitcnt lgkmcnt(7)
	global_store_byte v[4:5], v21, off
	s_waitcnt lgkmcnt(6)
	global_store_byte v[6:7], v60, off
	;; [unrolled: 2-line block ×8, first 2 shown]
.LBB254_123:
	s_or_b64 exec, exec, s[4:5]
	v_add_u32_e32 v2, 1, v17
	v_and_b32_e32 v3, 0xfffff8, v2
	v_cmp_ne_u32_e32 vcc, v2, v3
	v_lshl_or_b32 v1, v3, 9, v0
	s_orn2_b64 s[4:5], vcc, exec
.LBB254_124:
	s_or_b64 exec, exec, s[2:3]
	s_and_b64 exec, exec, s[4:5]
	s_cbranch_execz .LBB254_127
; %bb.125:
	s_mov_b64 s[2:3], 0
.LBB254_126:                            ; =>This Inner Loop Header: Depth=1
	ds_read_u8 v2, v1
	v_readfirstlane_b32 s4, v54
	v_readfirstlane_b32 s5, v55
	s_waitcnt lgkmcnt(0)
	s_nop 3
	global_store_byte v1, v2, s[4:5]
	v_add_u32_e32 v1, 0x200, v1
	v_cmp_ge_u32_e32 vcc, v1, v16
	s_or_b64 s[2:3], vcc, s[2:3]
	s_andn2_b64 exec, exec, s[2:3]
	s_cbranch_execnz .LBB254_126
.LBB254_127:
	s_or_b64 exec, exec, s[0:1]
.LBB254_128:
	s_cmpk_lg_i32 s33, 0x1e00
	s_cselect_b64 s[0:1], -1, 0
	v_cndmask_b32_e64 v10, 0, 1, s[48:49]
	s_and_b64 s[0:1], s[34:35], s[0:1]
	v_cmp_eq_u32_e32 vcc, 0, v0
	v_sub_u32_e32 v1, v16, v10
	v_cndmask_b32_e64 v2, 0, 1, s[0:1]
	s_and_b64 s[0:1], vcc, s[48:49]
	v_add_u32_e32 v1, v1, v2
	v_cndmask_b32_e64 v2, v79, 0, s[0:1]
	s_mul_hi_u32 s0, s33, 0x88888889
	s_lshr_b32 s0, s0, 3
	v_mad_i32_i24 v3, v0, -15, s33
	v_cmp_eq_u32_e32 vcc, s0, v0
	v_cmp_ne_u32_e64 s[0:1], 0, v3
	s_and_b64 vcc, s[34:35], vcc
	s_mov_b32 s2, 0
	v_cndmask_b32_e64 v4, 1, v2, s[0:1]
	v_cmp_ne_u32_e64 s[0:1], 1, v3
	v_cndmask_b32_e32 v63, v2, v4, vcc
	s_movk_i32 s30, 0x200
	v_cndmask_b32_e64 v5, 1, v78, s[0:1]
	v_cmp_ne_u32_e64 s[0:1], 2, v3
	s_mov_b64 s[36:37], -1
	v_cmp_ne_u32_e64 s[28:29], 0, v63
	v_cndmask_b32_e64 v6, 1, v77, s[0:1]
	v_cmp_ne_u32_e64 s[0:1], 3, v3
	v_cndmask_b32_e32 v61, v77, v6, vcc
	v_cmp_ne_u32_e64 s[24:25], 0, v61
	v_cndmask_b32_e64 v7, 1, v76, s[0:1]
	v_cmp_ne_u32_e64 s[0:1], 4, v3
	v_cndmask_b32_e32 v60, v76, v7, vcc
	v_lshlrev_b64 v[6:7], 3, v[18:19]
	v_cndmask_b32_e64 v8, 1, v75, s[0:1]
	v_cmp_ne_u32_e64 s[0:1], 5, v3
	v_cndmask_b32_e32 v59, v75, v8, vcc
	v_cmp_ne_u32_e64 s[22:23], 0, v60
	v_cndmask_b32_e64 v9, 1, v74, s[0:1]
	v_cmp_ne_u32_e64 s[0:1], 6, v3
	v_cndmask_b32_e32 v58, v74, v9, vcc
	v_cmp_ne_u32_e64 s[20:21], 0, v59
	v_cndmask_b32_e64 v11, 1, v73, s[0:1]
	v_cmp_ne_u32_e64 s[0:1], 7, v3
	v_cndmask_b32_e32 v57, v73, v11, vcc
	v_mov_b32_e32 v11, s2
	v_cndmask_b32_e64 v12, 1, v72, s[0:1]
	v_cmp_ne_u32_e64 s[0:1], 8, v3
	v_cndmask_b32_e32 v56, v72, v12, vcc
	v_lshl_add_u64 v[8:9], v[10:11], 0, -1
	v_cndmask_b32_e64 v13, 1, v71, s[0:1]
	v_cmp_ne_u32_e64 s[0:1], 9, v3
	v_cndmask_b32_e32 v13, v71, v13, vcc
	v_add_u32_e32 v12, v18, v10
	v_cndmask_b32_e64 v14, 1, v70, s[0:1]
	v_cmp_ne_u32_e64 s[0:1], 10, v3
	v_cndmask_b32_e32 v14, v70, v14, vcc
	v_cmp_ne_u32_e64 s[12:13], 0, v13
	v_cndmask_b32_e64 v15, 1, v69, s[0:1]
	v_cmp_ne_u32_e64 s[0:1], 11, v3
	v_cndmask_b32_e32 v15, v69, v15, vcc
	v_cmp_ne_u32_e64 s[18:19], 0, v58
	;; [unrolled: 4-line block ×5, first 2 shown]
	v_cndmask_b32_e64 v3, 1, v62, s[0:1]
	v_cndmask_b32_e32 v55, v62, v3, vcc
	v_cndmask_b32_e32 v62, v78, v5, vcc
	v_cmp_eq_u32_e32 vcc, 0, v63
	v_lshlrev_b64 v[4:5], 3, v[52:53]
	v_lshl_add_u64 v[2:3], s[42:43], 0, v[4:5]
	v_cndmask_b32_e64 v10, 1, 2, vcc
	v_cmp_eq_u32_e32 vcc, 0, v62
	v_lshl_add_u64 v[2:3], v[2:3], 0, v[6:7]
	v_cmp_ne_u32_e64 s[26:27], 0, v62
	v_cndmask_b32_e64 v11, 1, 2, vcc
	v_cmp_eq_u32_e32 vcc, 0, v61
	v_and_b32_e32 v10, v11, v10
	v_cmp_ne_u32_e64 s[8:9], 0, v15
	v_cndmask_b32_e64 v11, 1, 2, vcc
	v_cmp_eq_u32_e32 vcc, 0, v60
	v_and_b32_e32 v10, v10, v11
	v_cmp_ne_u32_e64 s[6:7], 0, v17
	v_cndmask_b32_e64 v11, 1, 2, vcc
	v_cmp_eq_u32_e32 vcc, 0, v59
	v_and_b32_e32 v10, v10, v11
	v_cmp_ne_u32_e64 s[4:5], 0, v21
	v_cndmask_b32_e64 v11, 1, 2, vcc
	v_cmp_eq_u32_e32 vcc, 0, v58
	v_and_b32_e32 v10, v10, v11
	v_cmp_ne_u32_e64 s[2:3], 0, v54
	v_cndmask_b32_e64 v11, 1, 2, vcc
	v_cmp_eq_u32_e32 vcc, 0, v57
	v_and_b32_e32 v10, v10, v11
	v_cmp_ne_u32_e64 s[0:1], 0, v55
	v_cndmask_b32_e64 v11, 1, 2, vcc
	v_cmp_eq_u32_e32 vcc, 0, v56
	v_and_b32_e32 v10, v10, v11
	s_nop 0
	v_cndmask_b32_e64 v11, 1, 2, vcc
	v_cmp_eq_u32_e32 vcc, 0, v13
	v_and_b32_e32 v10, v10, v11
	s_barrier
	v_cndmask_b32_e64 v11, 1, 2, vcc
	v_cmp_eq_u32_e32 vcc, 0, v14
	v_and_b32_e32 v10, v10, v11
	s_nop 0
	v_cndmask_b32_e64 v11, 1, 2, vcc
	v_cmp_eq_u32_e32 vcc, 0, v15
	v_and_b32_e32 v10, v10, v11
	s_nop 0
	;; [unrolled: 4-line block ×6, first 2 shown]
	v_cndmask_b32_e64 v11, 1, 2, vcc
	v_and_b32_e32 v13, v10, v11
	v_cmp_gt_u32_e32 vcc, s30, v1
	v_cmp_gt_i16_e64 s[30:31], 2, v13
	s_cbranch_vccz .LBB254_135
; %bb.129:
	s_and_saveexec_b64 s[36:37], s[30:31]
	s_cbranch_execz .LBB254_134
; %bb.130:
	v_lshlrev_b64 v[10:11], 3, v[8:9]
	v_lshl_add_u64 v[10:11], v[2:3], 0, v[10:11]
	v_cmp_ne_u16_e32 vcc, 1, v13
	s_mov_b64 s[38:39], 0
	s_and_saveexec_b64 s[30:31], vcc
	s_xor_b64 s[30:31], exec, s[30:31]
	s_cbranch_execnz .LBB254_184
; %bb.131:
	s_andn2_saveexec_b64 s[30:31], s[30:31]
	s_cbranch_execnz .LBB254_200
.LBB254_132:
	s_or_b64 exec, exec, s[30:31]
	s_and_b64 exec, exec, s[38:39]
	s_cbranch_execz .LBB254_134
.LBB254_133:
	v_mov_b32_e32 v15, 0
	v_sub_u32_e32 v54, v24, v12
	v_mov_b32_e32 v55, v15
	v_mov_b32_e32 v14, v25
	v_lshl_add_u64 v[10:11], v[54:55], 3, v[10:11]
	global_store_dwordx2 v[10:11], v[14:15], off
.LBB254_134:
	s_or_b64 exec, exec, s[36:37]
	s_mov_b64 s[36:37], 0
.LBB254_135:
	s_and_b64 vcc, exec, s[36:37]
	s_cbranch_vccz .LBB254_145
; %bb.136:
	v_cmp_gt_i16_e32 vcc, 2, v13
	s_and_saveexec_b64 s[30:31], vcc
	s_cbranch_execz .LBB254_141
; %bb.137:
	v_cmp_ne_u16_e32 vcc, 1, v13
	s_mov_b64 s[38:39], 0
	s_and_saveexec_b64 s[36:37], vcc
	s_xor_b64 s[36:37], exec, s[36:37]
	s_cbranch_execnz .LBB254_201
; %bb.138:
	s_andn2_saveexec_b64 s[0:1], s[36:37]
	s_cbranch_execnz .LBB254_217
.LBB254_139:
	s_or_b64 exec, exec, s[0:1]
	s_and_b64 exec, exec, s[38:39]
	s_cbranch_execz .LBB254_141
.LBB254_140:
	v_sub_u32_e32 v10, v24, v12
	v_lshlrev_b32_e32 v10, 2, v10
	ds_write_b32 v10, v25
.LBB254_141:
	s_or_b64 exec, exec, s[30:31]
	v_cmp_lt_u32_e32 vcc, v0, v1
	s_waitcnt lgkmcnt(0)
	s_barrier
	s_and_saveexec_b64 s[0:1], vcc
	s_cbranch_execz .LBB254_144
; %bb.142:
	v_lshlrev_b64 v[8:9], 3, v[8:9]
	v_lshl_add_u64 v[4:5], v[4:5], 0, v[8:9]
	v_lshl_add_u64 v[6:7], v[4:5], 0, v[6:7]
	v_lshlrev_b32_e32 v4, 3, v0
	v_mov_b32_e32 v5, 0
	v_lshl_add_u64 v[6:7], s[42:43], 0, v[6:7]
	v_lshlrev_b32_e32 v10, 2, v0
	v_lshl_add_u64 v[6:7], v[6:7], 0, v[4:5]
	s_mov_b64 s[2:3], 0
	s_mov_b64 s[4:5], 0x1000
	v_mov_b32_e32 v8, v0
.LBB254_143:                            ; =>This Inner Loop Header: Depth=1
	ds_read_b32 v4, v10
	v_add_u32_e32 v8, 0x200, v8
	v_cmp_ge_u32_e32 vcc, v8, v1
	v_add_u32_e32 v10, 0x800, v10
	s_or_b64 s[2:3], vcc, s[2:3]
	s_waitcnt lgkmcnt(0)
	global_store_dwordx2 v[6:7], v[4:5], off
	v_lshl_add_u64 v[6:7], v[6:7], 0, s[4:5]
	s_andn2_b64 exec, exec, s[2:3]
	s_cbranch_execnz .LBB254_143
.LBB254_144:
	s_or_b64 exec, exec, s[0:1]
.LBB254_145:
	s_movk_i32 s0, 0x1ff
	v_cmp_eq_u32_e32 vcc, s0, v0
	s_and_b64 s[0:1], vcc, s[34:35]
	s_and_saveexec_b64 s[2:3], s[0:1]
	s_cbranch_execz .LBB254_148
; %bb.146:
	v_mov_b32_e32 v17, 0
	v_lshl_add_u64 v[0:1], v[16:17], 0, v[18:19]
	v_lshl_add_u64 v[0:1], v[0:1], 0, v[52:53]
	s_cmpk_lg_i32 s33, 0x1e00
	global_store_dwordx2 v17, v[0:1], s[44:45]
	s_cbranch_scc1 .LBB254_148
; %bb.147:
	v_lshlrev_b64 v[0:1], 3, v[16:17]
	v_mov_b32_e32 v21, v17
	v_lshl_add_u64 v[0:1], v[2:3], 0, v[0:1]
	global_store_dwordx2 v[0:1], v[20:21], off offset:-8
.LBB254_148:
	s_endpgm
.LBB254_149:
	s_or_b64 exec, exec, s[4:5]
	v_mov_b32_e32 v79, s3
	s_and_saveexec_b64 s[4:5], s[8:9]
	s_cbranch_execnz .LBB254_56
	s_branch .LBB254_57
.LBB254_150:
	s_and_saveexec_b64 s[38:39], s[28:29]
	s_cbranch_execnz .LBB254_218
; %bb.151:
	s_or_b64 exec, exec, s[38:39]
	s_and_saveexec_b64 s[38:39], s[26:27]
	s_cbranch_execnz .LBB254_219
.LBB254_152:
	s_or_b64 exec, exec, s[38:39]
	s_and_saveexec_b64 s[38:39], s[24:25]
	s_cbranch_execnz .LBB254_220
.LBB254_153:
	s_or_b64 exec, exec, s[38:39]
	s_and_saveexec_b64 s[38:39], s[22:23]
	s_cbranch_execnz .LBB254_221
.LBB254_154:
	s_or_b64 exec, exec, s[38:39]
	s_and_saveexec_b64 s[38:39], s[20:21]
	s_cbranch_execnz .LBB254_222
.LBB254_155:
	s_or_b64 exec, exec, s[38:39]
	s_and_saveexec_b64 s[38:39], s[18:19]
	s_cbranch_execnz .LBB254_223
.LBB254_156:
	s_or_b64 exec, exec, s[38:39]
	s_and_saveexec_b64 s[38:39], s[16:17]
	s_cbranch_execnz .LBB254_224
.LBB254_157:
	s_or_b64 exec, exec, s[38:39]
	s_and_saveexec_b64 s[38:39], s[14:15]
	s_cbranch_execnz .LBB254_225
.LBB254_158:
	s_or_b64 exec, exec, s[38:39]
	s_and_saveexec_b64 s[38:39], s[12:13]
	s_cbranch_execnz .LBB254_226
.LBB254_159:
	s_or_b64 exec, exec, s[38:39]
	s_and_saveexec_b64 s[38:39], s[10:11]
	s_cbranch_execnz .LBB254_227
.LBB254_160:
	s_or_b64 exec, exec, s[38:39]
	s_and_saveexec_b64 s[38:39], s[8:9]
	s_cbranch_execnz .LBB254_228
.LBB254_161:
	s_or_b64 exec, exec, s[38:39]
	s_and_saveexec_b64 s[38:39], s[6:7]
	s_cbranch_execnz .LBB254_229
.LBB254_162:
	s_or_b64 exec, exec, s[38:39]
	s_and_saveexec_b64 s[38:39], s[4:5]
	s_cbranch_execnz .LBB254_230
.LBB254_163:
	s_or_b64 exec, exec, s[38:39]
	s_and_saveexec_b64 s[38:39], s[2:3]
	s_cbranch_execz .LBB254_165
.LBB254_164:
	v_sub_u32_e32 v3, v22, v18
	v_readfirstlane_b32 s40, v54
	v_readfirstlane_b32 s41, v55
	s_nop 4
	global_store_byte v3, v11, s[40:41]
.LBB254_165:
	s_or_b64 exec, exec, s[38:39]
	s_and_b64 s[38:39], s[0:1], exec
	s_andn2_saveexec_b64 s[30:31], s[30:31]
	s_cbranch_execz .LBB254_106
.LBB254_166:
	v_sub_u32_e32 v3, v50, v18
	v_readfirstlane_b32 s40, v54
	v_readfirstlane_b32 s41, v55
	s_or_b64 s[38:39], s[38:39], exec
	s_nop 3
	global_store_byte v3, v8, s[40:41]
	v_sub_u32_e32 v3, v48, v18
	global_store_byte v3, v66, s[40:41]
	v_sub_u32_e32 v3, v46, v18
	;; [unrolled: 2-line block ×13, first 2 shown]
	global_store_byte v3, v11, s[40:41]
	s_or_b64 exec, exec, s[30:31]
	s_and_b64 exec, exec, s[38:39]
	s_cbranch_execnz .LBB254_107
	s_branch .LBB254_108
.LBB254_167:
	s_and_saveexec_b64 s[38:39], s[28:29]
	s_cbranch_execnz .LBB254_231
; %bb.168:
	s_or_b64 exec, exec, s[38:39]
	s_and_saveexec_b64 s[28:29], s[26:27]
	s_cbranch_execnz .LBB254_232
.LBB254_169:
	s_or_b64 exec, exec, s[28:29]
	s_and_saveexec_b64 s[26:27], s[24:25]
	s_cbranch_execnz .LBB254_233
.LBB254_170:
	s_or_b64 exec, exec, s[26:27]
	s_and_saveexec_b64 s[24:25], s[22:23]
	s_cbranch_execnz .LBB254_234
.LBB254_171:
	s_or_b64 exec, exec, s[24:25]
	s_and_saveexec_b64 s[22:23], s[20:21]
	s_cbranch_execnz .LBB254_235
.LBB254_172:
	s_or_b64 exec, exec, s[22:23]
	s_and_saveexec_b64 s[20:21], s[18:19]
	s_cbranch_execnz .LBB254_236
.LBB254_173:
	s_or_b64 exec, exec, s[20:21]
	s_and_saveexec_b64 s[18:19], s[16:17]
	s_cbranch_execnz .LBB254_237
.LBB254_174:
	s_or_b64 exec, exec, s[18:19]
	s_and_saveexec_b64 s[16:17], s[14:15]
	s_cbranch_execnz .LBB254_238
.LBB254_175:
	s_or_b64 exec, exec, s[16:17]
	s_and_saveexec_b64 s[14:15], s[12:13]
	s_cbranch_execnz .LBB254_239
.LBB254_176:
	s_or_b64 exec, exec, s[14:15]
	s_and_saveexec_b64 s[12:13], s[10:11]
	s_cbranch_execnz .LBB254_240
.LBB254_177:
	s_or_b64 exec, exec, s[12:13]
	s_and_saveexec_b64 s[10:11], s[8:9]
	s_cbranch_execnz .LBB254_241
.LBB254_178:
	s_or_b64 exec, exec, s[10:11]
	s_and_saveexec_b64 s[8:9], s[6:7]
	s_cbranch_execnz .LBB254_242
.LBB254_179:
	s_or_b64 exec, exec, s[8:9]
	s_and_saveexec_b64 s[6:7], s[4:5]
	s_cbranch_execnz .LBB254_243
.LBB254_180:
	s_or_b64 exec, exec, s[6:7]
	s_and_saveexec_b64 s[4:5], s[2:3]
	s_cbranch_execz .LBB254_182
.LBB254_181:
	v_sub_u32_e32 v2, v22, v18
	ds_write_b8 v2, v11
.LBB254_182:
	s_or_b64 exec, exec, s[4:5]
	s_and_b64 s[38:39], s[0:1], exec
                                        ; implicit-def: $vgpr11
                                        ; implicit-def: $vgpr21
                                        ; implicit-def: $vgpr56
                                        ; implicit-def: $vgpr57
                                        ; implicit-def: $vgpr58
                                        ; implicit-def: $vgpr10
                                        ; implicit-def: $vgpr59
                                        ; implicit-def: $vgpr60
                                        ; implicit-def: $vgpr61
                                        ; implicit-def: $vgpr63
                                        ; implicit-def: $vgpr64
                                        ; implicit-def: $vgpr66
	s_andn2_saveexec_b64 s[0:1], s[36:37]
	s_cbranch_execz .LBB254_113
.LBB254_183:
	v_sub_u32_e32 v2, v50, v18
	ds_write_b8 v2, v8
	v_sub_u32_e32 v2, v48, v18
	ds_write_b8 v2, v66
	;; [unrolled: 2-line block ×13, first 2 shown]
	v_sub_u32_e32 v2, v22, v18
	s_or_b64 s[38:39], s[38:39], exec
	ds_write_b8 v2, v11
	s_or_b64 exec, exec, s[0:1]
	s_and_b64 exec, exec, s[38:39]
	s_cbranch_execnz .LBB254_114
	s_branch .LBB254_115
.LBB254_184:
	s_and_saveexec_b64 s[38:39], s[28:29]
	s_cbranch_execnz .LBB254_244
; %bb.185:
	s_or_b64 exec, exec, s[38:39]
	s_and_saveexec_b64 s[38:39], s[26:27]
	s_cbranch_execnz .LBB254_245
.LBB254_186:
	s_or_b64 exec, exec, s[38:39]
	s_and_saveexec_b64 s[38:39], s[24:25]
	s_cbranch_execnz .LBB254_246
.LBB254_187:
	s_or_b64 exec, exec, s[38:39]
	s_and_saveexec_b64 s[38:39], s[22:23]
	s_cbranch_execnz .LBB254_247
.LBB254_188:
	s_or_b64 exec, exec, s[38:39]
	s_and_saveexec_b64 s[38:39], s[20:21]
	s_cbranch_execnz .LBB254_248
.LBB254_189:
	s_or_b64 exec, exec, s[38:39]
	s_and_saveexec_b64 s[38:39], s[18:19]
	s_cbranch_execnz .LBB254_249
.LBB254_190:
	s_or_b64 exec, exec, s[38:39]
	s_and_saveexec_b64 s[38:39], s[16:17]
	s_cbranch_execnz .LBB254_250
.LBB254_191:
	s_or_b64 exec, exec, s[38:39]
	s_and_saveexec_b64 s[38:39], s[14:15]
	s_cbranch_execnz .LBB254_251
.LBB254_192:
	s_or_b64 exec, exec, s[38:39]
	s_and_saveexec_b64 s[38:39], s[12:13]
	s_cbranch_execnz .LBB254_252
.LBB254_193:
	s_or_b64 exec, exec, s[38:39]
	s_and_saveexec_b64 s[38:39], s[10:11]
	s_cbranch_execnz .LBB254_253
.LBB254_194:
	s_or_b64 exec, exec, s[38:39]
	s_and_saveexec_b64 s[38:39], s[8:9]
	s_cbranch_execnz .LBB254_254
.LBB254_195:
	s_or_b64 exec, exec, s[38:39]
	s_and_saveexec_b64 s[38:39], s[6:7]
	s_cbranch_execnz .LBB254_255
.LBB254_196:
	s_or_b64 exec, exec, s[38:39]
	s_and_saveexec_b64 s[38:39], s[4:5]
	s_cbranch_execnz .LBB254_256
.LBB254_197:
	s_or_b64 exec, exec, s[38:39]
	s_and_saveexec_b64 s[38:39], s[2:3]
	s_cbranch_execz .LBB254_199
.LBB254_198:
	v_sub_u32_e32 v14, v22, v12
	v_mov_b32_e32 v15, 0
	v_lshl_add_u64 v[54:55], v[14:15], 3, v[10:11]
	v_mov_b32_e32 v14, v23
	global_store_dwordx2 v[54:55], v[14:15], off
.LBB254_199:
	s_or_b64 exec, exec, s[38:39]
	s_and_b64 s[38:39], s[0:1], exec
	s_andn2_saveexec_b64 s[30:31], s[30:31]
	s_cbranch_execz .LBB254_132
.LBB254_200:
	v_mov_b32_e32 v15, 0
	v_sub_u32_e32 v54, v50, v12
	v_mov_b32_e32 v55, v15
	v_mov_b32_e32 v14, v51
	v_lshl_add_u64 v[54:55], v[54:55], 3, v[10:11]
	global_store_dwordx2 v[54:55], v[14:15], off
	v_sub_u32_e32 v54, v48, v12
	v_mov_b32_e32 v55, v15
	v_mov_b32_e32 v14, v49
	v_lshl_add_u64 v[54:55], v[54:55], 3, v[10:11]
	global_store_dwordx2 v[54:55], v[14:15], off
	;; [unrolled: 5-line block ×13, first 2 shown]
	v_sub_u32_e32 v54, v22, v12
	v_mov_b32_e32 v55, v15
	v_mov_b32_e32 v14, v23
	v_lshl_add_u64 v[54:55], v[54:55], 3, v[10:11]
	s_or_b64 s[38:39], s[38:39], exec
	global_store_dwordx2 v[54:55], v[14:15], off
	s_or_b64 exec, exec, s[30:31]
	s_and_b64 exec, exec, s[38:39]
	s_cbranch_execnz .LBB254_133
	s_branch .LBB254_134
.LBB254_201:
	s_and_saveexec_b64 s[38:39], s[28:29]
	s_cbranch_execnz .LBB254_257
; %bb.202:
	s_or_b64 exec, exec, s[38:39]
	s_and_saveexec_b64 s[28:29], s[26:27]
	s_cbranch_execnz .LBB254_258
.LBB254_203:
	s_or_b64 exec, exec, s[28:29]
	s_and_saveexec_b64 s[26:27], s[24:25]
	s_cbranch_execnz .LBB254_259
.LBB254_204:
	s_or_b64 exec, exec, s[26:27]
	s_and_saveexec_b64 s[24:25], s[22:23]
	s_cbranch_execnz .LBB254_260
.LBB254_205:
	s_or_b64 exec, exec, s[24:25]
	s_and_saveexec_b64 s[22:23], s[20:21]
	s_cbranch_execnz .LBB254_261
.LBB254_206:
	s_or_b64 exec, exec, s[22:23]
	s_and_saveexec_b64 s[20:21], s[18:19]
	s_cbranch_execnz .LBB254_262
.LBB254_207:
	s_or_b64 exec, exec, s[20:21]
	s_and_saveexec_b64 s[18:19], s[16:17]
	s_cbranch_execnz .LBB254_263
.LBB254_208:
	s_or_b64 exec, exec, s[18:19]
	s_and_saveexec_b64 s[16:17], s[14:15]
	s_cbranch_execnz .LBB254_264
.LBB254_209:
	s_or_b64 exec, exec, s[16:17]
	s_and_saveexec_b64 s[14:15], s[12:13]
	s_cbranch_execnz .LBB254_265
.LBB254_210:
	s_or_b64 exec, exec, s[14:15]
	s_and_saveexec_b64 s[12:13], s[10:11]
	s_cbranch_execnz .LBB254_266
.LBB254_211:
	s_or_b64 exec, exec, s[12:13]
	s_and_saveexec_b64 s[10:11], s[8:9]
	s_cbranch_execnz .LBB254_267
.LBB254_212:
	s_or_b64 exec, exec, s[10:11]
	s_and_saveexec_b64 s[8:9], s[6:7]
	s_cbranch_execnz .LBB254_268
.LBB254_213:
	s_or_b64 exec, exec, s[8:9]
	s_and_saveexec_b64 s[6:7], s[4:5]
	s_cbranch_execnz .LBB254_269
.LBB254_214:
	s_or_b64 exec, exec, s[6:7]
	s_and_saveexec_b64 s[4:5], s[2:3]
	s_cbranch_execz .LBB254_216
.LBB254_215:
	v_sub_u32_e32 v10, v22, v12
	v_lshlrev_b32_e32 v10, 2, v10
	ds_write_b32 v10, v23
.LBB254_216:
	s_or_b64 exec, exec, s[4:5]
	s_and_b64 s[38:39], s[0:1], exec
                                        ; implicit-def: $vgpr22_vgpr23
                                        ; implicit-def: $vgpr26_vgpr27
                                        ; implicit-def: $vgpr28_vgpr29
                                        ; implicit-def: $vgpr50_vgpr51
                                        ; implicit-def: $vgpr48_vgpr49
                                        ; implicit-def: $vgpr46_vgpr47
                                        ; implicit-def: $vgpr44_vgpr45
                                        ; implicit-def: $vgpr42_vgpr43
                                        ; implicit-def: $vgpr40_vgpr41
                                        ; implicit-def: $vgpr38_vgpr39
                                        ; implicit-def: $vgpr36_vgpr37
                                        ; implicit-def: $vgpr34_vgpr35
                                        ; implicit-def: $vgpr32_vgpr33
                                        ; implicit-def: $vgpr30_vgpr31
	s_andn2_saveexec_b64 s[0:1], s[36:37]
	s_cbranch_execz .LBB254_139
.LBB254_217:
	v_sub_u32_e32 v10, v50, v12
	v_lshlrev_b32_e32 v10, 2, v10
	ds_write_b32 v10, v51
	v_sub_u32_e32 v10, v48, v12
	v_lshlrev_b32_e32 v10, 2, v10
	ds_write_b32 v10, v49
	;; [unrolled: 3-line block ×13, first 2 shown]
	v_sub_u32_e32 v10, v22, v12
	v_lshlrev_b32_e32 v10, 2, v10
	s_or_b64 s[38:39], s[38:39], exec
	ds_write_b32 v10, v23
	s_or_b64 exec, exec, s[0:1]
	s_and_b64 exec, exec, s[38:39]
	s_cbranch_execnz .LBB254_140
	s_branch .LBB254_141
.LBB254_218:
	v_sub_u32_e32 v3, v50, v18
	v_readfirstlane_b32 s40, v54
	v_readfirstlane_b32 s41, v55
	s_nop 4
	global_store_byte v3, v8, s[40:41]
	s_or_b64 exec, exec, s[38:39]
	s_and_saveexec_b64 s[38:39], s[26:27]
	s_cbranch_execz .LBB254_152
.LBB254_219:
	v_sub_u32_e32 v3, v48, v18
	v_readfirstlane_b32 s40, v54
	v_readfirstlane_b32 s41, v55
	s_nop 4
	global_store_byte v3, v66, s[40:41]
	s_or_b64 exec, exec, s[38:39]
	s_and_saveexec_b64 s[38:39], s[24:25]
	s_cbranch_execz .LBB254_153
.LBB254_220:
	v_sub_u32_e32 v3, v46, v18
	v_readfirstlane_b32 s40, v54
	v_readfirstlane_b32 s41, v55
	s_nop 4
	global_store_byte v3, v64, s[40:41]
	s_or_b64 exec, exec, s[38:39]
	s_and_saveexec_b64 s[38:39], s[22:23]
	s_cbranch_execz .LBB254_154
.LBB254_221:
	v_sub_u32_e32 v3, v44, v18
	v_readfirstlane_b32 s40, v54
	v_readfirstlane_b32 s41, v55
	s_nop 4
	global_store_byte v3, v63, s[40:41]
	s_or_b64 exec, exec, s[38:39]
	s_and_saveexec_b64 s[38:39], s[20:21]
	s_cbranch_execz .LBB254_155
.LBB254_222:
	v_sub_u32_e32 v3, v42, v18
	v_readfirstlane_b32 s40, v54
	v_readfirstlane_b32 s41, v55
	s_nop 4
	global_store_byte v3, v9, s[40:41]
	s_or_b64 exec, exec, s[38:39]
	s_and_saveexec_b64 s[38:39], s[18:19]
	s_cbranch_execz .LBB254_156
.LBB254_223:
	v_sub_u32_e32 v3, v40, v18
	v_readfirstlane_b32 s40, v54
	v_readfirstlane_b32 s41, v55
	s_nop 4
	global_store_byte v3, v61, s[40:41]
	s_or_b64 exec, exec, s[38:39]
	s_and_saveexec_b64 s[38:39], s[16:17]
	s_cbranch_execz .LBB254_157
.LBB254_224:
	v_sub_u32_e32 v3, v38, v18
	v_readfirstlane_b32 s40, v54
	v_readfirstlane_b32 s41, v55
	s_nop 4
	global_store_byte v3, v60, s[40:41]
	s_or_b64 exec, exec, s[38:39]
	s_and_saveexec_b64 s[38:39], s[14:15]
	s_cbranch_execz .LBB254_158
.LBB254_225:
	v_sub_u32_e32 v3, v36, v18
	v_readfirstlane_b32 s40, v54
	v_readfirstlane_b32 s41, v55
	s_nop 4
	global_store_byte v3, v59, s[40:41]
	s_or_b64 exec, exec, s[38:39]
	s_and_saveexec_b64 s[38:39], s[12:13]
	s_cbranch_execz .LBB254_159
.LBB254_226:
	v_sub_u32_e32 v3, v34, v18
	v_readfirstlane_b32 s40, v54
	v_readfirstlane_b32 s41, v55
	s_nop 4
	global_store_byte v3, v10, s[40:41]
	s_or_b64 exec, exec, s[38:39]
	s_and_saveexec_b64 s[38:39], s[10:11]
	s_cbranch_execz .LBB254_160
.LBB254_227:
	v_sub_u32_e32 v3, v32, v18
	v_readfirstlane_b32 s40, v54
	v_readfirstlane_b32 s41, v55
	s_nop 4
	global_store_byte v3, v58, s[40:41]
	s_or_b64 exec, exec, s[38:39]
	s_and_saveexec_b64 s[38:39], s[8:9]
	s_cbranch_execz .LBB254_161
.LBB254_228:
	v_sub_u32_e32 v3, v30, v18
	v_readfirstlane_b32 s40, v54
	v_readfirstlane_b32 s41, v55
	s_nop 4
	global_store_byte v3, v57, s[40:41]
	s_or_b64 exec, exec, s[38:39]
	s_and_saveexec_b64 s[38:39], s[6:7]
	s_cbranch_execz .LBB254_162
.LBB254_229:
	v_sub_u32_e32 v3, v28, v18
	v_readfirstlane_b32 s40, v54
	v_readfirstlane_b32 s41, v55
	s_nop 4
	global_store_byte v3, v56, s[40:41]
	s_or_b64 exec, exec, s[38:39]
	s_and_saveexec_b64 s[38:39], s[4:5]
	s_cbranch_execz .LBB254_163
.LBB254_230:
	v_sub_u32_e32 v3, v26, v18
	v_readfirstlane_b32 s40, v54
	v_readfirstlane_b32 s41, v55
	s_nop 4
	global_store_byte v3, v21, s[40:41]
	s_or_b64 exec, exec, s[38:39]
	s_and_saveexec_b64 s[38:39], s[2:3]
	s_cbranch_execnz .LBB254_164
	s_branch .LBB254_165
.LBB254_231:
	v_sub_u32_e32 v2, v50, v18
	ds_write_b8 v2, v8
	s_or_b64 exec, exec, s[38:39]
	s_and_saveexec_b64 s[28:29], s[26:27]
	s_cbranch_execz .LBB254_169
.LBB254_232:
	v_sub_u32_e32 v2, v48, v18
	ds_write_b8 v2, v66
	s_or_b64 exec, exec, s[28:29]
	s_and_saveexec_b64 s[26:27], s[24:25]
	s_cbranch_execz .LBB254_170
.LBB254_233:
	v_sub_u32_e32 v2, v46, v18
	ds_write_b8 v2, v64
	s_or_b64 exec, exec, s[26:27]
	s_and_saveexec_b64 s[24:25], s[22:23]
	s_cbranch_execz .LBB254_171
.LBB254_234:
	v_sub_u32_e32 v2, v44, v18
	ds_write_b8 v2, v63
	s_or_b64 exec, exec, s[24:25]
	s_and_saveexec_b64 s[22:23], s[20:21]
	s_cbranch_execz .LBB254_172
.LBB254_235:
	v_sub_u32_e32 v2, v42, v18
	ds_write_b8 v2, v9
	s_or_b64 exec, exec, s[22:23]
	s_and_saveexec_b64 s[20:21], s[18:19]
	s_cbranch_execz .LBB254_173
.LBB254_236:
	v_sub_u32_e32 v2, v40, v18
	ds_write_b8 v2, v61
	s_or_b64 exec, exec, s[20:21]
	s_and_saveexec_b64 s[18:19], s[16:17]
	s_cbranch_execz .LBB254_174
.LBB254_237:
	v_sub_u32_e32 v2, v38, v18
	ds_write_b8 v2, v60
	s_or_b64 exec, exec, s[18:19]
	s_and_saveexec_b64 s[16:17], s[14:15]
	s_cbranch_execz .LBB254_175
.LBB254_238:
	v_sub_u32_e32 v2, v36, v18
	ds_write_b8 v2, v59
	s_or_b64 exec, exec, s[16:17]
	s_and_saveexec_b64 s[14:15], s[12:13]
	s_cbranch_execz .LBB254_176
.LBB254_239:
	v_sub_u32_e32 v2, v34, v18
	ds_write_b8 v2, v10
	s_or_b64 exec, exec, s[14:15]
	s_and_saveexec_b64 s[12:13], s[10:11]
	s_cbranch_execz .LBB254_177
.LBB254_240:
	v_sub_u32_e32 v2, v32, v18
	ds_write_b8 v2, v58
	s_or_b64 exec, exec, s[12:13]
	s_and_saveexec_b64 s[10:11], s[8:9]
	s_cbranch_execz .LBB254_178
.LBB254_241:
	v_sub_u32_e32 v2, v30, v18
	ds_write_b8 v2, v57
	s_or_b64 exec, exec, s[10:11]
	s_and_saveexec_b64 s[8:9], s[6:7]
	s_cbranch_execz .LBB254_179
.LBB254_242:
	v_sub_u32_e32 v2, v28, v18
	ds_write_b8 v2, v56
	s_or_b64 exec, exec, s[8:9]
	s_and_saveexec_b64 s[6:7], s[4:5]
	s_cbranch_execz .LBB254_180
.LBB254_243:
	v_sub_u32_e32 v2, v26, v18
	ds_write_b8 v2, v21
	s_or_b64 exec, exec, s[6:7]
	s_and_saveexec_b64 s[4:5], s[2:3]
	s_cbranch_execnz .LBB254_181
	s_branch .LBB254_182
.LBB254_244:
	v_sub_u32_e32 v14, v50, v12
	v_mov_b32_e32 v15, 0
	v_lshl_add_u64 v[54:55], v[14:15], 3, v[10:11]
	v_mov_b32_e32 v14, v51
	global_store_dwordx2 v[54:55], v[14:15], off
	s_or_b64 exec, exec, s[38:39]
	s_and_saveexec_b64 s[38:39], s[26:27]
	s_cbranch_execz .LBB254_186
.LBB254_245:
	v_sub_u32_e32 v14, v48, v12
	v_mov_b32_e32 v15, 0
	v_lshl_add_u64 v[54:55], v[14:15], 3, v[10:11]
	v_mov_b32_e32 v14, v49
	global_store_dwordx2 v[54:55], v[14:15], off
	s_or_b64 exec, exec, s[38:39]
	s_and_saveexec_b64 s[38:39], s[24:25]
	s_cbranch_execz .LBB254_187
.LBB254_246:
	v_sub_u32_e32 v14, v46, v12
	v_mov_b32_e32 v15, 0
	v_lshl_add_u64 v[54:55], v[14:15], 3, v[10:11]
	v_mov_b32_e32 v14, v47
	global_store_dwordx2 v[54:55], v[14:15], off
	s_or_b64 exec, exec, s[38:39]
	s_and_saveexec_b64 s[38:39], s[22:23]
	s_cbranch_execz .LBB254_188
.LBB254_247:
	v_sub_u32_e32 v14, v44, v12
	v_mov_b32_e32 v15, 0
	v_lshl_add_u64 v[54:55], v[14:15], 3, v[10:11]
	v_mov_b32_e32 v14, v45
	global_store_dwordx2 v[54:55], v[14:15], off
	s_or_b64 exec, exec, s[38:39]
	s_and_saveexec_b64 s[38:39], s[20:21]
	s_cbranch_execz .LBB254_189
.LBB254_248:
	v_sub_u32_e32 v14, v42, v12
	v_mov_b32_e32 v15, 0
	v_lshl_add_u64 v[54:55], v[14:15], 3, v[10:11]
	v_mov_b32_e32 v14, v43
	global_store_dwordx2 v[54:55], v[14:15], off
	s_or_b64 exec, exec, s[38:39]
	s_and_saveexec_b64 s[38:39], s[18:19]
	s_cbranch_execz .LBB254_190
.LBB254_249:
	v_sub_u32_e32 v14, v40, v12
	v_mov_b32_e32 v15, 0
	v_lshl_add_u64 v[54:55], v[14:15], 3, v[10:11]
	v_mov_b32_e32 v14, v41
	global_store_dwordx2 v[54:55], v[14:15], off
	s_or_b64 exec, exec, s[38:39]
	s_and_saveexec_b64 s[38:39], s[16:17]
	s_cbranch_execz .LBB254_191
.LBB254_250:
	v_sub_u32_e32 v14, v38, v12
	v_mov_b32_e32 v15, 0
	v_lshl_add_u64 v[54:55], v[14:15], 3, v[10:11]
	v_mov_b32_e32 v14, v39
	global_store_dwordx2 v[54:55], v[14:15], off
	s_or_b64 exec, exec, s[38:39]
	s_and_saveexec_b64 s[38:39], s[14:15]
	s_cbranch_execz .LBB254_192
.LBB254_251:
	v_sub_u32_e32 v14, v36, v12
	v_mov_b32_e32 v15, 0
	v_lshl_add_u64 v[54:55], v[14:15], 3, v[10:11]
	v_mov_b32_e32 v14, v37
	global_store_dwordx2 v[54:55], v[14:15], off
	s_or_b64 exec, exec, s[38:39]
	s_and_saveexec_b64 s[38:39], s[12:13]
	s_cbranch_execz .LBB254_193
.LBB254_252:
	v_sub_u32_e32 v14, v34, v12
	v_mov_b32_e32 v15, 0
	v_lshl_add_u64 v[54:55], v[14:15], 3, v[10:11]
	v_mov_b32_e32 v14, v35
	global_store_dwordx2 v[54:55], v[14:15], off
	s_or_b64 exec, exec, s[38:39]
	s_and_saveexec_b64 s[38:39], s[10:11]
	s_cbranch_execz .LBB254_194
.LBB254_253:
	v_sub_u32_e32 v14, v32, v12
	v_mov_b32_e32 v15, 0
	v_lshl_add_u64 v[54:55], v[14:15], 3, v[10:11]
	v_mov_b32_e32 v14, v33
	global_store_dwordx2 v[54:55], v[14:15], off
	s_or_b64 exec, exec, s[38:39]
	s_and_saveexec_b64 s[38:39], s[8:9]
	s_cbranch_execz .LBB254_195
.LBB254_254:
	v_sub_u32_e32 v14, v30, v12
	v_mov_b32_e32 v15, 0
	v_lshl_add_u64 v[54:55], v[14:15], 3, v[10:11]
	v_mov_b32_e32 v14, v31
	global_store_dwordx2 v[54:55], v[14:15], off
	s_or_b64 exec, exec, s[38:39]
	s_and_saveexec_b64 s[38:39], s[6:7]
	s_cbranch_execz .LBB254_196
.LBB254_255:
	v_sub_u32_e32 v14, v28, v12
	v_mov_b32_e32 v15, 0
	v_lshl_add_u64 v[54:55], v[14:15], 3, v[10:11]
	v_mov_b32_e32 v14, v29
	global_store_dwordx2 v[54:55], v[14:15], off
	s_or_b64 exec, exec, s[38:39]
	s_and_saveexec_b64 s[38:39], s[4:5]
	s_cbranch_execz .LBB254_197
.LBB254_256:
	v_sub_u32_e32 v14, v26, v12
	v_mov_b32_e32 v15, 0
	v_lshl_add_u64 v[54:55], v[14:15], 3, v[10:11]
	v_mov_b32_e32 v14, v27
	global_store_dwordx2 v[54:55], v[14:15], off
	s_or_b64 exec, exec, s[38:39]
	s_and_saveexec_b64 s[38:39], s[2:3]
	s_cbranch_execnz .LBB254_198
	s_branch .LBB254_199
.LBB254_257:
	v_sub_u32_e32 v10, v50, v12
	v_lshlrev_b32_e32 v10, 2, v10
	ds_write_b32 v10, v51
	s_or_b64 exec, exec, s[38:39]
	s_and_saveexec_b64 s[28:29], s[26:27]
	s_cbranch_execz .LBB254_203
.LBB254_258:
	v_sub_u32_e32 v10, v48, v12
	v_lshlrev_b32_e32 v10, 2, v10
	ds_write_b32 v10, v49
	s_or_b64 exec, exec, s[28:29]
	s_and_saveexec_b64 s[26:27], s[24:25]
	s_cbranch_execz .LBB254_204
.LBB254_259:
	v_sub_u32_e32 v10, v46, v12
	v_lshlrev_b32_e32 v10, 2, v10
	ds_write_b32 v10, v47
	s_or_b64 exec, exec, s[26:27]
	s_and_saveexec_b64 s[24:25], s[22:23]
	s_cbranch_execz .LBB254_205
.LBB254_260:
	v_sub_u32_e32 v10, v44, v12
	v_lshlrev_b32_e32 v10, 2, v10
	ds_write_b32 v10, v45
	s_or_b64 exec, exec, s[24:25]
	s_and_saveexec_b64 s[22:23], s[20:21]
	s_cbranch_execz .LBB254_206
.LBB254_261:
	v_sub_u32_e32 v10, v42, v12
	v_lshlrev_b32_e32 v10, 2, v10
	ds_write_b32 v10, v43
	s_or_b64 exec, exec, s[22:23]
	s_and_saveexec_b64 s[20:21], s[18:19]
	s_cbranch_execz .LBB254_207
.LBB254_262:
	v_sub_u32_e32 v10, v40, v12
	v_lshlrev_b32_e32 v10, 2, v10
	ds_write_b32 v10, v41
	s_or_b64 exec, exec, s[20:21]
	s_and_saveexec_b64 s[18:19], s[16:17]
	s_cbranch_execz .LBB254_208
.LBB254_263:
	v_sub_u32_e32 v10, v38, v12
	v_lshlrev_b32_e32 v10, 2, v10
	ds_write_b32 v10, v39
	s_or_b64 exec, exec, s[18:19]
	s_and_saveexec_b64 s[16:17], s[14:15]
	s_cbranch_execz .LBB254_209
.LBB254_264:
	v_sub_u32_e32 v10, v36, v12
	v_lshlrev_b32_e32 v10, 2, v10
	ds_write_b32 v10, v37
	s_or_b64 exec, exec, s[16:17]
	s_and_saveexec_b64 s[14:15], s[12:13]
	s_cbranch_execz .LBB254_210
.LBB254_265:
	v_sub_u32_e32 v10, v34, v12
	v_lshlrev_b32_e32 v10, 2, v10
	ds_write_b32 v10, v35
	s_or_b64 exec, exec, s[14:15]
	s_and_saveexec_b64 s[12:13], s[10:11]
	s_cbranch_execz .LBB254_211
.LBB254_266:
	v_sub_u32_e32 v10, v32, v12
	v_lshlrev_b32_e32 v10, 2, v10
	ds_write_b32 v10, v33
	s_or_b64 exec, exec, s[12:13]
	s_and_saveexec_b64 s[10:11], s[8:9]
	s_cbranch_execz .LBB254_212
.LBB254_267:
	v_sub_u32_e32 v10, v30, v12
	v_lshlrev_b32_e32 v10, 2, v10
	ds_write_b32 v10, v31
	s_or_b64 exec, exec, s[10:11]
	s_and_saveexec_b64 s[8:9], s[6:7]
	s_cbranch_execz .LBB254_213
.LBB254_268:
	v_sub_u32_e32 v10, v28, v12
	v_lshlrev_b32_e32 v10, 2, v10
	ds_write_b32 v10, v29
	s_or_b64 exec, exec, s[8:9]
	s_and_saveexec_b64 s[6:7], s[4:5]
	s_cbranch_execz .LBB254_214
.LBB254_269:
	v_sub_u32_e32 v10, v26, v12
	v_lshlrev_b32_e32 v10, 2, v10
	ds_write_b32 v10, v27
	s_or_b64 exec, exec, s[6:7]
	s_and_saveexec_b64 s[4:5], s[2:3]
	s_cbranch_execnz .LBB254_215
	s_branch .LBB254_216
	.section	.rodata,"a",@progbits
	.p2align	6, 0x0
	.amdhsa_kernel _ZN7rocprim17ROCPRIM_400000_NS6detail17trampoline_kernelINS0_14default_configENS1_33run_length_encode_config_selectorIajNS0_4plusIjEEEEZZNS1_33reduce_by_key_impl_wrapped_configILNS1_25lookback_scan_determinismE0ES3_S7_PKaNS0_17constant_iteratorIjlEEPaPlSF_S6_NS0_8equal_toIaEEEE10hipError_tPvRmT2_T3_mT4_T5_T6_T7_T8_P12ihipStream_tbENKUlT_T0_E_clISt17integral_constantIbLb1EESY_IbLb0EEEEDaSU_SV_EUlSU_E_NS1_11comp_targetILNS1_3genE5ELNS1_11target_archE942ELNS1_3gpuE9ELNS1_3repE0EEENS1_30default_config_static_selectorELNS0_4arch9wavefront6targetE1EEEvT1_
		.amdhsa_group_segment_fixed_size 30720
		.amdhsa_private_segment_fixed_size 0
		.amdhsa_kernarg_size 128
		.amdhsa_user_sgpr_count 2
		.amdhsa_user_sgpr_dispatch_ptr 0
		.amdhsa_user_sgpr_queue_ptr 0
		.amdhsa_user_sgpr_kernarg_segment_ptr 1
		.amdhsa_user_sgpr_dispatch_id 0
		.amdhsa_user_sgpr_kernarg_preload_length 0
		.amdhsa_user_sgpr_kernarg_preload_offset 0
		.amdhsa_user_sgpr_private_segment_size 0
		.amdhsa_uses_dynamic_stack 0
		.amdhsa_enable_private_segment 0
		.amdhsa_system_sgpr_workgroup_id_x 1
		.amdhsa_system_sgpr_workgroup_id_y 0
		.amdhsa_system_sgpr_workgroup_id_z 0
		.amdhsa_system_sgpr_workgroup_info 0
		.amdhsa_system_vgpr_workitem_id 0
		.amdhsa_next_free_vgpr 110
		.amdhsa_next_free_sgpr 64
		.amdhsa_accum_offset 112
		.amdhsa_reserve_vcc 1
		.amdhsa_float_round_mode_32 0
		.amdhsa_float_round_mode_16_64 0
		.amdhsa_float_denorm_mode_32 3
		.amdhsa_float_denorm_mode_16_64 3
		.amdhsa_dx10_clamp 1
		.amdhsa_ieee_mode 1
		.amdhsa_fp16_overflow 0
		.amdhsa_tg_split 0
		.amdhsa_exception_fp_ieee_invalid_op 0
		.amdhsa_exception_fp_denorm_src 0
		.amdhsa_exception_fp_ieee_div_zero 0
		.amdhsa_exception_fp_ieee_overflow 0
		.amdhsa_exception_fp_ieee_underflow 0
		.amdhsa_exception_fp_ieee_inexact 0
		.amdhsa_exception_int_div_zero 0
	.end_amdhsa_kernel
	.section	.text._ZN7rocprim17ROCPRIM_400000_NS6detail17trampoline_kernelINS0_14default_configENS1_33run_length_encode_config_selectorIajNS0_4plusIjEEEEZZNS1_33reduce_by_key_impl_wrapped_configILNS1_25lookback_scan_determinismE0ES3_S7_PKaNS0_17constant_iteratorIjlEEPaPlSF_S6_NS0_8equal_toIaEEEE10hipError_tPvRmT2_T3_mT4_T5_T6_T7_T8_P12ihipStream_tbENKUlT_T0_E_clISt17integral_constantIbLb1EESY_IbLb0EEEEDaSU_SV_EUlSU_E_NS1_11comp_targetILNS1_3genE5ELNS1_11target_archE942ELNS1_3gpuE9ELNS1_3repE0EEENS1_30default_config_static_selectorELNS0_4arch9wavefront6targetE1EEEvT1_,"axG",@progbits,_ZN7rocprim17ROCPRIM_400000_NS6detail17trampoline_kernelINS0_14default_configENS1_33run_length_encode_config_selectorIajNS0_4plusIjEEEEZZNS1_33reduce_by_key_impl_wrapped_configILNS1_25lookback_scan_determinismE0ES3_S7_PKaNS0_17constant_iteratorIjlEEPaPlSF_S6_NS0_8equal_toIaEEEE10hipError_tPvRmT2_T3_mT4_T5_T6_T7_T8_P12ihipStream_tbENKUlT_T0_E_clISt17integral_constantIbLb1EESY_IbLb0EEEEDaSU_SV_EUlSU_E_NS1_11comp_targetILNS1_3genE5ELNS1_11target_archE942ELNS1_3gpuE9ELNS1_3repE0EEENS1_30default_config_static_selectorELNS0_4arch9wavefront6targetE1EEEvT1_,comdat
.Lfunc_end254:
	.size	_ZN7rocprim17ROCPRIM_400000_NS6detail17trampoline_kernelINS0_14default_configENS1_33run_length_encode_config_selectorIajNS0_4plusIjEEEEZZNS1_33reduce_by_key_impl_wrapped_configILNS1_25lookback_scan_determinismE0ES3_S7_PKaNS0_17constant_iteratorIjlEEPaPlSF_S6_NS0_8equal_toIaEEEE10hipError_tPvRmT2_T3_mT4_T5_T6_T7_T8_P12ihipStream_tbENKUlT_T0_E_clISt17integral_constantIbLb1EESY_IbLb0EEEEDaSU_SV_EUlSU_E_NS1_11comp_targetILNS1_3genE5ELNS1_11target_archE942ELNS1_3gpuE9ELNS1_3repE0EEENS1_30default_config_static_selectorELNS0_4arch9wavefront6targetE1EEEvT1_, .Lfunc_end254-_ZN7rocprim17ROCPRIM_400000_NS6detail17trampoline_kernelINS0_14default_configENS1_33run_length_encode_config_selectorIajNS0_4plusIjEEEEZZNS1_33reduce_by_key_impl_wrapped_configILNS1_25lookback_scan_determinismE0ES3_S7_PKaNS0_17constant_iteratorIjlEEPaPlSF_S6_NS0_8equal_toIaEEEE10hipError_tPvRmT2_T3_mT4_T5_T6_T7_T8_P12ihipStream_tbENKUlT_T0_E_clISt17integral_constantIbLb1EESY_IbLb0EEEEDaSU_SV_EUlSU_E_NS1_11comp_targetILNS1_3genE5ELNS1_11target_archE942ELNS1_3gpuE9ELNS1_3repE0EEENS1_30default_config_static_selectorELNS0_4arch9wavefront6targetE1EEEvT1_
                                        ; -- End function
	.section	.AMDGPU.csdata,"",@progbits
; Kernel info:
; codeLenInByte = 14712
; NumSgprs: 70
; NumVgprs: 110
; NumAgprs: 0
; TotalNumVgprs: 110
; ScratchSize: 0
; MemoryBound: 0
; FloatMode: 240
; IeeeMode: 1
; LDSByteSize: 30720 bytes/workgroup (compile time only)
; SGPRBlocks: 8
; VGPRBlocks: 13
; NumSGPRsForWavesPerEU: 70
; NumVGPRsForWavesPerEU: 110
; AccumOffset: 112
; Occupancy: 4
; WaveLimiterHint : 1
; COMPUTE_PGM_RSRC2:SCRATCH_EN: 0
; COMPUTE_PGM_RSRC2:USER_SGPR: 2
; COMPUTE_PGM_RSRC2:TRAP_HANDLER: 0
; COMPUTE_PGM_RSRC2:TGID_X_EN: 1
; COMPUTE_PGM_RSRC2:TGID_Y_EN: 0
; COMPUTE_PGM_RSRC2:TGID_Z_EN: 0
; COMPUTE_PGM_RSRC2:TIDIG_COMP_CNT: 0
; COMPUTE_PGM_RSRC3_GFX90A:ACCUM_OFFSET: 27
; COMPUTE_PGM_RSRC3_GFX90A:TG_SPLIT: 0
	.section	.text._ZN7rocprim17ROCPRIM_400000_NS6detail17trampoline_kernelINS0_14default_configENS1_33run_length_encode_config_selectorIajNS0_4plusIjEEEEZZNS1_33reduce_by_key_impl_wrapped_configILNS1_25lookback_scan_determinismE0ES3_S7_PKaNS0_17constant_iteratorIjlEEPaPlSF_S6_NS0_8equal_toIaEEEE10hipError_tPvRmT2_T3_mT4_T5_T6_T7_T8_P12ihipStream_tbENKUlT_T0_E_clISt17integral_constantIbLb1EESY_IbLb0EEEEDaSU_SV_EUlSU_E_NS1_11comp_targetILNS1_3genE4ELNS1_11target_archE910ELNS1_3gpuE8ELNS1_3repE0EEENS1_30default_config_static_selectorELNS0_4arch9wavefront6targetE1EEEvT1_,"axG",@progbits,_ZN7rocprim17ROCPRIM_400000_NS6detail17trampoline_kernelINS0_14default_configENS1_33run_length_encode_config_selectorIajNS0_4plusIjEEEEZZNS1_33reduce_by_key_impl_wrapped_configILNS1_25lookback_scan_determinismE0ES3_S7_PKaNS0_17constant_iteratorIjlEEPaPlSF_S6_NS0_8equal_toIaEEEE10hipError_tPvRmT2_T3_mT4_T5_T6_T7_T8_P12ihipStream_tbENKUlT_T0_E_clISt17integral_constantIbLb1EESY_IbLb0EEEEDaSU_SV_EUlSU_E_NS1_11comp_targetILNS1_3genE4ELNS1_11target_archE910ELNS1_3gpuE8ELNS1_3repE0EEENS1_30default_config_static_selectorELNS0_4arch9wavefront6targetE1EEEvT1_,comdat
	.protected	_ZN7rocprim17ROCPRIM_400000_NS6detail17trampoline_kernelINS0_14default_configENS1_33run_length_encode_config_selectorIajNS0_4plusIjEEEEZZNS1_33reduce_by_key_impl_wrapped_configILNS1_25lookback_scan_determinismE0ES3_S7_PKaNS0_17constant_iteratorIjlEEPaPlSF_S6_NS0_8equal_toIaEEEE10hipError_tPvRmT2_T3_mT4_T5_T6_T7_T8_P12ihipStream_tbENKUlT_T0_E_clISt17integral_constantIbLb1EESY_IbLb0EEEEDaSU_SV_EUlSU_E_NS1_11comp_targetILNS1_3genE4ELNS1_11target_archE910ELNS1_3gpuE8ELNS1_3repE0EEENS1_30default_config_static_selectorELNS0_4arch9wavefront6targetE1EEEvT1_ ; -- Begin function _ZN7rocprim17ROCPRIM_400000_NS6detail17trampoline_kernelINS0_14default_configENS1_33run_length_encode_config_selectorIajNS0_4plusIjEEEEZZNS1_33reduce_by_key_impl_wrapped_configILNS1_25lookback_scan_determinismE0ES3_S7_PKaNS0_17constant_iteratorIjlEEPaPlSF_S6_NS0_8equal_toIaEEEE10hipError_tPvRmT2_T3_mT4_T5_T6_T7_T8_P12ihipStream_tbENKUlT_T0_E_clISt17integral_constantIbLb1EESY_IbLb0EEEEDaSU_SV_EUlSU_E_NS1_11comp_targetILNS1_3genE4ELNS1_11target_archE910ELNS1_3gpuE8ELNS1_3repE0EEENS1_30default_config_static_selectorELNS0_4arch9wavefront6targetE1EEEvT1_
	.globl	_ZN7rocprim17ROCPRIM_400000_NS6detail17trampoline_kernelINS0_14default_configENS1_33run_length_encode_config_selectorIajNS0_4plusIjEEEEZZNS1_33reduce_by_key_impl_wrapped_configILNS1_25lookback_scan_determinismE0ES3_S7_PKaNS0_17constant_iteratorIjlEEPaPlSF_S6_NS0_8equal_toIaEEEE10hipError_tPvRmT2_T3_mT4_T5_T6_T7_T8_P12ihipStream_tbENKUlT_T0_E_clISt17integral_constantIbLb1EESY_IbLb0EEEEDaSU_SV_EUlSU_E_NS1_11comp_targetILNS1_3genE4ELNS1_11target_archE910ELNS1_3gpuE8ELNS1_3repE0EEENS1_30default_config_static_selectorELNS0_4arch9wavefront6targetE1EEEvT1_
	.p2align	8
	.type	_ZN7rocprim17ROCPRIM_400000_NS6detail17trampoline_kernelINS0_14default_configENS1_33run_length_encode_config_selectorIajNS0_4plusIjEEEEZZNS1_33reduce_by_key_impl_wrapped_configILNS1_25lookback_scan_determinismE0ES3_S7_PKaNS0_17constant_iteratorIjlEEPaPlSF_S6_NS0_8equal_toIaEEEE10hipError_tPvRmT2_T3_mT4_T5_T6_T7_T8_P12ihipStream_tbENKUlT_T0_E_clISt17integral_constantIbLb1EESY_IbLb0EEEEDaSU_SV_EUlSU_E_NS1_11comp_targetILNS1_3genE4ELNS1_11target_archE910ELNS1_3gpuE8ELNS1_3repE0EEENS1_30default_config_static_selectorELNS0_4arch9wavefront6targetE1EEEvT1_,@function
_ZN7rocprim17ROCPRIM_400000_NS6detail17trampoline_kernelINS0_14default_configENS1_33run_length_encode_config_selectorIajNS0_4plusIjEEEEZZNS1_33reduce_by_key_impl_wrapped_configILNS1_25lookback_scan_determinismE0ES3_S7_PKaNS0_17constant_iteratorIjlEEPaPlSF_S6_NS0_8equal_toIaEEEE10hipError_tPvRmT2_T3_mT4_T5_T6_T7_T8_P12ihipStream_tbENKUlT_T0_E_clISt17integral_constantIbLb1EESY_IbLb0EEEEDaSU_SV_EUlSU_E_NS1_11comp_targetILNS1_3genE4ELNS1_11target_archE910ELNS1_3gpuE8ELNS1_3repE0EEENS1_30default_config_static_selectorELNS0_4arch9wavefront6targetE1EEEvT1_: ; @_ZN7rocprim17ROCPRIM_400000_NS6detail17trampoline_kernelINS0_14default_configENS1_33run_length_encode_config_selectorIajNS0_4plusIjEEEEZZNS1_33reduce_by_key_impl_wrapped_configILNS1_25lookback_scan_determinismE0ES3_S7_PKaNS0_17constant_iteratorIjlEEPaPlSF_S6_NS0_8equal_toIaEEEE10hipError_tPvRmT2_T3_mT4_T5_T6_T7_T8_P12ihipStream_tbENKUlT_T0_E_clISt17integral_constantIbLb1EESY_IbLb0EEEEDaSU_SV_EUlSU_E_NS1_11comp_targetILNS1_3genE4ELNS1_11target_archE910ELNS1_3gpuE8ELNS1_3repE0EEENS1_30default_config_static_selectorELNS0_4arch9wavefront6targetE1EEEvT1_
; %bb.0:
	.section	.rodata,"a",@progbits
	.p2align	6, 0x0
	.amdhsa_kernel _ZN7rocprim17ROCPRIM_400000_NS6detail17trampoline_kernelINS0_14default_configENS1_33run_length_encode_config_selectorIajNS0_4plusIjEEEEZZNS1_33reduce_by_key_impl_wrapped_configILNS1_25lookback_scan_determinismE0ES3_S7_PKaNS0_17constant_iteratorIjlEEPaPlSF_S6_NS0_8equal_toIaEEEE10hipError_tPvRmT2_T3_mT4_T5_T6_T7_T8_P12ihipStream_tbENKUlT_T0_E_clISt17integral_constantIbLb1EESY_IbLb0EEEEDaSU_SV_EUlSU_E_NS1_11comp_targetILNS1_3genE4ELNS1_11target_archE910ELNS1_3gpuE8ELNS1_3repE0EEENS1_30default_config_static_selectorELNS0_4arch9wavefront6targetE1EEEvT1_
		.amdhsa_group_segment_fixed_size 0
		.amdhsa_private_segment_fixed_size 0
		.amdhsa_kernarg_size 128
		.amdhsa_user_sgpr_count 2
		.amdhsa_user_sgpr_dispatch_ptr 0
		.amdhsa_user_sgpr_queue_ptr 0
		.amdhsa_user_sgpr_kernarg_segment_ptr 1
		.amdhsa_user_sgpr_dispatch_id 0
		.amdhsa_user_sgpr_kernarg_preload_length 0
		.amdhsa_user_sgpr_kernarg_preload_offset 0
		.amdhsa_user_sgpr_private_segment_size 0
		.amdhsa_uses_dynamic_stack 0
		.amdhsa_enable_private_segment 0
		.amdhsa_system_sgpr_workgroup_id_x 1
		.amdhsa_system_sgpr_workgroup_id_y 0
		.amdhsa_system_sgpr_workgroup_id_z 0
		.amdhsa_system_sgpr_workgroup_info 0
		.amdhsa_system_vgpr_workitem_id 0
		.amdhsa_next_free_vgpr 1
		.amdhsa_next_free_sgpr 0
		.amdhsa_accum_offset 4
		.amdhsa_reserve_vcc 0
		.amdhsa_float_round_mode_32 0
		.amdhsa_float_round_mode_16_64 0
		.amdhsa_float_denorm_mode_32 3
		.amdhsa_float_denorm_mode_16_64 3
		.amdhsa_dx10_clamp 1
		.amdhsa_ieee_mode 1
		.amdhsa_fp16_overflow 0
		.amdhsa_tg_split 0
		.amdhsa_exception_fp_ieee_invalid_op 0
		.amdhsa_exception_fp_denorm_src 0
		.amdhsa_exception_fp_ieee_div_zero 0
		.amdhsa_exception_fp_ieee_overflow 0
		.amdhsa_exception_fp_ieee_underflow 0
		.amdhsa_exception_fp_ieee_inexact 0
		.amdhsa_exception_int_div_zero 0
	.end_amdhsa_kernel
	.section	.text._ZN7rocprim17ROCPRIM_400000_NS6detail17trampoline_kernelINS0_14default_configENS1_33run_length_encode_config_selectorIajNS0_4plusIjEEEEZZNS1_33reduce_by_key_impl_wrapped_configILNS1_25lookback_scan_determinismE0ES3_S7_PKaNS0_17constant_iteratorIjlEEPaPlSF_S6_NS0_8equal_toIaEEEE10hipError_tPvRmT2_T3_mT4_T5_T6_T7_T8_P12ihipStream_tbENKUlT_T0_E_clISt17integral_constantIbLb1EESY_IbLb0EEEEDaSU_SV_EUlSU_E_NS1_11comp_targetILNS1_3genE4ELNS1_11target_archE910ELNS1_3gpuE8ELNS1_3repE0EEENS1_30default_config_static_selectorELNS0_4arch9wavefront6targetE1EEEvT1_,"axG",@progbits,_ZN7rocprim17ROCPRIM_400000_NS6detail17trampoline_kernelINS0_14default_configENS1_33run_length_encode_config_selectorIajNS0_4plusIjEEEEZZNS1_33reduce_by_key_impl_wrapped_configILNS1_25lookback_scan_determinismE0ES3_S7_PKaNS0_17constant_iteratorIjlEEPaPlSF_S6_NS0_8equal_toIaEEEE10hipError_tPvRmT2_T3_mT4_T5_T6_T7_T8_P12ihipStream_tbENKUlT_T0_E_clISt17integral_constantIbLb1EESY_IbLb0EEEEDaSU_SV_EUlSU_E_NS1_11comp_targetILNS1_3genE4ELNS1_11target_archE910ELNS1_3gpuE8ELNS1_3repE0EEENS1_30default_config_static_selectorELNS0_4arch9wavefront6targetE1EEEvT1_,comdat
.Lfunc_end255:
	.size	_ZN7rocprim17ROCPRIM_400000_NS6detail17trampoline_kernelINS0_14default_configENS1_33run_length_encode_config_selectorIajNS0_4plusIjEEEEZZNS1_33reduce_by_key_impl_wrapped_configILNS1_25lookback_scan_determinismE0ES3_S7_PKaNS0_17constant_iteratorIjlEEPaPlSF_S6_NS0_8equal_toIaEEEE10hipError_tPvRmT2_T3_mT4_T5_T6_T7_T8_P12ihipStream_tbENKUlT_T0_E_clISt17integral_constantIbLb1EESY_IbLb0EEEEDaSU_SV_EUlSU_E_NS1_11comp_targetILNS1_3genE4ELNS1_11target_archE910ELNS1_3gpuE8ELNS1_3repE0EEENS1_30default_config_static_selectorELNS0_4arch9wavefront6targetE1EEEvT1_, .Lfunc_end255-_ZN7rocprim17ROCPRIM_400000_NS6detail17trampoline_kernelINS0_14default_configENS1_33run_length_encode_config_selectorIajNS0_4plusIjEEEEZZNS1_33reduce_by_key_impl_wrapped_configILNS1_25lookback_scan_determinismE0ES3_S7_PKaNS0_17constant_iteratorIjlEEPaPlSF_S6_NS0_8equal_toIaEEEE10hipError_tPvRmT2_T3_mT4_T5_T6_T7_T8_P12ihipStream_tbENKUlT_T0_E_clISt17integral_constantIbLb1EESY_IbLb0EEEEDaSU_SV_EUlSU_E_NS1_11comp_targetILNS1_3genE4ELNS1_11target_archE910ELNS1_3gpuE8ELNS1_3repE0EEENS1_30default_config_static_selectorELNS0_4arch9wavefront6targetE1EEEvT1_
                                        ; -- End function
	.section	.AMDGPU.csdata,"",@progbits
; Kernel info:
; codeLenInByte = 0
; NumSgprs: 6
; NumVgprs: 0
; NumAgprs: 0
; TotalNumVgprs: 0
; ScratchSize: 0
; MemoryBound: 0
; FloatMode: 240
; IeeeMode: 1
; LDSByteSize: 0 bytes/workgroup (compile time only)
; SGPRBlocks: 0
; VGPRBlocks: 0
; NumSGPRsForWavesPerEU: 6
; NumVGPRsForWavesPerEU: 1
; AccumOffset: 4
; Occupancy: 8
; WaveLimiterHint : 0
; COMPUTE_PGM_RSRC2:SCRATCH_EN: 0
; COMPUTE_PGM_RSRC2:USER_SGPR: 2
; COMPUTE_PGM_RSRC2:TRAP_HANDLER: 0
; COMPUTE_PGM_RSRC2:TGID_X_EN: 1
; COMPUTE_PGM_RSRC2:TGID_Y_EN: 0
; COMPUTE_PGM_RSRC2:TGID_Z_EN: 0
; COMPUTE_PGM_RSRC2:TIDIG_COMP_CNT: 0
; COMPUTE_PGM_RSRC3_GFX90A:ACCUM_OFFSET: 0
; COMPUTE_PGM_RSRC3_GFX90A:TG_SPLIT: 0
	.section	.text._ZN7rocprim17ROCPRIM_400000_NS6detail17trampoline_kernelINS0_14default_configENS1_33run_length_encode_config_selectorIajNS0_4plusIjEEEEZZNS1_33reduce_by_key_impl_wrapped_configILNS1_25lookback_scan_determinismE0ES3_S7_PKaNS0_17constant_iteratorIjlEEPaPlSF_S6_NS0_8equal_toIaEEEE10hipError_tPvRmT2_T3_mT4_T5_T6_T7_T8_P12ihipStream_tbENKUlT_T0_E_clISt17integral_constantIbLb1EESY_IbLb0EEEEDaSU_SV_EUlSU_E_NS1_11comp_targetILNS1_3genE3ELNS1_11target_archE908ELNS1_3gpuE7ELNS1_3repE0EEENS1_30default_config_static_selectorELNS0_4arch9wavefront6targetE1EEEvT1_,"axG",@progbits,_ZN7rocprim17ROCPRIM_400000_NS6detail17trampoline_kernelINS0_14default_configENS1_33run_length_encode_config_selectorIajNS0_4plusIjEEEEZZNS1_33reduce_by_key_impl_wrapped_configILNS1_25lookback_scan_determinismE0ES3_S7_PKaNS0_17constant_iteratorIjlEEPaPlSF_S6_NS0_8equal_toIaEEEE10hipError_tPvRmT2_T3_mT4_T5_T6_T7_T8_P12ihipStream_tbENKUlT_T0_E_clISt17integral_constantIbLb1EESY_IbLb0EEEEDaSU_SV_EUlSU_E_NS1_11comp_targetILNS1_3genE3ELNS1_11target_archE908ELNS1_3gpuE7ELNS1_3repE0EEENS1_30default_config_static_selectorELNS0_4arch9wavefront6targetE1EEEvT1_,comdat
	.protected	_ZN7rocprim17ROCPRIM_400000_NS6detail17trampoline_kernelINS0_14default_configENS1_33run_length_encode_config_selectorIajNS0_4plusIjEEEEZZNS1_33reduce_by_key_impl_wrapped_configILNS1_25lookback_scan_determinismE0ES3_S7_PKaNS0_17constant_iteratorIjlEEPaPlSF_S6_NS0_8equal_toIaEEEE10hipError_tPvRmT2_T3_mT4_T5_T6_T7_T8_P12ihipStream_tbENKUlT_T0_E_clISt17integral_constantIbLb1EESY_IbLb0EEEEDaSU_SV_EUlSU_E_NS1_11comp_targetILNS1_3genE3ELNS1_11target_archE908ELNS1_3gpuE7ELNS1_3repE0EEENS1_30default_config_static_selectorELNS0_4arch9wavefront6targetE1EEEvT1_ ; -- Begin function _ZN7rocprim17ROCPRIM_400000_NS6detail17trampoline_kernelINS0_14default_configENS1_33run_length_encode_config_selectorIajNS0_4plusIjEEEEZZNS1_33reduce_by_key_impl_wrapped_configILNS1_25lookback_scan_determinismE0ES3_S7_PKaNS0_17constant_iteratorIjlEEPaPlSF_S6_NS0_8equal_toIaEEEE10hipError_tPvRmT2_T3_mT4_T5_T6_T7_T8_P12ihipStream_tbENKUlT_T0_E_clISt17integral_constantIbLb1EESY_IbLb0EEEEDaSU_SV_EUlSU_E_NS1_11comp_targetILNS1_3genE3ELNS1_11target_archE908ELNS1_3gpuE7ELNS1_3repE0EEENS1_30default_config_static_selectorELNS0_4arch9wavefront6targetE1EEEvT1_
	.globl	_ZN7rocprim17ROCPRIM_400000_NS6detail17trampoline_kernelINS0_14default_configENS1_33run_length_encode_config_selectorIajNS0_4plusIjEEEEZZNS1_33reduce_by_key_impl_wrapped_configILNS1_25lookback_scan_determinismE0ES3_S7_PKaNS0_17constant_iteratorIjlEEPaPlSF_S6_NS0_8equal_toIaEEEE10hipError_tPvRmT2_T3_mT4_T5_T6_T7_T8_P12ihipStream_tbENKUlT_T0_E_clISt17integral_constantIbLb1EESY_IbLb0EEEEDaSU_SV_EUlSU_E_NS1_11comp_targetILNS1_3genE3ELNS1_11target_archE908ELNS1_3gpuE7ELNS1_3repE0EEENS1_30default_config_static_selectorELNS0_4arch9wavefront6targetE1EEEvT1_
	.p2align	8
	.type	_ZN7rocprim17ROCPRIM_400000_NS6detail17trampoline_kernelINS0_14default_configENS1_33run_length_encode_config_selectorIajNS0_4plusIjEEEEZZNS1_33reduce_by_key_impl_wrapped_configILNS1_25lookback_scan_determinismE0ES3_S7_PKaNS0_17constant_iteratorIjlEEPaPlSF_S6_NS0_8equal_toIaEEEE10hipError_tPvRmT2_T3_mT4_T5_T6_T7_T8_P12ihipStream_tbENKUlT_T0_E_clISt17integral_constantIbLb1EESY_IbLb0EEEEDaSU_SV_EUlSU_E_NS1_11comp_targetILNS1_3genE3ELNS1_11target_archE908ELNS1_3gpuE7ELNS1_3repE0EEENS1_30default_config_static_selectorELNS0_4arch9wavefront6targetE1EEEvT1_,@function
_ZN7rocprim17ROCPRIM_400000_NS6detail17trampoline_kernelINS0_14default_configENS1_33run_length_encode_config_selectorIajNS0_4plusIjEEEEZZNS1_33reduce_by_key_impl_wrapped_configILNS1_25lookback_scan_determinismE0ES3_S7_PKaNS0_17constant_iteratorIjlEEPaPlSF_S6_NS0_8equal_toIaEEEE10hipError_tPvRmT2_T3_mT4_T5_T6_T7_T8_P12ihipStream_tbENKUlT_T0_E_clISt17integral_constantIbLb1EESY_IbLb0EEEEDaSU_SV_EUlSU_E_NS1_11comp_targetILNS1_3genE3ELNS1_11target_archE908ELNS1_3gpuE7ELNS1_3repE0EEENS1_30default_config_static_selectorELNS0_4arch9wavefront6targetE1EEEvT1_: ; @_ZN7rocprim17ROCPRIM_400000_NS6detail17trampoline_kernelINS0_14default_configENS1_33run_length_encode_config_selectorIajNS0_4plusIjEEEEZZNS1_33reduce_by_key_impl_wrapped_configILNS1_25lookback_scan_determinismE0ES3_S7_PKaNS0_17constant_iteratorIjlEEPaPlSF_S6_NS0_8equal_toIaEEEE10hipError_tPvRmT2_T3_mT4_T5_T6_T7_T8_P12ihipStream_tbENKUlT_T0_E_clISt17integral_constantIbLb1EESY_IbLb0EEEEDaSU_SV_EUlSU_E_NS1_11comp_targetILNS1_3genE3ELNS1_11target_archE908ELNS1_3gpuE7ELNS1_3repE0EEENS1_30default_config_static_selectorELNS0_4arch9wavefront6targetE1EEEvT1_
; %bb.0:
	.section	.rodata,"a",@progbits
	.p2align	6, 0x0
	.amdhsa_kernel _ZN7rocprim17ROCPRIM_400000_NS6detail17trampoline_kernelINS0_14default_configENS1_33run_length_encode_config_selectorIajNS0_4plusIjEEEEZZNS1_33reduce_by_key_impl_wrapped_configILNS1_25lookback_scan_determinismE0ES3_S7_PKaNS0_17constant_iteratorIjlEEPaPlSF_S6_NS0_8equal_toIaEEEE10hipError_tPvRmT2_T3_mT4_T5_T6_T7_T8_P12ihipStream_tbENKUlT_T0_E_clISt17integral_constantIbLb1EESY_IbLb0EEEEDaSU_SV_EUlSU_E_NS1_11comp_targetILNS1_3genE3ELNS1_11target_archE908ELNS1_3gpuE7ELNS1_3repE0EEENS1_30default_config_static_selectorELNS0_4arch9wavefront6targetE1EEEvT1_
		.amdhsa_group_segment_fixed_size 0
		.amdhsa_private_segment_fixed_size 0
		.amdhsa_kernarg_size 128
		.amdhsa_user_sgpr_count 2
		.amdhsa_user_sgpr_dispatch_ptr 0
		.amdhsa_user_sgpr_queue_ptr 0
		.amdhsa_user_sgpr_kernarg_segment_ptr 1
		.amdhsa_user_sgpr_dispatch_id 0
		.amdhsa_user_sgpr_kernarg_preload_length 0
		.amdhsa_user_sgpr_kernarg_preload_offset 0
		.amdhsa_user_sgpr_private_segment_size 0
		.amdhsa_uses_dynamic_stack 0
		.amdhsa_enable_private_segment 0
		.amdhsa_system_sgpr_workgroup_id_x 1
		.amdhsa_system_sgpr_workgroup_id_y 0
		.amdhsa_system_sgpr_workgroup_id_z 0
		.amdhsa_system_sgpr_workgroup_info 0
		.amdhsa_system_vgpr_workitem_id 0
		.amdhsa_next_free_vgpr 1
		.amdhsa_next_free_sgpr 0
		.amdhsa_accum_offset 4
		.amdhsa_reserve_vcc 0
		.amdhsa_float_round_mode_32 0
		.amdhsa_float_round_mode_16_64 0
		.amdhsa_float_denorm_mode_32 3
		.amdhsa_float_denorm_mode_16_64 3
		.amdhsa_dx10_clamp 1
		.amdhsa_ieee_mode 1
		.amdhsa_fp16_overflow 0
		.amdhsa_tg_split 0
		.amdhsa_exception_fp_ieee_invalid_op 0
		.amdhsa_exception_fp_denorm_src 0
		.amdhsa_exception_fp_ieee_div_zero 0
		.amdhsa_exception_fp_ieee_overflow 0
		.amdhsa_exception_fp_ieee_underflow 0
		.amdhsa_exception_fp_ieee_inexact 0
		.amdhsa_exception_int_div_zero 0
	.end_amdhsa_kernel
	.section	.text._ZN7rocprim17ROCPRIM_400000_NS6detail17trampoline_kernelINS0_14default_configENS1_33run_length_encode_config_selectorIajNS0_4plusIjEEEEZZNS1_33reduce_by_key_impl_wrapped_configILNS1_25lookback_scan_determinismE0ES3_S7_PKaNS0_17constant_iteratorIjlEEPaPlSF_S6_NS0_8equal_toIaEEEE10hipError_tPvRmT2_T3_mT4_T5_T6_T7_T8_P12ihipStream_tbENKUlT_T0_E_clISt17integral_constantIbLb1EESY_IbLb0EEEEDaSU_SV_EUlSU_E_NS1_11comp_targetILNS1_3genE3ELNS1_11target_archE908ELNS1_3gpuE7ELNS1_3repE0EEENS1_30default_config_static_selectorELNS0_4arch9wavefront6targetE1EEEvT1_,"axG",@progbits,_ZN7rocprim17ROCPRIM_400000_NS6detail17trampoline_kernelINS0_14default_configENS1_33run_length_encode_config_selectorIajNS0_4plusIjEEEEZZNS1_33reduce_by_key_impl_wrapped_configILNS1_25lookback_scan_determinismE0ES3_S7_PKaNS0_17constant_iteratorIjlEEPaPlSF_S6_NS0_8equal_toIaEEEE10hipError_tPvRmT2_T3_mT4_T5_T6_T7_T8_P12ihipStream_tbENKUlT_T0_E_clISt17integral_constantIbLb1EESY_IbLb0EEEEDaSU_SV_EUlSU_E_NS1_11comp_targetILNS1_3genE3ELNS1_11target_archE908ELNS1_3gpuE7ELNS1_3repE0EEENS1_30default_config_static_selectorELNS0_4arch9wavefront6targetE1EEEvT1_,comdat
.Lfunc_end256:
	.size	_ZN7rocprim17ROCPRIM_400000_NS6detail17trampoline_kernelINS0_14default_configENS1_33run_length_encode_config_selectorIajNS0_4plusIjEEEEZZNS1_33reduce_by_key_impl_wrapped_configILNS1_25lookback_scan_determinismE0ES3_S7_PKaNS0_17constant_iteratorIjlEEPaPlSF_S6_NS0_8equal_toIaEEEE10hipError_tPvRmT2_T3_mT4_T5_T6_T7_T8_P12ihipStream_tbENKUlT_T0_E_clISt17integral_constantIbLb1EESY_IbLb0EEEEDaSU_SV_EUlSU_E_NS1_11comp_targetILNS1_3genE3ELNS1_11target_archE908ELNS1_3gpuE7ELNS1_3repE0EEENS1_30default_config_static_selectorELNS0_4arch9wavefront6targetE1EEEvT1_, .Lfunc_end256-_ZN7rocprim17ROCPRIM_400000_NS6detail17trampoline_kernelINS0_14default_configENS1_33run_length_encode_config_selectorIajNS0_4plusIjEEEEZZNS1_33reduce_by_key_impl_wrapped_configILNS1_25lookback_scan_determinismE0ES3_S7_PKaNS0_17constant_iteratorIjlEEPaPlSF_S6_NS0_8equal_toIaEEEE10hipError_tPvRmT2_T3_mT4_T5_T6_T7_T8_P12ihipStream_tbENKUlT_T0_E_clISt17integral_constantIbLb1EESY_IbLb0EEEEDaSU_SV_EUlSU_E_NS1_11comp_targetILNS1_3genE3ELNS1_11target_archE908ELNS1_3gpuE7ELNS1_3repE0EEENS1_30default_config_static_selectorELNS0_4arch9wavefront6targetE1EEEvT1_
                                        ; -- End function
	.section	.AMDGPU.csdata,"",@progbits
; Kernel info:
; codeLenInByte = 0
; NumSgprs: 6
; NumVgprs: 0
; NumAgprs: 0
; TotalNumVgprs: 0
; ScratchSize: 0
; MemoryBound: 0
; FloatMode: 240
; IeeeMode: 1
; LDSByteSize: 0 bytes/workgroup (compile time only)
; SGPRBlocks: 0
; VGPRBlocks: 0
; NumSGPRsForWavesPerEU: 6
; NumVGPRsForWavesPerEU: 1
; AccumOffset: 4
; Occupancy: 8
; WaveLimiterHint : 0
; COMPUTE_PGM_RSRC2:SCRATCH_EN: 0
; COMPUTE_PGM_RSRC2:USER_SGPR: 2
; COMPUTE_PGM_RSRC2:TRAP_HANDLER: 0
; COMPUTE_PGM_RSRC2:TGID_X_EN: 1
; COMPUTE_PGM_RSRC2:TGID_Y_EN: 0
; COMPUTE_PGM_RSRC2:TGID_Z_EN: 0
; COMPUTE_PGM_RSRC2:TIDIG_COMP_CNT: 0
; COMPUTE_PGM_RSRC3_GFX90A:ACCUM_OFFSET: 0
; COMPUTE_PGM_RSRC3_GFX90A:TG_SPLIT: 0
	.section	.text._ZN7rocprim17ROCPRIM_400000_NS6detail17trampoline_kernelINS0_14default_configENS1_33run_length_encode_config_selectorIajNS0_4plusIjEEEEZZNS1_33reduce_by_key_impl_wrapped_configILNS1_25lookback_scan_determinismE0ES3_S7_PKaNS0_17constant_iteratorIjlEEPaPlSF_S6_NS0_8equal_toIaEEEE10hipError_tPvRmT2_T3_mT4_T5_T6_T7_T8_P12ihipStream_tbENKUlT_T0_E_clISt17integral_constantIbLb1EESY_IbLb0EEEEDaSU_SV_EUlSU_E_NS1_11comp_targetILNS1_3genE2ELNS1_11target_archE906ELNS1_3gpuE6ELNS1_3repE0EEENS1_30default_config_static_selectorELNS0_4arch9wavefront6targetE1EEEvT1_,"axG",@progbits,_ZN7rocprim17ROCPRIM_400000_NS6detail17trampoline_kernelINS0_14default_configENS1_33run_length_encode_config_selectorIajNS0_4plusIjEEEEZZNS1_33reduce_by_key_impl_wrapped_configILNS1_25lookback_scan_determinismE0ES3_S7_PKaNS0_17constant_iteratorIjlEEPaPlSF_S6_NS0_8equal_toIaEEEE10hipError_tPvRmT2_T3_mT4_T5_T6_T7_T8_P12ihipStream_tbENKUlT_T0_E_clISt17integral_constantIbLb1EESY_IbLb0EEEEDaSU_SV_EUlSU_E_NS1_11comp_targetILNS1_3genE2ELNS1_11target_archE906ELNS1_3gpuE6ELNS1_3repE0EEENS1_30default_config_static_selectorELNS0_4arch9wavefront6targetE1EEEvT1_,comdat
	.protected	_ZN7rocprim17ROCPRIM_400000_NS6detail17trampoline_kernelINS0_14default_configENS1_33run_length_encode_config_selectorIajNS0_4plusIjEEEEZZNS1_33reduce_by_key_impl_wrapped_configILNS1_25lookback_scan_determinismE0ES3_S7_PKaNS0_17constant_iteratorIjlEEPaPlSF_S6_NS0_8equal_toIaEEEE10hipError_tPvRmT2_T3_mT4_T5_T6_T7_T8_P12ihipStream_tbENKUlT_T0_E_clISt17integral_constantIbLb1EESY_IbLb0EEEEDaSU_SV_EUlSU_E_NS1_11comp_targetILNS1_3genE2ELNS1_11target_archE906ELNS1_3gpuE6ELNS1_3repE0EEENS1_30default_config_static_selectorELNS0_4arch9wavefront6targetE1EEEvT1_ ; -- Begin function _ZN7rocprim17ROCPRIM_400000_NS6detail17trampoline_kernelINS0_14default_configENS1_33run_length_encode_config_selectorIajNS0_4plusIjEEEEZZNS1_33reduce_by_key_impl_wrapped_configILNS1_25lookback_scan_determinismE0ES3_S7_PKaNS0_17constant_iteratorIjlEEPaPlSF_S6_NS0_8equal_toIaEEEE10hipError_tPvRmT2_T3_mT4_T5_T6_T7_T8_P12ihipStream_tbENKUlT_T0_E_clISt17integral_constantIbLb1EESY_IbLb0EEEEDaSU_SV_EUlSU_E_NS1_11comp_targetILNS1_3genE2ELNS1_11target_archE906ELNS1_3gpuE6ELNS1_3repE0EEENS1_30default_config_static_selectorELNS0_4arch9wavefront6targetE1EEEvT1_
	.globl	_ZN7rocprim17ROCPRIM_400000_NS6detail17trampoline_kernelINS0_14default_configENS1_33run_length_encode_config_selectorIajNS0_4plusIjEEEEZZNS1_33reduce_by_key_impl_wrapped_configILNS1_25lookback_scan_determinismE0ES3_S7_PKaNS0_17constant_iteratorIjlEEPaPlSF_S6_NS0_8equal_toIaEEEE10hipError_tPvRmT2_T3_mT4_T5_T6_T7_T8_P12ihipStream_tbENKUlT_T0_E_clISt17integral_constantIbLb1EESY_IbLb0EEEEDaSU_SV_EUlSU_E_NS1_11comp_targetILNS1_3genE2ELNS1_11target_archE906ELNS1_3gpuE6ELNS1_3repE0EEENS1_30default_config_static_selectorELNS0_4arch9wavefront6targetE1EEEvT1_
	.p2align	8
	.type	_ZN7rocprim17ROCPRIM_400000_NS6detail17trampoline_kernelINS0_14default_configENS1_33run_length_encode_config_selectorIajNS0_4plusIjEEEEZZNS1_33reduce_by_key_impl_wrapped_configILNS1_25lookback_scan_determinismE0ES3_S7_PKaNS0_17constant_iteratorIjlEEPaPlSF_S6_NS0_8equal_toIaEEEE10hipError_tPvRmT2_T3_mT4_T5_T6_T7_T8_P12ihipStream_tbENKUlT_T0_E_clISt17integral_constantIbLb1EESY_IbLb0EEEEDaSU_SV_EUlSU_E_NS1_11comp_targetILNS1_3genE2ELNS1_11target_archE906ELNS1_3gpuE6ELNS1_3repE0EEENS1_30default_config_static_selectorELNS0_4arch9wavefront6targetE1EEEvT1_,@function
_ZN7rocprim17ROCPRIM_400000_NS6detail17trampoline_kernelINS0_14default_configENS1_33run_length_encode_config_selectorIajNS0_4plusIjEEEEZZNS1_33reduce_by_key_impl_wrapped_configILNS1_25lookback_scan_determinismE0ES3_S7_PKaNS0_17constant_iteratorIjlEEPaPlSF_S6_NS0_8equal_toIaEEEE10hipError_tPvRmT2_T3_mT4_T5_T6_T7_T8_P12ihipStream_tbENKUlT_T0_E_clISt17integral_constantIbLb1EESY_IbLb0EEEEDaSU_SV_EUlSU_E_NS1_11comp_targetILNS1_3genE2ELNS1_11target_archE906ELNS1_3gpuE6ELNS1_3repE0EEENS1_30default_config_static_selectorELNS0_4arch9wavefront6targetE1EEEvT1_: ; @_ZN7rocprim17ROCPRIM_400000_NS6detail17trampoline_kernelINS0_14default_configENS1_33run_length_encode_config_selectorIajNS0_4plusIjEEEEZZNS1_33reduce_by_key_impl_wrapped_configILNS1_25lookback_scan_determinismE0ES3_S7_PKaNS0_17constant_iteratorIjlEEPaPlSF_S6_NS0_8equal_toIaEEEE10hipError_tPvRmT2_T3_mT4_T5_T6_T7_T8_P12ihipStream_tbENKUlT_T0_E_clISt17integral_constantIbLb1EESY_IbLb0EEEEDaSU_SV_EUlSU_E_NS1_11comp_targetILNS1_3genE2ELNS1_11target_archE906ELNS1_3gpuE6ELNS1_3repE0EEENS1_30default_config_static_selectorELNS0_4arch9wavefront6targetE1EEEvT1_
; %bb.0:
	.section	.rodata,"a",@progbits
	.p2align	6, 0x0
	.amdhsa_kernel _ZN7rocprim17ROCPRIM_400000_NS6detail17trampoline_kernelINS0_14default_configENS1_33run_length_encode_config_selectorIajNS0_4plusIjEEEEZZNS1_33reduce_by_key_impl_wrapped_configILNS1_25lookback_scan_determinismE0ES3_S7_PKaNS0_17constant_iteratorIjlEEPaPlSF_S6_NS0_8equal_toIaEEEE10hipError_tPvRmT2_T3_mT4_T5_T6_T7_T8_P12ihipStream_tbENKUlT_T0_E_clISt17integral_constantIbLb1EESY_IbLb0EEEEDaSU_SV_EUlSU_E_NS1_11comp_targetILNS1_3genE2ELNS1_11target_archE906ELNS1_3gpuE6ELNS1_3repE0EEENS1_30default_config_static_selectorELNS0_4arch9wavefront6targetE1EEEvT1_
		.amdhsa_group_segment_fixed_size 0
		.amdhsa_private_segment_fixed_size 0
		.amdhsa_kernarg_size 128
		.amdhsa_user_sgpr_count 2
		.amdhsa_user_sgpr_dispatch_ptr 0
		.amdhsa_user_sgpr_queue_ptr 0
		.amdhsa_user_sgpr_kernarg_segment_ptr 1
		.amdhsa_user_sgpr_dispatch_id 0
		.amdhsa_user_sgpr_kernarg_preload_length 0
		.amdhsa_user_sgpr_kernarg_preload_offset 0
		.amdhsa_user_sgpr_private_segment_size 0
		.amdhsa_uses_dynamic_stack 0
		.amdhsa_enable_private_segment 0
		.amdhsa_system_sgpr_workgroup_id_x 1
		.amdhsa_system_sgpr_workgroup_id_y 0
		.amdhsa_system_sgpr_workgroup_id_z 0
		.amdhsa_system_sgpr_workgroup_info 0
		.amdhsa_system_vgpr_workitem_id 0
		.amdhsa_next_free_vgpr 1
		.amdhsa_next_free_sgpr 0
		.amdhsa_accum_offset 4
		.amdhsa_reserve_vcc 0
		.amdhsa_float_round_mode_32 0
		.amdhsa_float_round_mode_16_64 0
		.amdhsa_float_denorm_mode_32 3
		.amdhsa_float_denorm_mode_16_64 3
		.amdhsa_dx10_clamp 1
		.amdhsa_ieee_mode 1
		.amdhsa_fp16_overflow 0
		.amdhsa_tg_split 0
		.amdhsa_exception_fp_ieee_invalid_op 0
		.amdhsa_exception_fp_denorm_src 0
		.amdhsa_exception_fp_ieee_div_zero 0
		.amdhsa_exception_fp_ieee_overflow 0
		.amdhsa_exception_fp_ieee_underflow 0
		.amdhsa_exception_fp_ieee_inexact 0
		.amdhsa_exception_int_div_zero 0
	.end_amdhsa_kernel
	.section	.text._ZN7rocprim17ROCPRIM_400000_NS6detail17trampoline_kernelINS0_14default_configENS1_33run_length_encode_config_selectorIajNS0_4plusIjEEEEZZNS1_33reduce_by_key_impl_wrapped_configILNS1_25lookback_scan_determinismE0ES3_S7_PKaNS0_17constant_iteratorIjlEEPaPlSF_S6_NS0_8equal_toIaEEEE10hipError_tPvRmT2_T3_mT4_T5_T6_T7_T8_P12ihipStream_tbENKUlT_T0_E_clISt17integral_constantIbLb1EESY_IbLb0EEEEDaSU_SV_EUlSU_E_NS1_11comp_targetILNS1_3genE2ELNS1_11target_archE906ELNS1_3gpuE6ELNS1_3repE0EEENS1_30default_config_static_selectorELNS0_4arch9wavefront6targetE1EEEvT1_,"axG",@progbits,_ZN7rocprim17ROCPRIM_400000_NS6detail17trampoline_kernelINS0_14default_configENS1_33run_length_encode_config_selectorIajNS0_4plusIjEEEEZZNS1_33reduce_by_key_impl_wrapped_configILNS1_25lookback_scan_determinismE0ES3_S7_PKaNS0_17constant_iteratorIjlEEPaPlSF_S6_NS0_8equal_toIaEEEE10hipError_tPvRmT2_T3_mT4_T5_T6_T7_T8_P12ihipStream_tbENKUlT_T0_E_clISt17integral_constantIbLb1EESY_IbLb0EEEEDaSU_SV_EUlSU_E_NS1_11comp_targetILNS1_3genE2ELNS1_11target_archE906ELNS1_3gpuE6ELNS1_3repE0EEENS1_30default_config_static_selectorELNS0_4arch9wavefront6targetE1EEEvT1_,comdat
.Lfunc_end257:
	.size	_ZN7rocprim17ROCPRIM_400000_NS6detail17trampoline_kernelINS0_14default_configENS1_33run_length_encode_config_selectorIajNS0_4plusIjEEEEZZNS1_33reduce_by_key_impl_wrapped_configILNS1_25lookback_scan_determinismE0ES3_S7_PKaNS0_17constant_iteratorIjlEEPaPlSF_S6_NS0_8equal_toIaEEEE10hipError_tPvRmT2_T3_mT4_T5_T6_T7_T8_P12ihipStream_tbENKUlT_T0_E_clISt17integral_constantIbLb1EESY_IbLb0EEEEDaSU_SV_EUlSU_E_NS1_11comp_targetILNS1_3genE2ELNS1_11target_archE906ELNS1_3gpuE6ELNS1_3repE0EEENS1_30default_config_static_selectorELNS0_4arch9wavefront6targetE1EEEvT1_, .Lfunc_end257-_ZN7rocprim17ROCPRIM_400000_NS6detail17trampoline_kernelINS0_14default_configENS1_33run_length_encode_config_selectorIajNS0_4plusIjEEEEZZNS1_33reduce_by_key_impl_wrapped_configILNS1_25lookback_scan_determinismE0ES3_S7_PKaNS0_17constant_iteratorIjlEEPaPlSF_S6_NS0_8equal_toIaEEEE10hipError_tPvRmT2_T3_mT4_T5_T6_T7_T8_P12ihipStream_tbENKUlT_T0_E_clISt17integral_constantIbLb1EESY_IbLb0EEEEDaSU_SV_EUlSU_E_NS1_11comp_targetILNS1_3genE2ELNS1_11target_archE906ELNS1_3gpuE6ELNS1_3repE0EEENS1_30default_config_static_selectorELNS0_4arch9wavefront6targetE1EEEvT1_
                                        ; -- End function
	.section	.AMDGPU.csdata,"",@progbits
; Kernel info:
; codeLenInByte = 0
; NumSgprs: 6
; NumVgprs: 0
; NumAgprs: 0
; TotalNumVgprs: 0
; ScratchSize: 0
; MemoryBound: 0
; FloatMode: 240
; IeeeMode: 1
; LDSByteSize: 0 bytes/workgroup (compile time only)
; SGPRBlocks: 0
; VGPRBlocks: 0
; NumSGPRsForWavesPerEU: 6
; NumVGPRsForWavesPerEU: 1
; AccumOffset: 4
; Occupancy: 8
; WaveLimiterHint : 0
; COMPUTE_PGM_RSRC2:SCRATCH_EN: 0
; COMPUTE_PGM_RSRC2:USER_SGPR: 2
; COMPUTE_PGM_RSRC2:TRAP_HANDLER: 0
; COMPUTE_PGM_RSRC2:TGID_X_EN: 1
; COMPUTE_PGM_RSRC2:TGID_Y_EN: 0
; COMPUTE_PGM_RSRC2:TGID_Z_EN: 0
; COMPUTE_PGM_RSRC2:TIDIG_COMP_CNT: 0
; COMPUTE_PGM_RSRC3_GFX90A:ACCUM_OFFSET: 0
; COMPUTE_PGM_RSRC3_GFX90A:TG_SPLIT: 0
	.section	.text._ZN7rocprim17ROCPRIM_400000_NS6detail17trampoline_kernelINS0_14default_configENS1_33run_length_encode_config_selectorIajNS0_4plusIjEEEEZZNS1_33reduce_by_key_impl_wrapped_configILNS1_25lookback_scan_determinismE0ES3_S7_PKaNS0_17constant_iteratorIjlEEPaPlSF_S6_NS0_8equal_toIaEEEE10hipError_tPvRmT2_T3_mT4_T5_T6_T7_T8_P12ihipStream_tbENKUlT_T0_E_clISt17integral_constantIbLb1EESY_IbLb0EEEEDaSU_SV_EUlSU_E_NS1_11comp_targetILNS1_3genE10ELNS1_11target_archE1201ELNS1_3gpuE5ELNS1_3repE0EEENS1_30default_config_static_selectorELNS0_4arch9wavefront6targetE1EEEvT1_,"axG",@progbits,_ZN7rocprim17ROCPRIM_400000_NS6detail17trampoline_kernelINS0_14default_configENS1_33run_length_encode_config_selectorIajNS0_4plusIjEEEEZZNS1_33reduce_by_key_impl_wrapped_configILNS1_25lookback_scan_determinismE0ES3_S7_PKaNS0_17constant_iteratorIjlEEPaPlSF_S6_NS0_8equal_toIaEEEE10hipError_tPvRmT2_T3_mT4_T5_T6_T7_T8_P12ihipStream_tbENKUlT_T0_E_clISt17integral_constantIbLb1EESY_IbLb0EEEEDaSU_SV_EUlSU_E_NS1_11comp_targetILNS1_3genE10ELNS1_11target_archE1201ELNS1_3gpuE5ELNS1_3repE0EEENS1_30default_config_static_selectorELNS0_4arch9wavefront6targetE1EEEvT1_,comdat
	.protected	_ZN7rocprim17ROCPRIM_400000_NS6detail17trampoline_kernelINS0_14default_configENS1_33run_length_encode_config_selectorIajNS0_4plusIjEEEEZZNS1_33reduce_by_key_impl_wrapped_configILNS1_25lookback_scan_determinismE0ES3_S7_PKaNS0_17constant_iteratorIjlEEPaPlSF_S6_NS0_8equal_toIaEEEE10hipError_tPvRmT2_T3_mT4_T5_T6_T7_T8_P12ihipStream_tbENKUlT_T0_E_clISt17integral_constantIbLb1EESY_IbLb0EEEEDaSU_SV_EUlSU_E_NS1_11comp_targetILNS1_3genE10ELNS1_11target_archE1201ELNS1_3gpuE5ELNS1_3repE0EEENS1_30default_config_static_selectorELNS0_4arch9wavefront6targetE1EEEvT1_ ; -- Begin function _ZN7rocprim17ROCPRIM_400000_NS6detail17trampoline_kernelINS0_14default_configENS1_33run_length_encode_config_selectorIajNS0_4plusIjEEEEZZNS1_33reduce_by_key_impl_wrapped_configILNS1_25lookback_scan_determinismE0ES3_S7_PKaNS0_17constant_iteratorIjlEEPaPlSF_S6_NS0_8equal_toIaEEEE10hipError_tPvRmT2_T3_mT4_T5_T6_T7_T8_P12ihipStream_tbENKUlT_T0_E_clISt17integral_constantIbLb1EESY_IbLb0EEEEDaSU_SV_EUlSU_E_NS1_11comp_targetILNS1_3genE10ELNS1_11target_archE1201ELNS1_3gpuE5ELNS1_3repE0EEENS1_30default_config_static_selectorELNS0_4arch9wavefront6targetE1EEEvT1_
	.globl	_ZN7rocprim17ROCPRIM_400000_NS6detail17trampoline_kernelINS0_14default_configENS1_33run_length_encode_config_selectorIajNS0_4plusIjEEEEZZNS1_33reduce_by_key_impl_wrapped_configILNS1_25lookback_scan_determinismE0ES3_S7_PKaNS0_17constant_iteratorIjlEEPaPlSF_S6_NS0_8equal_toIaEEEE10hipError_tPvRmT2_T3_mT4_T5_T6_T7_T8_P12ihipStream_tbENKUlT_T0_E_clISt17integral_constantIbLb1EESY_IbLb0EEEEDaSU_SV_EUlSU_E_NS1_11comp_targetILNS1_3genE10ELNS1_11target_archE1201ELNS1_3gpuE5ELNS1_3repE0EEENS1_30default_config_static_selectorELNS0_4arch9wavefront6targetE1EEEvT1_
	.p2align	8
	.type	_ZN7rocprim17ROCPRIM_400000_NS6detail17trampoline_kernelINS0_14default_configENS1_33run_length_encode_config_selectorIajNS0_4plusIjEEEEZZNS1_33reduce_by_key_impl_wrapped_configILNS1_25lookback_scan_determinismE0ES3_S7_PKaNS0_17constant_iteratorIjlEEPaPlSF_S6_NS0_8equal_toIaEEEE10hipError_tPvRmT2_T3_mT4_T5_T6_T7_T8_P12ihipStream_tbENKUlT_T0_E_clISt17integral_constantIbLb1EESY_IbLb0EEEEDaSU_SV_EUlSU_E_NS1_11comp_targetILNS1_3genE10ELNS1_11target_archE1201ELNS1_3gpuE5ELNS1_3repE0EEENS1_30default_config_static_selectorELNS0_4arch9wavefront6targetE1EEEvT1_,@function
_ZN7rocprim17ROCPRIM_400000_NS6detail17trampoline_kernelINS0_14default_configENS1_33run_length_encode_config_selectorIajNS0_4plusIjEEEEZZNS1_33reduce_by_key_impl_wrapped_configILNS1_25lookback_scan_determinismE0ES3_S7_PKaNS0_17constant_iteratorIjlEEPaPlSF_S6_NS0_8equal_toIaEEEE10hipError_tPvRmT2_T3_mT4_T5_T6_T7_T8_P12ihipStream_tbENKUlT_T0_E_clISt17integral_constantIbLb1EESY_IbLb0EEEEDaSU_SV_EUlSU_E_NS1_11comp_targetILNS1_3genE10ELNS1_11target_archE1201ELNS1_3gpuE5ELNS1_3repE0EEENS1_30default_config_static_selectorELNS0_4arch9wavefront6targetE1EEEvT1_: ; @_ZN7rocprim17ROCPRIM_400000_NS6detail17trampoline_kernelINS0_14default_configENS1_33run_length_encode_config_selectorIajNS0_4plusIjEEEEZZNS1_33reduce_by_key_impl_wrapped_configILNS1_25lookback_scan_determinismE0ES3_S7_PKaNS0_17constant_iteratorIjlEEPaPlSF_S6_NS0_8equal_toIaEEEE10hipError_tPvRmT2_T3_mT4_T5_T6_T7_T8_P12ihipStream_tbENKUlT_T0_E_clISt17integral_constantIbLb1EESY_IbLb0EEEEDaSU_SV_EUlSU_E_NS1_11comp_targetILNS1_3genE10ELNS1_11target_archE1201ELNS1_3gpuE5ELNS1_3repE0EEENS1_30default_config_static_selectorELNS0_4arch9wavefront6targetE1EEEvT1_
; %bb.0:
	.section	.rodata,"a",@progbits
	.p2align	6, 0x0
	.amdhsa_kernel _ZN7rocprim17ROCPRIM_400000_NS6detail17trampoline_kernelINS0_14default_configENS1_33run_length_encode_config_selectorIajNS0_4plusIjEEEEZZNS1_33reduce_by_key_impl_wrapped_configILNS1_25lookback_scan_determinismE0ES3_S7_PKaNS0_17constant_iteratorIjlEEPaPlSF_S6_NS0_8equal_toIaEEEE10hipError_tPvRmT2_T3_mT4_T5_T6_T7_T8_P12ihipStream_tbENKUlT_T0_E_clISt17integral_constantIbLb1EESY_IbLb0EEEEDaSU_SV_EUlSU_E_NS1_11comp_targetILNS1_3genE10ELNS1_11target_archE1201ELNS1_3gpuE5ELNS1_3repE0EEENS1_30default_config_static_selectorELNS0_4arch9wavefront6targetE1EEEvT1_
		.amdhsa_group_segment_fixed_size 0
		.amdhsa_private_segment_fixed_size 0
		.amdhsa_kernarg_size 128
		.amdhsa_user_sgpr_count 2
		.amdhsa_user_sgpr_dispatch_ptr 0
		.amdhsa_user_sgpr_queue_ptr 0
		.amdhsa_user_sgpr_kernarg_segment_ptr 1
		.amdhsa_user_sgpr_dispatch_id 0
		.amdhsa_user_sgpr_kernarg_preload_length 0
		.amdhsa_user_sgpr_kernarg_preload_offset 0
		.amdhsa_user_sgpr_private_segment_size 0
		.amdhsa_uses_dynamic_stack 0
		.amdhsa_enable_private_segment 0
		.amdhsa_system_sgpr_workgroup_id_x 1
		.amdhsa_system_sgpr_workgroup_id_y 0
		.amdhsa_system_sgpr_workgroup_id_z 0
		.amdhsa_system_sgpr_workgroup_info 0
		.amdhsa_system_vgpr_workitem_id 0
		.amdhsa_next_free_vgpr 1
		.amdhsa_next_free_sgpr 0
		.amdhsa_accum_offset 4
		.amdhsa_reserve_vcc 0
		.amdhsa_float_round_mode_32 0
		.amdhsa_float_round_mode_16_64 0
		.amdhsa_float_denorm_mode_32 3
		.amdhsa_float_denorm_mode_16_64 3
		.amdhsa_dx10_clamp 1
		.amdhsa_ieee_mode 1
		.amdhsa_fp16_overflow 0
		.amdhsa_tg_split 0
		.amdhsa_exception_fp_ieee_invalid_op 0
		.amdhsa_exception_fp_denorm_src 0
		.amdhsa_exception_fp_ieee_div_zero 0
		.amdhsa_exception_fp_ieee_overflow 0
		.amdhsa_exception_fp_ieee_underflow 0
		.amdhsa_exception_fp_ieee_inexact 0
		.amdhsa_exception_int_div_zero 0
	.end_amdhsa_kernel
	.section	.text._ZN7rocprim17ROCPRIM_400000_NS6detail17trampoline_kernelINS0_14default_configENS1_33run_length_encode_config_selectorIajNS0_4plusIjEEEEZZNS1_33reduce_by_key_impl_wrapped_configILNS1_25lookback_scan_determinismE0ES3_S7_PKaNS0_17constant_iteratorIjlEEPaPlSF_S6_NS0_8equal_toIaEEEE10hipError_tPvRmT2_T3_mT4_T5_T6_T7_T8_P12ihipStream_tbENKUlT_T0_E_clISt17integral_constantIbLb1EESY_IbLb0EEEEDaSU_SV_EUlSU_E_NS1_11comp_targetILNS1_3genE10ELNS1_11target_archE1201ELNS1_3gpuE5ELNS1_3repE0EEENS1_30default_config_static_selectorELNS0_4arch9wavefront6targetE1EEEvT1_,"axG",@progbits,_ZN7rocprim17ROCPRIM_400000_NS6detail17trampoline_kernelINS0_14default_configENS1_33run_length_encode_config_selectorIajNS0_4plusIjEEEEZZNS1_33reduce_by_key_impl_wrapped_configILNS1_25lookback_scan_determinismE0ES3_S7_PKaNS0_17constant_iteratorIjlEEPaPlSF_S6_NS0_8equal_toIaEEEE10hipError_tPvRmT2_T3_mT4_T5_T6_T7_T8_P12ihipStream_tbENKUlT_T0_E_clISt17integral_constantIbLb1EESY_IbLb0EEEEDaSU_SV_EUlSU_E_NS1_11comp_targetILNS1_3genE10ELNS1_11target_archE1201ELNS1_3gpuE5ELNS1_3repE0EEENS1_30default_config_static_selectorELNS0_4arch9wavefront6targetE1EEEvT1_,comdat
.Lfunc_end258:
	.size	_ZN7rocprim17ROCPRIM_400000_NS6detail17trampoline_kernelINS0_14default_configENS1_33run_length_encode_config_selectorIajNS0_4plusIjEEEEZZNS1_33reduce_by_key_impl_wrapped_configILNS1_25lookback_scan_determinismE0ES3_S7_PKaNS0_17constant_iteratorIjlEEPaPlSF_S6_NS0_8equal_toIaEEEE10hipError_tPvRmT2_T3_mT4_T5_T6_T7_T8_P12ihipStream_tbENKUlT_T0_E_clISt17integral_constantIbLb1EESY_IbLb0EEEEDaSU_SV_EUlSU_E_NS1_11comp_targetILNS1_3genE10ELNS1_11target_archE1201ELNS1_3gpuE5ELNS1_3repE0EEENS1_30default_config_static_selectorELNS0_4arch9wavefront6targetE1EEEvT1_, .Lfunc_end258-_ZN7rocprim17ROCPRIM_400000_NS6detail17trampoline_kernelINS0_14default_configENS1_33run_length_encode_config_selectorIajNS0_4plusIjEEEEZZNS1_33reduce_by_key_impl_wrapped_configILNS1_25lookback_scan_determinismE0ES3_S7_PKaNS0_17constant_iteratorIjlEEPaPlSF_S6_NS0_8equal_toIaEEEE10hipError_tPvRmT2_T3_mT4_T5_T6_T7_T8_P12ihipStream_tbENKUlT_T0_E_clISt17integral_constantIbLb1EESY_IbLb0EEEEDaSU_SV_EUlSU_E_NS1_11comp_targetILNS1_3genE10ELNS1_11target_archE1201ELNS1_3gpuE5ELNS1_3repE0EEENS1_30default_config_static_selectorELNS0_4arch9wavefront6targetE1EEEvT1_
                                        ; -- End function
	.section	.AMDGPU.csdata,"",@progbits
; Kernel info:
; codeLenInByte = 0
; NumSgprs: 6
; NumVgprs: 0
; NumAgprs: 0
; TotalNumVgprs: 0
; ScratchSize: 0
; MemoryBound: 0
; FloatMode: 240
; IeeeMode: 1
; LDSByteSize: 0 bytes/workgroup (compile time only)
; SGPRBlocks: 0
; VGPRBlocks: 0
; NumSGPRsForWavesPerEU: 6
; NumVGPRsForWavesPerEU: 1
; AccumOffset: 4
; Occupancy: 8
; WaveLimiterHint : 0
; COMPUTE_PGM_RSRC2:SCRATCH_EN: 0
; COMPUTE_PGM_RSRC2:USER_SGPR: 2
; COMPUTE_PGM_RSRC2:TRAP_HANDLER: 0
; COMPUTE_PGM_RSRC2:TGID_X_EN: 1
; COMPUTE_PGM_RSRC2:TGID_Y_EN: 0
; COMPUTE_PGM_RSRC2:TGID_Z_EN: 0
; COMPUTE_PGM_RSRC2:TIDIG_COMP_CNT: 0
; COMPUTE_PGM_RSRC3_GFX90A:ACCUM_OFFSET: 0
; COMPUTE_PGM_RSRC3_GFX90A:TG_SPLIT: 0
	.section	.text._ZN7rocprim17ROCPRIM_400000_NS6detail17trampoline_kernelINS0_14default_configENS1_33run_length_encode_config_selectorIajNS0_4plusIjEEEEZZNS1_33reduce_by_key_impl_wrapped_configILNS1_25lookback_scan_determinismE0ES3_S7_PKaNS0_17constant_iteratorIjlEEPaPlSF_S6_NS0_8equal_toIaEEEE10hipError_tPvRmT2_T3_mT4_T5_T6_T7_T8_P12ihipStream_tbENKUlT_T0_E_clISt17integral_constantIbLb1EESY_IbLb0EEEEDaSU_SV_EUlSU_E_NS1_11comp_targetILNS1_3genE10ELNS1_11target_archE1200ELNS1_3gpuE4ELNS1_3repE0EEENS1_30default_config_static_selectorELNS0_4arch9wavefront6targetE1EEEvT1_,"axG",@progbits,_ZN7rocprim17ROCPRIM_400000_NS6detail17trampoline_kernelINS0_14default_configENS1_33run_length_encode_config_selectorIajNS0_4plusIjEEEEZZNS1_33reduce_by_key_impl_wrapped_configILNS1_25lookback_scan_determinismE0ES3_S7_PKaNS0_17constant_iteratorIjlEEPaPlSF_S6_NS0_8equal_toIaEEEE10hipError_tPvRmT2_T3_mT4_T5_T6_T7_T8_P12ihipStream_tbENKUlT_T0_E_clISt17integral_constantIbLb1EESY_IbLb0EEEEDaSU_SV_EUlSU_E_NS1_11comp_targetILNS1_3genE10ELNS1_11target_archE1200ELNS1_3gpuE4ELNS1_3repE0EEENS1_30default_config_static_selectorELNS0_4arch9wavefront6targetE1EEEvT1_,comdat
	.protected	_ZN7rocprim17ROCPRIM_400000_NS6detail17trampoline_kernelINS0_14default_configENS1_33run_length_encode_config_selectorIajNS0_4plusIjEEEEZZNS1_33reduce_by_key_impl_wrapped_configILNS1_25lookback_scan_determinismE0ES3_S7_PKaNS0_17constant_iteratorIjlEEPaPlSF_S6_NS0_8equal_toIaEEEE10hipError_tPvRmT2_T3_mT4_T5_T6_T7_T8_P12ihipStream_tbENKUlT_T0_E_clISt17integral_constantIbLb1EESY_IbLb0EEEEDaSU_SV_EUlSU_E_NS1_11comp_targetILNS1_3genE10ELNS1_11target_archE1200ELNS1_3gpuE4ELNS1_3repE0EEENS1_30default_config_static_selectorELNS0_4arch9wavefront6targetE1EEEvT1_ ; -- Begin function _ZN7rocprim17ROCPRIM_400000_NS6detail17trampoline_kernelINS0_14default_configENS1_33run_length_encode_config_selectorIajNS0_4plusIjEEEEZZNS1_33reduce_by_key_impl_wrapped_configILNS1_25lookback_scan_determinismE0ES3_S7_PKaNS0_17constant_iteratorIjlEEPaPlSF_S6_NS0_8equal_toIaEEEE10hipError_tPvRmT2_T3_mT4_T5_T6_T7_T8_P12ihipStream_tbENKUlT_T0_E_clISt17integral_constantIbLb1EESY_IbLb0EEEEDaSU_SV_EUlSU_E_NS1_11comp_targetILNS1_3genE10ELNS1_11target_archE1200ELNS1_3gpuE4ELNS1_3repE0EEENS1_30default_config_static_selectorELNS0_4arch9wavefront6targetE1EEEvT1_
	.globl	_ZN7rocprim17ROCPRIM_400000_NS6detail17trampoline_kernelINS0_14default_configENS1_33run_length_encode_config_selectorIajNS0_4plusIjEEEEZZNS1_33reduce_by_key_impl_wrapped_configILNS1_25lookback_scan_determinismE0ES3_S7_PKaNS0_17constant_iteratorIjlEEPaPlSF_S6_NS0_8equal_toIaEEEE10hipError_tPvRmT2_T3_mT4_T5_T6_T7_T8_P12ihipStream_tbENKUlT_T0_E_clISt17integral_constantIbLb1EESY_IbLb0EEEEDaSU_SV_EUlSU_E_NS1_11comp_targetILNS1_3genE10ELNS1_11target_archE1200ELNS1_3gpuE4ELNS1_3repE0EEENS1_30default_config_static_selectorELNS0_4arch9wavefront6targetE1EEEvT1_
	.p2align	8
	.type	_ZN7rocprim17ROCPRIM_400000_NS6detail17trampoline_kernelINS0_14default_configENS1_33run_length_encode_config_selectorIajNS0_4plusIjEEEEZZNS1_33reduce_by_key_impl_wrapped_configILNS1_25lookback_scan_determinismE0ES3_S7_PKaNS0_17constant_iteratorIjlEEPaPlSF_S6_NS0_8equal_toIaEEEE10hipError_tPvRmT2_T3_mT4_T5_T6_T7_T8_P12ihipStream_tbENKUlT_T0_E_clISt17integral_constantIbLb1EESY_IbLb0EEEEDaSU_SV_EUlSU_E_NS1_11comp_targetILNS1_3genE10ELNS1_11target_archE1200ELNS1_3gpuE4ELNS1_3repE0EEENS1_30default_config_static_selectorELNS0_4arch9wavefront6targetE1EEEvT1_,@function
_ZN7rocprim17ROCPRIM_400000_NS6detail17trampoline_kernelINS0_14default_configENS1_33run_length_encode_config_selectorIajNS0_4plusIjEEEEZZNS1_33reduce_by_key_impl_wrapped_configILNS1_25lookback_scan_determinismE0ES3_S7_PKaNS0_17constant_iteratorIjlEEPaPlSF_S6_NS0_8equal_toIaEEEE10hipError_tPvRmT2_T3_mT4_T5_T6_T7_T8_P12ihipStream_tbENKUlT_T0_E_clISt17integral_constantIbLb1EESY_IbLb0EEEEDaSU_SV_EUlSU_E_NS1_11comp_targetILNS1_3genE10ELNS1_11target_archE1200ELNS1_3gpuE4ELNS1_3repE0EEENS1_30default_config_static_selectorELNS0_4arch9wavefront6targetE1EEEvT1_: ; @_ZN7rocprim17ROCPRIM_400000_NS6detail17trampoline_kernelINS0_14default_configENS1_33run_length_encode_config_selectorIajNS0_4plusIjEEEEZZNS1_33reduce_by_key_impl_wrapped_configILNS1_25lookback_scan_determinismE0ES3_S7_PKaNS0_17constant_iteratorIjlEEPaPlSF_S6_NS0_8equal_toIaEEEE10hipError_tPvRmT2_T3_mT4_T5_T6_T7_T8_P12ihipStream_tbENKUlT_T0_E_clISt17integral_constantIbLb1EESY_IbLb0EEEEDaSU_SV_EUlSU_E_NS1_11comp_targetILNS1_3genE10ELNS1_11target_archE1200ELNS1_3gpuE4ELNS1_3repE0EEENS1_30default_config_static_selectorELNS0_4arch9wavefront6targetE1EEEvT1_
; %bb.0:
	.section	.rodata,"a",@progbits
	.p2align	6, 0x0
	.amdhsa_kernel _ZN7rocprim17ROCPRIM_400000_NS6detail17trampoline_kernelINS0_14default_configENS1_33run_length_encode_config_selectorIajNS0_4plusIjEEEEZZNS1_33reduce_by_key_impl_wrapped_configILNS1_25lookback_scan_determinismE0ES3_S7_PKaNS0_17constant_iteratorIjlEEPaPlSF_S6_NS0_8equal_toIaEEEE10hipError_tPvRmT2_T3_mT4_T5_T6_T7_T8_P12ihipStream_tbENKUlT_T0_E_clISt17integral_constantIbLb1EESY_IbLb0EEEEDaSU_SV_EUlSU_E_NS1_11comp_targetILNS1_3genE10ELNS1_11target_archE1200ELNS1_3gpuE4ELNS1_3repE0EEENS1_30default_config_static_selectorELNS0_4arch9wavefront6targetE1EEEvT1_
		.amdhsa_group_segment_fixed_size 0
		.amdhsa_private_segment_fixed_size 0
		.amdhsa_kernarg_size 128
		.amdhsa_user_sgpr_count 2
		.amdhsa_user_sgpr_dispatch_ptr 0
		.amdhsa_user_sgpr_queue_ptr 0
		.amdhsa_user_sgpr_kernarg_segment_ptr 1
		.amdhsa_user_sgpr_dispatch_id 0
		.amdhsa_user_sgpr_kernarg_preload_length 0
		.amdhsa_user_sgpr_kernarg_preload_offset 0
		.amdhsa_user_sgpr_private_segment_size 0
		.amdhsa_uses_dynamic_stack 0
		.amdhsa_enable_private_segment 0
		.amdhsa_system_sgpr_workgroup_id_x 1
		.amdhsa_system_sgpr_workgroup_id_y 0
		.amdhsa_system_sgpr_workgroup_id_z 0
		.amdhsa_system_sgpr_workgroup_info 0
		.amdhsa_system_vgpr_workitem_id 0
		.amdhsa_next_free_vgpr 1
		.amdhsa_next_free_sgpr 0
		.amdhsa_accum_offset 4
		.amdhsa_reserve_vcc 0
		.amdhsa_float_round_mode_32 0
		.amdhsa_float_round_mode_16_64 0
		.amdhsa_float_denorm_mode_32 3
		.amdhsa_float_denorm_mode_16_64 3
		.amdhsa_dx10_clamp 1
		.amdhsa_ieee_mode 1
		.amdhsa_fp16_overflow 0
		.amdhsa_tg_split 0
		.amdhsa_exception_fp_ieee_invalid_op 0
		.amdhsa_exception_fp_denorm_src 0
		.amdhsa_exception_fp_ieee_div_zero 0
		.amdhsa_exception_fp_ieee_overflow 0
		.amdhsa_exception_fp_ieee_underflow 0
		.amdhsa_exception_fp_ieee_inexact 0
		.amdhsa_exception_int_div_zero 0
	.end_amdhsa_kernel
	.section	.text._ZN7rocprim17ROCPRIM_400000_NS6detail17trampoline_kernelINS0_14default_configENS1_33run_length_encode_config_selectorIajNS0_4plusIjEEEEZZNS1_33reduce_by_key_impl_wrapped_configILNS1_25lookback_scan_determinismE0ES3_S7_PKaNS0_17constant_iteratorIjlEEPaPlSF_S6_NS0_8equal_toIaEEEE10hipError_tPvRmT2_T3_mT4_T5_T6_T7_T8_P12ihipStream_tbENKUlT_T0_E_clISt17integral_constantIbLb1EESY_IbLb0EEEEDaSU_SV_EUlSU_E_NS1_11comp_targetILNS1_3genE10ELNS1_11target_archE1200ELNS1_3gpuE4ELNS1_3repE0EEENS1_30default_config_static_selectorELNS0_4arch9wavefront6targetE1EEEvT1_,"axG",@progbits,_ZN7rocprim17ROCPRIM_400000_NS6detail17trampoline_kernelINS0_14default_configENS1_33run_length_encode_config_selectorIajNS0_4plusIjEEEEZZNS1_33reduce_by_key_impl_wrapped_configILNS1_25lookback_scan_determinismE0ES3_S7_PKaNS0_17constant_iteratorIjlEEPaPlSF_S6_NS0_8equal_toIaEEEE10hipError_tPvRmT2_T3_mT4_T5_T6_T7_T8_P12ihipStream_tbENKUlT_T0_E_clISt17integral_constantIbLb1EESY_IbLb0EEEEDaSU_SV_EUlSU_E_NS1_11comp_targetILNS1_3genE10ELNS1_11target_archE1200ELNS1_3gpuE4ELNS1_3repE0EEENS1_30default_config_static_selectorELNS0_4arch9wavefront6targetE1EEEvT1_,comdat
.Lfunc_end259:
	.size	_ZN7rocprim17ROCPRIM_400000_NS6detail17trampoline_kernelINS0_14default_configENS1_33run_length_encode_config_selectorIajNS0_4plusIjEEEEZZNS1_33reduce_by_key_impl_wrapped_configILNS1_25lookback_scan_determinismE0ES3_S7_PKaNS0_17constant_iteratorIjlEEPaPlSF_S6_NS0_8equal_toIaEEEE10hipError_tPvRmT2_T3_mT4_T5_T6_T7_T8_P12ihipStream_tbENKUlT_T0_E_clISt17integral_constantIbLb1EESY_IbLb0EEEEDaSU_SV_EUlSU_E_NS1_11comp_targetILNS1_3genE10ELNS1_11target_archE1200ELNS1_3gpuE4ELNS1_3repE0EEENS1_30default_config_static_selectorELNS0_4arch9wavefront6targetE1EEEvT1_, .Lfunc_end259-_ZN7rocprim17ROCPRIM_400000_NS6detail17trampoline_kernelINS0_14default_configENS1_33run_length_encode_config_selectorIajNS0_4plusIjEEEEZZNS1_33reduce_by_key_impl_wrapped_configILNS1_25lookback_scan_determinismE0ES3_S7_PKaNS0_17constant_iteratorIjlEEPaPlSF_S6_NS0_8equal_toIaEEEE10hipError_tPvRmT2_T3_mT4_T5_T6_T7_T8_P12ihipStream_tbENKUlT_T0_E_clISt17integral_constantIbLb1EESY_IbLb0EEEEDaSU_SV_EUlSU_E_NS1_11comp_targetILNS1_3genE10ELNS1_11target_archE1200ELNS1_3gpuE4ELNS1_3repE0EEENS1_30default_config_static_selectorELNS0_4arch9wavefront6targetE1EEEvT1_
                                        ; -- End function
	.section	.AMDGPU.csdata,"",@progbits
; Kernel info:
; codeLenInByte = 0
; NumSgprs: 6
; NumVgprs: 0
; NumAgprs: 0
; TotalNumVgprs: 0
; ScratchSize: 0
; MemoryBound: 0
; FloatMode: 240
; IeeeMode: 1
; LDSByteSize: 0 bytes/workgroup (compile time only)
; SGPRBlocks: 0
; VGPRBlocks: 0
; NumSGPRsForWavesPerEU: 6
; NumVGPRsForWavesPerEU: 1
; AccumOffset: 4
; Occupancy: 8
; WaveLimiterHint : 0
; COMPUTE_PGM_RSRC2:SCRATCH_EN: 0
; COMPUTE_PGM_RSRC2:USER_SGPR: 2
; COMPUTE_PGM_RSRC2:TRAP_HANDLER: 0
; COMPUTE_PGM_RSRC2:TGID_X_EN: 1
; COMPUTE_PGM_RSRC2:TGID_Y_EN: 0
; COMPUTE_PGM_RSRC2:TGID_Z_EN: 0
; COMPUTE_PGM_RSRC2:TIDIG_COMP_CNT: 0
; COMPUTE_PGM_RSRC3_GFX90A:ACCUM_OFFSET: 0
; COMPUTE_PGM_RSRC3_GFX90A:TG_SPLIT: 0
	.section	.text._ZN7rocprim17ROCPRIM_400000_NS6detail17trampoline_kernelINS0_14default_configENS1_33run_length_encode_config_selectorIajNS0_4plusIjEEEEZZNS1_33reduce_by_key_impl_wrapped_configILNS1_25lookback_scan_determinismE0ES3_S7_PKaNS0_17constant_iteratorIjlEEPaPlSF_S6_NS0_8equal_toIaEEEE10hipError_tPvRmT2_T3_mT4_T5_T6_T7_T8_P12ihipStream_tbENKUlT_T0_E_clISt17integral_constantIbLb1EESY_IbLb0EEEEDaSU_SV_EUlSU_E_NS1_11comp_targetILNS1_3genE9ELNS1_11target_archE1100ELNS1_3gpuE3ELNS1_3repE0EEENS1_30default_config_static_selectorELNS0_4arch9wavefront6targetE1EEEvT1_,"axG",@progbits,_ZN7rocprim17ROCPRIM_400000_NS6detail17trampoline_kernelINS0_14default_configENS1_33run_length_encode_config_selectorIajNS0_4plusIjEEEEZZNS1_33reduce_by_key_impl_wrapped_configILNS1_25lookback_scan_determinismE0ES3_S7_PKaNS0_17constant_iteratorIjlEEPaPlSF_S6_NS0_8equal_toIaEEEE10hipError_tPvRmT2_T3_mT4_T5_T6_T7_T8_P12ihipStream_tbENKUlT_T0_E_clISt17integral_constantIbLb1EESY_IbLb0EEEEDaSU_SV_EUlSU_E_NS1_11comp_targetILNS1_3genE9ELNS1_11target_archE1100ELNS1_3gpuE3ELNS1_3repE0EEENS1_30default_config_static_selectorELNS0_4arch9wavefront6targetE1EEEvT1_,comdat
	.protected	_ZN7rocprim17ROCPRIM_400000_NS6detail17trampoline_kernelINS0_14default_configENS1_33run_length_encode_config_selectorIajNS0_4plusIjEEEEZZNS1_33reduce_by_key_impl_wrapped_configILNS1_25lookback_scan_determinismE0ES3_S7_PKaNS0_17constant_iteratorIjlEEPaPlSF_S6_NS0_8equal_toIaEEEE10hipError_tPvRmT2_T3_mT4_T5_T6_T7_T8_P12ihipStream_tbENKUlT_T0_E_clISt17integral_constantIbLb1EESY_IbLb0EEEEDaSU_SV_EUlSU_E_NS1_11comp_targetILNS1_3genE9ELNS1_11target_archE1100ELNS1_3gpuE3ELNS1_3repE0EEENS1_30default_config_static_selectorELNS0_4arch9wavefront6targetE1EEEvT1_ ; -- Begin function _ZN7rocprim17ROCPRIM_400000_NS6detail17trampoline_kernelINS0_14default_configENS1_33run_length_encode_config_selectorIajNS0_4plusIjEEEEZZNS1_33reduce_by_key_impl_wrapped_configILNS1_25lookback_scan_determinismE0ES3_S7_PKaNS0_17constant_iteratorIjlEEPaPlSF_S6_NS0_8equal_toIaEEEE10hipError_tPvRmT2_T3_mT4_T5_T6_T7_T8_P12ihipStream_tbENKUlT_T0_E_clISt17integral_constantIbLb1EESY_IbLb0EEEEDaSU_SV_EUlSU_E_NS1_11comp_targetILNS1_3genE9ELNS1_11target_archE1100ELNS1_3gpuE3ELNS1_3repE0EEENS1_30default_config_static_selectorELNS0_4arch9wavefront6targetE1EEEvT1_
	.globl	_ZN7rocprim17ROCPRIM_400000_NS6detail17trampoline_kernelINS0_14default_configENS1_33run_length_encode_config_selectorIajNS0_4plusIjEEEEZZNS1_33reduce_by_key_impl_wrapped_configILNS1_25lookback_scan_determinismE0ES3_S7_PKaNS0_17constant_iteratorIjlEEPaPlSF_S6_NS0_8equal_toIaEEEE10hipError_tPvRmT2_T3_mT4_T5_T6_T7_T8_P12ihipStream_tbENKUlT_T0_E_clISt17integral_constantIbLb1EESY_IbLb0EEEEDaSU_SV_EUlSU_E_NS1_11comp_targetILNS1_3genE9ELNS1_11target_archE1100ELNS1_3gpuE3ELNS1_3repE0EEENS1_30default_config_static_selectorELNS0_4arch9wavefront6targetE1EEEvT1_
	.p2align	8
	.type	_ZN7rocprim17ROCPRIM_400000_NS6detail17trampoline_kernelINS0_14default_configENS1_33run_length_encode_config_selectorIajNS0_4plusIjEEEEZZNS1_33reduce_by_key_impl_wrapped_configILNS1_25lookback_scan_determinismE0ES3_S7_PKaNS0_17constant_iteratorIjlEEPaPlSF_S6_NS0_8equal_toIaEEEE10hipError_tPvRmT2_T3_mT4_T5_T6_T7_T8_P12ihipStream_tbENKUlT_T0_E_clISt17integral_constantIbLb1EESY_IbLb0EEEEDaSU_SV_EUlSU_E_NS1_11comp_targetILNS1_3genE9ELNS1_11target_archE1100ELNS1_3gpuE3ELNS1_3repE0EEENS1_30default_config_static_selectorELNS0_4arch9wavefront6targetE1EEEvT1_,@function
_ZN7rocprim17ROCPRIM_400000_NS6detail17trampoline_kernelINS0_14default_configENS1_33run_length_encode_config_selectorIajNS0_4plusIjEEEEZZNS1_33reduce_by_key_impl_wrapped_configILNS1_25lookback_scan_determinismE0ES3_S7_PKaNS0_17constant_iteratorIjlEEPaPlSF_S6_NS0_8equal_toIaEEEE10hipError_tPvRmT2_T3_mT4_T5_T6_T7_T8_P12ihipStream_tbENKUlT_T0_E_clISt17integral_constantIbLb1EESY_IbLb0EEEEDaSU_SV_EUlSU_E_NS1_11comp_targetILNS1_3genE9ELNS1_11target_archE1100ELNS1_3gpuE3ELNS1_3repE0EEENS1_30default_config_static_selectorELNS0_4arch9wavefront6targetE1EEEvT1_: ; @_ZN7rocprim17ROCPRIM_400000_NS6detail17trampoline_kernelINS0_14default_configENS1_33run_length_encode_config_selectorIajNS0_4plusIjEEEEZZNS1_33reduce_by_key_impl_wrapped_configILNS1_25lookback_scan_determinismE0ES3_S7_PKaNS0_17constant_iteratorIjlEEPaPlSF_S6_NS0_8equal_toIaEEEE10hipError_tPvRmT2_T3_mT4_T5_T6_T7_T8_P12ihipStream_tbENKUlT_T0_E_clISt17integral_constantIbLb1EESY_IbLb0EEEEDaSU_SV_EUlSU_E_NS1_11comp_targetILNS1_3genE9ELNS1_11target_archE1100ELNS1_3gpuE3ELNS1_3repE0EEENS1_30default_config_static_selectorELNS0_4arch9wavefront6targetE1EEEvT1_
; %bb.0:
	.section	.rodata,"a",@progbits
	.p2align	6, 0x0
	.amdhsa_kernel _ZN7rocprim17ROCPRIM_400000_NS6detail17trampoline_kernelINS0_14default_configENS1_33run_length_encode_config_selectorIajNS0_4plusIjEEEEZZNS1_33reduce_by_key_impl_wrapped_configILNS1_25lookback_scan_determinismE0ES3_S7_PKaNS0_17constant_iteratorIjlEEPaPlSF_S6_NS0_8equal_toIaEEEE10hipError_tPvRmT2_T3_mT4_T5_T6_T7_T8_P12ihipStream_tbENKUlT_T0_E_clISt17integral_constantIbLb1EESY_IbLb0EEEEDaSU_SV_EUlSU_E_NS1_11comp_targetILNS1_3genE9ELNS1_11target_archE1100ELNS1_3gpuE3ELNS1_3repE0EEENS1_30default_config_static_selectorELNS0_4arch9wavefront6targetE1EEEvT1_
		.amdhsa_group_segment_fixed_size 0
		.amdhsa_private_segment_fixed_size 0
		.amdhsa_kernarg_size 128
		.amdhsa_user_sgpr_count 2
		.amdhsa_user_sgpr_dispatch_ptr 0
		.amdhsa_user_sgpr_queue_ptr 0
		.amdhsa_user_sgpr_kernarg_segment_ptr 1
		.amdhsa_user_sgpr_dispatch_id 0
		.amdhsa_user_sgpr_kernarg_preload_length 0
		.amdhsa_user_sgpr_kernarg_preload_offset 0
		.amdhsa_user_sgpr_private_segment_size 0
		.amdhsa_uses_dynamic_stack 0
		.amdhsa_enable_private_segment 0
		.amdhsa_system_sgpr_workgroup_id_x 1
		.amdhsa_system_sgpr_workgroup_id_y 0
		.amdhsa_system_sgpr_workgroup_id_z 0
		.amdhsa_system_sgpr_workgroup_info 0
		.amdhsa_system_vgpr_workitem_id 0
		.amdhsa_next_free_vgpr 1
		.amdhsa_next_free_sgpr 0
		.amdhsa_accum_offset 4
		.amdhsa_reserve_vcc 0
		.amdhsa_float_round_mode_32 0
		.amdhsa_float_round_mode_16_64 0
		.amdhsa_float_denorm_mode_32 3
		.amdhsa_float_denorm_mode_16_64 3
		.amdhsa_dx10_clamp 1
		.amdhsa_ieee_mode 1
		.amdhsa_fp16_overflow 0
		.amdhsa_tg_split 0
		.amdhsa_exception_fp_ieee_invalid_op 0
		.amdhsa_exception_fp_denorm_src 0
		.amdhsa_exception_fp_ieee_div_zero 0
		.amdhsa_exception_fp_ieee_overflow 0
		.amdhsa_exception_fp_ieee_underflow 0
		.amdhsa_exception_fp_ieee_inexact 0
		.amdhsa_exception_int_div_zero 0
	.end_amdhsa_kernel
	.section	.text._ZN7rocprim17ROCPRIM_400000_NS6detail17trampoline_kernelINS0_14default_configENS1_33run_length_encode_config_selectorIajNS0_4plusIjEEEEZZNS1_33reduce_by_key_impl_wrapped_configILNS1_25lookback_scan_determinismE0ES3_S7_PKaNS0_17constant_iteratorIjlEEPaPlSF_S6_NS0_8equal_toIaEEEE10hipError_tPvRmT2_T3_mT4_T5_T6_T7_T8_P12ihipStream_tbENKUlT_T0_E_clISt17integral_constantIbLb1EESY_IbLb0EEEEDaSU_SV_EUlSU_E_NS1_11comp_targetILNS1_3genE9ELNS1_11target_archE1100ELNS1_3gpuE3ELNS1_3repE0EEENS1_30default_config_static_selectorELNS0_4arch9wavefront6targetE1EEEvT1_,"axG",@progbits,_ZN7rocprim17ROCPRIM_400000_NS6detail17trampoline_kernelINS0_14default_configENS1_33run_length_encode_config_selectorIajNS0_4plusIjEEEEZZNS1_33reduce_by_key_impl_wrapped_configILNS1_25lookback_scan_determinismE0ES3_S7_PKaNS0_17constant_iteratorIjlEEPaPlSF_S6_NS0_8equal_toIaEEEE10hipError_tPvRmT2_T3_mT4_T5_T6_T7_T8_P12ihipStream_tbENKUlT_T0_E_clISt17integral_constantIbLb1EESY_IbLb0EEEEDaSU_SV_EUlSU_E_NS1_11comp_targetILNS1_3genE9ELNS1_11target_archE1100ELNS1_3gpuE3ELNS1_3repE0EEENS1_30default_config_static_selectorELNS0_4arch9wavefront6targetE1EEEvT1_,comdat
.Lfunc_end260:
	.size	_ZN7rocprim17ROCPRIM_400000_NS6detail17trampoline_kernelINS0_14default_configENS1_33run_length_encode_config_selectorIajNS0_4plusIjEEEEZZNS1_33reduce_by_key_impl_wrapped_configILNS1_25lookback_scan_determinismE0ES3_S7_PKaNS0_17constant_iteratorIjlEEPaPlSF_S6_NS0_8equal_toIaEEEE10hipError_tPvRmT2_T3_mT4_T5_T6_T7_T8_P12ihipStream_tbENKUlT_T0_E_clISt17integral_constantIbLb1EESY_IbLb0EEEEDaSU_SV_EUlSU_E_NS1_11comp_targetILNS1_3genE9ELNS1_11target_archE1100ELNS1_3gpuE3ELNS1_3repE0EEENS1_30default_config_static_selectorELNS0_4arch9wavefront6targetE1EEEvT1_, .Lfunc_end260-_ZN7rocprim17ROCPRIM_400000_NS6detail17trampoline_kernelINS0_14default_configENS1_33run_length_encode_config_selectorIajNS0_4plusIjEEEEZZNS1_33reduce_by_key_impl_wrapped_configILNS1_25lookback_scan_determinismE0ES3_S7_PKaNS0_17constant_iteratorIjlEEPaPlSF_S6_NS0_8equal_toIaEEEE10hipError_tPvRmT2_T3_mT4_T5_T6_T7_T8_P12ihipStream_tbENKUlT_T0_E_clISt17integral_constantIbLb1EESY_IbLb0EEEEDaSU_SV_EUlSU_E_NS1_11comp_targetILNS1_3genE9ELNS1_11target_archE1100ELNS1_3gpuE3ELNS1_3repE0EEENS1_30default_config_static_selectorELNS0_4arch9wavefront6targetE1EEEvT1_
                                        ; -- End function
	.section	.AMDGPU.csdata,"",@progbits
; Kernel info:
; codeLenInByte = 0
; NumSgprs: 6
; NumVgprs: 0
; NumAgprs: 0
; TotalNumVgprs: 0
; ScratchSize: 0
; MemoryBound: 0
; FloatMode: 240
; IeeeMode: 1
; LDSByteSize: 0 bytes/workgroup (compile time only)
; SGPRBlocks: 0
; VGPRBlocks: 0
; NumSGPRsForWavesPerEU: 6
; NumVGPRsForWavesPerEU: 1
; AccumOffset: 4
; Occupancy: 8
; WaveLimiterHint : 0
; COMPUTE_PGM_RSRC2:SCRATCH_EN: 0
; COMPUTE_PGM_RSRC2:USER_SGPR: 2
; COMPUTE_PGM_RSRC2:TRAP_HANDLER: 0
; COMPUTE_PGM_RSRC2:TGID_X_EN: 1
; COMPUTE_PGM_RSRC2:TGID_Y_EN: 0
; COMPUTE_PGM_RSRC2:TGID_Z_EN: 0
; COMPUTE_PGM_RSRC2:TIDIG_COMP_CNT: 0
; COMPUTE_PGM_RSRC3_GFX90A:ACCUM_OFFSET: 0
; COMPUTE_PGM_RSRC3_GFX90A:TG_SPLIT: 0
	.section	.text._ZN7rocprim17ROCPRIM_400000_NS6detail17trampoline_kernelINS0_14default_configENS1_33run_length_encode_config_selectorIajNS0_4plusIjEEEEZZNS1_33reduce_by_key_impl_wrapped_configILNS1_25lookback_scan_determinismE0ES3_S7_PKaNS0_17constant_iteratorIjlEEPaPlSF_S6_NS0_8equal_toIaEEEE10hipError_tPvRmT2_T3_mT4_T5_T6_T7_T8_P12ihipStream_tbENKUlT_T0_E_clISt17integral_constantIbLb1EESY_IbLb0EEEEDaSU_SV_EUlSU_E_NS1_11comp_targetILNS1_3genE8ELNS1_11target_archE1030ELNS1_3gpuE2ELNS1_3repE0EEENS1_30default_config_static_selectorELNS0_4arch9wavefront6targetE1EEEvT1_,"axG",@progbits,_ZN7rocprim17ROCPRIM_400000_NS6detail17trampoline_kernelINS0_14default_configENS1_33run_length_encode_config_selectorIajNS0_4plusIjEEEEZZNS1_33reduce_by_key_impl_wrapped_configILNS1_25lookback_scan_determinismE0ES3_S7_PKaNS0_17constant_iteratorIjlEEPaPlSF_S6_NS0_8equal_toIaEEEE10hipError_tPvRmT2_T3_mT4_T5_T6_T7_T8_P12ihipStream_tbENKUlT_T0_E_clISt17integral_constantIbLb1EESY_IbLb0EEEEDaSU_SV_EUlSU_E_NS1_11comp_targetILNS1_3genE8ELNS1_11target_archE1030ELNS1_3gpuE2ELNS1_3repE0EEENS1_30default_config_static_selectorELNS0_4arch9wavefront6targetE1EEEvT1_,comdat
	.protected	_ZN7rocprim17ROCPRIM_400000_NS6detail17trampoline_kernelINS0_14default_configENS1_33run_length_encode_config_selectorIajNS0_4plusIjEEEEZZNS1_33reduce_by_key_impl_wrapped_configILNS1_25lookback_scan_determinismE0ES3_S7_PKaNS0_17constant_iteratorIjlEEPaPlSF_S6_NS0_8equal_toIaEEEE10hipError_tPvRmT2_T3_mT4_T5_T6_T7_T8_P12ihipStream_tbENKUlT_T0_E_clISt17integral_constantIbLb1EESY_IbLb0EEEEDaSU_SV_EUlSU_E_NS1_11comp_targetILNS1_3genE8ELNS1_11target_archE1030ELNS1_3gpuE2ELNS1_3repE0EEENS1_30default_config_static_selectorELNS0_4arch9wavefront6targetE1EEEvT1_ ; -- Begin function _ZN7rocprim17ROCPRIM_400000_NS6detail17trampoline_kernelINS0_14default_configENS1_33run_length_encode_config_selectorIajNS0_4plusIjEEEEZZNS1_33reduce_by_key_impl_wrapped_configILNS1_25lookback_scan_determinismE0ES3_S7_PKaNS0_17constant_iteratorIjlEEPaPlSF_S6_NS0_8equal_toIaEEEE10hipError_tPvRmT2_T3_mT4_T5_T6_T7_T8_P12ihipStream_tbENKUlT_T0_E_clISt17integral_constantIbLb1EESY_IbLb0EEEEDaSU_SV_EUlSU_E_NS1_11comp_targetILNS1_3genE8ELNS1_11target_archE1030ELNS1_3gpuE2ELNS1_3repE0EEENS1_30default_config_static_selectorELNS0_4arch9wavefront6targetE1EEEvT1_
	.globl	_ZN7rocprim17ROCPRIM_400000_NS6detail17trampoline_kernelINS0_14default_configENS1_33run_length_encode_config_selectorIajNS0_4plusIjEEEEZZNS1_33reduce_by_key_impl_wrapped_configILNS1_25lookback_scan_determinismE0ES3_S7_PKaNS0_17constant_iteratorIjlEEPaPlSF_S6_NS0_8equal_toIaEEEE10hipError_tPvRmT2_T3_mT4_T5_T6_T7_T8_P12ihipStream_tbENKUlT_T0_E_clISt17integral_constantIbLb1EESY_IbLb0EEEEDaSU_SV_EUlSU_E_NS1_11comp_targetILNS1_3genE8ELNS1_11target_archE1030ELNS1_3gpuE2ELNS1_3repE0EEENS1_30default_config_static_selectorELNS0_4arch9wavefront6targetE1EEEvT1_
	.p2align	8
	.type	_ZN7rocprim17ROCPRIM_400000_NS6detail17trampoline_kernelINS0_14default_configENS1_33run_length_encode_config_selectorIajNS0_4plusIjEEEEZZNS1_33reduce_by_key_impl_wrapped_configILNS1_25lookback_scan_determinismE0ES3_S7_PKaNS0_17constant_iteratorIjlEEPaPlSF_S6_NS0_8equal_toIaEEEE10hipError_tPvRmT2_T3_mT4_T5_T6_T7_T8_P12ihipStream_tbENKUlT_T0_E_clISt17integral_constantIbLb1EESY_IbLb0EEEEDaSU_SV_EUlSU_E_NS1_11comp_targetILNS1_3genE8ELNS1_11target_archE1030ELNS1_3gpuE2ELNS1_3repE0EEENS1_30default_config_static_selectorELNS0_4arch9wavefront6targetE1EEEvT1_,@function
_ZN7rocprim17ROCPRIM_400000_NS6detail17trampoline_kernelINS0_14default_configENS1_33run_length_encode_config_selectorIajNS0_4plusIjEEEEZZNS1_33reduce_by_key_impl_wrapped_configILNS1_25lookback_scan_determinismE0ES3_S7_PKaNS0_17constant_iteratorIjlEEPaPlSF_S6_NS0_8equal_toIaEEEE10hipError_tPvRmT2_T3_mT4_T5_T6_T7_T8_P12ihipStream_tbENKUlT_T0_E_clISt17integral_constantIbLb1EESY_IbLb0EEEEDaSU_SV_EUlSU_E_NS1_11comp_targetILNS1_3genE8ELNS1_11target_archE1030ELNS1_3gpuE2ELNS1_3repE0EEENS1_30default_config_static_selectorELNS0_4arch9wavefront6targetE1EEEvT1_: ; @_ZN7rocprim17ROCPRIM_400000_NS6detail17trampoline_kernelINS0_14default_configENS1_33run_length_encode_config_selectorIajNS0_4plusIjEEEEZZNS1_33reduce_by_key_impl_wrapped_configILNS1_25lookback_scan_determinismE0ES3_S7_PKaNS0_17constant_iteratorIjlEEPaPlSF_S6_NS0_8equal_toIaEEEE10hipError_tPvRmT2_T3_mT4_T5_T6_T7_T8_P12ihipStream_tbENKUlT_T0_E_clISt17integral_constantIbLb1EESY_IbLb0EEEEDaSU_SV_EUlSU_E_NS1_11comp_targetILNS1_3genE8ELNS1_11target_archE1030ELNS1_3gpuE2ELNS1_3repE0EEENS1_30default_config_static_selectorELNS0_4arch9wavefront6targetE1EEEvT1_
; %bb.0:
	.section	.rodata,"a",@progbits
	.p2align	6, 0x0
	.amdhsa_kernel _ZN7rocprim17ROCPRIM_400000_NS6detail17trampoline_kernelINS0_14default_configENS1_33run_length_encode_config_selectorIajNS0_4plusIjEEEEZZNS1_33reduce_by_key_impl_wrapped_configILNS1_25lookback_scan_determinismE0ES3_S7_PKaNS0_17constant_iteratorIjlEEPaPlSF_S6_NS0_8equal_toIaEEEE10hipError_tPvRmT2_T3_mT4_T5_T6_T7_T8_P12ihipStream_tbENKUlT_T0_E_clISt17integral_constantIbLb1EESY_IbLb0EEEEDaSU_SV_EUlSU_E_NS1_11comp_targetILNS1_3genE8ELNS1_11target_archE1030ELNS1_3gpuE2ELNS1_3repE0EEENS1_30default_config_static_selectorELNS0_4arch9wavefront6targetE1EEEvT1_
		.amdhsa_group_segment_fixed_size 0
		.amdhsa_private_segment_fixed_size 0
		.amdhsa_kernarg_size 128
		.amdhsa_user_sgpr_count 2
		.amdhsa_user_sgpr_dispatch_ptr 0
		.amdhsa_user_sgpr_queue_ptr 0
		.amdhsa_user_sgpr_kernarg_segment_ptr 1
		.amdhsa_user_sgpr_dispatch_id 0
		.amdhsa_user_sgpr_kernarg_preload_length 0
		.amdhsa_user_sgpr_kernarg_preload_offset 0
		.amdhsa_user_sgpr_private_segment_size 0
		.amdhsa_uses_dynamic_stack 0
		.amdhsa_enable_private_segment 0
		.amdhsa_system_sgpr_workgroup_id_x 1
		.amdhsa_system_sgpr_workgroup_id_y 0
		.amdhsa_system_sgpr_workgroup_id_z 0
		.amdhsa_system_sgpr_workgroup_info 0
		.amdhsa_system_vgpr_workitem_id 0
		.amdhsa_next_free_vgpr 1
		.amdhsa_next_free_sgpr 0
		.amdhsa_accum_offset 4
		.amdhsa_reserve_vcc 0
		.amdhsa_float_round_mode_32 0
		.amdhsa_float_round_mode_16_64 0
		.amdhsa_float_denorm_mode_32 3
		.amdhsa_float_denorm_mode_16_64 3
		.amdhsa_dx10_clamp 1
		.amdhsa_ieee_mode 1
		.amdhsa_fp16_overflow 0
		.amdhsa_tg_split 0
		.amdhsa_exception_fp_ieee_invalid_op 0
		.amdhsa_exception_fp_denorm_src 0
		.amdhsa_exception_fp_ieee_div_zero 0
		.amdhsa_exception_fp_ieee_overflow 0
		.amdhsa_exception_fp_ieee_underflow 0
		.amdhsa_exception_fp_ieee_inexact 0
		.amdhsa_exception_int_div_zero 0
	.end_amdhsa_kernel
	.section	.text._ZN7rocprim17ROCPRIM_400000_NS6detail17trampoline_kernelINS0_14default_configENS1_33run_length_encode_config_selectorIajNS0_4plusIjEEEEZZNS1_33reduce_by_key_impl_wrapped_configILNS1_25lookback_scan_determinismE0ES3_S7_PKaNS0_17constant_iteratorIjlEEPaPlSF_S6_NS0_8equal_toIaEEEE10hipError_tPvRmT2_T3_mT4_T5_T6_T7_T8_P12ihipStream_tbENKUlT_T0_E_clISt17integral_constantIbLb1EESY_IbLb0EEEEDaSU_SV_EUlSU_E_NS1_11comp_targetILNS1_3genE8ELNS1_11target_archE1030ELNS1_3gpuE2ELNS1_3repE0EEENS1_30default_config_static_selectorELNS0_4arch9wavefront6targetE1EEEvT1_,"axG",@progbits,_ZN7rocprim17ROCPRIM_400000_NS6detail17trampoline_kernelINS0_14default_configENS1_33run_length_encode_config_selectorIajNS0_4plusIjEEEEZZNS1_33reduce_by_key_impl_wrapped_configILNS1_25lookback_scan_determinismE0ES3_S7_PKaNS0_17constant_iteratorIjlEEPaPlSF_S6_NS0_8equal_toIaEEEE10hipError_tPvRmT2_T3_mT4_T5_T6_T7_T8_P12ihipStream_tbENKUlT_T0_E_clISt17integral_constantIbLb1EESY_IbLb0EEEEDaSU_SV_EUlSU_E_NS1_11comp_targetILNS1_3genE8ELNS1_11target_archE1030ELNS1_3gpuE2ELNS1_3repE0EEENS1_30default_config_static_selectorELNS0_4arch9wavefront6targetE1EEEvT1_,comdat
.Lfunc_end261:
	.size	_ZN7rocprim17ROCPRIM_400000_NS6detail17trampoline_kernelINS0_14default_configENS1_33run_length_encode_config_selectorIajNS0_4plusIjEEEEZZNS1_33reduce_by_key_impl_wrapped_configILNS1_25lookback_scan_determinismE0ES3_S7_PKaNS0_17constant_iteratorIjlEEPaPlSF_S6_NS0_8equal_toIaEEEE10hipError_tPvRmT2_T3_mT4_T5_T6_T7_T8_P12ihipStream_tbENKUlT_T0_E_clISt17integral_constantIbLb1EESY_IbLb0EEEEDaSU_SV_EUlSU_E_NS1_11comp_targetILNS1_3genE8ELNS1_11target_archE1030ELNS1_3gpuE2ELNS1_3repE0EEENS1_30default_config_static_selectorELNS0_4arch9wavefront6targetE1EEEvT1_, .Lfunc_end261-_ZN7rocprim17ROCPRIM_400000_NS6detail17trampoline_kernelINS0_14default_configENS1_33run_length_encode_config_selectorIajNS0_4plusIjEEEEZZNS1_33reduce_by_key_impl_wrapped_configILNS1_25lookback_scan_determinismE0ES3_S7_PKaNS0_17constant_iteratorIjlEEPaPlSF_S6_NS0_8equal_toIaEEEE10hipError_tPvRmT2_T3_mT4_T5_T6_T7_T8_P12ihipStream_tbENKUlT_T0_E_clISt17integral_constantIbLb1EESY_IbLb0EEEEDaSU_SV_EUlSU_E_NS1_11comp_targetILNS1_3genE8ELNS1_11target_archE1030ELNS1_3gpuE2ELNS1_3repE0EEENS1_30default_config_static_selectorELNS0_4arch9wavefront6targetE1EEEvT1_
                                        ; -- End function
	.section	.AMDGPU.csdata,"",@progbits
; Kernel info:
; codeLenInByte = 0
; NumSgprs: 6
; NumVgprs: 0
; NumAgprs: 0
; TotalNumVgprs: 0
; ScratchSize: 0
; MemoryBound: 0
; FloatMode: 240
; IeeeMode: 1
; LDSByteSize: 0 bytes/workgroup (compile time only)
; SGPRBlocks: 0
; VGPRBlocks: 0
; NumSGPRsForWavesPerEU: 6
; NumVGPRsForWavesPerEU: 1
; AccumOffset: 4
; Occupancy: 8
; WaveLimiterHint : 0
; COMPUTE_PGM_RSRC2:SCRATCH_EN: 0
; COMPUTE_PGM_RSRC2:USER_SGPR: 2
; COMPUTE_PGM_RSRC2:TRAP_HANDLER: 0
; COMPUTE_PGM_RSRC2:TGID_X_EN: 1
; COMPUTE_PGM_RSRC2:TGID_Y_EN: 0
; COMPUTE_PGM_RSRC2:TGID_Z_EN: 0
; COMPUTE_PGM_RSRC2:TIDIG_COMP_CNT: 0
; COMPUTE_PGM_RSRC3_GFX90A:ACCUM_OFFSET: 0
; COMPUTE_PGM_RSRC3_GFX90A:TG_SPLIT: 0
	.section	.text._ZN7rocprim17ROCPRIM_400000_NS6detail17trampoline_kernelINS0_14default_configENS1_33run_length_encode_config_selectorIajNS0_4plusIjEEEEZZNS1_33reduce_by_key_impl_wrapped_configILNS1_25lookback_scan_determinismE0ES3_S7_PKaNS0_17constant_iteratorIjlEEPaPlSF_S6_NS0_8equal_toIaEEEE10hipError_tPvRmT2_T3_mT4_T5_T6_T7_T8_P12ihipStream_tbENKUlT_T0_E_clISt17integral_constantIbLb0EESY_IbLb1EEEEDaSU_SV_EUlSU_E_NS1_11comp_targetILNS1_3genE0ELNS1_11target_archE4294967295ELNS1_3gpuE0ELNS1_3repE0EEENS1_30default_config_static_selectorELNS0_4arch9wavefront6targetE1EEEvT1_,"axG",@progbits,_ZN7rocprim17ROCPRIM_400000_NS6detail17trampoline_kernelINS0_14default_configENS1_33run_length_encode_config_selectorIajNS0_4plusIjEEEEZZNS1_33reduce_by_key_impl_wrapped_configILNS1_25lookback_scan_determinismE0ES3_S7_PKaNS0_17constant_iteratorIjlEEPaPlSF_S6_NS0_8equal_toIaEEEE10hipError_tPvRmT2_T3_mT4_T5_T6_T7_T8_P12ihipStream_tbENKUlT_T0_E_clISt17integral_constantIbLb0EESY_IbLb1EEEEDaSU_SV_EUlSU_E_NS1_11comp_targetILNS1_3genE0ELNS1_11target_archE4294967295ELNS1_3gpuE0ELNS1_3repE0EEENS1_30default_config_static_selectorELNS0_4arch9wavefront6targetE1EEEvT1_,comdat
	.protected	_ZN7rocprim17ROCPRIM_400000_NS6detail17trampoline_kernelINS0_14default_configENS1_33run_length_encode_config_selectorIajNS0_4plusIjEEEEZZNS1_33reduce_by_key_impl_wrapped_configILNS1_25lookback_scan_determinismE0ES3_S7_PKaNS0_17constant_iteratorIjlEEPaPlSF_S6_NS0_8equal_toIaEEEE10hipError_tPvRmT2_T3_mT4_T5_T6_T7_T8_P12ihipStream_tbENKUlT_T0_E_clISt17integral_constantIbLb0EESY_IbLb1EEEEDaSU_SV_EUlSU_E_NS1_11comp_targetILNS1_3genE0ELNS1_11target_archE4294967295ELNS1_3gpuE0ELNS1_3repE0EEENS1_30default_config_static_selectorELNS0_4arch9wavefront6targetE1EEEvT1_ ; -- Begin function _ZN7rocprim17ROCPRIM_400000_NS6detail17trampoline_kernelINS0_14default_configENS1_33run_length_encode_config_selectorIajNS0_4plusIjEEEEZZNS1_33reduce_by_key_impl_wrapped_configILNS1_25lookback_scan_determinismE0ES3_S7_PKaNS0_17constant_iteratorIjlEEPaPlSF_S6_NS0_8equal_toIaEEEE10hipError_tPvRmT2_T3_mT4_T5_T6_T7_T8_P12ihipStream_tbENKUlT_T0_E_clISt17integral_constantIbLb0EESY_IbLb1EEEEDaSU_SV_EUlSU_E_NS1_11comp_targetILNS1_3genE0ELNS1_11target_archE4294967295ELNS1_3gpuE0ELNS1_3repE0EEENS1_30default_config_static_selectorELNS0_4arch9wavefront6targetE1EEEvT1_
	.globl	_ZN7rocprim17ROCPRIM_400000_NS6detail17trampoline_kernelINS0_14default_configENS1_33run_length_encode_config_selectorIajNS0_4plusIjEEEEZZNS1_33reduce_by_key_impl_wrapped_configILNS1_25lookback_scan_determinismE0ES3_S7_PKaNS0_17constant_iteratorIjlEEPaPlSF_S6_NS0_8equal_toIaEEEE10hipError_tPvRmT2_T3_mT4_T5_T6_T7_T8_P12ihipStream_tbENKUlT_T0_E_clISt17integral_constantIbLb0EESY_IbLb1EEEEDaSU_SV_EUlSU_E_NS1_11comp_targetILNS1_3genE0ELNS1_11target_archE4294967295ELNS1_3gpuE0ELNS1_3repE0EEENS1_30default_config_static_selectorELNS0_4arch9wavefront6targetE1EEEvT1_
	.p2align	8
	.type	_ZN7rocprim17ROCPRIM_400000_NS6detail17trampoline_kernelINS0_14default_configENS1_33run_length_encode_config_selectorIajNS0_4plusIjEEEEZZNS1_33reduce_by_key_impl_wrapped_configILNS1_25lookback_scan_determinismE0ES3_S7_PKaNS0_17constant_iteratorIjlEEPaPlSF_S6_NS0_8equal_toIaEEEE10hipError_tPvRmT2_T3_mT4_T5_T6_T7_T8_P12ihipStream_tbENKUlT_T0_E_clISt17integral_constantIbLb0EESY_IbLb1EEEEDaSU_SV_EUlSU_E_NS1_11comp_targetILNS1_3genE0ELNS1_11target_archE4294967295ELNS1_3gpuE0ELNS1_3repE0EEENS1_30default_config_static_selectorELNS0_4arch9wavefront6targetE1EEEvT1_,@function
_ZN7rocprim17ROCPRIM_400000_NS6detail17trampoline_kernelINS0_14default_configENS1_33run_length_encode_config_selectorIajNS0_4plusIjEEEEZZNS1_33reduce_by_key_impl_wrapped_configILNS1_25lookback_scan_determinismE0ES3_S7_PKaNS0_17constant_iteratorIjlEEPaPlSF_S6_NS0_8equal_toIaEEEE10hipError_tPvRmT2_T3_mT4_T5_T6_T7_T8_P12ihipStream_tbENKUlT_T0_E_clISt17integral_constantIbLb0EESY_IbLb1EEEEDaSU_SV_EUlSU_E_NS1_11comp_targetILNS1_3genE0ELNS1_11target_archE4294967295ELNS1_3gpuE0ELNS1_3repE0EEENS1_30default_config_static_selectorELNS0_4arch9wavefront6targetE1EEEvT1_: ; @_ZN7rocprim17ROCPRIM_400000_NS6detail17trampoline_kernelINS0_14default_configENS1_33run_length_encode_config_selectorIajNS0_4plusIjEEEEZZNS1_33reduce_by_key_impl_wrapped_configILNS1_25lookback_scan_determinismE0ES3_S7_PKaNS0_17constant_iteratorIjlEEPaPlSF_S6_NS0_8equal_toIaEEEE10hipError_tPvRmT2_T3_mT4_T5_T6_T7_T8_P12ihipStream_tbENKUlT_T0_E_clISt17integral_constantIbLb0EESY_IbLb1EEEEDaSU_SV_EUlSU_E_NS1_11comp_targetILNS1_3genE0ELNS1_11target_archE4294967295ELNS1_3gpuE0ELNS1_3repE0EEENS1_30default_config_static_selectorELNS0_4arch9wavefront6targetE1EEEvT1_
; %bb.0:
	.section	.rodata,"a",@progbits
	.p2align	6, 0x0
	.amdhsa_kernel _ZN7rocprim17ROCPRIM_400000_NS6detail17trampoline_kernelINS0_14default_configENS1_33run_length_encode_config_selectorIajNS0_4plusIjEEEEZZNS1_33reduce_by_key_impl_wrapped_configILNS1_25lookback_scan_determinismE0ES3_S7_PKaNS0_17constant_iteratorIjlEEPaPlSF_S6_NS0_8equal_toIaEEEE10hipError_tPvRmT2_T3_mT4_T5_T6_T7_T8_P12ihipStream_tbENKUlT_T0_E_clISt17integral_constantIbLb0EESY_IbLb1EEEEDaSU_SV_EUlSU_E_NS1_11comp_targetILNS1_3genE0ELNS1_11target_archE4294967295ELNS1_3gpuE0ELNS1_3repE0EEENS1_30default_config_static_selectorELNS0_4arch9wavefront6targetE1EEEvT1_
		.amdhsa_group_segment_fixed_size 0
		.amdhsa_private_segment_fixed_size 0
		.amdhsa_kernarg_size 128
		.amdhsa_user_sgpr_count 2
		.amdhsa_user_sgpr_dispatch_ptr 0
		.amdhsa_user_sgpr_queue_ptr 0
		.amdhsa_user_sgpr_kernarg_segment_ptr 1
		.amdhsa_user_sgpr_dispatch_id 0
		.amdhsa_user_sgpr_kernarg_preload_length 0
		.amdhsa_user_sgpr_kernarg_preload_offset 0
		.amdhsa_user_sgpr_private_segment_size 0
		.amdhsa_uses_dynamic_stack 0
		.amdhsa_enable_private_segment 0
		.amdhsa_system_sgpr_workgroup_id_x 1
		.amdhsa_system_sgpr_workgroup_id_y 0
		.amdhsa_system_sgpr_workgroup_id_z 0
		.amdhsa_system_sgpr_workgroup_info 0
		.amdhsa_system_vgpr_workitem_id 0
		.amdhsa_next_free_vgpr 1
		.amdhsa_next_free_sgpr 0
		.amdhsa_accum_offset 4
		.amdhsa_reserve_vcc 0
		.amdhsa_float_round_mode_32 0
		.amdhsa_float_round_mode_16_64 0
		.amdhsa_float_denorm_mode_32 3
		.amdhsa_float_denorm_mode_16_64 3
		.amdhsa_dx10_clamp 1
		.amdhsa_ieee_mode 1
		.amdhsa_fp16_overflow 0
		.amdhsa_tg_split 0
		.amdhsa_exception_fp_ieee_invalid_op 0
		.amdhsa_exception_fp_denorm_src 0
		.amdhsa_exception_fp_ieee_div_zero 0
		.amdhsa_exception_fp_ieee_overflow 0
		.amdhsa_exception_fp_ieee_underflow 0
		.amdhsa_exception_fp_ieee_inexact 0
		.amdhsa_exception_int_div_zero 0
	.end_amdhsa_kernel
	.section	.text._ZN7rocprim17ROCPRIM_400000_NS6detail17trampoline_kernelINS0_14default_configENS1_33run_length_encode_config_selectorIajNS0_4plusIjEEEEZZNS1_33reduce_by_key_impl_wrapped_configILNS1_25lookback_scan_determinismE0ES3_S7_PKaNS0_17constant_iteratorIjlEEPaPlSF_S6_NS0_8equal_toIaEEEE10hipError_tPvRmT2_T3_mT4_T5_T6_T7_T8_P12ihipStream_tbENKUlT_T0_E_clISt17integral_constantIbLb0EESY_IbLb1EEEEDaSU_SV_EUlSU_E_NS1_11comp_targetILNS1_3genE0ELNS1_11target_archE4294967295ELNS1_3gpuE0ELNS1_3repE0EEENS1_30default_config_static_selectorELNS0_4arch9wavefront6targetE1EEEvT1_,"axG",@progbits,_ZN7rocprim17ROCPRIM_400000_NS6detail17trampoline_kernelINS0_14default_configENS1_33run_length_encode_config_selectorIajNS0_4plusIjEEEEZZNS1_33reduce_by_key_impl_wrapped_configILNS1_25lookback_scan_determinismE0ES3_S7_PKaNS0_17constant_iteratorIjlEEPaPlSF_S6_NS0_8equal_toIaEEEE10hipError_tPvRmT2_T3_mT4_T5_T6_T7_T8_P12ihipStream_tbENKUlT_T0_E_clISt17integral_constantIbLb0EESY_IbLb1EEEEDaSU_SV_EUlSU_E_NS1_11comp_targetILNS1_3genE0ELNS1_11target_archE4294967295ELNS1_3gpuE0ELNS1_3repE0EEENS1_30default_config_static_selectorELNS0_4arch9wavefront6targetE1EEEvT1_,comdat
.Lfunc_end262:
	.size	_ZN7rocprim17ROCPRIM_400000_NS6detail17trampoline_kernelINS0_14default_configENS1_33run_length_encode_config_selectorIajNS0_4plusIjEEEEZZNS1_33reduce_by_key_impl_wrapped_configILNS1_25lookback_scan_determinismE0ES3_S7_PKaNS0_17constant_iteratorIjlEEPaPlSF_S6_NS0_8equal_toIaEEEE10hipError_tPvRmT2_T3_mT4_T5_T6_T7_T8_P12ihipStream_tbENKUlT_T0_E_clISt17integral_constantIbLb0EESY_IbLb1EEEEDaSU_SV_EUlSU_E_NS1_11comp_targetILNS1_3genE0ELNS1_11target_archE4294967295ELNS1_3gpuE0ELNS1_3repE0EEENS1_30default_config_static_selectorELNS0_4arch9wavefront6targetE1EEEvT1_, .Lfunc_end262-_ZN7rocprim17ROCPRIM_400000_NS6detail17trampoline_kernelINS0_14default_configENS1_33run_length_encode_config_selectorIajNS0_4plusIjEEEEZZNS1_33reduce_by_key_impl_wrapped_configILNS1_25lookback_scan_determinismE0ES3_S7_PKaNS0_17constant_iteratorIjlEEPaPlSF_S6_NS0_8equal_toIaEEEE10hipError_tPvRmT2_T3_mT4_T5_T6_T7_T8_P12ihipStream_tbENKUlT_T0_E_clISt17integral_constantIbLb0EESY_IbLb1EEEEDaSU_SV_EUlSU_E_NS1_11comp_targetILNS1_3genE0ELNS1_11target_archE4294967295ELNS1_3gpuE0ELNS1_3repE0EEENS1_30default_config_static_selectorELNS0_4arch9wavefront6targetE1EEEvT1_
                                        ; -- End function
	.section	.AMDGPU.csdata,"",@progbits
; Kernel info:
; codeLenInByte = 0
; NumSgprs: 6
; NumVgprs: 0
; NumAgprs: 0
; TotalNumVgprs: 0
; ScratchSize: 0
; MemoryBound: 0
; FloatMode: 240
; IeeeMode: 1
; LDSByteSize: 0 bytes/workgroup (compile time only)
; SGPRBlocks: 0
; VGPRBlocks: 0
; NumSGPRsForWavesPerEU: 6
; NumVGPRsForWavesPerEU: 1
; AccumOffset: 4
; Occupancy: 8
; WaveLimiterHint : 0
; COMPUTE_PGM_RSRC2:SCRATCH_EN: 0
; COMPUTE_PGM_RSRC2:USER_SGPR: 2
; COMPUTE_PGM_RSRC2:TRAP_HANDLER: 0
; COMPUTE_PGM_RSRC2:TGID_X_EN: 1
; COMPUTE_PGM_RSRC2:TGID_Y_EN: 0
; COMPUTE_PGM_RSRC2:TGID_Z_EN: 0
; COMPUTE_PGM_RSRC2:TIDIG_COMP_CNT: 0
; COMPUTE_PGM_RSRC3_GFX90A:ACCUM_OFFSET: 0
; COMPUTE_PGM_RSRC3_GFX90A:TG_SPLIT: 0
	.section	.text._ZN7rocprim17ROCPRIM_400000_NS6detail17trampoline_kernelINS0_14default_configENS1_33run_length_encode_config_selectorIajNS0_4plusIjEEEEZZNS1_33reduce_by_key_impl_wrapped_configILNS1_25lookback_scan_determinismE0ES3_S7_PKaNS0_17constant_iteratorIjlEEPaPlSF_S6_NS0_8equal_toIaEEEE10hipError_tPvRmT2_T3_mT4_T5_T6_T7_T8_P12ihipStream_tbENKUlT_T0_E_clISt17integral_constantIbLb0EESY_IbLb1EEEEDaSU_SV_EUlSU_E_NS1_11comp_targetILNS1_3genE5ELNS1_11target_archE942ELNS1_3gpuE9ELNS1_3repE0EEENS1_30default_config_static_selectorELNS0_4arch9wavefront6targetE1EEEvT1_,"axG",@progbits,_ZN7rocprim17ROCPRIM_400000_NS6detail17trampoline_kernelINS0_14default_configENS1_33run_length_encode_config_selectorIajNS0_4plusIjEEEEZZNS1_33reduce_by_key_impl_wrapped_configILNS1_25lookback_scan_determinismE0ES3_S7_PKaNS0_17constant_iteratorIjlEEPaPlSF_S6_NS0_8equal_toIaEEEE10hipError_tPvRmT2_T3_mT4_T5_T6_T7_T8_P12ihipStream_tbENKUlT_T0_E_clISt17integral_constantIbLb0EESY_IbLb1EEEEDaSU_SV_EUlSU_E_NS1_11comp_targetILNS1_3genE5ELNS1_11target_archE942ELNS1_3gpuE9ELNS1_3repE0EEENS1_30default_config_static_selectorELNS0_4arch9wavefront6targetE1EEEvT1_,comdat
	.protected	_ZN7rocprim17ROCPRIM_400000_NS6detail17trampoline_kernelINS0_14default_configENS1_33run_length_encode_config_selectorIajNS0_4plusIjEEEEZZNS1_33reduce_by_key_impl_wrapped_configILNS1_25lookback_scan_determinismE0ES3_S7_PKaNS0_17constant_iteratorIjlEEPaPlSF_S6_NS0_8equal_toIaEEEE10hipError_tPvRmT2_T3_mT4_T5_T6_T7_T8_P12ihipStream_tbENKUlT_T0_E_clISt17integral_constantIbLb0EESY_IbLb1EEEEDaSU_SV_EUlSU_E_NS1_11comp_targetILNS1_3genE5ELNS1_11target_archE942ELNS1_3gpuE9ELNS1_3repE0EEENS1_30default_config_static_selectorELNS0_4arch9wavefront6targetE1EEEvT1_ ; -- Begin function _ZN7rocprim17ROCPRIM_400000_NS6detail17trampoline_kernelINS0_14default_configENS1_33run_length_encode_config_selectorIajNS0_4plusIjEEEEZZNS1_33reduce_by_key_impl_wrapped_configILNS1_25lookback_scan_determinismE0ES3_S7_PKaNS0_17constant_iteratorIjlEEPaPlSF_S6_NS0_8equal_toIaEEEE10hipError_tPvRmT2_T3_mT4_T5_T6_T7_T8_P12ihipStream_tbENKUlT_T0_E_clISt17integral_constantIbLb0EESY_IbLb1EEEEDaSU_SV_EUlSU_E_NS1_11comp_targetILNS1_3genE5ELNS1_11target_archE942ELNS1_3gpuE9ELNS1_3repE0EEENS1_30default_config_static_selectorELNS0_4arch9wavefront6targetE1EEEvT1_
	.globl	_ZN7rocprim17ROCPRIM_400000_NS6detail17trampoline_kernelINS0_14default_configENS1_33run_length_encode_config_selectorIajNS0_4plusIjEEEEZZNS1_33reduce_by_key_impl_wrapped_configILNS1_25lookback_scan_determinismE0ES3_S7_PKaNS0_17constant_iteratorIjlEEPaPlSF_S6_NS0_8equal_toIaEEEE10hipError_tPvRmT2_T3_mT4_T5_T6_T7_T8_P12ihipStream_tbENKUlT_T0_E_clISt17integral_constantIbLb0EESY_IbLb1EEEEDaSU_SV_EUlSU_E_NS1_11comp_targetILNS1_3genE5ELNS1_11target_archE942ELNS1_3gpuE9ELNS1_3repE0EEENS1_30default_config_static_selectorELNS0_4arch9wavefront6targetE1EEEvT1_
	.p2align	8
	.type	_ZN7rocprim17ROCPRIM_400000_NS6detail17trampoline_kernelINS0_14default_configENS1_33run_length_encode_config_selectorIajNS0_4plusIjEEEEZZNS1_33reduce_by_key_impl_wrapped_configILNS1_25lookback_scan_determinismE0ES3_S7_PKaNS0_17constant_iteratorIjlEEPaPlSF_S6_NS0_8equal_toIaEEEE10hipError_tPvRmT2_T3_mT4_T5_T6_T7_T8_P12ihipStream_tbENKUlT_T0_E_clISt17integral_constantIbLb0EESY_IbLb1EEEEDaSU_SV_EUlSU_E_NS1_11comp_targetILNS1_3genE5ELNS1_11target_archE942ELNS1_3gpuE9ELNS1_3repE0EEENS1_30default_config_static_selectorELNS0_4arch9wavefront6targetE1EEEvT1_,@function
_ZN7rocprim17ROCPRIM_400000_NS6detail17trampoline_kernelINS0_14default_configENS1_33run_length_encode_config_selectorIajNS0_4plusIjEEEEZZNS1_33reduce_by_key_impl_wrapped_configILNS1_25lookback_scan_determinismE0ES3_S7_PKaNS0_17constant_iteratorIjlEEPaPlSF_S6_NS0_8equal_toIaEEEE10hipError_tPvRmT2_T3_mT4_T5_T6_T7_T8_P12ihipStream_tbENKUlT_T0_E_clISt17integral_constantIbLb0EESY_IbLb1EEEEDaSU_SV_EUlSU_E_NS1_11comp_targetILNS1_3genE5ELNS1_11target_archE942ELNS1_3gpuE9ELNS1_3repE0EEENS1_30default_config_static_selectorELNS0_4arch9wavefront6targetE1EEEvT1_: ; @_ZN7rocprim17ROCPRIM_400000_NS6detail17trampoline_kernelINS0_14default_configENS1_33run_length_encode_config_selectorIajNS0_4plusIjEEEEZZNS1_33reduce_by_key_impl_wrapped_configILNS1_25lookback_scan_determinismE0ES3_S7_PKaNS0_17constant_iteratorIjlEEPaPlSF_S6_NS0_8equal_toIaEEEE10hipError_tPvRmT2_T3_mT4_T5_T6_T7_T8_P12ihipStream_tbENKUlT_T0_E_clISt17integral_constantIbLb0EESY_IbLb1EEEEDaSU_SV_EUlSU_E_NS1_11comp_targetILNS1_3genE5ELNS1_11target_archE942ELNS1_3gpuE9ELNS1_3repE0EEENS1_30default_config_static_selectorELNS0_4arch9wavefront6targetE1EEEvT1_
; %bb.0:
	s_load_dword s10, s[0:1], 0x10
	s_load_dwordx4 s[44:47], s[0:1], 0x20
	s_load_dwordx2 s[48:49], s[0:1], 0x30
	s_load_dwordx2 s[50:51], s[0:1], 0x70
	s_load_dwordx4 s[28:31], s[0:1], 0x60
	s_load_dwordx8 s[36:43], s[0:1], 0x40
	v_cmp_ne_u32_e64 s[2:3], 0, v0
	v_cmp_eq_u32_e64 s[34:35], 0, v0
	s_and_saveexec_b64 s[4:5], s[34:35]
	s_cbranch_execz .LBB263_4
; %bb.1:
	s_mov_b64 s[8:9], exec
	v_mbcnt_lo_u32_b32 v1, s8, 0
	v_mbcnt_hi_u32_b32 v1, s9, v1
	v_cmp_eq_u32_e32 vcc, 0, v1
                                        ; implicit-def: $vgpr2
	s_and_saveexec_b64 s[6:7], vcc
	s_cbranch_execz .LBB263_3
; %bb.2:
	s_load_dwordx2 s[12:13], s[0:1], 0x78
	s_bcnt1_i32_b64 s8, s[8:9]
	v_mov_b32_e32 v2, 0
	v_mov_b32_e32 v3, s8
	s_waitcnt lgkmcnt(0)
	global_atomic_add v2, v2, v3, s[12:13] sc0
.LBB263_3:
	s_or_b64 exec, exec, s[6:7]
	s_waitcnt vmcnt(0)
	v_readfirstlane_b32 s6, v2
	v_mov_b32_e32 v2, 0
	s_nop 0
	v_add_u32_e32 v1, s6, v1
	ds_write_b32 v2, v1
.LBB263_4:
	s_or_b64 exec, exec, s[4:5]
	s_load_dwordx4 s[4:7], s[0:1], 0x0
	v_mov_b32_e32 v5, 0
	s_waitcnt lgkmcnt(0)
	s_barrier
	ds_read_b32 v1, v5
	s_mul_i32 s0, s40, s39
	s_mul_hi_u32 s1, s40, s38
	s_add_i32 s0, s1, s0
	s_mul_i32 s1, s41, s38
	s_add_i32 s8, s0, s1
	s_add_u32 s0, s4, s6
	s_movk_i32 s4, 0x1e00
	s_mul_i32 s9, s40, s38
	s_addc_u32 s1, s5, s7
	s_waitcnt lgkmcnt(0)
	v_readfirstlane_b32 s60, v1
	v_mul_lo_u32 v4, v1, s4
	v_lshl_add_u64 v[2:3], s[0:1], 0, v[4:5]
	s_add_u32 s0, s9, s60
	s_addc_u32 s1, s8, 0
	s_add_u32 s4, s42, -1
	s_addc_u32 s5, s43, -1
	s_cmp_eq_u64 s[0:1], s[4:5]
	s_cselect_b64 s[40:41], -1, 0
	s_cmp_lg_u64 s[0:1], s[4:5]
	s_mov_b64 s[8:9], -1
	s_cselect_b64 s[6:7], -1, 0
	s_mul_i32 s33, s4, 0xffffe200
	s_and_b64 vcc, exec, s[40:41]
	v_mad_u32_u24 v4, v0, 14, v0
	s_barrier
	s_cbranch_vccnz .LBB263_6
; %bb.5:
	v_mov_b32_e32 v1, v5
	v_lshl_add_u64 v[6:7], v[2:3], 0, v[0:1]
	v_add_co_u32_e32 v6, vcc, 0x1000, v6
	v_readfirstlane_b32 s4, v2
	v_readfirstlane_b32 s5, v3
	v_addc_co_u32_e32 v7, vcc, 0, v7, vcc
	s_nop 3
	global_load_ubyte v1, v0, s[4:5]
	global_load_ubyte v5, v0, s[4:5] offset:512
	global_load_ubyte v8, v0, s[4:5] offset:1024
	;; [unrolled: 1-line block ×7, first 2 shown]
	global_load_ubyte v14, v[6:7], off
	global_load_ubyte v15, v[6:7], off offset:512
	global_load_ubyte v16, v[6:7], off offset:1024
	;; [unrolled: 1-line block ×6, first 2 shown]
	s_mov_b64 s[4:5], -1
	s_waitcnt vmcnt(14)
	ds_write_b8 v0, v1
	s_waitcnt vmcnt(13)
	ds_write_b8 v0, v5 offset:512
	s_waitcnt vmcnt(12)
	ds_write_b8 v0, v8 offset:1024
	;; [unrolled: 2-line block ×14, first 2 shown]
	s_waitcnt lgkmcnt(0)
	s_barrier
	ds_read_b96 v[8:10], v4
	ds_read_u8 v56, v4 offset:12
	ds_read_u8 v11, v4 offset:13
	;; [unrolled: 1-line block ×3, first 2 shown]
	s_waitcnt lgkmcnt(3)
	v_lshrrev_b32_e32 v68, 8, v8
	v_lshrrev_b32_e32 v66, 16, v8
	v_lshrrev_b32_e32 v64, 24, v8
	v_lshrrev_b32_e32 v62, 8, v9
	v_lshrrev_b32_e32 v61, 16, v9
	v_lshrrev_b32_e32 v60, 24, v9
	v_lshrrev_b32_e32 v59, 8, v10
	v_lshrrev_b32_e32 v58, 16, v10
	v_lshrrev_b32_e32 v57, 24, v10
	s_add_i32 s33, s33, s28
	s_cbranch_execz .LBB263_7
	s_branch .LBB263_38
.LBB263_6:
	s_mov_b64 s[4:5], 0
                                        ; implicit-def: $vgpr8
                                        ; implicit-def: $vgpr68
                                        ; implicit-def: $vgpr66
                                        ; implicit-def: $vgpr64
                                        ; implicit-def: $vgpr62
                                        ; implicit-def: $vgpr61
                                        ; implicit-def: $vgpr60
                                        ; implicit-def: $vgpr59
                                        ; implicit-def: $vgpr58
                                        ; implicit-def: $vgpr57
                                        ; implicit-def: $vgpr56
                                        ; implicit-def: $vgpr11
                                        ; implicit-def: $vgpr1
	s_add_i32 s33, s33, s28
	s_andn2_b64 vcc, exec, s[8:9]
	s_cbranch_vccnz .LBB263_38
.LBB263_7:
	v_cmp_gt_u32_e32 vcc, s33, v0
                                        ; implicit-def: $vgpr1
	s_and_saveexec_b64 s[4:5], vcc
	s_cbranch_execz .LBB263_9
; %bb.8:
	v_readfirstlane_b32 s8, v2
	v_readfirstlane_b32 s9, v3
	s_waitcnt lgkmcnt(0)
	s_nop 3
	global_load_ubyte v1, v0, s[8:9]
.LBB263_9:
	s_or_b64 exec, exec, s[4:5]
	v_or_b32_e32 v5, 0x200, v0
	v_cmp_gt_u32_e32 vcc, s33, v5
                                        ; implicit-def: $vgpr5
	s_and_saveexec_b64 s[4:5], vcc
	s_cbranch_execz .LBB263_11
; %bb.10:
	v_readfirstlane_b32 s8, v2
	v_readfirstlane_b32 s9, v3
	s_nop 4
	global_load_ubyte v5, v0, s[8:9] offset:512
.LBB263_11:
	s_or_b64 exec, exec, s[4:5]
	v_or_b32_e32 v6, 0x400, v0
	v_cmp_gt_u32_e32 vcc, s33, v6
                                        ; implicit-def: $vgpr6
	s_and_saveexec_b64 s[4:5], vcc
	s_cbranch_execz .LBB263_13
; %bb.12:
	v_readfirstlane_b32 s8, v2
	v_readfirstlane_b32 s9, v3
	s_nop 4
	global_load_ubyte v6, v0, s[8:9] offset:1024
.LBB263_13:
	s_or_b64 exec, exec, s[4:5]
	v_or_b32_e32 v7, 0x600, v0
	v_cmp_gt_u32_e32 vcc, s33, v7
                                        ; implicit-def: $vgpr7
	s_and_saveexec_b64 s[4:5], vcc
	s_cbranch_execz .LBB263_15
; %bb.14:
	v_readfirstlane_b32 s8, v2
	v_readfirstlane_b32 s9, v3
	s_nop 4
	global_load_ubyte v7, v0, s[8:9] offset:1536
.LBB263_15:
	s_or_b64 exec, exec, s[4:5]
	v_or_b32_e32 v8, 0x800, v0
	v_cmp_gt_u32_e32 vcc, s33, v8
                                        ; implicit-def: $vgpr8
	s_and_saveexec_b64 s[4:5], vcc
	s_cbranch_execz .LBB263_17
; %bb.16:
	v_readfirstlane_b32 s8, v2
	v_readfirstlane_b32 s9, v3
	s_nop 4
	global_load_ubyte v8, v0, s[8:9] offset:2048
.LBB263_17:
	s_or_b64 exec, exec, s[4:5]
	v_or_b32_e32 v9, 0xa00, v0
	v_cmp_gt_u32_e32 vcc, s33, v9
                                        ; implicit-def: $vgpr9
	s_and_saveexec_b64 s[4:5], vcc
	s_cbranch_execz .LBB263_19
; %bb.18:
	v_readfirstlane_b32 s8, v2
	v_readfirstlane_b32 s9, v3
	s_nop 4
	global_load_ubyte v9, v0, s[8:9] offset:2560
.LBB263_19:
	s_or_b64 exec, exec, s[4:5]
	v_or_b32_e32 v10, 0xc00, v0
	v_cmp_gt_u32_e32 vcc, s33, v10
                                        ; implicit-def: $vgpr10
	s_and_saveexec_b64 s[4:5], vcc
	s_cbranch_execz .LBB263_21
; %bb.20:
	v_readfirstlane_b32 s8, v2
	v_readfirstlane_b32 s9, v3
	s_nop 4
	global_load_ubyte v10, v0, s[8:9] offset:3072
.LBB263_21:
	s_or_b64 exec, exec, s[4:5]
	s_waitcnt lgkmcnt(1)
	v_or_b32_e32 v11, 0xe00, v0
	v_cmp_gt_u32_e32 vcc, s33, v11
                                        ; implicit-def: $vgpr11
	s_and_saveexec_b64 s[4:5], vcc
	s_cbranch_execz .LBB263_23
; %bb.22:
	v_readfirstlane_b32 s8, v2
	v_readfirstlane_b32 s9, v3
	s_nop 4
	global_load_ubyte v11, v0, s[8:9] offset:3584
.LBB263_23:
	s_or_b64 exec, exec, s[4:5]
	v_or_b32_e32 v13, 0x1000, v0
	v_cmp_gt_u32_e32 vcc, s33, v13
                                        ; implicit-def: $vgpr12
	s_and_saveexec_b64 s[4:5], vcc
	s_cbranch_execz .LBB263_25
; %bb.24:
	v_readfirstlane_b32 s8, v2
	v_readfirstlane_b32 s9, v3
	s_nop 4
	global_load_ubyte v12, v13, s[8:9]
.LBB263_25:
	s_or_b64 exec, exec, s[4:5]
	v_or_b32_e32 v14, 0x1200, v0
	v_cmp_gt_u32_e32 vcc, s33, v14
                                        ; implicit-def: $vgpr13
	s_and_saveexec_b64 s[4:5], vcc
	s_cbranch_execz .LBB263_27
; %bb.26:
	v_readfirstlane_b32 s8, v2
	v_readfirstlane_b32 s9, v3
	s_nop 4
	global_load_ubyte v13, v14, s[8:9]
.LBB263_27:
	s_or_b64 exec, exec, s[4:5]
	v_or_b32_e32 v15, 0x1400, v0
	v_cmp_gt_u32_e32 vcc, s33, v15
                                        ; implicit-def: $vgpr14
	s_and_saveexec_b64 s[4:5], vcc
	s_cbranch_execz .LBB263_29
; %bb.28:
	v_readfirstlane_b32 s8, v2
	v_readfirstlane_b32 s9, v3
	s_nop 4
	global_load_ubyte v14, v15, s[8:9]
.LBB263_29:
	s_or_b64 exec, exec, s[4:5]
	v_or_b32_e32 v16, 0x1600, v0
	v_cmp_gt_u32_e32 vcc, s33, v16
                                        ; implicit-def: $vgpr15
	s_and_saveexec_b64 s[4:5], vcc
	s_cbranch_execz .LBB263_31
; %bb.30:
	v_readfirstlane_b32 s8, v2
	v_readfirstlane_b32 s9, v3
	s_nop 4
	global_load_ubyte v15, v16, s[8:9]
.LBB263_31:
	s_or_b64 exec, exec, s[4:5]
	v_or_b32_e32 v17, 0x1800, v0
	v_cmp_gt_u32_e32 vcc, s33, v17
                                        ; implicit-def: $vgpr16
	s_and_saveexec_b64 s[4:5], vcc
	s_cbranch_execz .LBB263_33
; %bb.32:
	v_readfirstlane_b32 s8, v2
	v_readfirstlane_b32 s9, v3
	s_nop 4
	global_load_ubyte v16, v17, s[8:9]
.LBB263_33:
	s_or_b64 exec, exec, s[4:5]
	v_or_b32_e32 v18, 0x1a00, v0
	v_cmp_gt_u32_e32 vcc, s33, v18
                                        ; implicit-def: $vgpr17
	s_and_saveexec_b64 s[4:5], vcc
	s_cbranch_execz .LBB263_35
; %bb.34:
	v_readfirstlane_b32 s8, v2
	v_readfirstlane_b32 s9, v3
	s_nop 4
	global_load_ubyte v17, v18, s[8:9]
.LBB263_35:
	s_or_b64 exec, exec, s[4:5]
	v_or_b32_e32 v19, 0x1c00, v0
	v_cmp_gt_u32_e32 vcc, s33, v19
                                        ; implicit-def: $vgpr18
	s_and_saveexec_b64 s[4:5], vcc
	s_cbranch_execz .LBB263_37
; %bb.36:
	v_readfirstlane_b32 s8, v2
	v_readfirstlane_b32 s9, v3
	s_nop 4
	global_load_ubyte v18, v19, s[8:9]
.LBB263_37:
	s_or_b64 exec, exec, s[4:5]
	s_waitcnt vmcnt(0) lgkmcnt(0)
	ds_write_b8 v0, v1
	ds_write_b8 v0, v5 offset:512
	ds_write_b8 v0, v6 offset:1024
	;; [unrolled: 1-line block ×14, first 2 shown]
	s_waitcnt lgkmcnt(0)
	s_barrier
	ds_read_b96 v[8:10], v4
	ds_read_u8 v56, v4 offset:12
	ds_read_u8 v11, v4 offset:13
	;; [unrolled: 1-line block ×3, first 2 shown]
	v_mad_u32_u24 v4, v0, 15, 14
	s_waitcnt lgkmcnt(3)
	v_lshrrev_b32_e32 v68, 8, v8
	v_lshrrev_b32_e32 v66, 16, v8
	;; [unrolled: 1-line block ×9, first 2 shown]
	v_cmp_gt_u32_e64 s[4:5], s33, v4
.LBB263_38:
	v_mov_b32_e32 v52, s10
                                        ; implicit-def: $vgpr53
	s_and_saveexec_b64 s[8:9], s[4:5]
; %bb.39:
	v_mov_b32_e32 v53, s10
; %bb.40:
	s_or_b64 exec, exec, s[8:9]
	s_cmp_eq_u64 s[0:1], 0
	s_cselect_b64 s[42:43], -1, 0
	s_cmp_lg_u64 s[0:1], 0
	s_mov_b64 s[4:5], 0
	s_cselect_b64 s[8:9], -1, 0
	s_and_b64 vcc, exec, s[6:7]
	s_waitcnt lgkmcnt(0)
	s_barrier
	s_cbranch_vccz .LBB263_46
; %bb.41:
	s_and_b64 vcc, exec, s[8:9]
	s_cbranch_vccz .LBB263_47
; %bb.42:
	global_load_ubyte v4, v[2:3], off offset:-1
	v_cmp_ne_u16_sdwa s[4:5], v11, v1 src0_sel:BYTE_0 src1_sel:BYTE_0
	v_cmp_ne_u16_sdwa s[6:7], v56, v11 src0_sel:BYTE_0 src1_sel:BYTE_0
	;; [unrolled: 1-line block ×14, first 2 shown]
	ds_write_b8 v0, v1
	s_waitcnt lgkmcnt(0)
	s_barrier
	s_and_saveexec_b64 s[58:59], s[2:3]
	s_cbranch_execz .LBB263_44
; %bb.43:
	s_waitcnt vmcnt(0)
	v_add_u32_e32 v4, -1, v0
	ds_read_u8 v4, v4
.LBB263_44:
	s_or_b64 exec, exec, s[58:59]
	s_waitcnt vmcnt(0) lgkmcnt(0)
	v_and_b32_e32 v4, 0xff, v4
	v_cndmask_b32_e64 v63, 0, 1, s[4:5]
	v_cndmask_b32_e64 v65, 0, 1, s[6:7]
	;; [unrolled: 1-line block ×14, first 2 shown]
	v_cmp_ne_u16_sdwa s[6:7], v4, v8 src0_sel:DWORD src1_sel:BYTE_0
	s_mov_b64 s[4:5], -1
.LBB263_45:
                                        ; implicit-def: $sgpr12
	s_branch .LBB263_59
.LBB263_46:
                                        ; implicit-def: $sgpr6_sgpr7
                                        ; implicit-def: $vgpr63
                                        ; implicit-def: $vgpr65
                                        ; implicit-def: $vgpr67
                                        ; implicit-def: $vgpr69
                                        ; implicit-def: $vgpr70
                                        ; implicit-def: $vgpr71
                                        ; implicit-def: $vgpr72
                                        ; implicit-def: $vgpr73
                                        ; implicit-def: $vgpr21
                                        ; implicit-def: $vgpr74
                                        ; implicit-def: $vgpr75
                                        ; implicit-def: $vgpr76
                                        ; implicit-def: $vgpr77
                                        ; implicit-def: $vgpr78
                                        ; implicit-def: $sgpr12
	s_cbranch_execnz .LBB263_51
	s_branch .LBB263_59
.LBB263_47:
                                        ; implicit-def: $sgpr6_sgpr7
                                        ; implicit-def: $vgpr63
                                        ; implicit-def: $vgpr65
                                        ; implicit-def: $vgpr67
                                        ; implicit-def: $vgpr69
                                        ; implicit-def: $vgpr70
                                        ; implicit-def: $vgpr71
                                        ; implicit-def: $vgpr72
                                        ; implicit-def: $vgpr73
                                        ; implicit-def: $vgpr21
                                        ; implicit-def: $vgpr74
                                        ; implicit-def: $vgpr75
                                        ; implicit-def: $vgpr76
                                        ; implicit-def: $vgpr77
                                        ; implicit-def: $vgpr78
	s_cbranch_execz .LBB263_45
; %bb.48:
	v_cmp_ne_u16_sdwa s[6:7], v11, v1 src0_sel:BYTE_0 src1_sel:BYTE_0
	ds_write_b8 v0, v1
	s_waitcnt lgkmcnt(0)
	v_cndmask_b32_e64 v63, 0, 1, s[6:7]
	v_cmp_ne_u16_sdwa s[6:7], v56, v11 src0_sel:BYTE_0 src1_sel:BYTE_0
	s_barrier
	s_nop 0
	v_cndmask_b32_e64 v65, 0, 1, s[6:7]
	v_cmp_ne_u16_sdwa s[6:7], v57, v56 src0_sel:BYTE_0 src1_sel:BYTE_0
	s_nop 1
	v_cndmask_b32_e64 v67, 0, 1, s[6:7]
	v_cmp_ne_u16_sdwa s[6:7], v58, v57 src0_sel:BYTE_0 src1_sel:BYTE_0
	;; [unrolled: 3-line block ×12, first 2 shown]
	s_nop 1
	v_cndmask_b32_e64 v78, 0, 1, s[6:7]
                                        ; implicit-def: $sgpr6_sgpr7
	s_and_saveexec_b64 s[10:11], s[2:3]
	s_xor_b64 s[10:11], exec, s[10:11]
	s_cbranch_execz .LBB263_50
; %bb.49:
	v_add_u32_e32 v4, -1, v0
	ds_read_u8 v4, v4
	s_or_b64 s[4:5], s[4:5], exec
	s_waitcnt lgkmcnt(0)
	v_cmp_ne_u16_sdwa s[6:7], v4, v8 src0_sel:DWORD src1_sel:BYTE_0
	s_and_b64 s[6:7], s[6:7], exec
.LBB263_50:
	s_or_b64 exec, exec, s[10:11]
	s_mov_b32 s12, 1
	s_branch .LBB263_59
.LBB263_51:
	s_mul_hi_u32 s6, s0, 0xffffe200
	s_mulk_i32 s1, 0xe200
	s_sub_i32 s6, s6, s0
	s_add_i32 s6, s6, s1
	s_mulk_i32 s0, 0xe200
	s_add_u32 s0, s0, s28
	s_addc_u32 s1, s6, s29
	s_and_b64 vcc, exec, s[8:9]
	v_mad_u32_u24 v4, v0, 15, 14
	v_cmp_ne_u16_sdwa s[54:55], v11, v1 src0_sel:BYTE_0 src1_sel:BYTE_0
	v_mad_u32_u24 v34, v0, 15, 13
	v_cmp_ne_u16_sdwa s[6:7], v56, v11 src0_sel:BYTE_0 src1_sel:BYTE_0
	v_mad_u32_u24 v32, v0, 15, 12
	v_cmp_ne_u16_sdwa s[8:9], v57, v56 src0_sel:BYTE_0 src1_sel:BYTE_0
	v_mad_u32_u24 v30, v0, 15, 11
	v_cmp_ne_u16_sdwa s[12:13], v58, v57 src0_sel:BYTE_0 src1_sel:BYTE_0
	v_mad_u32_u24 v28, v0, 15, 10
	v_cmp_ne_u16_sdwa s[18:19], v59, v58 src0_sel:BYTE_0 src1_sel:BYTE_0
	v_mad_u32_u24 v26, v0, 15, 9
	v_cmp_ne_u16_sdwa s[22:23], v10, v59 src0_sel:BYTE_0 src1_sel:BYTE_0
	v_mad_u32_u24 v24, v0, 15, 8
	v_cmp_ne_u16_sdwa s[28:29], v60, v10 src0_sel:BYTE_0 src1_sel:BYTE_0
	v_mad_u32_u24 v22, v0, 15, 7
	v_cmp_ne_u16_sdwa s[52:53], v61, v60 src0_sel:BYTE_0 src1_sel:BYTE_0
	v_mad_u32_u24 v20, v0, 15, 6
	v_cmp_ne_u16_sdwa s[26:27], v62, v61 src0_sel:BYTE_0 src1_sel:BYTE_0
	v_mad_u32_u24 v18, v0, 15, 5
	v_cmp_ne_u16_sdwa s[24:25], v9, v62 src0_sel:BYTE_0 src1_sel:BYTE_0
	v_mad_u32_u24 v16, v0, 15, 4
	v_cmp_ne_u16_sdwa s[20:21], v64, v9 src0_sel:BYTE_0 src1_sel:BYTE_0
	v_mad_u32_u24 v14, v0, 15, 3
	v_cmp_ne_u16_sdwa s[16:17], v66, v64 src0_sel:BYTE_0 src1_sel:BYTE_0
	v_mad_u32_u24 v12, v0, 15, 2
	v_cmp_ne_u16_sdwa s[14:15], v68, v66 src0_sel:BYTE_0 src1_sel:BYTE_0
	v_mad_u32_u24 v6, v0, 15, 1
	v_cmp_ne_u16_sdwa s[10:11], v8, v68 src0_sel:BYTE_0 src1_sel:BYTE_0
	s_cbranch_vccz .LBB263_56
; %bb.52:
	global_load_ubyte v36, v[2:3], off offset:-1
	v_mov_b32_e32 v5, 0
	v_cmp_gt_u64_e32 vcc, s[0:1], v[4:5]
	v_mov_b32_e32 v35, v5
	s_and_b64 s[4:5], vcc, s[54:55]
	v_cmp_gt_u64_e32 vcc, s[0:1], v[34:35]
	v_mov_b32_e32 v33, v5
	s_and_b64 s[6:7], vcc, s[6:7]
	;; [unrolled: 3-line block ×13, first 2 shown]
	v_cmp_gt_u64_e32 vcc, s[0:1], v[6:7]
	v_mul_u32_u24_e32 v2, 15, v0
	s_and_b64 s[10:11], vcc, s[10:11]
	ds_write_b8 v0, v1
	s_waitcnt lgkmcnt(0)
	s_barrier
	s_and_saveexec_b64 s[54:55], s[2:3]
	s_cbranch_execz .LBB263_54
; %bb.53:
	v_add_u32_e32 v3, -1, v0
	s_waitcnt vmcnt(0)
	ds_read_u8 v36, v3
.LBB263_54:
	s_or_b64 exec, exec, s[54:55]
	v_mov_b32_e32 v3, v5
	v_cmp_gt_u64_e32 vcc, s[0:1], v[2:3]
	s_waitcnt vmcnt(0) lgkmcnt(0)
	v_and_b32_e32 v2, 0xff, v36
	v_cndmask_b32_e64 v63, 0, 1, s[4:5]
	v_cmp_ne_u16_sdwa s[4:5], v2, v8 src0_sel:DWORD src1_sel:BYTE_0
	v_cndmask_b32_e64 v65, 0, 1, s[6:7]
	v_cndmask_b32_e64 v67, 0, 1, s[8:9]
	;; [unrolled: 1-line block ×13, first 2 shown]
	s_and_b64 s[6:7], vcc, s[4:5]
	s_mov_b64 s[4:5], -1
.LBB263_55:
                                        ; implicit-def: $sgpr12
	v_mov_b32_e32 v79, s12
	s_and_saveexec_b64 s[0:1], s[4:5]
	s_cbranch_execnz .LBB263_60
	s_branch .LBB263_61
.LBB263_56:
                                        ; implicit-def: $sgpr6_sgpr7
                                        ; implicit-def: $vgpr63
                                        ; implicit-def: $vgpr65
                                        ; implicit-def: $vgpr67
                                        ; implicit-def: $vgpr69
                                        ; implicit-def: $vgpr70
                                        ; implicit-def: $vgpr71
                                        ; implicit-def: $vgpr72
                                        ; implicit-def: $vgpr73
                                        ; implicit-def: $vgpr21
                                        ; implicit-def: $vgpr74
                                        ; implicit-def: $vgpr75
                                        ; implicit-def: $vgpr76
                                        ; implicit-def: $vgpr77
                                        ; implicit-def: $vgpr78
	s_cbranch_execz .LBB263_55
; %bb.57:
	v_mov_b32_e32 v5, 0
	v_cmp_gt_u64_e32 vcc, s[0:1], v[4:5]
	v_cmp_ne_u16_sdwa s[6:7], v11, v1 src0_sel:BYTE_0 src1_sel:BYTE_0
	s_and_b64 s[6:7], vcc, s[6:7]
	v_mov_b32_e32 v35, v5
	v_cndmask_b32_e64 v63, 0, 1, s[6:7]
	v_cmp_gt_u64_e32 vcc, s[0:1], v[34:35]
	v_cmp_ne_u16_sdwa s[6:7], v56, v11 src0_sel:BYTE_0 src1_sel:BYTE_0
	s_and_b64 s[6:7], vcc, s[6:7]
	v_mov_b32_e32 v33, v5
	v_cndmask_b32_e64 v65, 0, 1, s[6:7]
	;; [unrolled: 5-line block ×13, first 2 shown]
	v_cmp_gt_u64_e32 vcc, s[0:1], v[6:7]
	v_cmp_ne_u16_sdwa s[6:7], v8, v68 src0_sel:BYTE_0 src1_sel:BYTE_0
	s_and_b64 s[6:7], vcc, s[6:7]
	s_mov_b32 s12, 1
	v_cndmask_b32_e64 v78, 0, 1, s[6:7]
	ds_write_b8 v0, v1
	s_waitcnt lgkmcnt(0)
	s_barrier
	s_waitcnt lgkmcnt(0)
                                        ; implicit-def: $sgpr6_sgpr7
	s_and_saveexec_b64 s[8:9], s[2:3]
	s_cbranch_execz .LBB263_149
; %bb.58:
	v_add_u32_e32 v2, -1, v0
	ds_read_u8 v2, v2
	v_mul_u32_u24_e32 v4, 15, v0
	v_cmp_gt_u64_e32 vcc, s[0:1], v[4:5]
	s_or_b64 s[4:5], s[4:5], exec
	s_waitcnt lgkmcnt(0)
	v_and_b32_e32 v2, 0xff, v2
	v_cmp_ne_u16_sdwa s[0:1], v2, v8 src0_sel:DWORD src1_sel:BYTE_0
	s_and_b64 s[0:1], vcc, s[0:1]
	s_and_b64 s[6:7], s[0:1], exec
	s_or_b64 exec, exec, s[8:9]
.LBB263_59:
	v_mov_b32_e32 v79, s12
	s_and_saveexec_b64 s[0:1], s[4:5]
.LBB263_60:
	v_cndmask_b32_e64 v79, 0, 1, s[6:7]
.LBB263_61:
	s_or_b64 exec, exec, s[0:1]
	s_cmp_eq_u64 s[38:39], 0
	v_add3_u32 v2, v78, v79, v77
	s_cselect_b64 s[38:39], -1, 0
	s_cmp_lg_u32 s60, 0
	v_cmp_eq_u32_e64 s[26:27], 0, v78
	v_cmp_eq_u32_e64 s[24:25], 0, v77
	v_cmp_eq_u32_e64 s[22:23], 0, v76
	v_add3_u32 v81, v2, v76, v75
	v_cmp_eq_u32_e64 s[20:21], 0, v75
	v_cmp_eq_u32_e64 s[18:19], 0, v74
	;; [unrolled: 1-line block ×10, first 2 shown]
	v_cmp_eq_u32_e32 vcc, 0, v63
	v_mbcnt_lo_u32_b32 v80, -1, 0
	v_lshrrev_b32_e32 v54, 6, v0
	v_or_b32_e32 v55, 63, v0
	s_cbranch_scc0 .LBB263_88
; %bb.62:
	v_cndmask_b32_e64 v2, 0, v52, s[26:27]
	v_add_u32_e32 v2, v2, v52
	v_cndmask_b32_e64 v2, 0, v2, s[24:25]
	v_add_u32_e32 v2, v2, v52
	;; [unrolled: 2-line block ×11, first 2 shown]
	v_cndmask_b32_e64 v2, 0, v2, s[4:5]
	v_add3_u32 v3, v81, v74, v21
	v_add_u32_e32 v2, v2, v52
	v_add3_u32 v3, v3, v73, v72
	v_cndmask_b32_e64 v2, 0, v2, s[2:3]
	v_add3_u32 v3, v3, v71, v70
	v_add_u32_e32 v2, v2, v52
	v_add3_u32 v3, v3, v69, v67
	v_cndmask_b32_e32 v2, 0, v2, vcc
	v_add3_u32 v3, v3, v65, v63
	v_add_u32_e32 v2, v2, v53
	v_mbcnt_hi_u32_b32 v15, -1, v80
	v_and_b32_e32 v4, 15, v15
	v_mov_b32_dpp v6, v2 row_shr:1 row_mask:0xf bank_mask:0xf
	v_cmp_eq_u32_e32 vcc, 0, v3
	v_mov_b32_dpp v5, v3 row_shr:1 row_mask:0xf bank_mask:0xf
	v_cmp_lt_u32_e64 s[0:1], 1, v4
	v_cndmask_b32_e32 v6, 0, v6, vcc
	v_cmp_eq_u32_e32 vcc, 0, v4
	s_nop 1
	v_cndmask_b32_e64 v5, v5, 0, vcc
	v_add_u32_e32 v3, v5, v3
	v_cndmask_b32_e64 v5, v6, 0, vcc
	v_add_u32_e32 v2, v5, v2
	v_cmp_eq_u32_e32 vcc, 0, v3
	v_mov_b32_dpp v5, v3 row_shr:2 row_mask:0xf bank_mask:0xf
	v_mov_b32_dpp v6, v2 row_shr:2 row_mask:0xf bank_mask:0xf
	v_cndmask_b32_e64 v5, 0, v5, s[0:1]
	s_and_b64 vcc, s[0:1], vcc
	v_cndmask_b32_e32 v6, 0, v6, vcc
	v_add_u32_e32 v3, v3, v5
	v_add_u32_e32 v2, v6, v2
	v_cmp_eq_u32_e32 vcc, 0, v3
	v_mov_b32_dpp v5, v3 row_shr:4 row_mask:0xf bank_mask:0xf
	v_cmp_lt_u32_e64 s[0:1], 3, v4
	v_mov_b32_dpp v6, v2 row_shr:4 row_mask:0xf bank_mask:0xf
	s_and_b64 vcc, s[0:1], vcc
	v_cndmask_b32_e64 v5, 0, v5, s[0:1]
	v_cndmask_b32_e32 v6, 0, v6, vcc
	v_add_u32_e32 v3, v5, v3
	v_add_u32_e32 v2, v2, v6
	v_cmp_eq_u32_e32 vcc, 0, v3
	v_cmp_lt_u32_e64 s[0:1], 7, v4
	v_mov_b32_dpp v5, v3 row_shr:8 row_mask:0xf bank_mask:0xf
	v_mov_b32_dpp v6, v2 row_shr:8 row_mask:0xf bank_mask:0xf
	s_and_b64 vcc, s[0:1], vcc
	v_cndmask_b32_e64 v4, 0, v5, s[0:1]
	v_cndmask_b32_e32 v5, 0, v6, vcc
	v_add_u32_e32 v2, v5, v2
	v_add_u32_e32 v3, v4, v3
	v_bfe_i32 v6, v15, 4, 1
	v_mov_b32_dpp v5, v2 row_bcast:15 row_mask:0xf bank_mask:0xf
	v_mov_b32_dpp v4, v3 row_bcast:15 row_mask:0xf bank_mask:0xf
	v_cmp_eq_u32_e32 vcc, 0, v3
	v_and_b32_e32 v4, v6, v4
	v_add_u32_e32 v3, v4, v3
	v_cndmask_b32_e32 v5, 0, v5, vcc
	v_and_b32_e32 v4, v6, v5
	v_add_u32_e32 v4, v4, v2
	v_mov_b32_dpp v2, v3 row_bcast:31 row_mask:0xf bank_mask:0xf
	v_cmp_eq_u32_e32 vcc, 0, v3
	v_cmp_lt_u32_e64 s[0:1], 31, v15
	v_mov_b32_dpp v5, v4 row_bcast:31 row_mask:0xf bank_mask:0xf
	s_and_b64 vcc, s[0:1], vcc
	v_cndmask_b32_e64 v2, 0, v2, s[0:1]
	v_add_u32_e32 v2, v2, v3
	v_cndmask_b32_e32 v3, 0, v5, vcc
	v_add_u32_e32 v3, v3, v4
	v_cmp_eq_u32_e32 vcc, v55, v0
	v_lshlrev_b32_e32 v4, 3, v54
	s_and_saveexec_b64 s[0:1], vcc
	s_cbranch_execz .LBB263_64
; %bb.63:
	ds_write_b64 v4, v[2:3] offset:1040
.LBB263_64:
	s_or_b64 exec, exec, s[0:1]
	v_cmp_gt_u32_e32 vcc, 8, v0
	s_waitcnt lgkmcnt(0)
	s_barrier
	s_and_saveexec_b64 s[28:29], vcc
	s_cbranch_execz .LBB263_66
; %bb.65:
	v_lshlrev_b32_e32 v5, 3, v0
	ds_read_b64 v[6:7], v5 offset:1040
	v_and_b32_e32 v12, 7, v15
	v_cmp_lt_u32_e64 s[0:1], 1, v12
	s_waitcnt lgkmcnt(0)
	v_mov_b32_dpp v14, v7 row_shr:1 row_mask:0xf bank_mask:0xf
	v_cmp_eq_u32_e32 vcc, 0, v6
	v_mov_b32_dpp v13, v6 row_shr:1 row_mask:0xf bank_mask:0xf
	s_nop 0
	v_cndmask_b32_e32 v14, 0, v14, vcc
	v_cmp_eq_u32_e32 vcc, 0, v12
	s_nop 1
	v_cndmask_b32_e64 v13, v13, 0, vcc
	v_add_u32_e32 v6, v13, v6
	v_cndmask_b32_e64 v13, v14, 0, vcc
	v_add_u32_e32 v7, v13, v7
	v_cmp_eq_u32_e32 vcc, 0, v6
	v_mov_b32_dpp v13, v6 row_shr:2 row_mask:0xf bank_mask:0xf
	v_mov_b32_dpp v14, v7 row_shr:2 row_mask:0xf bank_mask:0xf
	v_cndmask_b32_e64 v13, 0, v13, s[0:1]
	s_and_b64 vcc, s[0:1], vcc
	v_cndmask_b32_e32 v14, 0, v14, vcc
	v_add_u32_e32 v6, v13, v6
	v_add_u32_e32 v7, v14, v7
	v_cmp_eq_u32_e32 vcc, 0, v6
	v_mov_b32_dpp v13, v6 row_shr:4 row_mask:0xf bank_mask:0xf
	v_cmp_lt_u32_e64 s[0:1], 3, v12
	v_mov_b32_dpp v14, v7 row_shr:4 row_mask:0xf bank_mask:0xf
	s_and_b64 vcc, s[0:1], vcc
	v_cndmask_b32_e64 v12, 0, v13, s[0:1]
	v_add_u32_e32 v6, v12, v6
	v_cndmask_b32_e32 v12, 0, v14, vcc
	v_add_u32_e32 v7, v12, v7
	ds_write_b64 v5, v[6:7] offset:1040
.LBB263_66:
	s_or_b64 exec, exec, s[28:29]
	v_cmp_gt_u32_e32 vcc, 64, v0
	v_cmp_lt_u32_e64 s[0:1], 63, v0
	v_mov_b32_e32 v12, 0
	v_mov_b32_e32 v13, 0
	s_waitcnt lgkmcnt(0)
	s_barrier
	s_and_saveexec_b64 s[28:29], s[0:1]
	s_cbranch_execz .LBB263_68
; %bb.67:
	ds_read_b64 v[12:13], v4 offset:1032
	v_cmp_eq_u32_e64 s[0:1], 0, v2
	s_waitcnt lgkmcnt(0)
	v_add_u32_e32 v4, v12, v2
	v_cndmask_b32_e64 v2, 0, v13, s[0:1]
	v_add_u32_e32 v3, v2, v3
	v_mov_b32_e32 v2, v4
.LBB263_68:
	s_or_b64 exec, exec, s[28:29]
	v_add_u32_e32 v4, -1, v15
	v_and_b32_e32 v5, 64, v15
	v_cmp_lt_i32_e64 s[0:1], v4, v5
	v_cmp_eq_u32_e64 s[28:29], 0, v15
	s_nop 0
	v_cndmask_b32_e64 v4, v4, v15, s[0:1]
	v_lshlrev_b32_e32 v4, 2, v4
	ds_bpermute_b32 v20, v4, v2
	ds_bpermute_b32 v22, v4, v3
	s_and_saveexec_b64 s[52:53], vcc
	s_cbranch_execz .LBB263_87
; %bb.69:
	v_mov_b32_e32 v7, 0
	ds_read_b64 v[2:3], v7 offset:1096
	s_waitcnt lgkmcnt(0)
	v_readfirstlane_b32 s56, v2
	v_readfirstlane_b32 s57, v3
	s_and_saveexec_b64 s[0:1], s[28:29]
	s_cbranch_execz .LBB263_71
; %bb.70:
	s_add_i32 s54, s60, 64
	s_mov_b32 s55, 0
	s_lshl_b64 s[58:59], s[54:55], 4
	s_add_u32 s58, s36, s58
	s_addc_u32 s59, s37, s59
	s_and_b32 s63, s57, 0xff000000
	s_mov_b32 s62, s55
	s_and_b32 s65, s57, 0xff0000
	s_mov_b32 s64, s55
	s_or_b64 s[62:63], s[64:65], s[62:63]
	s_and_b32 s65, s57, 0xff00
	s_or_b64 s[62:63], s[62:63], s[64:65]
	s_and_b32 s65, s57, 0xff
	s_or_b64 s[54:55], s[62:63], s[64:65]
	v_mov_b32_e32 v4, s56
	v_mov_b32_e32 v5, s55
	;; [unrolled: 1-line block ×3, first 2 shown]
	v_mov_b64_e32 v[2:3], s[58:59]
	;;#ASMSTART
	global_store_dwordx4 v[2:3], v[4:7] off sc1	
s_waitcnt vmcnt(0)
	;;#ASMEND
.LBB263_71:
	s_or_b64 exec, exec, s[0:1]
	v_xad_u32 v14, v15, -1, s60
	v_add_u32_e32 v6, 64, v14
	v_lshl_add_u64 v[16:17], v[6:7], 4, s[36:37]
	;;#ASMSTART
	global_load_dwordx4 v[2:5], v[16:17] off sc1	
s_waitcnt vmcnt(0)
	;;#ASMEND
	s_nop 0
	v_and_b32_e32 v5, 0xff, v3
	v_and_b32_e32 v6, 0xff00, v3
	v_or3_b32 v2, v2, 0, 0
	v_and_b32_e32 v18, 0xff000000, v3
	v_or3_b32 v5, 0, v5, v6
	;; [unrolled: 2-line block ×3, first 2 shown]
	v_or3_b32 v2, v2, 0, 0
	v_cmp_eq_u16_sdwa s[54:55], v4, v7 src0_sel:BYTE_0 src1_sel:DWORD
	s_and_saveexec_b64 s[0:1], s[54:55]
	s_cbranch_execz .LBB263_75
; %bb.72:
	s_mov_b64 s[54:55], 0
	v_mov_b32_e32 v6, 0
.LBB263_73:                             ; =>This Inner Loop Header: Depth=1
	;;#ASMSTART
	global_load_dwordx4 v[2:5], v[16:17] off sc1	
s_waitcnt vmcnt(0)
	;;#ASMEND
	s_nop 0
	v_cmp_ne_u16_sdwa s[58:59], v4, v6 src0_sel:BYTE_0 src1_sel:DWORD
	s_or_b64 s[54:55], s[58:59], s[54:55]
	s_andn2_b64 exec, exec, s[54:55]
	s_cbranch_execnz .LBB263_73
; %bb.74:
	s_or_b64 exec, exec, s[54:55]
.LBB263_75:
	s_or_b64 exec, exec, s[0:1]
	v_mov_b32_e32 v23, 2
	v_cmp_eq_u16_sdwa s[0:1], v4, v23 src0_sel:BYTE_0 src1_sel:DWORD
	v_lshlrev_b64 v[16:17], v15, -1
	v_and_b32_e32 v24, 63, v15
	v_and_b32_e32 v5, s1, v17
	v_or_b32_e32 v5, 0x80000000, v5
	v_cmp_ne_u32_e32 vcc, 63, v24
	v_and_b32_e32 v6, s0, v16
	v_ffbl_b32_e32 v5, v5
	v_addc_co_u32_e32 v7, vcc, 0, v15, vcc
	v_add_u32_e32 v5, 32, v5
	v_ffbl_b32_e32 v6, v6
	v_lshlrev_b32_e32 v25, 2, v7
	v_min_u32_e32 v5, v6, v5
	ds_bpermute_b32 v6, v25, v3
	v_cmp_eq_u32_e32 vcc, 0, v2
	v_cmp_lt_u32_e64 s[0:1], v24, v5
	ds_bpermute_b32 v7, v25, v2
	s_and_b64 vcc, s[0:1], vcc
	s_waitcnt lgkmcnt(1)
	v_cndmask_b32_e32 v6, 0, v6, vcc
	v_cmp_gt_u32_e32 vcc, 62, v24
	v_add_u32_e32 v3, v6, v3
	s_waitcnt lgkmcnt(0)
	v_cndmask_b32_e64 v7, 0, v7, s[0:1]
	v_cndmask_b32_e64 v6, 0, 1, vcc
	v_lshlrev_b32_e32 v6, 1, v6
	v_add_lshl_u32 v26, v6, v15, 2
	ds_bpermute_b32 v6, v26, v3
	v_add_u32_e32 v2, v7, v2
	ds_bpermute_b32 v7, v26, v2
	v_add_u32_e32 v27, 2, v24
	v_cmp_eq_u32_e32 vcc, 0, v2
	v_add_u32_e32 v29, 4, v24
	v_add_u32_e32 v31, 8, v24
	s_waitcnt lgkmcnt(1)
	v_cndmask_b32_e32 v6, 0, v6, vcc
	v_cmp_gt_u32_e32 vcc, v27, v5
	v_add_u32_e32 v33, 16, v24
	v_add_u32_e32 v35, 32, v24
	v_cndmask_b32_e64 v6, v6, 0, vcc
	v_add_u32_e32 v3, v6, v3
	s_waitcnt lgkmcnt(0)
	v_cndmask_b32_e64 v6, v7, 0, vcc
	v_cmp_gt_u32_e32 vcc, 60, v24
	v_add_u32_e32 v2, v2, v6
	s_nop 0
	v_cndmask_b32_e64 v7, 0, 1, vcc
	v_lshlrev_b32_e32 v7, 2, v7
	v_add_lshl_u32 v28, v7, v15, 2
	ds_bpermute_b32 v7, v28, v3
	ds_bpermute_b32 v6, v28, v2
	v_cmp_eq_u32_e32 vcc, 0, v2
	s_waitcnt lgkmcnt(1)
	s_nop 0
	v_cndmask_b32_e32 v7, 0, v7, vcc
	v_cmp_gt_u32_e32 vcc, v29, v5
	s_nop 1
	v_cndmask_b32_e64 v7, v7, 0, vcc
	s_waitcnt lgkmcnt(0)
	v_cndmask_b32_e64 v6, v6, 0, vcc
	v_cmp_gt_u32_e32 vcc, 56, v24
	v_add_u32_e32 v3, v3, v7
	v_add_u32_e32 v2, v2, v6
	v_cndmask_b32_e64 v7, 0, 1, vcc
	v_lshlrev_b32_e32 v7, 3, v7
	v_add_lshl_u32 v30, v7, v15, 2
	ds_bpermute_b32 v7, v30, v3
	ds_bpermute_b32 v6, v30, v2
	v_cmp_eq_u32_e32 vcc, 0, v2
	s_waitcnt lgkmcnt(1)
	s_nop 0
	v_cndmask_b32_e32 v7, 0, v7, vcc
	v_cmp_gt_u32_e32 vcc, v31, v5
	s_nop 1
	v_cndmask_b32_e64 v7, v7, 0, vcc
	s_waitcnt lgkmcnt(0)
	v_cndmask_b32_e64 v6, v6, 0, vcc
	v_cmp_gt_u32_e32 vcc, 48, v24
	v_add_u32_e32 v3, v3, v7
	v_add_u32_e32 v2, v2, v6
	;; [unrolled: 17-line block ×3, first 2 shown]
	v_cndmask_b32_e64 v7, 0, 1, vcc
	v_lshlrev_b32_e32 v7, 5, v7
	v_add_lshl_u32 v34, v7, v15, 2
	ds_bpermute_b32 v7, v34, v3
	ds_bpermute_b32 v6, v34, v2
	v_cmp_eq_u32_e32 vcc, 0, v2
	v_mov_b32_e32 v15, 0
	s_waitcnt lgkmcnt(1)
	v_cndmask_b32_e32 v7, 0, v7, vcc
	v_cmp_gt_u32_e32 vcc, v35, v5
	s_nop 1
	v_cndmask_b32_e64 v5, v7, 0, vcc
	v_add_u32_e32 v3, v5, v3
	s_waitcnt lgkmcnt(0)
	v_cndmask_b32_e64 v5, v6, 0, vcc
	v_add_u32_e32 v2, v5, v2
	s_branch .LBB263_77
.LBB263_76:                             ;   in Loop: Header=BB263_77 Depth=1
	s_or_b64 exec, exec, s[0:1]
	v_cmp_eq_u16_sdwa s[0:1], v4, v23 src0_sel:BYTE_0 src1_sel:DWORD
	v_cmp_eq_u32_e32 vcc, 0, v2
	ds_bpermute_b32 v19, v25, v2
	v_and_b32_e32 v5, s1, v17
	v_or_b32_e32 v5, 0x80000000, v5
	v_and_b32_e32 v18, s0, v16
	v_ffbl_b32_e32 v5, v5
	v_add_u32_e32 v5, 32, v5
	v_ffbl_b32_e32 v18, v18
	v_min_u32_e32 v5, v18, v5
	ds_bpermute_b32 v18, v25, v3
	v_cmp_lt_u32_e64 s[0:1], v24, v5
	s_and_b64 vcc, s[0:1], vcc
	v_subrev_u32_e32 v14, 64, v14
	s_waitcnt lgkmcnt(1)
	v_cndmask_b32_e64 v19, 0, v19, s[0:1]
	s_waitcnt lgkmcnt(0)
	v_cndmask_b32_e32 v18, 0, v18, vcc
	v_add_u32_e32 v3, v18, v3
	ds_bpermute_b32 v18, v26, v3
	v_add_u32_e32 v2, v19, v2
	v_cmp_eq_u32_e32 vcc, 0, v2
	ds_bpermute_b32 v19, v26, v2
	s_waitcnt lgkmcnt(1)
	v_cndmask_b32_e32 v18, 0, v18, vcc
	v_cmp_gt_u32_e32 vcc, v27, v5
	s_nop 1
	v_cndmask_b32_e64 v18, v18, 0, vcc
	v_add_u32_e32 v3, v18, v3
	ds_bpermute_b32 v18, v28, v3
	s_waitcnt lgkmcnt(1)
	v_cndmask_b32_e64 v19, v19, 0, vcc
	v_add_u32_e32 v2, v2, v19
	v_cmp_eq_u32_e32 vcc, 0, v2
	ds_bpermute_b32 v19, v28, v2
	s_waitcnt lgkmcnt(1)
	v_cndmask_b32_e32 v18, 0, v18, vcc
	v_cmp_gt_u32_e32 vcc, v29, v5
	s_nop 1
	v_cndmask_b32_e64 v18, v18, 0, vcc
	v_add_u32_e32 v3, v3, v18
	ds_bpermute_b32 v18, v30, v3
	s_waitcnt lgkmcnt(1)
	v_cndmask_b32_e64 v19, v19, 0, vcc
	v_add_u32_e32 v2, v2, v19
	ds_bpermute_b32 v19, v30, v2
	v_cmp_eq_u32_e32 vcc, 0, v2
	s_waitcnt lgkmcnt(1)
	s_nop 0
	v_cndmask_b32_e32 v18, 0, v18, vcc
	v_cmp_gt_u32_e32 vcc, v31, v5
	s_nop 1
	v_cndmask_b32_e64 v18, v18, 0, vcc
	v_add_u32_e32 v3, v3, v18
	ds_bpermute_b32 v18, v32, v3
	s_waitcnt lgkmcnt(1)
	v_cndmask_b32_e64 v19, v19, 0, vcc
	v_add_u32_e32 v2, v2, v19
	ds_bpermute_b32 v19, v32, v2
	v_cmp_eq_u32_e32 vcc, 0, v2
	s_waitcnt lgkmcnt(1)
	s_nop 0
	;; [unrolled: 13-line block ×3, first 2 shown]
	v_cndmask_b32_e32 v18, 0, v18, vcc
	v_cmp_gt_u32_e32 vcc, v35, v5
	s_nop 1
	v_cndmask_b32_e64 v5, v18, 0, vcc
	v_add_u32_e32 v3, v5, v3
	s_waitcnt lgkmcnt(0)
	v_cndmask_b32_e64 v5, v19, 0, vcc
	v_cmp_eq_u32_e32 vcc, 0, v6
	v_add3_u32 v2, v2, v6, v5
	s_nop 0
	v_cndmask_b32_e32 v3, 0, v3, vcc
	v_add_u32_e32 v3, v3, v7
.LBB263_77:                             ; =>This Loop Header: Depth=1
                                        ;     Child Loop BB263_80 Depth 2
	v_cmp_ne_u16_sdwa s[0:1], v4, v23 src0_sel:BYTE_0 src1_sel:DWORD
	v_mov_b32_e32 v7, v3
	v_mov_b32_e32 v6, v2
	v_cndmask_b32_e64 v3, 0, 1, s[0:1]
	;;#ASMSTART
	;;#ASMEND
	s_nop 0
	v_cmp_ne_u32_e32 vcc, 0, v3
	s_cmp_lg_u64 vcc, exec
	s_cbranch_scc1 .LBB263_82
; %bb.78:                               ;   in Loop: Header=BB263_77 Depth=1
	v_lshl_add_u64 v[18:19], v[14:15], 4, s[36:37]
	;;#ASMSTART
	global_load_dwordx4 v[2:5], v[18:19] off sc1	
s_waitcnt vmcnt(0)
	;;#ASMEND
	s_nop 0
	v_and_b32_e32 v5, 0xff, v3
	v_and_b32_e32 v36, 0xff00, v3
	v_or3_b32 v2, v2, 0, 0
	v_and_b32_e32 v37, 0xff000000, v3
	v_or3_b32 v5, 0, v5, v36
	;; [unrolled: 2-line block ×3, first 2 shown]
	v_or3_b32 v2, v2, 0, 0
	v_cmp_eq_u16_sdwa s[54:55], v4, v15 src0_sel:BYTE_0 src1_sel:DWORD
	s_and_saveexec_b64 s[0:1], s[54:55]
	s_cbranch_execz .LBB263_76
; %bb.79:                               ;   in Loop: Header=BB263_77 Depth=1
	s_mov_b64 s[54:55], 0
.LBB263_80:                             ;   Parent Loop BB263_77 Depth=1
                                        ; =>  This Inner Loop Header: Depth=2
	;;#ASMSTART
	global_load_dwordx4 v[2:5], v[18:19] off sc1	
s_waitcnt vmcnt(0)
	;;#ASMEND
	s_nop 0
	v_cmp_ne_u16_sdwa s[58:59], v4, v15 src0_sel:BYTE_0 src1_sel:DWORD
	s_or_b64 s[54:55], s[58:59], s[54:55]
	s_andn2_b64 exec, exec, s[54:55]
	s_cbranch_execnz .LBB263_80
; %bb.81:                               ;   in Loop: Header=BB263_77 Depth=1
	s_or_b64 exec, exec, s[54:55]
	s_branch .LBB263_76
.LBB263_82:                             ;   in Loop: Header=BB263_77 Depth=1
                                        ; implicit-def: $vgpr3
                                        ; implicit-def: $vgpr2
                                        ; implicit-def: $vgpr4
	s_cbranch_execz .LBB263_77
; %bb.83:
	s_and_saveexec_b64 s[0:1], s[28:29]
	s_cbranch_execz .LBB263_85
; %bb.84:
	s_cmp_eq_u32 s56, 0
	s_cselect_b64 vcc, -1, 0
	s_mov_b32 s55, 0
	v_cndmask_b32_e32 v2, 0, v7, vcc
	s_add_i32 s54, s60, 64
	v_add_u32_e32 v2, s57, v2
	s_lshl_b64 s[54:55], s[54:55], 4
	s_add_u32 s54, s36, s54
	v_and_b32_e32 v3, 0xff000000, v2
	v_and_b32_e32 v4, 0xff0000, v2
	s_addc_u32 s55, s37, s55
	v_or_b32_e32 v3, v4, v3
	v_and_b32_e32 v4, 0xff00, v2
	v_and_b32_e32 v2, 0xff, v2
	v_add_u32_e32 v14, s56, v6
	v_mov_b32_e32 v17, 0
	v_or3_b32 v15, v3, v4, v2
	v_mov_b32_e32 v16, 2
	v_mov_b64_e32 v[2:3], s[54:55]
	;;#ASMSTART
	global_store_dwordx4 v[2:3], v[14:17] off sc1	
s_waitcnt vmcnt(0)
	;;#ASMEND
	v_mov_b32_e32 v4, s56
	v_mov_b32_e32 v5, s57
	ds_write_b128 v17, v[4:7] offset:1024
.LBB263_85:
	s_or_b64 exec, exec, s[0:1]
	s_and_b64 exec, exec, s[34:35]
	s_cbranch_execz .LBB263_87
; %bb.86:
	v_mov_b32_e32 v2, 0
	ds_write_b64 v2, v[6:7] offset:1096
.LBB263_87:
	s_or_b64 exec, exec, s[52:53]
	v_mov_b32_e32 v4, 0
	s_waitcnt lgkmcnt(0)
	s_barrier
	ds_read_b64 v[2:3], v4 offset:1096
	v_cndmask_b32_e64 v6, v20, v12, s[28:29]
	v_cmp_eq_u32_e32 vcc, 0, v6
	v_cndmask_b32_e64 v5, v22, v13, s[28:29]
	s_waitcnt lgkmcnt(0)
	v_cndmask_b32_e32 v7, 0, v3, vcc
	v_add_u32_e32 v5, v7, v5
	v_cndmask_b32_e64 v51, v5, v3, s[34:35]
	v_cndmask_b32_e64 v3, v6, 0, s[34:35]
	v_cmp_eq_u32_e32 vcc, 0, v79
	v_add_u32_e32 v50, v2, v3
	v_add_u32_e32 v48, v50, v79
	v_cndmask_b32_e32 v2, 0, v51, vcc
	v_add_u32_e32 v49, v2, v52
	v_cndmask_b32_e64 v2, 0, v49, s[26:27]
	v_add_u32_e32 v47, v2, v52
	v_cndmask_b32_e64 v2, 0, v47, s[24:25]
	;; [unrolled: 2-line block ×7, first 2 shown]
	v_add_u32_e32 v35, v2, v52
	v_add_u32_e32 v46, v48, v78
	v_cndmask_b32_e64 v2, 0, v35, s[12:13]
	v_add_u32_e32 v44, v46, v77
	v_add_u32_e32 v33, v2, v52
	v_add_u32_e32 v42, v44, v76
	v_cndmask_b32_e64 v2, 0, v33, s[10:11]
	v_add_u32_e32 v40, v42, v75
	;; [unrolled: 4-line block ×3, first 2 shown]
	v_add_u32_e32 v29, v2, v52
	s_barrier
	ds_read_b128 v[16:19], v4 offset:1024
	v_add_u32_e32 v34, v36, v73
	v_cndmask_b32_e64 v2, 0, v29, s[6:7]
	v_add_u32_e32 v32, v34, v72
	v_add_u32_e32 v27, v2, v52
	;; [unrolled: 1-line block ×3, first 2 shown]
	v_cndmask_b32_e64 v2, 0, v27, s[4:5]
	v_add_u32_e32 v28, v30, v70
	v_add_u32_e32 v23, v2, v52
	;; [unrolled: 1-line block ×3, first 2 shown]
	v_cndmask_b32_e64 v2, 0, v23, s[2:3]
	s_waitcnt lgkmcnt(0)
	v_cmp_eq_u32_e32 vcc, 0, v16
	v_add_u32_e32 v22, v26, v67
	v_add_u32_e32 v25, v2, v52
	v_cndmask_b32_e32 v2, 0, v19, vcc
	v_add_u32_e32 v24, v22, v65
	v_add_u32_e32 v20, v2, v17
	s_branch .LBB263_100
.LBB263_88:
                                        ; implicit-def: $vgpr16
                                        ; implicit-def: $vgpr20
                                        ; implicit-def: $vgpr24_vgpr25
                                        ; implicit-def: $vgpr22_vgpr23
                                        ; implicit-def: $vgpr26_vgpr27
                                        ; implicit-def: $vgpr28_vgpr29
                                        ; implicit-def: $vgpr50_vgpr51
                                        ; implicit-def: $vgpr48_vgpr49
                                        ; implicit-def: $vgpr46_vgpr47
                                        ; implicit-def: $vgpr44_vgpr45
                                        ; implicit-def: $vgpr42_vgpr43
                                        ; implicit-def: $vgpr40_vgpr41
                                        ; implicit-def: $vgpr38_vgpr39
                                        ; implicit-def: $vgpr36_vgpr37
                                        ; implicit-def: $vgpr34_vgpr35
                                        ; implicit-def: $vgpr32_vgpr33
                                        ; implicit-def: $vgpr30_vgpr31
	s_cbranch_execz .LBB263_100
; %bb.89:
	s_and_b64 s[0:1], s[38:39], exec
	s_cselect_b32 s1, 0, s51
	s_cselect_b32 s0, 0, s50
	s_cmp_eq_u64 s[0:1], 0
	v_mov_b32_e32 v6, v52
	s_cbranch_scc1 .LBB263_91
; %bb.90:
	v_mov_b32_e32 v2, 0
	global_load_dword v6, v2, s[0:1]
.LBB263_91:
	v_cmp_eq_u32_e64 s[2:3], 0, v78
	v_cmp_eq_u32_e64 s[4:5], 0, v77
	v_cmp_eq_u32_e64 s[6:7], 0, v76
	v_cndmask_b32_e64 v2, 0, v52, s[2:3]
	v_add_u32_e32 v2, v2, v52
	v_cndmask_b32_e64 v2, 0, v2, s[4:5]
	v_add_u32_e32 v2, v2, v52
	v_cndmask_b32_e64 v2, 0, v2, s[6:7]
	v_add_u32_e32 v2, v2, v52
	v_cmp_eq_u32_e64 s[8:9], 0, v75
	v_cmp_eq_u32_e64 s[10:11], 0, v74
	v_cmp_eq_u32_e64 s[12:13], 0, v21
	v_cndmask_b32_e64 v2, 0, v2, s[8:9]
	v_add_u32_e32 v2, v2, v52
	v_cndmask_b32_e64 v2, 0, v2, s[10:11]
	v_add_u32_e32 v2, v2, v52
	v_cndmask_b32_e64 v2, 0, v2, s[12:13]
	v_add_u32_e32 v2, v2, v52
	v_cmp_eq_u32_e64 s[14:15], 0, v73
	v_cmp_eq_u32_e64 s[16:17], 0, v72
	v_cmp_eq_u32_e64 s[18:19], 0, v71
	v_cndmask_b32_e64 v2, 0, v2, s[14:15]
	v_add_u32_e32 v2, v2, v52
	v_cndmask_b32_e64 v2, 0, v2, s[16:17]
	v_add_u32_e32 v2, v2, v52
	v_cndmask_b32_e64 v2, 0, v2, s[18:19]
	v_add_u32_e32 v2, v2, v52
	v_cmp_eq_u32_e64 s[20:21], 0, v70
	v_cmp_eq_u32_e64 s[22:23], 0, v69
	;; [unrolled: 1-line block ×3, first 2 shown]
	v_cndmask_b32_e64 v2, 0, v2, s[20:21]
	v_add_u32_e32 v2, v2, v52
	v_cndmask_b32_e64 v2, 0, v2, s[22:23]
	v_add_u32_e32 v2, v2, v52
	v_cndmask_b32_e64 v2, 0, v2, s[24:25]
	v_add3_u32 v3, v81, v74, v21
	v_add_u32_e32 v2, v2, v52
	v_cmp_eq_u32_e32 vcc, 0, v65
	v_add3_u32 v3, v3, v73, v72
	v_add3_u32 v3, v3, v71, v70
	v_cndmask_b32_e32 v2, 0, v2, vcc
	v_add_u32_e32 v2, v2, v52
	v_cmp_eq_u32_e64 s[0:1], 0, v63
	v_add3_u32 v3, v3, v69, v67
	v_add3_u32 v3, v3, v65, v63
	v_cndmask_b32_e64 v2, 0, v2, s[0:1]
	v_add_u32_e32 v2, v2, v53
	v_mbcnt_hi_u32_b32 v7, -1, v80
	v_and_b32_e32 v4, 15, v7
	v_mov_b32_dpp v12, v2 row_shr:1 row_mask:0xf bank_mask:0xf
	v_cmp_eq_u32_e64 s[0:1], 0, v3
	v_mov_b32_dpp v5, v3 row_shr:1 row_mask:0xf bank_mask:0xf
	v_cmp_lt_u32_e64 s[26:27], 1, v4
	v_cndmask_b32_e64 v12, 0, v12, s[0:1]
	v_cmp_eq_u32_e64 s[0:1], 0, v4
	s_nop 1
	v_cndmask_b32_e64 v5, v5, 0, s[0:1]
	v_add_u32_e32 v3, v5, v3
	v_cndmask_b32_e64 v5, v12, 0, s[0:1]
	v_add_u32_e32 v2, v5, v2
	v_cmp_eq_u32_e64 s[0:1], 0, v3
	v_mov_b32_dpp v5, v3 row_shr:2 row_mask:0xf bank_mask:0xf
	v_mov_b32_dpp v12, v2 row_shr:2 row_mask:0xf bank_mask:0xf
	v_cndmask_b32_e64 v5, 0, v5, s[26:27]
	s_and_b64 s[0:1], s[26:27], s[0:1]
	v_cndmask_b32_e64 v12, 0, v12, s[0:1]
	v_add_u32_e32 v3, v3, v5
	v_add_u32_e32 v2, v12, v2
	v_cmp_eq_u32_e64 s[0:1], 0, v3
	v_mov_b32_dpp v5, v3 row_shr:4 row_mask:0xf bank_mask:0xf
	v_cmp_lt_u32_e64 s[26:27], 3, v4
	v_mov_b32_dpp v12, v2 row_shr:4 row_mask:0xf bank_mask:0xf
	s_and_b64 s[0:1], s[26:27], s[0:1]
	v_cndmask_b32_e64 v5, 0, v5, s[26:27]
	v_cndmask_b32_e64 v12, 0, v12, s[0:1]
	v_add_u32_e32 v3, v5, v3
	v_add_u32_e32 v2, v2, v12
	v_cmp_eq_u32_e64 s[0:1], 0, v3
	v_cmp_lt_u32_e64 s[26:27], 7, v4
	v_mov_b32_dpp v5, v3 row_shr:8 row_mask:0xf bank_mask:0xf
	v_mov_b32_dpp v12, v2 row_shr:8 row_mask:0xf bank_mask:0xf
	s_and_b64 s[0:1], s[26:27], s[0:1]
	v_cndmask_b32_e64 v4, 0, v5, s[26:27]
	v_cndmask_b32_e64 v5, 0, v12, s[0:1]
	v_add_u32_e32 v2, v5, v2
	v_add_u32_e32 v3, v4, v3
	v_bfe_i32 v12, v7, 4, 1
	v_mov_b32_dpp v5, v2 row_bcast:15 row_mask:0xf bank_mask:0xf
	v_mov_b32_dpp v4, v3 row_bcast:15 row_mask:0xf bank_mask:0xf
	v_cmp_eq_u32_e64 s[0:1], 0, v3
	v_and_b32_e32 v4, v12, v4
	v_add_u32_e32 v3, v4, v3
	v_cndmask_b32_e64 v5, 0, v5, s[0:1]
	v_and_b32_e32 v4, v12, v5
	v_add_u32_e32 v4, v4, v2
	v_mov_b32_dpp v2, v3 row_bcast:31 row_mask:0xf bank_mask:0xf
	v_cmp_eq_u32_e64 s[0:1], 0, v3
	v_cmp_lt_u32_e64 s[26:27], 31, v7
	v_mov_b32_dpp v5, v4 row_bcast:31 row_mask:0xf bank_mask:0xf
	s_and_b64 s[0:1], s[26:27], s[0:1]
	v_cndmask_b32_e64 v2, 0, v2, s[26:27]
	v_add_u32_e32 v2, v2, v3
	v_cndmask_b32_e64 v3, 0, v5, s[0:1]
	v_add_u32_e32 v3, v3, v4
	v_cmp_eq_u32_e64 s[0:1], v55, v0
	v_lshlrev_b32_e32 v5, 3, v54
	s_and_saveexec_b64 s[26:27], s[0:1]
	s_cbranch_execz .LBB263_93
; %bb.92:
	ds_write_b64 v5, v[2:3] offset:1040
.LBB263_93:
	s_or_b64 exec, exec, s[26:27]
	v_cmp_gt_u32_e64 s[0:1], 8, v0
	s_waitcnt lgkmcnt(0)
	s_barrier
	s_and_saveexec_b64 s[28:29], s[0:1]
	s_cbranch_execz .LBB263_95
; %bb.94:
	v_lshlrev_b32_e32 v4, 3, v0
	ds_read_b64 v[12:13], v4 offset:1040
	v_and_b32_e32 v14, 7, v7
	v_cmp_lt_u32_e64 s[26:27], 1, v14
	s_waitcnt lgkmcnt(0)
	v_mov_b32_dpp v16, v13 row_shr:1 row_mask:0xf bank_mask:0xf
	v_cmp_eq_u32_e64 s[0:1], 0, v12
	v_mov_b32_dpp v15, v12 row_shr:1 row_mask:0xf bank_mask:0xf
	s_nop 0
	v_cndmask_b32_e64 v16, 0, v16, s[0:1]
	v_cmp_eq_u32_e64 s[0:1], 0, v14
	s_nop 1
	v_cndmask_b32_e64 v15, v15, 0, s[0:1]
	v_add_u32_e32 v12, v15, v12
	v_cndmask_b32_e64 v15, v16, 0, s[0:1]
	v_add_u32_e32 v13, v15, v13
	v_cmp_eq_u32_e64 s[0:1], 0, v12
	v_mov_b32_dpp v15, v12 row_shr:2 row_mask:0xf bank_mask:0xf
	v_mov_b32_dpp v16, v13 row_shr:2 row_mask:0xf bank_mask:0xf
	v_cndmask_b32_e64 v15, 0, v15, s[26:27]
	s_and_b64 s[0:1], s[26:27], s[0:1]
	v_cndmask_b32_e64 v16, 0, v16, s[0:1]
	v_add_u32_e32 v12, v15, v12
	v_add_u32_e32 v13, v16, v13
	v_cmp_eq_u32_e64 s[0:1], 0, v12
	v_mov_b32_dpp v15, v12 row_shr:4 row_mask:0xf bank_mask:0xf
	v_cmp_lt_u32_e64 s[26:27], 3, v14
	v_mov_b32_dpp v16, v13 row_shr:4 row_mask:0xf bank_mask:0xf
	s_and_b64 s[0:1], s[26:27], s[0:1]
	v_cndmask_b32_e64 v14, 0, v15, s[26:27]
	v_add_u32_e32 v12, v14, v12
	v_cndmask_b32_e64 v14, 0, v16, s[0:1]
	v_add_u32_e32 v13, v14, v13
	ds_write_b64 v4, v[12:13] offset:1040
.LBB263_95:
	s_or_b64 exec, exec, s[28:29]
	v_cmp_lt_u32_e64 s[0:1], 63, v0
	v_mov_b32_e32 v12, 0
	v_mov_b32_e32 v4, 0
	s_waitcnt vmcnt(0)
	v_mov_b32_e32 v13, v6
	s_waitcnt lgkmcnt(0)
	s_barrier
	s_and_saveexec_b64 s[26:27], s[0:1]
	s_cbranch_execz .LBB263_97
; %bb.96:
	ds_read_b64 v[4:5], v5 offset:1032
	s_waitcnt lgkmcnt(0)
	v_cmp_eq_u32_e64 s[0:1], 0, v4
	s_nop 1
	v_cndmask_b32_e64 v13, 0, v6, s[0:1]
	v_add_u32_e32 v13, v13, v5
.LBB263_97:
	s_or_b64 exec, exec, s[26:27]
	v_cmp_eq_u32_e64 s[0:1], 0, v2
	v_add_u32_e32 v5, v4, v2
	v_and_b32_e32 v14, 64, v7
	v_cndmask_b32_e64 v2, 0, v13, s[0:1]
	v_add_u32_e32 v2, v2, v3
	v_add_u32_e32 v3, -1, v7
	v_cmp_lt_i32_e64 s[0:1], v3, v14
	ds_read_b64 v[16:17], v12 offset:1096
	s_nop 0
	v_cndmask_b32_e64 v3, v3, v7, s[0:1]
	v_lshlrev_b32_e32 v3, 2, v3
	ds_bpermute_b32 v2, v3, v2
	ds_bpermute_b32 v5, v3, v5
	v_cmp_eq_u32_e64 s[0:1], 0, v7
	s_waitcnt lgkmcnt(1)
	s_nop 0
	v_cndmask_b32_e64 v2, v2, v13, s[0:1]
	s_waitcnt lgkmcnt(0)
	v_cndmask_b32_e64 v3, v5, v4, s[0:1]
	v_cndmask_b32_e64 v51, v2, v6, s[34:35]
	v_cmp_eq_u32_e64 s[0:1], 0, v79
	v_cndmask_b32_e64 v50, v3, 0, s[34:35]
	v_add_u32_e32 v48, v50, v79
	v_cndmask_b32_e64 v2, 0, v51, s[0:1]
	v_add_u32_e32 v49, v2, v52
	;; [unrolled: 2-line block ×9, first 2 shown]
	v_add_u32_e32 v46, v48, v78
	v_cndmask_b32_e64 v2, 0, v35, s[16:17]
	v_add_u32_e32 v44, v46, v77
	v_add_u32_e32 v33, v2, v52
	v_add_u32_e32 v42, v44, v76
	v_cndmask_b32_e64 v2, 0, v33, s[18:19]
	v_add_u32_e32 v40, v42, v75
	v_add_u32_e32 v31, v2, v52
	;; [unrolled: 4-line block ×5, first 2 shown]
	v_add_u32_e32 v26, v28, v69
	v_cndmask_b32_e32 v2, 0, v23, vcc
	v_cmp_eq_u32_e32 vcc, 0, v16
	v_add_u32_e32 v22, v26, v67
	v_add_u32_e32 v25, v2, v52
	v_cndmask_b32_e32 v2, 0, v6, vcc
	v_add_u32_e32 v24, v22, v65
	v_add_u32_e32 v20, v2, v17
	s_and_saveexec_b64 s[0:1], s[34:35]
	s_cbranch_execz .LBB263_99
; %bb.98:
	s_add_u32 s2, s36, 0x400
	v_and_b32_e32 v2, 0xff000000, v20
	v_and_b32_e32 v3, 0xff0000, v20
	s_addc_u32 s3, s37, 0
	v_or_b32_e32 v2, v3, v2
	v_and_b32_e32 v3, 0xff00, v20
	v_and_b32_e32 v4, 0xff, v20
	v_mov_b32_e32 v19, 0
	v_or3_b32 v17, v2, v3, v4
	v_mov_b32_e32 v18, 2
	v_mov_b64_e32 v[2:3], s[2:3]
	;;#ASMSTART
	global_store_dwordx4 v[2:3], v[16:19] off sc1	
s_waitcnt vmcnt(0)
	;;#ASMEND
.LBB263_99:
	s_or_b64 exec, exec, s[0:1]
	v_mov_b32_e32 v18, 0
.LBB263_100:
	s_and_b64 s[0:1], s[38:39], exec
	s_cselect_b32 s1, 0, s31
	s_cselect_b32 s0, 0, s30
	s_cmp_eq_u64 s[0:1], 0
	v_mov_b64_e32 v[52:53], 0
	s_barrier
	s_cbranch_scc1 .LBB263_102
; %bb.101:
	v_mov_b32_e32 v2, 0
	global_load_dwordx2 v[52:53], v2, s[0:1]
.LBB263_102:
	s_waitcnt vmcnt(0)
	v_lshl_add_u64 v[2:3], s[44:45], 0, v[52:53]
	v_mov_b32_e32 v19, 0
	v_cmp_eq_u32_e32 vcc, 0, v79
	v_lshl_add_u64 v[54:55], v[2:3], 0, v[18:19]
	s_movk_i32 s0, 0x200
	v_cndmask_b32_e64 v2, 1, 2, vcc
	v_cmp_eq_u32_e32 vcc, 0, v78
	v_cmp_ne_u32_e64 s[30:31], 0, v79
	v_cmp_ne_u32_e64 s[28:29], 0, v78
	v_cndmask_b32_e64 v3, 1, 2, vcc
	v_cmp_eq_u32_e32 vcc, 0, v77
	v_and_b32_e32 v2, v3, v2
	v_cmp_ne_u32_e64 s[26:27], 0, v77
	v_cndmask_b32_e64 v3, 1, 2, vcc
	v_cmp_eq_u32_e32 vcc, 0, v76
	v_and_b32_e32 v2, v2, v3
	v_cmp_ne_u32_e64 s[24:25], 0, v76
	v_cndmask_b32_e64 v3, 1, 2, vcc
	v_cmp_eq_u32_e32 vcc, 0, v75
	v_and_b32_e32 v2, v2, v3
	v_cmp_ne_u32_e64 s[22:23], 0, v75
	v_cndmask_b32_e64 v3, 1, 2, vcc
	v_cmp_eq_u32_e32 vcc, 0, v74
	v_and_b32_e32 v2, v2, v3
	v_cmp_ne_u32_e64 s[20:21], 0, v74
	v_cndmask_b32_e64 v3, 1, 2, vcc
	v_cmp_eq_u32_e32 vcc, 0, v21
	v_and_b32_e32 v2, v2, v3
	v_cmp_ne_u32_e64 s[18:19], 0, v21
	v_cndmask_b32_e64 v3, 1, 2, vcc
	v_cmp_eq_u32_e32 vcc, 0, v73
	v_and_b32_e32 v2, v2, v3
	v_cmp_ne_u32_e64 s[16:17], 0, v73
	v_cndmask_b32_e64 v3, 1, 2, vcc
	v_cmp_eq_u32_e32 vcc, 0, v72
	v_and_b32_e32 v2, v2, v3
	v_cmp_ne_u32_e64 s[14:15], 0, v72
	v_cndmask_b32_e64 v3, 1, 2, vcc
	v_cmp_eq_u32_e32 vcc, 0, v71
	v_and_b32_e32 v2, v2, v3
	v_cmp_ne_u32_e64 s[12:13], 0, v71
	v_cndmask_b32_e64 v3, 1, 2, vcc
	v_cmp_eq_u32_e32 vcc, 0, v70
	v_and_b32_e32 v2, v2, v3
	v_cmp_ne_u32_e64 s[10:11], 0, v70
	v_cndmask_b32_e64 v3, 1, 2, vcc
	v_cmp_eq_u32_e32 vcc, 0, v69
	v_and_b32_e32 v2, v2, v3
	v_cmp_ne_u32_e64 s[8:9], 0, v69
	v_cndmask_b32_e64 v3, 1, 2, vcc
	v_cmp_eq_u32_e32 vcc, 0, v67
	v_and_b32_e32 v2, v2, v3
	v_cmp_ne_u32_e64 s[6:7], 0, v67
	v_cndmask_b32_e64 v3, 1, 2, vcc
	v_cmp_eq_u32_e32 vcc, 0, v65
	v_and_b32_e32 v2, v2, v3
	v_cmp_ne_u32_e64 s[4:5], 0, v65
	v_cndmask_b32_e64 v3, 1, 2, vcc
	v_cmp_eq_u32_e32 vcc, 0, v63
	v_and_b32_e32 v2, v2, v3
	v_cmp_ne_u32_e64 s[2:3], 0, v63
	v_cndmask_b32_e64 v3, 1, 2, vcc
	v_and_b32_e32 v2, v2, v3
	v_cmp_gt_u32_e32 vcc, s0, v16
	s_mov_b64 s[36:37], -1
	v_cmp_gt_i16_e64 s[0:1], 2, v2
	s_cbranch_vccz .LBB263_109
; %bb.103:
	s_and_saveexec_b64 s[36:37], s[0:1]
	s_cbranch_execz .LBB263_108
; %bb.104:
	v_cmp_ne_u16_e32 vcc, 1, v2
	s_mov_b64 s[38:39], 0
	s_and_saveexec_b64 s[0:1], vcc
	s_xor_b64 s[0:1], exec, s[0:1]
	s_cbranch_execnz .LBB263_150
; %bb.105:
	s_andn2_saveexec_b64 s[0:1], s[0:1]
	s_cbranch_execnz .LBB263_166
.LBB263_106:
	s_or_b64 exec, exec, s[0:1]
	s_and_b64 exec, exec, s[38:39]
	s_cbranch_execz .LBB263_108
.LBB263_107:
	v_sub_u32_e32 v3, v24, v18
	v_readfirstlane_b32 s0, v54
	v_readfirstlane_b32 s1, v55
	s_nop 4
	global_store_byte v3, v1, s[0:1]
.LBB263_108:
	s_or_b64 exec, exec, s[36:37]
	s_mov_b64 s[36:37], 0
.LBB263_109:
	s_and_b64 vcc, exec, s[36:37]
	s_cbranch_vccz .LBB263_128
; %bb.110:
	v_cmp_gt_i16_e32 vcc, 2, v2
	s_and_saveexec_b64 s[0:1], vcc
	s_cbranch_execz .LBB263_115
; %bb.111:
	v_cmp_ne_u16_e32 vcc, 1, v2
	s_mov_b64 s[38:39], 0
	s_and_saveexec_b64 s[36:37], vcc
	s_xor_b64 s[36:37], exec, s[36:37]
	s_cbranch_execnz .LBB263_167
; %bb.112:
	s_andn2_saveexec_b64 s[2:3], s[36:37]
	s_cbranch_execnz .LBB263_183
.LBB263_113:
	s_or_b64 exec, exec, s[2:3]
	s_and_b64 exec, exec, s[38:39]
	s_cbranch_execz .LBB263_115
.LBB263_114:
	v_sub_u32_e32 v2, v24, v18
	ds_write_b8 v2, v1
.LBB263_115:
	s_or_b64 exec, exec, s[0:1]
	v_cmp_lt_u32_e32 vcc, v0, v16
	s_waitcnt lgkmcnt(0)
	s_barrier
	s_and_saveexec_b64 s[0:1], vcc
	s_cbranch_execz .LBB263_127
; %bb.116:
	v_xad_u32 v2, v0, -1, v16
	s_movk_i32 s2, 0xdff
	v_cmp_lt_u32_e32 vcc, s2, v2
	s_mov_b64 s[4:5], -1
	v_mov_b32_e32 v1, v0
	s_and_saveexec_b64 s[2:3], vcc
	s_cbranch_execz .LBB263_124
; %bb.117:
	v_lshrrev_b32_e32 v17, 9, v2
	v_or_b32_e32 v7, 0xe00, v0
	v_or_b32_e32 v6, 0xc00, v0
	;; [unrolled: 1-line block ×7, first 2 shown]
	v_add_u32_e32 v58, -7, v17
	v_mov_b64_e32 v[14:15], v[6:7]
	v_cmp_lt_u32_e32 vcc, 7, v58
	v_mov_b32_e32 v61, 0
	v_mov_b64_e32 v[12:13], v[4:5]
	v_mov_b64_e32 v[10:11], v[2:3]
	;; [unrolled: 1-line block ×3, first 2 shown]
	s_and_saveexec_b64 s[4:5], vcc
	s_cbranch_execz .LBB263_121
; %bb.118:
	v_lshrrev_b32_e32 v8, 3, v58
	v_add_u32_e32 v8, 1, v8
	v_and_b32_e32 v59, 0x3ffffffe, v8
	v_mov_b64_e32 v[14:15], v[6:7]
	s_mov_b32 s8, 0
	s_mov_b64 s[6:7], 0
	v_mov_b32_e32 v57, 0
	v_mov_b32_e32 v60, v0
	v_mov_b64_e32 v[12:13], v[4:5]
	v_mov_b64_e32 v[10:11], v[2:3]
	;; [unrolled: 1-line block ×3, first 2 shown]
.LBB263_119:                            ; =>This Inner Loop Header: Depth=1
	v_mov_b32_e32 v56, v8
	v_lshl_add_u64 v[88:89], v[54:55], 0, v[56:57]
	v_mov_b32_e32 v56, v9
	v_lshl_add_u64 v[90:91], v[54:55], 0, v[56:57]
	v_mov_b32_e32 v56, v10
	v_lshl_add_u64 v[92:93], v[54:55], 0, v[56:57]
	v_mov_b32_e32 v56, v11
	ds_read_u8 v1, v60
	ds_read_u8 v62, v60 offset:512
	ds_read_u8 v64, v60 offset:1024
	;; [unrolled: 1-line block ×7, first 2 shown]
	v_lshl_add_u64 v[94:95], v[54:55], 0, v[56:57]
	v_mov_b32_e32 v56, v12
	ds_read_u8 v101, v60 offset:4096
	ds_read_u8 v102, v60 offset:4608
	ds_read_u8 v103, v60 offset:5120
	ds_read_u8 v104, v60 offset:5632
	ds_read_u8 v105, v60 offset:6144
	ds_read_u8 v106, v60 offset:6656
	ds_read_u8 v107, v60 offset:7168
	ds_read_u8 v108, v60 offset:7680
	v_lshl_add_u64 v[96:97], v[54:55], 0, v[56:57]
	v_mov_b32_e32 v56, v13
	s_waitcnt lgkmcnt(14)
	global_store_byte v[88:89], v1, off
	global_store_byte v[90:91], v62, off
	s_waitcnt lgkmcnt(13)
	global_store_byte v[92:93], v64, off
	s_waitcnt lgkmcnt(12)
	global_store_byte v[94:95], v66, off
	v_lshl_add_u64 v[88:89], v[54:55], 0, v[56:57]
	v_mov_b32_e32 v56, v14
	v_add_u32_e32 v59, -2, v59
	v_lshl_add_u64 v[90:91], v[54:55], 0, v[56:57]
	v_mov_b32_e32 v56, v15
	s_add_i32 s8, s8, 16
	v_cmp_eq_u32_e32 vcc, 0, v59
	s_waitcnt lgkmcnt(11)
	global_store_byte v[96:97], v68, off
	s_waitcnt lgkmcnt(10)
	global_store_byte v[88:89], v98, off
	v_lshl_add_u64 v[88:89], v[54:55], 0, v[56:57]
	v_add_u32_e32 v56, 0x1000, v8
	v_add_u32_e32 v2, 0x1000, v15
	;; [unrolled: 1-line block ×8, first 2 shown]
	v_mov_b32_e32 v87, v57
	v_mov_b32_e32 v85, v57
	;; [unrolled: 1-line block ×7, first 2 shown]
	v_add_u32_e32 v60, 0x2000, v60
	v_add_u32_e32 v9, 0x2000, v9
	v_mov_b32_e32 v61, s8
	v_add_u32_e32 v10, 0x2000, v10
	s_or_b64 s[6:7], vcc, s[6:7]
	v_add_u32_e32 v11, 0x2000, v11
	v_add_u32_e32 v12, 0x2000, v12
	;; [unrolled: 1-line block ×5, first 2 shown]
	s_waitcnt lgkmcnt(9)
	global_store_byte v[90:91], v99, off
	v_add_u32_e32 v8, 0x2000, v8
	s_waitcnt lgkmcnt(8)
	global_store_byte v[88:89], v100, off
	v_lshl_add_u64 v[88:89], v[54:55], 0, v[56:57]
	v_lshl_add_u64 v[86:87], v[54:55], 0, v[86:87]
	;; [unrolled: 1-line block ×8, first 2 shown]
	s_waitcnt lgkmcnt(7)
	global_store_byte v[88:89], v101, off
	s_waitcnt lgkmcnt(6)
	global_store_byte v[86:87], v102, off
	;; [unrolled: 2-line block ×8, first 2 shown]
	s_andn2_b64 exec, exec, s[6:7]
	s_cbranch_execnz .LBB263_119
; %bb.120:
	s_or_b64 exec, exec, s[6:7]
.LBB263_121:
	s_or_b64 exec, exec, s[4:5]
	v_and_b32_e32 v1, 8, v58
	v_cmp_eq_u32_e32 vcc, 0, v1
	s_and_saveexec_b64 s[4:5], vcc
	s_cbranch_execz .LBB263_123
; %bb.122:
	v_mov_b32_e32 v3, 0
	v_mov_b32_e32 v2, v8
	v_lshl_add_u64 v[4:5], v[54:55], 0, v[2:3]
	v_mov_b32_e32 v2, v9
	v_lshl_or_b32 v1, v61, 9, v0
	v_lshl_add_u64 v[6:7], v[54:55], 0, v[2:3]
	v_mov_b32_e32 v2, v10
	ds_read_u8 v60, v1
	ds_read_u8 v61, v1 offset:512
	ds_read_u8 v62, v1 offset:1024
	;; [unrolled: 1-line block ×7, first 2 shown]
	v_lshl_add_u64 v[8:9], v[54:55], 0, v[2:3]
	v_mov_b32_e32 v2, v11
	v_lshl_add_u64 v[10:11], v[54:55], 0, v[2:3]
	v_mov_b32_e32 v2, v12
	;; [unrolled: 2-line block ×5, first 2 shown]
	v_lshl_add_u64 v[2:3], v[54:55], 0, v[2:3]
	s_waitcnt lgkmcnt(7)
	global_store_byte v[4:5], v60, off
	s_waitcnt lgkmcnt(6)
	global_store_byte v[6:7], v61, off
	;; [unrolled: 2-line block ×8, first 2 shown]
.LBB263_123:
	s_or_b64 exec, exec, s[4:5]
	v_add_u32_e32 v2, 1, v17
	v_and_b32_e32 v3, 0xfffff8, v2
	v_cmp_ne_u32_e32 vcc, v2, v3
	v_lshl_or_b32 v1, v3, 9, v0
	s_orn2_b64 s[4:5], vcc, exec
.LBB263_124:
	s_or_b64 exec, exec, s[2:3]
	s_and_b64 exec, exec, s[4:5]
	s_cbranch_execz .LBB263_127
; %bb.125:
	s_mov_b64 s[2:3], 0
.LBB263_126:                            ; =>This Inner Loop Header: Depth=1
	ds_read_u8 v2, v1
	v_readfirstlane_b32 s4, v54
	v_readfirstlane_b32 s5, v55
	s_waitcnt lgkmcnt(0)
	s_nop 3
	global_store_byte v1, v2, s[4:5]
	v_add_u32_e32 v1, 0x200, v1
	v_cmp_ge_u32_e32 vcc, v1, v16
	s_or_b64 s[2:3], vcc, s[2:3]
	s_andn2_b64 exec, exec, s[2:3]
	s_cbranch_execnz .LBB263_126
.LBB263_127:
	s_or_b64 exec, exec, s[0:1]
.LBB263_128:
	s_cmpk_lg_i32 s33, 0x1e00
	s_cselect_b64 s[0:1], -1, 0
	v_cndmask_b32_e64 v10, 0, 1, s[42:43]
	s_and_b64 s[0:1], s[0:1], s[40:41]
	v_sub_u32_e32 v1, v16, v10
	v_cndmask_b32_e64 v2, 0, 1, s[0:1]
	s_and_b64 s[0:1], s[34:35], s[42:43]
	v_add_u32_e32 v1, v1, v2
	v_cndmask_b32_e64 v2, v79, 0, s[0:1]
	s_mul_hi_u32 s0, s33, 0x88888889
	s_lshr_b32 s0, s0, 3
	v_mad_i32_i24 v3, v0, -15, s33
	v_cmp_eq_u32_e32 vcc, s0, v0
	v_cmp_ne_u32_e64 s[0:1], 0, v3
	s_and_b64 vcc, vcc, s[40:41]
	s_mov_b32 s2, 0
	v_cndmask_b32_e64 v4, 1, v2, s[0:1]
	v_cmp_ne_u32_e64 s[0:1], 1, v3
	s_movk_i32 s30, 0x200
	s_mov_b64 s[34:35], -1
	v_cndmask_b32_e64 v5, 1, v78, s[0:1]
	v_cmp_ne_u32_e64 s[0:1], 2, v3
	v_cndmask_b32_e32 v62, v78, v5, vcc
	v_cmp_ne_u32_e64 s[26:27], 0, v62
	v_cndmask_b32_e64 v6, 1, v77, s[0:1]
	v_cmp_ne_u32_e64 s[0:1], 3, v3
	v_cndmask_b32_e32 v61, v77, v6, vcc
	v_cmp_ne_u32_e64 s[24:25], 0, v61
	v_cndmask_b32_e64 v7, 1, v76, s[0:1]
	v_cmp_ne_u32_e64 s[0:1], 4, v3
	v_cndmask_b32_e32 v60, v76, v7, vcc
	v_lshlrev_b64 v[6:7], 3, v[18:19]
	v_cndmask_b32_e64 v8, 1, v75, s[0:1]
	v_cmp_ne_u32_e64 s[0:1], 5, v3
	v_cndmask_b32_e32 v59, v75, v8, vcc
	v_cmp_ne_u32_e64 s[22:23], 0, v60
	v_cndmask_b32_e64 v9, 1, v74, s[0:1]
	v_cmp_ne_u32_e64 s[0:1], 6, v3
	v_cndmask_b32_e32 v58, v74, v9, vcc
	v_cmp_ne_u32_e64 s[20:21], 0, v59
	v_cndmask_b32_e64 v11, 1, v21, s[0:1]
	v_cmp_ne_u32_e64 s[0:1], 7, v3
	v_cndmask_b32_e32 v21, v21, v11, vcc
	v_mov_b32_e32 v11, s2
	v_cndmask_b32_e64 v12, 1, v73, s[0:1]
	v_cmp_ne_u32_e64 s[0:1], 8, v3
	v_cndmask_b32_e32 v57, v73, v12, vcc
	v_lshl_add_u64 v[8:9], v[10:11], 0, -1
	v_cndmask_b32_e64 v13, 1, v72, s[0:1]
	v_cmp_ne_u32_e64 s[0:1], 9, v3
	v_cndmask_b32_e32 v13, v72, v13, vcc
	v_add_u32_e32 v12, v18, v10
	v_cndmask_b32_e64 v14, 1, v71, s[0:1]
	v_cmp_ne_u32_e64 s[0:1], 10, v3
	v_cndmask_b32_e32 v14, v71, v14, vcc
	v_cmp_ne_u32_e64 s[12:13], 0, v13
	v_cndmask_b32_e64 v15, 1, v70, s[0:1]
	v_cmp_ne_u32_e64 s[0:1], 11, v3
	v_cndmask_b32_e32 v15, v70, v15, vcc
	v_cmp_ne_u32_e64 s[18:19], 0, v58
	;; [unrolled: 4-line block ×5, first 2 shown]
	v_cndmask_b32_e64 v3, 1, v63, s[0:1]
	v_cndmask_b32_e32 v56, v63, v3, vcc
	v_cndmask_b32_e32 v63, v2, v4, vcc
	v_cmp_eq_u32_e32 vcc, 0, v63
	v_lshlrev_b64 v[4:5], 3, v[52:53]
	v_lshl_add_u64 v[2:3], s[46:47], 0, v[4:5]
	v_cndmask_b32_e64 v10, 1, 2, vcc
	v_cmp_eq_u32_e32 vcc, 0, v62
	v_lshl_add_u64 v[2:3], v[2:3], 0, v[6:7]
	v_cmp_ne_u32_e64 s[28:29], 0, v63
	v_cndmask_b32_e64 v11, 1, 2, vcc
	v_cmp_eq_u32_e32 vcc, 0, v61
	v_and_b32_e32 v10, v11, v10
	v_cmp_ne_u32_e64 s[8:9], 0, v15
	v_cndmask_b32_e64 v11, 1, 2, vcc
	v_cmp_eq_u32_e32 vcc, 0, v60
	v_and_b32_e32 v10, v10, v11
	;; [unrolled: 4-line block ×6, first 2 shown]
	s_nop 0
	v_cndmask_b32_e64 v11, 1, 2, vcc
	v_cmp_eq_u32_e32 vcc, 0, v13
	v_and_b32_e32 v10, v10, v11
	s_barrier
	v_cndmask_b32_e64 v11, 1, 2, vcc
	v_cmp_eq_u32_e32 vcc, 0, v14
	v_and_b32_e32 v10, v10, v11
	s_nop 0
	v_cndmask_b32_e64 v11, 1, 2, vcc
	v_cmp_eq_u32_e32 vcc, 0, v15
	v_and_b32_e32 v10, v10, v11
	s_nop 0
	;; [unrolled: 4-line block ×6, first 2 shown]
	v_cndmask_b32_e64 v11, 1, 2, vcc
	v_and_b32_e32 v13, v10, v11
	v_cmp_gt_u32_e32 vcc, s30, v1
	v_cmp_gt_i16_e64 s[30:31], 2, v13
	s_cbranch_vccz .LBB263_135
; %bb.129:
	s_and_saveexec_b64 s[34:35], s[30:31]
	s_cbranch_execz .LBB263_134
; %bb.130:
	v_lshlrev_b64 v[10:11], 3, v[8:9]
	v_lshl_add_u64 v[10:11], v[2:3], 0, v[10:11]
	v_cmp_ne_u16_e32 vcc, 1, v13
	s_mov_b64 s[36:37], 0
	s_and_saveexec_b64 s[30:31], vcc
	s_xor_b64 s[30:31], exec, s[30:31]
	s_cbranch_execnz .LBB263_184
; %bb.131:
	s_andn2_saveexec_b64 s[30:31], s[30:31]
	s_cbranch_execnz .LBB263_200
.LBB263_132:
	s_or_b64 exec, exec, s[30:31]
	s_and_b64 exec, exec, s[36:37]
	s_cbranch_execz .LBB263_134
.LBB263_133:
	v_mov_b32_e32 v15, 0
	v_sub_u32_e32 v54, v24, v12
	v_mov_b32_e32 v55, v15
	v_mov_b32_e32 v14, v25
	v_lshl_add_u64 v[10:11], v[54:55], 3, v[10:11]
	global_store_dwordx2 v[10:11], v[14:15], off
.LBB263_134:
	s_or_b64 exec, exec, s[34:35]
	s_mov_b64 s[34:35], 0
.LBB263_135:
	s_and_b64 vcc, exec, s[34:35]
	s_cbranch_vccz .LBB263_145
; %bb.136:
	v_cmp_gt_i16_e32 vcc, 2, v13
	s_and_saveexec_b64 s[30:31], vcc
	s_cbranch_execz .LBB263_141
; %bb.137:
	v_cmp_ne_u16_e32 vcc, 1, v13
	s_mov_b64 s[36:37], 0
	s_and_saveexec_b64 s[34:35], vcc
	s_xor_b64 s[34:35], exec, s[34:35]
	s_cbranch_execnz .LBB263_201
; %bb.138:
	s_andn2_saveexec_b64 s[0:1], s[34:35]
	s_cbranch_execnz .LBB263_217
.LBB263_139:
	s_or_b64 exec, exec, s[0:1]
	s_and_b64 exec, exec, s[36:37]
	s_cbranch_execz .LBB263_141
.LBB263_140:
	v_sub_u32_e32 v10, v24, v12
	v_lshlrev_b32_e32 v10, 2, v10
	ds_write_b32 v10, v25
.LBB263_141:
	s_or_b64 exec, exec, s[30:31]
	v_cmp_lt_u32_e32 vcc, v0, v1
	s_waitcnt lgkmcnt(0)
	s_barrier
	s_and_saveexec_b64 s[0:1], vcc
	s_cbranch_execz .LBB263_144
; %bb.142:
	v_lshlrev_b64 v[8:9], 3, v[8:9]
	v_lshl_add_u64 v[4:5], v[4:5], 0, v[8:9]
	v_lshl_add_u64 v[6:7], v[4:5], 0, v[6:7]
	v_lshlrev_b32_e32 v4, 3, v0
	v_mov_b32_e32 v5, 0
	v_lshl_add_u64 v[6:7], s[46:47], 0, v[6:7]
	v_lshlrev_b32_e32 v10, 2, v0
	v_lshl_add_u64 v[6:7], v[6:7], 0, v[4:5]
	s_mov_b64 s[2:3], 0
	s_mov_b64 s[4:5], 0x1000
	v_mov_b32_e32 v8, v0
.LBB263_143:                            ; =>This Inner Loop Header: Depth=1
	ds_read_b32 v4, v10
	v_add_u32_e32 v8, 0x200, v8
	v_cmp_ge_u32_e32 vcc, v8, v1
	v_add_u32_e32 v10, 0x800, v10
	s_or_b64 s[2:3], vcc, s[2:3]
	s_waitcnt lgkmcnt(0)
	global_store_dwordx2 v[6:7], v[4:5], off
	v_lshl_add_u64 v[6:7], v[6:7], 0, s[4:5]
	s_andn2_b64 exec, exec, s[2:3]
	s_cbranch_execnz .LBB263_143
.LBB263_144:
	s_or_b64 exec, exec, s[0:1]
.LBB263_145:
	s_movk_i32 s0, 0x1ff
	v_cmp_eq_u32_e32 vcc, s0, v0
	s_and_b64 s[0:1], vcc, s[40:41]
	s_and_saveexec_b64 s[2:3], s[0:1]
	s_cbranch_execz .LBB263_148
; %bb.146:
	v_mov_b32_e32 v17, 0
	v_lshl_add_u64 v[0:1], v[16:17], 0, v[18:19]
	v_lshl_add_u64 v[0:1], v[0:1], 0, v[52:53]
	s_cmpk_lg_i32 s33, 0x1e00
	global_store_dwordx2 v17, v[0:1], s[48:49]
	s_cbranch_scc1 .LBB263_148
; %bb.147:
	v_lshlrev_b64 v[0:1], 3, v[16:17]
	v_mov_b32_e32 v21, v17
	v_lshl_add_u64 v[0:1], v[2:3], 0, v[0:1]
	global_store_dwordx2 v[0:1], v[20:21], off offset:-8
.LBB263_148:
	s_endpgm
.LBB263_149:
	s_or_b64 exec, exec, s[8:9]
	v_mov_b32_e32 v79, s12
	s_and_saveexec_b64 s[0:1], s[4:5]
	s_cbranch_execnz .LBB263_60
	s_branch .LBB263_61
.LBB263_150:
	s_and_saveexec_b64 s[38:39], s[30:31]
	s_cbranch_execnz .LBB263_218
; %bb.151:
	s_or_b64 exec, exec, s[38:39]
	s_and_saveexec_b64 s[38:39], s[28:29]
	s_cbranch_execnz .LBB263_219
.LBB263_152:
	s_or_b64 exec, exec, s[38:39]
	s_and_saveexec_b64 s[38:39], s[26:27]
	s_cbranch_execnz .LBB263_220
.LBB263_153:
	s_or_b64 exec, exec, s[38:39]
	s_and_saveexec_b64 s[38:39], s[24:25]
	s_cbranch_execnz .LBB263_221
.LBB263_154:
	s_or_b64 exec, exec, s[38:39]
	s_and_saveexec_b64 s[38:39], s[22:23]
	s_cbranch_execnz .LBB263_222
.LBB263_155:
	s_or_b64 exec, exec, s[38:39]
	s_and_saveexec_b64 s[38:39], s[20:21]
	s_cbranch_execnz .LBB263_223
.LBB263_156:
	s_or_b64 exec, exec, s[38:39]
	s_and_saveexec_b64 s[38:39], s[18:19]
	s_cbranch_execnz .LBB263_224
.LBB263_157:
	s_or_b64 exec, exec, s[38:39]
	s_and_saveexec_b64 s[38:39], s[16:17]
	s_cbranch_execnz .LBB263_225
.LBB263_158:
	s_or_b64 exec, exec, s[38:39]
	s_and_saveexec_b64 s[38:39], s[14:15]
	s_cbranch_execnz .LBB263_226
.LBB263_159:
	s_or_b64 exec, exec, s[38:39]
	s_and_saveexec_b64 s[38:39], s[12:13]
	s_cbranch_execnz .LBB263_227
.LBB263_160:
	s_or_b64 exec, exec, s[38:39]
	s_and_saveexec_b64 s[38:39], s[10:11]
	s_cbranch_execnz .LBB263_228
.LBB263_161:
	s_or_b64 exec, exec, s[38:39]
	s_and_saveexec_b64 s[38:39], s[8:9]
	s_cbranch_execnz .LBB263_229
.LBB263_162:
	s_or_b64 exec, exec, s[38:39]
	s_and_saveexec_b64 s[38:39], s[6:7]
	s_cbranch_execnz .LBB263_230
.LBB263_163:
	s_or_b64 exec, exec, s[38:39]
	s_and_saveexec_b64 s[38:39], s[4:5]
	s_cbranch_execz .LBB263_165
.LBB263_164:
	v_sub_u32_e32 v3, v22, v18
	v_readfirstlane_b32 s44, v54
	v_readfirstlane_b32 s45, v55
	s_nop 4
	global_store_byte v3, v11, s[44:45]
.LBB263_165:
	s_or_b64 exec, exec, s[38:39]
	s_and_b64 s[38:39], s[2:3], exec
	s_andn2_saveexec_b64 s[0:1], s[0:1]
	s_cbranch_execz .LBB263_106
.LBB263_166:
	v_sub_u32_e32 v3, v50, v18
	v_readfirstlane_b32 s44, v54
	v_readfirstlane_b32 s45, v55
	s_or_b64 s[38:39], s[38:39], exec
	s_nop 3
	global_store_byte v3, v8, s[44:45]
	v_sub_u32_e32 v3, v48, v18
	global_store_byte v3, v68, s[44:45]
	v_sub_u32_e32 v3, v46, v18
	global_store_byte v3, v66, s[44:45]
	v_sub_u32_e32 v3, v44, v18
	global_store_byte v3, v64, s[44:45]
	v_sub_u32_e32 v3, v42, v18
	global_store_byte v3, v9, s[44:45]
	v_sub_u32_e32 v3, v40, v18
	global_store_byte v3, v62, s[44:45]
	v_sub_u32_e32 v3, v38, v18
	global_store_byte v3, v61, s[44:45]
	v_sub_u32_e32 v3, v36, v18
	global_store_byte v3, v60, s[44:45]
	v_sub_u32_e32 v3, v34, v18
	global_store_byte v3, v10, s[44:45]
	v_sub_u32_e32 v3, v32, v18
	global_store_byte v3, v59, s[44:45]
	v_sub_u32_e32 v3, v30, v18
	global_store_byte v3, v58, s[44:45]
	v_sub_u32_e32 v3, v28, v18
	global_store_byte v3, v57, s[44:45]
	v_sub_u32_e32 v3, v26, v18
	global_store_byte v3, v56, s[44:45]
	v_sub_u32_e32 v3, v22, v18
	global_store_byte v3, v11, s[44:45]
	s_or_b64 exec, exec, s[0:1]
	s_and_b64 exec, exec, s[38:39]
	s_cbranch_execnz .LBB263_107
	s_branch .LBB263_108
.LBB263_167:
	s_and_saveexec_b64 s[38:39], s[30:31]
	s_cbranch_execnz .LBB263_231
; %bb.168:
	s_or_b64 exec, exec, s[38:39]
	s_and_saveexec_b64 s[30:31], s[28:29]
	s_cbranch_execnz .LBB263_232
.LBB263_169:
	s_or_b64 exec, exec, s[30:31]
	s_and_saveexec_b64 s[28:29], s[26:27]
	s_cbranch_execnz .LBB263_233
.LBB263_170:
	s_or_b64 exec, exec, s[28:29]
	s_and_saveexec_b64 s[26:27], s[24:25]
	s_cbranch_execnz .LBB263_234
.LBB263_171:
	s_or_b64 exec, exec, s[26:27]
	s_and_saveexec_b64 s[24:25], s[22:23]
	s_cbranch_execnz .LBB263_235
.LBB263_172:
	s_or_b64 exec, exec, s[24:25]
	s_and_saveexec_b64 s[22:23], s[20:21]
	s_cbranch_execnz .LBB263_236
.LBB263_173:
	s_or_b64 exec, exec, s[22:23]
	s_and_saveexec_b64 s[20:21], s[18:19]
	s_cbranch_execnz .LBB263_237
.LBB263_174:
	s_or_b64 exec, exec, s[20:21]
	s_and_saveexec_b64 s[18:19], s[16:17]
	s_cbranch_execnz .LBB263_238
.LBB263_175:
	s_or_b64 exec, exec, s[18:19]
	s_and_saveexec_b64 s[16:17], s[14:15]
	s_cbranch_execnz .LBB263_239
.LBB263_176:
	s_or_b64 exec, exec, s[16:17]
	s_and_saveexec_b64 s[14:15], s[12:13]
	s_cbranch_execnz .LBB263_240
.LBB263_177:
	s_or_b64 exec, exec, s[14:15]
	s_and_saveexec_b64 s[12:13], s[10:11]
	s_cbranch_execnz .LBB263_241
.LBB263_178:
	s_or_b64 exec, exec, s[12:13]
	s_and_saveexec_b64 s[10:11], s[8:9]
	s_cbranch_execnz .LBB263_242
.LBB263_179:
	s_or_b64 exec, exec, s[10:11]
	s_and_saveexec_b64 s[8:9], s[6:7]
	s_cbranch_execnz .LBB263_243
.LBB263_180:
	s_or_b64 exec, exec, s[8:9]
	s_and_saveexec_b64 s[6:7], s[4:5]
	s_cbranch_execz .LBB263_182
.LBB263_181:
	v_sub_u32_e32 v2, v22, v18
	ds_write_b8 v2, v11
.LBB263_182:
	s_or_b64 exec, exec, s[6:7]
	s_and_b64 s[38:39], s[2:3], exec
                                        ; implicit-def: $vgpr11
                                        ; implicit-def: $vgpr56
                                        ; implicit-def: $vgpr57
                                        ; implicit-def: $vgpr58
                                        ; implicit-def: $vgpr59
                                        ; implicit-def: $vgpr10
                                        ; implicit-def: $vgpr60
                                        ; implicit-def: $vgpr61
                                        ; implicit-def: $vgpr62
                                        ; implicit-def: $vgpr64
                                        ; implicit-def: $vgpr66
                                        ; implicit-def: $vgpr68
	s_andn2_saveexec_b64 s[2:3], s[36:37]
	s_cbranch_execz .LBB263_113
.LBB263_183:
	v_sub_u32_e32 v2, v50, v18
	ds_write_b8 v2, v8
	v_sub_u32_e32 v2, v48, v18
	ds_write_b8 v2, v68
	;; [unrolled: 2-line block ×13, first 2 shown]
	v_sub_u32_e32 v2, v22, v18
	s_or_b64 s[38:39], s[38:39], exec
	ds_write_b8 v2, v11
	s_or_b64 exec, exec, s[2:3]
	s_and_b64 exec, exec, s[38:39]
	s_cbranch_execnz .LBB263_114
	s_branch .LBB263_115
.LBB263_184:
	s_and_saveexec_b64 s[36:37], s[28:29]
	s_cbranch_execnz .LBB263_244
; %bb.185:
	s_or_b64 exec, exec, s[36:37]
	s_and_saveexec_b64 s[36:37], s[26:27]
	s_cbranch_execnz .LBB263_245
.LBB263_186:
	s_or_b64 exec, exec, s[36:37]
	s_and_saveexec_b64 s[36:37], s[24:25]
	s_cbranch_execnz .LBB263_246
.LBB263_187:
	s_or_b64 exec, exec, s[36:37]
	s_and_saveexec_b64 s[36:37], s[22:23]
	s_cbranch_execnz .LBB263_247
.LBB263_188:
	s_or_b64 exec, exec, s[36:37]
	s_and_saveexec_b64 s[36:37], s[20:21]
	s_cbranch_execnz .LBB263_248
.LBB263_189:
	s_or_b64 exec, exec, s[36:37]
	s_and_saveexec_b64 s[36:37], s[18:19]
	s_cbranch_execnz .LBB263_249
.LBB263_190:
	s_or_b64 exec, exec, s[36:37]
	s_and_saveexec_b64 s[36:37], s[16:17]
	s_cbranch_execnz .LBB263_250
.LBB263_191:
	s_or_b64 exec, exec, s[36:37]
	s_and_saveexec_b64 s[36:37], s[14:15]
	s_cbranch_execnz .LBB263_251
.LBB263_192:
	s_or_b64 exec, exec, s[36:37]
	s_and_saveexec_b64 s[36:37], s[12:13]
	s_cbranch_execnz .LBB263_252
.LBB263_193:
	s_or_b64 exec, exec, s[36:37]
	s_and_saveexec_b64 s[36:37], s[10:11]
	s_cbranch_execnz .LBB263_253
.LBB263_194:
	s_or_b64 exec, exec, s[36:37]
	s_and_saveexec_b64 s[36:37], s[8:9]
	s_cbranch_execnz .LBB263_254
.LBB263_195:
	s_or_b64 exec, exec, s[36:37]
	s_and_saveexec_b64 s[36:37], s[6:7]
	s_cbranch_execnz .LBB263_255
.LBB263_196:
	s_or_b64 exec, exec, s[36:37]
	s_and_saveexec_b64 s[36:37], s[4:5]
	s_cbranch_execnz .LBB263_256
.LBB263_197:
	s_or_b64 exec, exec, s[36:37]
	s_and_saveexec_b64 s[36:37], s[2:3]
	s_cbranch_execz .LBB263_199
.LBB263_198:
	v_sub_u32_e32 v14, v22, v12
	v_mov_b32_e32 v15, 0
	v_lshl_add_u64 v[54:55], v[14:15], 3, v[10:11]
	v_mov_b32_e32 v14, v23
	global_store_dwordx2 v[54:55], v[14:15], off
.LBB263_199:
	s_or_b64 exec, exec, s[36:37]
	s_and_b64 s[36:37], s[0:1], exec
	s_andn2_saveexec_b64 s[30:31], s[30:31]
	s_cbranch_execz .LBB263_132
.LBB263_200:
	v_mov_b32_e32 v15, 0
	v_sub_u32_e32 v54, v50, v12
	v_mov_b32_e32 v55, v15
	v_mov_b32_e32 v14, v51
	v_lshl_add_u64 v[54:55], v[54:55], 3, v[10:11]
	global_store_dwordx2 v[54:55], v[14:15], off
	v_sub_u32_e32 v54, v48, v12
	v_mov_b32_e32 v55, v15
	v_mov_b32_e32 v14, v49
	v_lshl_add_u64 v[54:55], v[54:55], 3, v[10:11]
	global_store_dwordx2 v[54:55], v[14:15], off
	;; [unrolled: 5-line block ×13, first 2 shown]
	v_sub_u32_e32 v54, v22, v12
	v_mov_b32_e32 v55, v15
	v_mov_b32_e32 v14, v23
	v_lshl_add_u64 v[54:55], v[54:55], 3, v[10:11]
	s_or_b64 s[36:37], s[36:37], exec
	global_store_dwordx2 v[54:55], v[14:15], off
	s_or_b64 exec, exec, s[30:31]
	s_and_b64 exec, exec, s[36:37]
	s_cbranch_execnz .LBB263_133
	s_branch .LBB263_134
.LBB263_201:
	s_and_saveexec_b64 s[36:37], s[28:29]
	s_cbranch_execnz .LBB263_257
; %bb.202:
	s_or_b64 exec, exec, s[36:37]
	s_and_saveexec_b64 s[28:29], s[26:27]
	s_cbranch_execnz .LBB263_258
.LBB263_203:
	s_or_b64 exec, exec, s[28:29]
	s_and_saveexec_b64 s[26:27], s[24:25]
	s_cbranch_execnz .LBB263_259
.LBB263_204:
	s_or_b64 exec, exec, s[26:27]
	s_and_saveexec_b64 s[24:25], s[22:23]
	s_cbranch_execnz .LBB263_260
.LBB263_205:
	s_or_b64 exec, exec, s[24:25]
	s_and_saveexec_b64 s[22:23], s[20:21]
	s_cbranch_execnz .LBB263_261
.LBB263_206:
	s_or_b64 exec, exec, s[22:23]
	s_and_saveexec_b64 s[20:21], s[18:19]
	s_cbranch_execnz .LBB263_262
.LBB263_207:
	s_or_b64 exec, exec, s[20:21]
	s_and_saveexec_b64 s[18:19], s[16:17]
	s_cbranch_execnz .LBB263_263
.LBB263_208:
	s_or_b64 exec, exec, s[18:19]
	s_and_saveexec_b64 s[16:17], s[14:15]
	s_cbranch_execnz .LBB263_264
.LBB263_209:
	s_or_b64 exec, exec, s[16:17]
	s_and_saveexec_b64 s[14:15], s[12:13]
	s_cbranch_execnz .LBB263_265
.LBB263_210:
	s_or_b64 exec, exec, s[14:15]
	s_and_saveexec_b64 s[12:13], s[10:11]
	s_cbranch_execnz .LBB263_266
.LBB263_211:
	s_or_b64 exec, exec, s[12:13]
	s_and_saveexec_b64 s[10:11], s[8:9]
	s_cbranch_execnz .LBB263_267
.LBB263_212:
	s_or_b64 exec, exec, s[10:11]
	s_and_saveexec_b64 s[8:9], s[6:7]
	s_cbranch_execnz .LBB263_268
.LBB263_213:
	s_or_b64 exec, exec, s[8:9]
	s_and_saveexec_b64 s[6:7], s[4:5]
	s_cbranch_execnz .LBB263_269
.LBB263_214:
	s_or_b64 exec, exec, s[6:7]
	s_and_saveexec_b64 s[4:5], s[2:3]
	s_cbranch_execz .LBB263_216
.LBB263_215:
	v_sub_u32_e32 v10, v22, v12
	v_lshlrev_b32_e32 v10, 2, v10
	ds_write_b32 v10, v23
.LBB263_216:
	s_or_b64 exec, exec, s[4:5]
	s_and_b64 s[36:37], s[0:1], exec
                                        ; implicit-def: $vgpr22_vgpr23
                                        ; implicit-def: $vgpr26_vgpr27
                                        ; implicit-def: $vgpr28_vgpr29
                                        ; implicit-def: $vgpr50_vgpr51
                                        ; implicit-def: $vgpr48_vgpr49
                                        ; implicit-def: $vgpr46_vgpr47
                                        ; implicit-def: $vgpr44_vgpr45
                                        ; implicit-def: $vgpr42_vgpr43
                                        ; implicit-def: $vgpr40_vgpr41
                                        ; implicit-def: $vgpr38_vgpr39
                                        ; implicit-def: $vgpr36_vgpr37
                                        ; implicit-def: $vgpr34_vgpr35
                                        ; implicit-def: $vgpr32_vgpr33
                                        ; implicit-def: $vgpr30_vgpr31
	s_andn2_saveexec_b64 s[0:1], s[34:35]
	s_cbranch_execz .LBB263_139
.LBB263_217:
	v_sub_u32_e32 v10, v50, v12
	v_lshlrev_b32_e32 v10, 2, v10
	ds_write_b32 v10, v51
	v_sub_u32_e32 v10, v48, v12
	v_lshlrev_b32_e32 v10, 2, v10
	ds_write_b32 v10, v49
	;; [unrolled: 3-line block ×13, first 2 shown]
	v_sub_u32_e32 v10, v22, v12
	v_lshlrev_b32_e32 v10, 2, v10
	s_or_b64 s[36:37], s[36:37], exec
	ds_write_b32 v10, v23
	s_or_b64 exec, exec, s[0:1]
	s_and_b64 exec, exec, s[36:37]
	s_cbranch_execnz .LBB263_140
	s_branch .LBB263_141
.LBB263_218:
	v_sub_u32_e32 v3, v50, v18
	v_readfirstlane_b32 s44, v54
	v_readfirstlane_b32 s45, v55
	s_nop 4
	global_store_byte v3, v8, s[44:45]
	s_or_b64 exec, exec, s[38:39]
	s_and_saveexec_b64 s[38:39], s[28:29]
	s_cbranch_execz .LBB263_152
.LBB263_219:
	v_sub_u32_e32 v3, v48, v18
	v_readfirstlane_b32 s44, v54
	v_readfirstlane_b32 s45, v55
	s_nop 4
	global_store_byte v3, v68, s[44:45]
	s_or_b64 exec, exec, s[38:39]
	s_and_saveexec_b64 s[38:39], s[26:27]
	s_cbranch_execz .LBB263_153
.LBB263_220:
	v_sub_u32_e32 v3, v46, v18
	v_readfirstlane_b32 s44, v54
	v_readfirstlane_b32 s45, v55
	s_nop 4
	global_store_byte v3, v66, s[44:45]
	s_or_b64 exec, exec, s[38:39]
	s_and_saveexec_b64 s[38:39], s[24:25]
	s_cbranch_execz .LBB263_154
.LBB263_221:
	v_sub_u32_e32 v3, v44, v18
	v_readfirstlane_b32 s44, v54
	v_readfirstlane_b32 s45, v55
	s_nop 4
	global_store_byte v3, v64, s[44:45]
	s_or_b64 exec, exec, s[38:39]
	s_and_saveexec_b64 s[38:39], s[22:23]
	s_cbranch_execz .LBB263_155
.LBB263_222:
	v_sub_u32_e32 v3, v42, v18
	v_readfirstlane_b32 s44, v54
	v_readfirstlane_b32 s45, v55
	s_nop 4
	global_store_byte v3, v9, s[44:45]
	s_or_b64 exec, exec, s[38:39]
	s_and_saveexec_b64 s[38:39], s[20:21]
	s_cbranch_execz .LBB263_156
.LBB263_223:
	v_sub_u32_e32 v3, v40, v18
	v_readfirstlane_b32 s44, v54
	v_readfirstlane_b32 s45, v55
	s_nop 4
	global_store_byte v3, v62, s[44:45]
	s_or_b64 exec, exec, s[38:39]
	s_and_saveexec_b64 s[38:39], s[18:19]
	s_cbranch_execz .LBB263_157
.LBB263_224:
	v_sub_u32_e32 v3, v38, v18
	v_readfirstlane_b32 s44, v54
	v_readfirstlane_b32 s45, v55
	s_nop 4
	global_store_byte v3, v61, s[44:45]
	s_or_b64 exec, exec, s[38:39]
	s_and_saveexec_b64 s[38:39], s[16:17]
	s_cbranch_execz .LBB263_158
.LBB263_225:
	v_sub_u32_e32 v3, v36, v18
	v_readfirstlane_b32 s44, v54
	v_readfirstlane_b32 s45, v55
	s_nop 4
	global_store_byte v3, v60, s[44:45]
	s_or_b64 exec, exec, s[38:39]
	s_and_saveexec_b64 s[38:39], s[14:15]
	s_cbranch_execz .LBB263_159
.LBB263_226:
	v_sub_u32_e32 v3, v34, v18
	v_readfirstlane_b32 s44, v54
	v_readfirstlane_b32 s45, v55
	s_nop 4
	global_store_byte v3, v10, s[44:45]
	s_or_b64 exec, exec, s[38:39]
	s_and_saveexec_b64 s[38:39], s[12:13]
	s_cbranch_execz .LBB263_160
.LBB263_227:
	v_sub_u32_e32 v3, v32, v18
	v_readfirstlane_b32 s44, v54
	v_readfirstlane_b32 s45, v55
	s_nop 4
	global_store_byte v3, v59, s[44:45]
	s_or_b64 exec, exec, s[38:39]
	s_and_saveexec_b64 s[38:39], s[10:11]
	s_cbranch_execz .LBB263_161
.LBB263_228:
	v_sub_u32_e32 v3, v30, v18
	v_readfirstlane_b32 s44, v54
	v_readfirstlane_b32 s45, v55
	s_nop 4
	global_store_byte v3, v58, s[44:45]
	s_or_b64 exec, exec, s[38:39]
	s_and_saveexec_b64 s[38:39], s[8:9]
	s_cbranch_execz .LBB263_162
.LBB263_229:
	v_sub_u32_e32 v3, v28, v18
	v_readfirstlane_b32 s44, v54
	v_readfirstlane_b32 s45, v55
	s_nop 4
	global_store_byte v3, v57, s[44:45]
	s_or_b64 exec, exec, s[38:39]
	s_and_saveexec_b64 s[38:39], s[6:7]
	s_cbranch_execz .LBB263_163
.LBB263_230:
	v_sub_u32_e32 v3, v26, v18
	v_readfirstlane_b32 s44, v54
	v_readfirstlane_b32 s45, v55
	s_nop 4
	global_store_byte v3, v56, s[44:45]
	s_or_b64 exec, exec, s[38:39]
	s_and_saveexec_b64 s[38:39], s[4:5]
	s_cbranch_execnz .LBB263_164
	s_branch .LBB263_165
.LBB263_231:
	v_sub_u32_e32 v2, v50, v18
	ds_write_b8 v2, v8
	s_or_b64 exec, exec, s[38:39]
	s_and_saveexec_b64 s[30:31], s[28:29]
	s_cbranch_execz .LBB263_169
.LBB263_232:
	v_sub_u32_e32 v2, v48, v18
	ds_write_b8 v2, v68
	s_or_b64 exec, exec, s[30:31]
	s_and_saveexec_b64 s[28:29], s[26:27]
	s_cbranch_execz .LBB263_170
.LBB263_233:
	v_sub_u32_e32 v2, v46, v18
	ds_write_b8 v2, v66
	s_or_b64 exec, exec, s[28:29]
	s_and_saveexec_b64 s[26:27], s[24:25]
	s_cbranch_execz .LBB263_171
.LBB263_234:
	v_sub_u32_e32 v2, v44, v18
	ds_write_b8 v2, v64
	s_or_b64 exec, exec, s[26:27]
	s_and_saveexec_b64 s[24:25], s[22:23]
	s_cbranch_execz .LBB263_172
.LBB263_235:
	v_sub_u32_e32 v2, v42, v18
	ds_write_b8 v2, v9
	s_or_b64 exec, exec, s[24:25]
	s_and_saveexec_b64 s[22:23], s[20:21]
	s_cbranch_execz .LBB263_173
.LBB263_236:
	v_sub_u32_e32 v2, v40, v18
	ds_write_b8 v2, v62
	s_or_b64 exec, exec, s[22:23]
	s_and_saveexec_b64 s[20:21], s[18:19]
	s_cbranch_execz .LBB263_174
.LBB263_237:
	v_sub_u32_e32 v2, v38, v18
	ds_write_b8 v2, v61
	s_or_b64 exec, exec, s[20:21]
	s_and_saveexec_b64 s[18:19], s[16:17]
	s_cbranch_execz .LBB263_175
.LBB263_238:
	v_sub_u32_e32 v2, v36, v18
	ds_write_b8 v2, v60
	s_or_b64 exec, exec, s[18:19]
	s_and_saveexec_b64 s[16:17], s[14:15]
	s_cbranch_execz .LBB263_176
.LBB263_239:
	v_sub_u32_e32 v2, v34, v18
	ds_write_b8 v2, v10
	s_or_b64 exec, exec, s[16:17]
	s_and_saveexec_b64 s[14:15], s[12:13]
	s_cbranch_execz .LBB263_177
.LBB263_240:
	v_sub_u32_e32 v2, v32, v18
	ds_write_b8 v2, v59
	s_or_b64 exec, exec, s[14:15]
	s_and_saveexec_b64 s[12:13], s[10:11]
	s_cbranch_execz .LBB263_178
.LBB263_241:
	v_sub_u32_e32 v2, v30, v18
	ds_write_b8 v2, v58
	s_or_b64 exec, exec, s[12:13]
	s_and_saveexec_b64 s[10:11], s[8:9]
	s_cbranch_execz .LBB263_179
.LBB263_242:
	v_sub_u32_e32 v2, v28, v18
	ds_write_b8 v2, v57
	s_or_b64 exec, exec, s[10:11]
	s_and_saveexec_b64 s[8:9], s[6:7]
	s_cbranch_execz .LBB263_180
.LBB263_243:
	v_sub_u32_e32 v2, v26, v18
	ds_write_b8 v2, v56
	s_or_b64 exec, exec, s[8:9]
	s_and_saveexec_b64 s[6:7], s[4:5]
	s_cbranch_execnz .LBB263_181
	s_branch .LBB263_182
.LBB263_244:
	v_sub_u32_e32 v14, v50, v12
	v_mov_b32_e32 v15, 0
	v_lshl_add_u64 v[54:55], v[14:15], 3, v[10:11]
	v_mov_b32_e32 v14, v51
	global_store_dwordx2 v[54:55], v[14:15], off
	s_or_b64 exec, exec, s[36:37]
	s_and_saveexec_b64 s[36:37], s[26:27]
	s_cbranch_execz .LBB263_186
.LBB263_245:
	v_sub_u32_e32 v14, v48, v12
	v_mov_b32_e32 v15, 0
	v_lshl_add_u64 v[54:55], v[14:15], 3, v[10:11]
	v_mov_b32_e32 v14, v49
	global_store_dwordx2 v[54:55], v[14:15], off
	s_or_b64 exec, exec, s[36:37]
	s_and_saveexec_b64 s[36:37], s[24:25]
	s_cbranch_execz .LBB263_187
.LBB263_246:
	v_sub_u32_e32 v14, v46, v12
	v_mov_b32_e32 v15, 0
	v_lshl_add_u64 v[54:55], v[14:15], 3, v[10:11]
	v_mov_b32_e32 v14, v47
	global_store_dwordx2 v[54:55], v[14:15], off
	s_or_b64 exec, exec, s[36:37]
	s_and_saveexec_b64 s[36:37], s[22:23]
	s_cbranch_execz .LBB263_188
.LBB263_247:
	v_sub_u32_e32 v14, v44, v12
	v_mov_b32_e32 v15, 0
	v_lshl_add_u64 v[54:55], v[14:15], 3, v[10:11]
	v_mov_b32_e32 v14, v45
	global_store_dwordx2 v[54:55], v[14:15], off
	s_or_b64 exec, exec, s[36:37]
	s_and_saveexec_b64 s[36:37], s[20:21]
	s_cbranch_execz .LBB263_189
.LBB263_248:
	v_sub_u32_e32 v14, v42, v12
	v_mov_b32_e32 v15, 0
	v_lshl_add_u64 v[54:55], v[14:15], 3, v[10:11]
	v_mov_b32_e32 v14, v43
	global_store_dwordx2 v[54:55], v[14:15], off
	s_or_b64 exec, exec, s[36:37]
	s_and_saveexec_b64 s[36:37], s[18:19]
	s_cbranch_execz .LBB263_190
.LBB263_249:
	v_sub_u32_e32 v14, v40, v12
	v_mov_b32_e32 v15, 0
	v_lshl_add_u64 v[54:55], v[14:15], 3, v[10:11]
	v_mov_b32_e32 v14, v41
	global_store_dwordx2 v[54:55], v[14:15], off
	s_or_b64 exec, exec, s[36:37]
	s_and_saveexec_b64 s[36:37], s[16:17]
	s_cbranch_execz .LBB263_191
.LBB263_250:
	v_sub_u32_e32 v14, v38, v12
	v_mov_b32_e32 v15, 0
	v_lshl_add_u64 v[54:55], v[14:15], 3, v[10:11]
	v_mov_b32_e32 v14, v39
	global_store_dwordx2 v[54:55], v[14:15], off
	s_or_b64 exec, exec, s[36:37]
	s_and_saveexec_b64 s[36:37], s[14:15]
	s_cbranch_execz .LBB263_192
.LBB263_251:
	v_sub_u32_e32 v14, v36, v12
	v_mov_b32_e32 v15, 0
	v_lshl_add_u64 v[54:55], v[14:15], 3, v[10:11]
	v_mov_b32_e32 v14, v37
	global_store_dwordx2 v[54:55], v[14:15], off
	s_or_b64 exec, exec, s[36:37]
	s_and_saveexec_b64 s[36:37], s[12:13]
	s_cbranch_execz .LBB263_193
.LBB263_252:
	v_sub_u32_e32 v14, v34, v12
	v_mov_b32_e32 v15, 0
	v_lshl_add_u64 v[54:55], v[14:15], 3, v[10:11]
	v_mov_b32_e32 v14, v35
	global_store_dwordx2 v[54:55], v[14:15], off
	s_or_b64 exec, exec, s[36:37]
	s_and_saveexec_b64 s[36:37], s[10:11]
	s_cbranch_execz .LBB263_194
.LBB263_253:
	v_sub_u32_e32 v14, v32, v12
	v_mov_b32_e32 v15, 0
	v_lshl_add_u64 v[54:55], v[14:15], 3, v[10:11]
	v_mov_b32_e32 v14, v33
	global_store_dwordx2 v[54:55], v[14:15], off
	s_or_b64 exec, exec, s[36:37]
	s_and_saveexec_b64 s[36:37], s[8:9]
	s_cbranch_execz .LBB263_195
.LBB263_254:
	v_sub_u32_e32 v14, v30, v12
	v_mov_b32_e32 v15, 0
	v_lshl_add_u64 v[54:55], v[14:15], 3, v[10:11]
	v_mov_b32_e32 v14, v31
	global_store_dwordx2 v[54:55], v[14:15], off
	s_or_b64 exec, exec, s[36:37]
	s_and_saveexec_b64 s[36:37], s[6:7]
	s_cbranch_execz .LBB263_196
.LBB263_255:
	v_sub_u32_e32 v14, v28, v12
	v_mov_b32_e32 v15, 0
	v_lshl_add_u64 v[54:55], v[14:15], 3, v[10:11]
	v_mov_b32_e32 v14, v29
	global_store_dwordx2 v[54:55], v[14:15], off
	s_or_b64 exec, exec, s[36:37]
	s_and_saveexec_b64 s[36:37], s[4:5]
	s_cbranch_execz .LBB263_197
.LBB263_256:
	v_sub_u32_e32 v14, v26, v12
	v_mov_b32_e32 v15, 0
	v_lshl_add_u64 v[54:55], v[14:15], 3, v[10:11]
	v_mov_b32_e32 v14, v27
	global_store_dwordx2 v[54:55], v[14:15], off
	s_or_b64 exec, exec, s[36:37]
	s_and_saveexec_b64 s[36:37], s[2:3]
	s_cbranch_execnz .LBB263_198
	s_branch .LBB263_199
.LBB263_257:
	v_sub_u32_e32 v10, v50, v12
	v_lshlrev_b32_e32 v10, 2, v10
	ds_write_b32 v10, v51
	s_or_b64 exec, exec, s[36:37]
	s_and_saveexec_b64 s[28:29], s[26:27]
	s_cbranch_execz .LBB263_203
.LBB263_258:
	v_sub_u32_e32 v10, v48, v12
	v_lshlrev_b32_e32 v10, 2, v10
	ds_write_b32 v10, v49
	s_or_b64 exec, exec, s[28:29]
	s_and_saveexec_b64 s[26:27], s[24:25]
	s_cbranch_execz .LBB263_204
.LBB263_259:
	v_sub_u32_e32 v10, v46, v12
	v_lshlrev_b32_e32 v10, 2, v10
	ds_write_b32 v10, v47
	s_or_b64 exec, exec, s[26:27]
	s_and_saveexec_b64 s[24:25], s[22:23]
	s_cbranch_execz .LBB263_205
.LBB263_260:
	v_sub_u32_e32 v10, v44, v12
	v_lshlrev_b32_e32 v10, 2, v10
	ds_write_b32 v10, v45
	s_or_b64 exec, exec, s[24:25]
	s_and_saveexec_b64 s[22:23], s[20:21]
	s_cbranch_execz .LBB263_206
.LBB263_261:
	v_sub_u32_e32 v10, v42, v12
	v_lshlrev_b32_e32 v10, 2, v10
	ds_write_b32 v10, v43
	s_or_b64 exec, exec, s[22:23]
	s_and_saveexec_b64 s[20:21], s[18:19]
	s_cbranch_execz .LBB263_207
.LBB263_262:
	v_sub_u32_e32 v10, v40, v12
	v_lshlrev_b32_e32 v10, 2, v10
	ds_write_b32 v10, v41
	s_or_b64 exec, exec, s[20:21]
	s_and_saveexec_b64 s[18:19], s[16:17]
	s_cbranch_execz .LBB263_208
.LBB263_263:
	v_sub_u32_e32 v10, v38, v12
	v_lshlrev_b32_e32 v10, 2, v10
	ds_write_b32 v10, v39
	s_or_b64 exec, exec, s[18:19]
	s_and_saveexec_b64 s[16:17], s[14:15]
	s_cbranch_execz .LBB263_209
.LBB263_264:
	v_sub_u32_e32 v10, v36, v12
	v_lshlrev_b32_e32 v10, 2, v10
	ds_write_b32 v10, v37
	s_or_b64 exec, exec, s[16:17]
	s_and_saveexec_b64 s[14:15], s[12:13]
	s_cbranch_execz .LBB263_210
.LBB263_265:
	v_sub_u32_e32 v10, v34, v12
	v_lshlrev_b32_e32 v10, 2, v10
	ds_write_b32 v10, v35
	s_or_b64 exec, exec, s[14:15]
	s_and_saveexec_b64 s[12:13], s[10:11]
	s_cbranch_execz .LBB263_211
.LBB263_266:
	v_sub_u32_e32 v10, v32, v12
	v_lshlrev_b32_e32 v10, 2, v10
	ds_write_b32 v10, v33
	s_or_b64 exec, exec, s[12:13]
	s_and_saveexec_b64 s[10:11], s[8:9]
	s_cbranch_execz .LBB263_212
.LBB263_267:
	v_sub_u32_e32 v10, v30, v12
	v_lshlrev_b32_e32 v10, 2, v10
	ds_write_b32 v10, v31
	s_or_b64 exec, exec, s[10:11]
	s_and_saveexec_b64 s[8:9], s[6:7]
	s_cbranch_execz .LBB263_213
.LBB263_268:
	v_sub_u32_e32 v10, v28, v12
	v_lshlrev_b32_e32 v10, 2, v10
	ds_write_b32 v10, v29
	s_or_b64 exec, exec, s[8:9]
	s_and_saveexec_b64 s[6:7], s[4:5]
	s_cbranch_execz .LBB263_214
.LBB263_269:
	v_sub_u32_e32 v10, v26, v12
	v_lshlrev_b32_e32 v10, 2, v10
	ds_write_b32 v10, v27
	s_or_b64 exec, exec, s[6:7]
	s_and_saveexec_b64 s[4:5], s[2:3]
	s_cbranch_execnz .LBB263_215
	s_branch .LBB263_216
	.section	.rodata,"a",@progbits
	.p2align	6, 0x0
	.amdhsa_kernel _ZN7rocprim17ROCPRIM_400000_NS6detail17trampoline_kernelINS0_14default_configENS1_33run_length_encode_config_selectorIajNS0_4plusIjEEEEZZNS1_33reduce_by_key_impl_wrapped_configILNS1_25lookback_scan_determinismE0ES3_S7_PKaNS0_17constant_iteratorIjlEEPaPlSF_S6_NS0_8equal_toIaEEEE10hipError_tPvRmT2_T3_mT4_T5_T6_T7_T8_P12ihipStream_tbENKUlT_T0_E_clISt17integral_constantIbLb0EESY_IbLb1EEEEDaSU_SV_EUlSU_E_NS1_11comp_targetILNS1_3genE5ELNS1_11target_archE942ELNS1_3gpuE9ELNS1_3repE0EEENS1_30default_config_static_selectorELNS0_4arch9wavefront6targetE1EEEvT1_
		.amdhsa_group_segment_fixed_size 30720
		.amdhsa_private_segment_fixed_size 0
		.amdhsa_kernarg_size 128
		.amdhsa_user_sgpr_count 2
		.amdhsa_user_sgpr_dispatch_ptr 0
		.amdhsa_user_sgpr_queue_ptr 0
		.amdhsa_user_sgpr_kernarg_segment_ptr 1
		.amdhsa_user_sgpr_dispatch_id 0
		.amdhsa_user_sgpr_kernarg_preload_length 0
		.amdhsa_user_sgpr_kernarg_preload_offset 0
		.amdhsa_user_sgpr_private_segment_size 0
		.amdhsa_uses_dynamic_stack 0
		.amdhsa_enable_private_segment 0
		.amdhsa_system_sgpr_workgroup_id_x 1
		.amdhsa_system_sgpr_workgroup_id_y 0
		.amdhsa_system_sgpr_workgroup_id_z 0
		.amdhsa_system_sgpr_workgroup_info 0
		.amdhsa_system_vgpr_workitem_id 0
		.amdhsa_next_free_vgpr 109
		.amdhsa_next_free_sgpr 66
		.amdhsa_accum_offset 112
		.amdhsa_reserve_vcc 1
		.amdhsa_float_round_mode_32 0
		.amdhsa_float_round_mode_16_64 0
		.amdhsa_float_denorm_mode_32 3
		.amdhsa_float_denorm_mode_16_64 3
		.amdhsa_dx10_clamp 1
		.amdhsa_ieee_mode 1
		.amdhsa_fp16_overflow 0
		.amdhsa_tg_split 0
		.amdhsa_exception_fp_ieee_invalid_op 0
		.amdhsa_exception_fp_denorm_src 0
		.amdhsa_exception_fp_ieee_div_zero 0
		.amdhsa_exception_fp_ieee_overflow 0
		.amdhsa_exception_fp_ieee_underflow 0
		.amdhsa_exception_fp_ieee_inexact 0
		.amdhsa_exception_int_div_zero 0
	.end_amdhsa_kernel
	.section	.text._ZN7rocprim17ROCPRIM_400000_NS6detail17trampoline_kernelINS0_14default_configENS1_33run_length_encode_config_selectorIajNS0_4plusIjEEEEZZNS1_33reduce_by_key_impl_wrapped_configILNS1_25lookback_scan_determinismE0ES3_S7_PKaNS0_17constant_iteratorIjlEEPaPlSF_S6_NS0_8equal_toIaEEEE10hipError_tPvRmT2_T3_mT4_T5_T6_T7_T8_P12ihipStream_tbENKUlT_T0_E_clISt17integral_constantIbLb0EESY_IbLb1EEEEDaSU_SV_EUlSU_E_NS1_11comp_targetILNS1_3genE5ELNS1_11target_archE942ELNS1_3gpuE9ELNS1_3repE0EEENS1_30default_config_static_selectorELNS0_4arch9wavefront6targetE1EEEvT1_,"axG",@progbits,_ZN7rocprim17ROCPRIM_400000_NS6detail17trampoline_kernelINS0_14default_configENS1_33run_length_encode_config_selectorIajNS0_4plusIjEEEEZZNS1_33reduce_by_key_impl_wrapped_configILNS1_25lookback_scan_determinismE0ES3_S7_PKaNS0_17constant_iteratorIjlEEPaPlSF_S6_NS0_8equal_toIaEEEE10hipError_tPvRmT2_T3_mT4_T5_T6_T7_T8_P12ihipStream_tbENKUlT_T0_E_clISt17integral_constantIbLb0EESY_IbLb1EEEEDaSU_SV_EUlSU_E_NS1_11comp_targetILNS1_3genE5ELNS1_11target_archE942ELNS1_3gpuE9ELNS1_3repE0EEENS1_30default_config_static_selectorELNS0_4arch9wavefront6targetE1EEEvT1_,comdat
.Lfunc_end263:
	.size	_ZN7rocprim17ROCPRIM_400000_NS6detail17trampoline_kernelINS0_14default_configENS1_33run_length_encode_config_selectorIajNS0_4plusIjEEEEZZNS1_33reduce_by_key_impl_wrapped_configILNS1_25lookback_scan_determinismE0ES3_S7_PKaNS0_17constant_iteratorIjlEEPaPlSF_S6_NS0_8equal_toIaEEEE10hipError_tPvRmT2_T3_mT4_T5_T6_T7_T8_P12ihipStream_tbENKUlT_T0_E_clISt17integral_constantIbLb0EESY_IbLb1EEEEDaSU_SV_EUlSU_E_NS1_11comp_targetILNS1_3genE5ELNS1_11target_archE942ELNS1_3gpuE9ELNS1_3repE0EEENS1_30default_config_static_selectorELNS0_4arch9wavefront6targetE1EEEvT1_, .Lfunc_end263-_ZN7rocprim17ROCPRIM_400000_NS6detail17trampoline_kernelINS0_14default_configENS1_33run_length_encode_config_selectorIajNS0_4plusIjEEEEZZNS1_33reduce_by_key_impl_wrapped_configILNS1_25lookback_scan_determinismE0ES3_S7_PKaNS0_17constant_iteratorIjlEEPaPlSF_S6_NS0_8equal_toIaEEEE10hipError_tPvRmT2_T3_mT4_T5_T6_T7_T8_P12ihipStream_tbENKUlT_T0_E_clISt17integral_constantIbLb0EESY_IbLb1EEEEDaSU_SV_EUlSU_E_NS1_11comp_targetILNS1_3genE5ELNS1_11target_archE942ELNS1_3gpuE9ELNS1_3repE0EEENS1_30default_config_static_selectorELNS0_4arch9wavefront6targetE1EEEvT1_
                                        ; -- End function
	.section	.AMDGPU.csdata,"",@progbits
; Kernel info:
; codeLenInByte = 14920
; NumSgprs: 72
; NumVgprs: 109
; NumAgprs: 0
; TotalNumVgprs: 109
; ScratchSize: 0
; MemoryBound: 0
; FloatMode: 240
; IeeeMode: 1
; LDSByteSize: 30720 bytes/workgroup (compile time only)
; SGPRBlocks: 8
; VGPRBlocks: 13
; NumSGPRsForWavesPerEU: 72
; NumVGPRsForWavesPerEU: 109
; AccumOffset: 112
; Occupancy: 4
; WaveLimiterHint : 1
; COMPUTE_PGM_RSRC2:SCRATCH_EN: 0
; COMPUTE_PGM_RSRC2:USER_SGPR: 2
; COMPUTE_PGM_RSRC2:TRAP_HANDLER: 0
; COMPUTE_PGM_RSRC2:TGID_X_EN: 1
; COMPUTE_PGM_RSRC2:TGID_Y_EN: 0
; COMPUTE_PGM_RSRC2:TGID_Z_EN: 0
; COMPUTE_PGM_RSRC2:TIDIG_COMP_CNT: 0
; COMPUTE_PGM_RSRC3_GFX90A:ACCUM_OFFSET: 27
; COMPUTE_PGM_RSRC3_GFX90A:TG_SPLIT: 0
	.section	.text._ZN7rocprim17ROCPRIM_400000_NS6detail17trampoline_kernelINS0_14default_configENS1_33run_length_encode_config_selectorIajNS0_4plusIjEEEEZZNS1_33reduce_by_key_impl_wrapped_configILNS1_25lookback_scan_determinismE0ES3_S7_PKaNS0_17constant_iteratorIjlEEPaPlSF_S6_NS0_8equal_toIaEEEE10hipError_tPvRmT2_T3_mT4_T5_T6_T7_T8_P12ihipStream_tbENKUlT_T0_E_clISt17integral_constantIbLb0EESY_IbLb1EEEEDaSU_SV_EUlSU_E_NS1_11comp_targetILNS1_3genE4ELNS1_11target_archE910ELNS1_3gpuE8ELNS1_3repE0EEENS1_30default_config_static_selectorELNS0_4arch9wavefront6targetE1EEEvT1_,"axG",@progbits,_ZN7rocprim17ROCPRIM_400000_NS6detail17trampoline_kernelINS0_14default_configENS1_33run_length_encode_config_selectorIajNS0_4plusIjEEEEZZNS1_33reduce_by_key_impl_wrapped_configILNS1_25lookback_scan_determinismE0ES3_S7_PKaNS0_17constant_iteratorIjlEEPaPlSF_S6_NS0_8equal_toIaEEEE10hipError_tPvRmT2_T3_mT4_T5_T6_T7_T8_P12ihipStream_tbENKUlT_T0_E_clISt17integral_constantIbLb0EESY_IbLb1EEEEDaSU_SV_EUlSU_E_NS1_11comp_targetILNS1_3genE4ELNS1_11target_archE910ELNS1_3gpuE8ELNS1_3repE0EEENS1_30default_config_static_selectorELNS0_4arch9wavefront6targetE1EEEvT1_,comdat
	.protected	_ZN7rocprim17ROCPRIM_400000_NS6detail17trampoline_kernelINS0_14default_configENS1_33run_length_encode_config_selectorIajNS0_4plusIjEEEEZZNS1_33reduce_by_key_impl_wrapped_configILNS1_25lookback_scan_determinismE0ES3_S7_PKaNS0_17constant_iteratorIjlEEPaPlSF_S6_NS0_8equal_toIaEEEE10hipError_tPvRmT2_T3_mT4_T5_T6_T7_T8_P12ihipStream_tbENKUlT_T0_E_clISt17integral_constantIbLb0EESY_IbLb1EEEEDaSU_SV_EUlSU_E_NS1_11comp_targetILNS1_3genE4ELNS1_11target_archE910ELNS1_3gpuE8ELNS1_3repE0EEENS1_30default_config_static_selectorELNS0_4arch9wavefront6targetE1EEEvT1_ ; -- Begin function _ZN7rocprim17ROCPRIM_400000_NS6detail17trampoline_kernelINS0_14default_configENS1_33run_length_encode_config_selectorIajNS0_4plusIjEEEEZZNS1_33reduce_by_key_impl_wrapped_configILNS1_25lookback_scan_determinismE0ES3_S7_PKaNS0_17constant_iteratorIjlEEPaPlSF_S6_NS0_8equal_toIaEEEE10hipError_tPvRmT2_T3_mT4_T5_T6_T7_T8_P12ihipStream_tbENKUlT_T0_E_clISt17integral_constantIbLb0EESY_IbLb1EEEEDaSU_SV_EUlSU_E_NS1_11comp_targetILNS1_3genE4ELNS1_11target_archE910ELNS1_3gpuE8ELNS1_3repE0EEENS1_30default_config_static_selectorELNS0_4arch9wavefront6targetE1EEEvT1_
	.globl	_ZN7rocprim17ROCPRIM_400000_NS6detail17trampoline_kernelINS0_14default_configENS1_33run_length_encode_config_selectorIajNS0_4plusIjEEEEZZNS1_33reduce_by_key_impl_wrapped_configILNS1_25lookback_scan_determinismE0ES3_S7_PKaNS0_17constant_iteratorIjlEEPaPlSF_S6_NS0_8equal_toIaEEEE10hipError_tPvRmT2_T3_mT4_T5_T6_T7_T8_P12ihipStream_tbENKUlT_T0_E_clISt17integral_constantIbLb0EESY_IbLb1EEEEDaSU_SV_EUlSU_E_NS1_11comp_targetILNS1_3genE4ELNS1_11target_archE910ELNS1_3gpuE8ELNS1_3repE0EEENS1_30default_config_static_selectorELNS0_4arch9wavefront6targetE1EEEvT1_
	.p2align	8
	.type	_ZN7rocprim17ROCPRIM_400000_NS6detail17trampoline_kernelINS0_14default_configENS1_33run_length_encode_config_selectorIajNS0_4plusIjEEEEZZNS1_33reduce_by_key_impl_wrapped_configILNS1_25lookback_scan_determinismE0ES3_S7_PKaNS0_17constant_iteratorIjlEEPaPlSF_S6_NS0_8equal_toIaEEEE10hipError_tPvRmT2_T3_mT4_T5_T6_T7_T8_P12ihipStream_tbENKUlT_T0_E_clISt17integral_constantIbLb0EESY_IbLb1EEEEDaSU_SV_EUlSU_E_NS1_11comp_targetILNS1_3genE4ELNS1_11target_archE910ELNS1_3gpuE8ELNS1_3repE0EEENS1_30default_config_static_selectorELNS0_4arch9wavefront6targetE1EEEvT1_,@function
_ZN7rocprim17ROCPRIM_400000_NS6detail17trampoline_kernelINS0_14default_configENS1_33run_length_encode_config_selectorIajNS0_4plusIjEEEEZZNS1_33reduce_by_key_impl_wrapped_configILNS1_25lookback_scan_determinismE0ES3_S7_PKaNS0_17constant_iteratorIjlEEPaPlSF_S6_NS0_8equal_toIaEEEE10hipError_tPvRmT2_T3_mT4_T5_T6_T7_T8_P12ihipStream_tbENKUlT_T0_E_clISt17integral_constantIbLb0EESY_IbLb1EEEEDaSU_SV_EUlSU_E_NS1_11comp_targetILNS1_3genE4ELNS1_11target_archE910ELNS1_3gpuE8ELNS1_3repE0EEENS1_30default_config_static_selectorELNS0_4arch9wavefront6targetE1EEEvT1_: ; @_ZN7rocprim17ROCPRIM_400000_NS6detail17trampoline_kernelINS0_14default_configENS1_33run_length_encode_config_selectorIajNS0_4plusIjEEEEZZNS1_33reduce_by_key_impl_wrapped_configILNS1_25lookback_scan_determinismE0ES3_S7_PKaNS0_17constant_iteratorIjlEEPaPlSF_S6_NS0_8equal_toIaEEEE10hipError_tPvRmT2_T3_mT4_T5_T6_T7_T8_P12ihipStream_tbENKUlT_T0_E_clISt17integral_constantIbLb0EESY_IbLb1EEEEDaSU_SV_EUlSU_E_NS1_11comp_targetILNS1_3genE4ELNS1_11target_archE910ELNS1_3gpuE8ELNS1_3repE0EEENS1_30default_config_static_selectorELNS0_4arch9wavefront6targetE1EEEvT1_
; %bb.0:
	.section	.rodata,"a",@progbits
	.p2align	6, 0x0
	.amdhsa_kernel _ZN7rocprim17ROCPRIM_400000_NS6detail17trampoline_kernelINS0_14default_configENS1_33run_length_encode_config_selectorIajNS0_4plusIjEEEEZZNS1_33reduce_by_key_impl_wrapped_configILNS1_25lookback_scan_determinismE0ES3_S7_PKaNS0_17constant_iteratorIjlEEPaPlSF_S6_NS0_8equal_toIaEEEE10hipError_tPvRmT2_T3_mT4_T5_T6_T7_T8_P12ihipStream_tbENKUlT_T0_E_clISt17integral_constantIbLb0EESY_IbLb1EEEEDaSU_SV_EUlSU_E_NS1_11comp_targetILNS1_3genE4ELNS1_11target_archE910ELNS1_3gpuE8ELNS1_3repE0EEENS1_30default_config_static_selectorELNS0_4arch9wavefront6targetE1EEEvT1_
		.amdhsa_group_segment_fixed_size 0
		.amdhsa_private_segment_fixed_size 0
		.amdhsa_kernarg_size 128
		.amdhsa_user_sgpr_count 2
		.amdhsa_user_sgpr_dispatch_ptr 0
		.amdhsa_user_sgpr_queue_ptr 0
		.amdhsa_user_sgpr_kernarg_segment_ptr 1
		.amdhsa_user_sgpr_dispatch_id 0
		.amdhsa_user_sgpr_kernarg_preload_length 0
		.amdhsa_user_sgpr_kernarg_preload_offset 0
		.amdhsa_user_sgpr_private_segment_size 0
		.amdhsa_uses_dynamic_stack 0
		.amdhsa_enable_private_segment 0
		.amdhsa_system_sgpr_workgroup_id_x 1
		.amdhsa_system_sgpr_workgroup_id_y 0
		.amdhsa_system_sgpr_workgroup_id_z 0
		.amdhsa_system_sgpr_workgroup_info 0
		.amdhsa_system_vgpr_workitem_id 0
		.amdhsa_next_free_vgpr 1
		.amdhsa_next_free_sgpr 0
		.amdhsa_accum_offset 4
		.amdhsa_reserve_vcc 0
		.amdhsa_float_round_mode_32 0
		.amdhsa_float_round_mode_16_64 0
		.amdhsa_float_denorm_mode_32 3
		.amdhsa_float_denorm_mode_16_64 3
		.amdhsa_dx10_clamp 1
		.amdhsa_ieee_mode 1
		.amdhsa_fp16_overflow 0
		.amdhsa_tg_split 0
		.amdhsa_exception_fp_ieee_invalid_op 0
		.amdhsa_exception_fp_denorm_src 0
		.amdhsa_exception_fp_ieee_div_zero 0
		.amdhsa_exception_fp_ieee_overflow 0
		.amdhsa_exception_fp_ieee_underflow 0
		.amdhsa_exception_fp_ieee_inexact 0
		.amdhsa_exception_int_div_zero 0
	.end_amdhsa_kernel
	.section	.text._ZN7rocprim17ROCPRIM_400000_NS6detail17trampoline_kernelINS0_14default_configENS1_33run_length_encode_config_selectorIajNS0_4plusIjEEEEZZNS1_33reduce_by_key_impl_wrapped_configILNS1_25lookback_scan_determinismE0ES3_S7_PKaNS0_17constant_iteratorIjlEEPaPlSF_S6_NS0_8equal_toIaEEEE10hipError_tPvRmT2_T3_mT4_T5_T6_T7_T8_P12ihipStream_tbENKUlT_T0_E_clISt17integral_constantIbLb0EESY_IbLb1EEEEDaSU_SV_EUlSU_E_NS1_11comp_targetILNS1_3genE4ELNS1_11target_archE910ELNS1_3gpuE8ELNS1_3repE0EEENS1_30default_config_static_selectorELNS0_4arch9wavefront6targetE1EEEvT1_,"axG",@progbits,_ZN7rocprim17ROCPRIM_400000_NS6detail17trampoline_kernelINS0_14default_configENS1_33run_length_encode_config_selectorIajNS0_4plusIjEEEEZZNS1_33reduce_by_key_impl_wrapped_configILNS1_25lookback_scan_determinismE0ES3_S7_PKaNS0_17constant_iteratorIjlEEPaPlSF_S6_NS0_8equal_toIaEEEE10hipError_tPvRmT2_T3_mT4_T5_T6_T7_T8_P12ihipStream_tbENKUlT_T0_E_clISt17integral_constantIbLb0EESY_IbLb1EEEEDaSU_SV_EUlSU_E_NS1_11comp_targetILNS1_3genE4ELNS1_11target_archE910ELNS1_3gpuE8ELNS1_3repE0EEENS1_30default_config_static_selectorELNS0_4arch9wavefront6targetE1EEEvT1_,comdat
.Lfunc_end264:
	.size	_ZN7rocprim17ROCPRIM_400000_NS6detail17trampoline_kernelINS0_14default_configENS1_33run_length_encode_config_selectorIajNS0_4plusIjEEEEZZNS1_33reduce_by_key_impl_wrapped_configILNS1_25lookback_scan_determinismE0ES3_S7_PKaNS0_17constant_iteratorIjlEEPaPlSF_S6_NS0_8equal_toIaEEEE10hipError_tPvRmT2_T3_mT4_T5_T6_T7_T8_P12ihipStream_tbENKUlT_T0_E_clISt17integral_constantIbLb0EESY_IbLb1EEEEDaSU_SV_EUlSU_E_NS1_11comp_targetILNS1_3genE4ELNS1_11target_archE910ELNS1_3gpuE8ELNS1_3repE0EEENS1_30default_config_static_selectorELNS0_4arch9wavefront6targetE1EEEvT1_, .Lfunc_end264-_ZN7rocprim17ROCPRIM_400000_NS6detail17trampoline_kernelINS0_14default_configENS1_33run_length_encode_config_selectorIajNS0_4plusIjEEEEZZNS1_33reduce_by_key_impl_wrapped_configILNS1_25lookback_scan_determinismE0ES3_S7_PKaNS0_17constant_iteratorIjlEEPaPlSF_S6_NS0_8equal_toIaEEEE10hipError_tPvRmT2_T3_mT4_T5_T6_T7_T8_P12ihipStream_tbENKUlT_T0_E_clISt17integral_constantIbLb0EESY_IbLb1EEEEDaSU_SV_EUlSU_E_NS1_11comp_targetILNS1_3genE4ELNS1_11target_archE910ELNS1_3gpuE8ELNS1_3repE0EEENS1_30default_config_static_selectorELNS0_4arch9wavefront6targetE1EEEvT1_
                                        ; -- End function
	.section	.AMDGPU.csdata,"",@progbits
; Kernel info:
; codeLenInByte = 0
; NumSgprs: 6
; NumVgprs: 0
; NumAgprs: 0
; TotalNumVgprs: 0
; ScratchSize: 0
; MemoryBound: 0
; FloatMode: 240
; IeeeMode: 1
; LDSByteSize: 0 bytes/workgroup (compile time only)
; SGPRBlocks: 0
; VGPRBlocks: 0
; NumSGPRsForWavesPerEU: 6
; NumVGPRsForWavesPerEU: 1
; AccumOffset: 4
; Occupancy: 8
; WaveLimiterHint : 0
; COMPUTE_PGM_RSRC2:SCRATCH_EN: 0
; COMPUTE_PGM_RSRC2:USER_SGPR: 2
; COMPUTE_PGM_RSRC2:TRAP_HANDLER: 0
; COMPUTE_PGM_RSRC2:TGID_X_EN: 1
; COMPUTE_PGM_RSRC2:TGID_Y_EN: 0
; COMPUTE_PGM_RSRC2:TGID_Z_EN: 0
; COMPUTE_PGM_RSRC2:TIDIG_COMP_CNT: 0
; COMPUTE_PGM_RSRC3_GFX90A:ACCUM_OFFSET: 0
; COMPUTE_PGM_RSRC3_GFX90A:TG_SPLIT: 0
	.section	.text._ZN7rocprim17ROCPRIM_400000_NS6detail17trampoline_kernelINS0_14default_configENS1_33run_length_encode_config_selectorIajNS0_4plusIjEEEEZZNS1_33reduce_by_key_impl_wrapped_configILNS1_25lookback_scan_determinismE0ES3_S7_PKaNS0_17constant_iteratorIjlEEPaPlSF_S6_NS0_8equal_toIaEEEE10hipError_tPvRmT2_T3_mT4_T5_T6_T7_T8_P12ihipStream_tbENKUlT_T0_E_clISt17integral_constantIbLb0EESY_IbLb1EEEEDaSU_SV_EUlSU_E_NS1_11comp_targetILNS1_3genE3ELNS1_11target_archE908ELNS1_3gpuE7ELNS1_3repE0EEENS1_30default_config_static_selectorELNS0_4arch9wavefront6targetE1EEEvT1_,"axG",@progbits,_ZN7rocprim17ROCPRIM_400000_NS6detail17trampoline_kernelINS0_14default_configENS1_33run_length_encode_config_selectorIajNS0_4plusIjEEEEZZNS1_33reduce_by_key_impl_wrapped_configILNS1_25lookback_scan_determinismE0ES3_S7_PKaNS0_17constant_iteratorIjlEEPaPlSF_S6_NS0_8equal_toIaEEEE10hipError_tPvRmT2_T3_mT4_T5_T6_T7_T8_P12ihipStream_tbENKUlT_T0_E_clISt17integral_constantIbLb0EESY_IbLb1EEEEDaSU_SV_EUlSU_E_NS1_11comp_targetILNS1_3genE3ELNS1_11target_archE908ELNS1_3gpuE7ELNS1_3repE0EEENS1_30default_config_static_selectorELNS0_4arch9wavefront6targetE1EEEvT1_,comdat
	.protected	_ZN7rocprim17ROCPRIM_400000_NS6detail17trampoline_kernelINS0_14default_configENS1_33run_length_encode_config_selectorIajNS0_4plusIjEEEEZZNS1_33reduce_by_key_impl_wrapped_configILNS1_25lookback_scan_determinismE0ES3_S7_PKaNS0_17constant_iteratorIjlEEPaPlSF_S6_NS0_8equal_toIaEEEE10hipError_tPvRmT2_T3_mT4_T5_T6_T7_T8_P12ihipStream_tbENKUlT_T0_E_clISt17integral_constantIbLb0EESY_IbLb1EEEEDaSU_SV_EUlSU_E_NS1_11comp_targetILNS1_3genE3ELNS1_11target_archE908ELNS1_3gpuE7ELNS1_3repE0EEENS1_30default_config_static_selectorELNS0_4arch9wavefront6targetE1EEEvT1_ ; -- Begin function _ZN7rocprim17ROCPRIM_400000_NS6detail17trampoline_kernelINS0_14default_configENS1_33run_length_encode_config_selectorIajNS0_4plusIjEEEEZZNS1_33reduce_by_key_impl_wrapped_configILNS1_25lookback_scan_determinismE0ES3_S7_PKaNS0_17constant_iteratorIjlEEPaPlSF_S6_NS0_8equal_toIaEEEE10hipError_tPvRmT2_T3_mT4_T5_T6_T7_T8_P12ihipStream_tbENKUlT_T0_E_clISt17integral_constantIbLb0EESY_IbLb1EEEEDaSU_SV_EUlSU_E_NS1_11comp_targetILNS1_3genE3ELNS1_11target_archE908ELNS1_3gpuE7ELNS1_3repE0EEENS1_30default_config_static_selectorELNS0_4arch9wavefront6targetE1EEEvT1_
	.globl	_ZN7rocprim17ROCPRIM_400000_NS6detail17trampoline_kernelINS0_14default_configENS1_33run_length_encode_config_selectorIajNS0_4plusIjEEEEZZNS1_33reduce_by_key_impl_wrapped_configILNS1_25lookback_scan_determinismE0ES3_S7_PKaNS0_17constant_iteratorIjlEEPaPlSF_S6_NS0_8equal_toIaEEEE10hipError_tPvRmT2_T3_mT4_T5_T6_T7_T8_P12ihipStream_tbENKUlT_T0_E_clISt17integral_constantIbLb0EESY_IbLb1EEEEDaSU_SV_EUlSU_E_NS1_11comp_targetILNS1_3genE3ELNS1_11target_archE908ELNS1_3gpuE7ELNS1_3repE0EEENS1_30default_config_static_selectorELNS0_4arch9wavefront6targetE1EEEvT1_
	.p2align	8
	.type	_ZN7rocprim17ROCPRIM_400000_NS6detail17trampoline_kernelINS0_14default_configENS1_33run_length_encode_config_selectorIajNS0_4plusIjEEEEZZNS1_33reduce_by_key_impl_wrapped_configILNS1_25lookback_scan_determinismE0ES3_S7_PKaNS0_17constant_iteratorIjlEEPaPlSF_S6_NS0_8equal_toIaEEEE10hipError_tPvRmT2_T3_mT4_T5_T6_T7_T8_P12ihipStream_tbENKUlT_T0_E_clISt17integral_constantIbLb0EESY_IbLb1EEEEDaSU_SV_EUlSU_E_NS1_11comp_targetILNS1_3genE3ELNS1_11target_archE908ELNS1_3gpuE7ELNS1_3repE0EEENS1_30default_config_static_selectorELNS0_4arch9wavefront6targetE1EEEvT1_,@function
_ZN7rocprim17ROCPRIM_400000_NS6detail17trampoline_kernelINS0_14default_configENS1_33run_length_encode_config_selectorIajNS0_4plusIjEEEEZZNS1_33reduce_by_key_impl_wrapped_configILNS1_25lookback_scan_determinismE0ES3_S7_PKaNS0_17constant_iteratorIjlEEPaPlSF_S6_NS0_8equal_toIaEEEE10hipError_tPvRmT2_T3_mT4_T5_T6_T7_T8_P12ihipStream_tbENKUlT_T0_E_clISt17integral_constantIbLb0EESY_IbLb1EEEEDaSU_SV_EUlSU_E_NS1_11comp_targetILNS1_3genE3ELNS1_11target_archE908ELNS1_3gpuE7ELNS1_3repE0EEENS1_30default_config_static_selectorELNS0_4arch9wavefront6targetE1EEEvT1_: ; @_ZN7rocprim17ROCPRIM_400000_NS6detail17trampoline_kernelINS0_14default_configENS1_33run_length_encode_config_selectorIajNS0_4plusIjEEEEZZNS1_33reduce_by_key_impl_wrapped_configILNS1_25lookback_scan_determinismE0ES3_S7_PKaNS0_17constant_iteratorIjlEEPaPlSF_S6_NS0_8equal_toIaEEEE10hipError_tPvRmT2_T3_mT4_T5_T6_T7_T8_P12ihipStream_tbENKUlT_T0_E_clISt17integral_constantIbLb0EESY_IbLb1EEEEDaSU_SV_EUlSU_E_NS1_11comp_targetILNS1_3genE3ELNS1_11target_archE908ELNS1_3gpuE7ELNS1_3repE0EEENS1_30default_config_static_selectorELNS0_4arch9wavefront6targetE1EEEvT1_
; %bb.0:
	.section	.rodata,"a",@progbits
	.p2align	6, 0x0
	.amdhsa_kernel _ZN7rocprim17ROCPRIM_400000_NS6detail17trampoline_kernelINS0_14default_configENS1_33run_length_encode_config_selectorIajNS0_4plusIjEEEEZZNS1_33reduce_by_key_impl_wrapped_configILNS1_25lookback_scan_determinismE0ES3_S7_PKaNS0_17constant_iteratorIjlEEPaPlSF_S6_NS0_8equal_toIaEEEE10hipError_tPvRmT2_T3_mT4_T5_T6_T7_T8_P12ihipStream_tbENKUlT_T0_E_clISt17integral_constantIbLb0EESY_IbLb1EEEEDaSU_SV_EUlSU_E_NS1_11comp_targetILNS1_3genE3ELNS1_11target_archE908ELNS1_3gpuE7ELNS1_3repE0EEENS1_30default_config_static_selectorELNS0_4arch9wavefront6targetE1EEEvT1_
		.amdhsa_group_segment_fixed_size 0
		.amdhsa_private_segment_fixed_size 0
		.amdhsa_kernarg_size 128
		.amdhsa_user_sgpr_count 2
		.amdhsa_user_sgpr_dispatch_ptr 0
		.amdhsa_user_sgpr_queue_ptr 0
		.amdhsa_user_sgpr_kernarg_segment_ptr 1
		.amdhsa_user_sgpr_dispatch_id 0
		.amdhsa_user_sgpr_kernarg_preload_length 0
		.amdhsa_user_sgpr_kernarg_preload_offset 0
		.amdhsa_user_sgpr_private_segment_size 0
		.amdhsa_uses_dynamic_stack 0
		.amdhsa_enable_private_segment 0
		.amdhsa_system_sgpr_workgroup_id_x 1
		.amdhsa_system_sgpr_workgroup_id_y 0
		.amdhsa_system_sgpr_workgroup_id_z 0
		.amdhsa_system_sgpr_workgroup_info 0
		.amdhsa_system_vgpr_workitem_id 0
		.amdhsa_next_free_vgpr 1
		.amdhsa_next_free_sgpr 0
		.amdhsa_accum_offset 4
		.amdhsa_reserve_vcc 0
		.amdhsa_float_round_mode_32 0
		.amdhsa_float_round_mode_16_64 0
		.amdhsa_float_denorm_mode_32 3
		.amdhsa_float_denorm_mode_16_64 3
		.amdhsa_dx10_clamp 1
		.amdhsa_ieee_mode 1
		.amdhsa_fp16_overflow 0
		.amdhsa_tg_split 0
		.amdhsa_exception_fp_ieee_invalid_op 0
		.amdhsa_exception_fp_denorm_src 0
		.amdhsa_exception_fp_ieee_div_zero 0
		.amdhsa_exception_fp_ieee_overflow 0
		.amdhsa_exception_fp_ieee_underflow 0
		.amdhsa_exception_fp_ieee_inexact 0
		.amdhsa_exception_int_div_zero 0
	.end_amdhsa_kernel
	.section	.text._ZN7rocprim17ROCPRIM_400000_NS6detail17trampoline_kernelINS0_14default_configENS1_33run_length_encode_config_selectorIajNS0_4plusIjEEEEZZNS1_33reduce_by_key_impl_wrapped_configILNS1_25lookback_scan_determinismE0ES3_S7_PKaNS0_17constant_iteratorIjlEEPaPlSF_S6_NS0_8equal_toIaEEEE10hipError_tPvRmT2_T3_mT4_T5_T6_T7_T8_P12ihipStream_tbENKUlT_T0_E_clISt17integral_constantIbLb0EESY_IbLb1EEEEDaSU_SV_EUlSU_E_NS1_11comp_targetILNS1_3genE3ELNS1_11target_archE908ELNS1_3gpuE7ELNS1_3repE0EEENS1_30default_config_static_selectorELNS0_4arch9wavefront6targetE1EEEvT1_,"axG",@progbits,_ZN7rocprim17ROCPRIM_400000_NS6detail17trampoline_kernelINS0_14default_configENS1_33run_length_encode_config_selectorIajNS0_4plusIjEEEEZZNS1_33reduce_by_key_impl_wrapped_configILNS1_25lookback_scan_determinismE0ES3_S7_PKaNS0_17constant_iteratorIjlEEPaPlSF_S6_NS0_8equal_toIaEEEE10hipError_tPvRmT2_T3_mT4_T5_T6_T7_T8_P12ihipStream_tbENKUlT_T0_E_clISt17integral_constantIbLb0EESY_IbLb1EEEEDaSU_SV_EUlSU_E_NS1_11comp_targetILNS1_3genE3ELNS1_11target_archE908ELNS1_3gpuE7ELNS1_3repE0EEENS1_30default_config_static_selectorELNS0_4arch9wavefront6targetE1EEEvT1_,comdat
.Lfunc_end265:
	.size	_ZN7rocprim17ROCPRIM_400000_NS6detail17trampoline_kernelINS0_14default_configENS1_33run_length_encode_config_selectorIajNS0_4plusIjEEEEZZNS1_33reduce_by_key_impl_wrapped_configILNS1_25lookback_scan_determinismE0ES3_S7_PKaNS0_17constant_iteratorIjlEEPaPlSF_S6_NS0_8equal_toIaEEEE10hipError_tPvRmT2_T3_mT4_T5_T6_T7_T8_P12ihipStream_tbENKUlT_T0_E_clISt17integral_constantIbLb0EESY_IbLb1EEEEDaSU_SV_EUlSU_E_NS1_11comp_targetILNS1_3genE3ELNS1_11target_archE908ELNS1_3gpuE7ELNS1_3repE0EEENS1_30default_config_static_selectorELNS0_4arch9wavefront6targetE1EEEvT1_, .Lfunc_end265-_ZN7rocprim17ROCPRIM_400000_NS6detail17trampoline_kernelINS0_14default_configENS1_33run_length_encode_config_selectorIajNS0_4plusIjEEEEZZNS1_33reduce_by_key_impl_wrapped_configILNS1_25lookback_scan_determinismE0ES3_S7_PKaNS0_17constant_iteratorIjlEEPaPlSF_S6_NS0_8equal_toIaEEEE10hipError_tPvRmT2_T3_mT4_T5_T6_T7_T8_P12ihipStream_tbENKUlT_T0_E_clISt17integral_constantIbLb0EESY_IbLb1EEEEDaSU_SV_EUlSU_E_NS1_11comp_targetILNS1_3genE3ELNS1_11target_archE908ELNS1_3gpuE7ELNS1_3repE0EEENS1_30default_config_static_selectorELNS0_4arch9wavefront6targetE1EEEvT1_
                                        ; -- End function
	.section	.AMDGPU.csdata,"",@progbits
; Kernel info:
; codeLenInByte = 0
; NumSgprs: 6
; NumVgprs: 0
; NumAgprs: 0
; TotalNumVgprs: 0
; ScratchSize: 0
; MemoryBound: 0
; FloatMode: 240
; IeeeMode: 1
; LDSByteSize: 0 bytes/workgroup (compile time only)
; SGPRBlocks: 0
; VGPRBlocks: 0
; NumSGPRsForWavesPerEU: 6
; NumVGPRsForWavesPerEU: 1
; AccumOffset: 4
; Occupancy: 8
; WaveLimiterHint : 0
; COMPUTE_PGM_RSRC2:SCRATCH_EN: 0
; COMPUTE_PGM_RSRC2:USER_SGPR: 2
; COMPUTE_PGM_RSRC2:TRAP_HANDLER: 0
; COMPUTE_PGM_RSRC2:TGID_X_EN: 1
; COMPUTE_PGM_RSRC2:TGID_Y_EN: 0
; COMPUTE_PGM_RSRC2:TGID_Z_EN: 0
; COMPUTE_PGM_RSRC2:TIDIG_COMP_CNT: 0
; COMPUTE_PGM_RSRC3_GFX90A:ACCUM_OFFSET: 0
; COMPUTE_PGM_RSRC3_GFX90A:TG_SPLIT: 0
	.section	.text._ZN7rocprim17ROCPRIM_400000_NS6detail17trampoline_kernelINS0_14default_configENS1_33run_length_encode_config_selectorIajNS0_4plusIjEEEEZZNS1_33reduce_by_key_impl_wrapped_configILNS1_25lookback_scan_determinismE0ES3_S7_PKaNS0_17constant_iteratorIjlEEPaPlSF_S6_NS0_8equal_toIaEEEE10hipError_tPvRmT2_T3_mT4_T5_T6_T7_T8_P12ihipStream_tbENKUlT_T0_E_clISt17integral_constantIbLb0EESY_IbLb1EEEEDaSU_SV_EUlSU_E_NS1_11comp_targetILNS1_3genE2ELNS1_11target_archE906ELNS1_3gpuE6ELNS1_3repE0EEENS1_30default_config_static_selectorELNS0_4arch9wavefront6targetE1EEEvT1_,"axG",@progbits,_ZN7rocprim17ROCPRIM_400000_NS6detail17trampoline_kernelINS0_14default_configENS1_33run_length_encode_config_selectorIajNS0_4plusIjEEEEZZNS1_33reduce_by_key_impl_wrapped_configILNS1_25lookback_scan_determinismE0ES3_S7_PKaNS0_17constant_iteratorIjlEEPaPlSF_S6_NS0_8equal_toIaEEEE10hipError_tPvRmT2_T3_mT4_T5_T6_T7_T8_P12ihipStream_tbENKUlT_T0_E_clISt17integral_constantIbLb0EESY_IbLb1EEEEDaSU_SV_EUlSU_E_NS1_11comp_targetILNS1_3genE2ELNS1_11target_archE906ELNS1_3gpuE6ELNS1_3repE0EEENS1_30default_config_static_selectorELNS0_4arch9wavefront6targetE1EEEvT1_,comdat
	.protected	_ZN7rocprim17ROCPRIM_400000_NS6detail17trampoline_kernelINS0_14default_configENS1_33run_length_encode_config_selectorIajNS0_4plusIjEEEEZZNS1_33reduce_by_key_impl_wrapped_configILNS1_25lookback_scan_determinismE0ES3_S7_PKaNS0_17constant_iteratorIjlEEPaPlSF_S6_NS0_8equal_toIaEEEE10hipError_tPvRmT2_T3_mT4_T5_T6_T7_T8_P12ihipStream_tbENKUlT_T0_E_clISt17integral_constantIbLb0EESY_IbLb1EEEEDaSU_SV_EUlSU_E_NS1_11comp_targetILNS1_3genE2ELNS1_11target_archE906ELNS1_3gpuE6ELNS1_3repE0EEENS1_30default_config_static_selectorELNS0_4arch9wavefront6targetE1EEEvT1_ ; -- Begin function _ZN7rocprim17ROCPRIM_400000_NS6detail17trampoline_kernelINS0_14default_configENS1_33run_length_encode_config_selectorIajNS0_4plusIjEEEEZZNS1_33reduce_by_key_impl_wrapped_configILNS1_25lookback_scan_determinismE0ES3_S7_PKaNS0_17constant_iteratorIjlEEPaPlSF_S6_NS0_8equal_toIaEEEE10hipError_tPvRmT2_T3_mT4_T5_T6_T7_T8_P12ihipStream_tbENKUlT_T0_E_clISt17integral_constantIbLb0EESY_IbLb1EEEEDaSU_SV_EUlSU_E_NS1_11comp_targetILNS1_3genE2ELNS1_11target_archE906ELNS1_3gpuE6ELNS1_3repE0EEENS1_30default_config_static_selectorELNS0_4arch9wavefront6targetE1EEEvT1_
	.globl	_ZN7rocprim17ROCPRIM_400000_NS6detail17trampoline_kernelINS0_14default_configENS1_33run_length_encode_config_selectorIajNS0_4plusIjEEEEZZNS1_33reduce_by_key_impl_wrapped_configILNS1_25lookback_scan_determinismE0ES3_S7_PKaNS0_17constant_iteratorIjlEEPaPlSF_S6_NS0_8equal_toIaEEEE10hipError_tPvRmT2_T3_mT4_T5_T6_T7_T8_P12ihipStream_tbENKUlT_T0_E_clISt17integral_constantIbLb0EESY_IbLb1EEEEDaSU_SV_EUlSU_E_NS1_11comp_targetILNS1_3genE2ELNS1_11target_archE906ELNS1_3gpuE6ELNS1_3repE0EEENS1_30default_config_static_selectorELNS0_4arch9wavefront6targetE1EEEvT1_
	.p2align	8
	.type	_ZN7rocprim17ROCPRIM_400000_NS6detail17trampoline_kernelINS0_14default_configENS1_33run_length_encode_config_selectorIajNS0_4plusIjEEEEZZNS1_33reduce_by_key_impl_wrapped_configILNS1_25lookback_scan_determinismE0ES3_S7_PKaNS0_17constant_iteratorIjlEEPaPlSF_S6_NS0_8equal_toIaEEEE10hipError_tPvRmT2_T3_mT4_T5_T6_T7_T8_P12ihipStream_tbENKUlT_T0_E_clISt17integral_constantIbLb0EESY_IbLb1EEEEDaSU_SV_EUlSU_E_NS1_11comp_targetILNS1_3genE2ELNS1_11target_archE906ELNS1_3gpuE6ELNS1_3repE0EEENS1_30default_config_static_selectorELNS0_4arch9wavefront6targetE1EEEvT1_,@function
_ZN7rocprim17ROCPRIM_400000_NS6detail17trampoline_kernelINS0_14default_configENS1_33run_length_encode_config_selectorIajNS0_4plusIjEEEEZZNS1_33reduce_by_key_impl_wrapped_configILNS1_25lookback_scan_determinismE0ES3_S7_PKaNS0_17constant_iteratorIjlEEPaPlSF_S6_NS0_8equal_toIaEEEE10hipError_tPvRmT2_T3_mT4_T5_T6_T7_T8_P12ihipStream_tbENKUlT_T0_E_clISt17integral_constantIbLb0EESY_IbLb1EEEEDaSU_SV_EUlSU_E_NS1_11comp_targetILNS1_3genE2ELNS1_11target_archE906ELNS1_3gpuE6ELNS1_3repE0EEENS1_30default_config_static_selectorELNS0_4arch9wavefront6targetE1EEEvT1_: ; @_ZN7rocprim17ROCPRIM_400000_NS6detail17trampoline_kernelINS0_14default_configENS1_33run_length_encode_config_selectorIajNS0_4plusIjEEEEZZNS1_33reduce_by_key_impl_wrapped_configILNS1_25lookback_scan_determinismE0ES3_S7_PKaNS0_17constant_iteratorIjlEEPaPlSF_S6_NS0_8equal_toIaEEEE10hipError_tPvRmT2_T3_mT4_T5_T6_T7_T8_P12ihipStream_tbENKUlT_T0_E_clISt17integral_constantIbLb0EESY_IbLb1EEEEDaSU_SV_EUlSU_E_NS1_11comp_targetILNS1_3genE2ELNS1_11target_archE906ELNS1_3gpuE6ELNS1_3repE0EEENS1_30default_config_static_selectorELNS0_4arch9wavefront6targetE1EEEvT1_
; %bb.0:
	.section	.rodata,"a",@progbits
	.p2align	6, 0x0
	.amdhsa_kernel _ZN7rocprim17ROCPRIM_400000_NS6detail17trampoline_kernelINS0_14default_configENS1_33run_length_encode_config_selectorIajNS0_4plusIjEEEEZZNS1_33reduce_by_key_impl_wrapped_configILNS1_25lookback_scan_determinismE0ES3_S7_PKaNS0_17constant_iteratorIjlEEPaPlSF_S6_NS0_8equal_toIaEEEE10hipError_tPvRmT2_T3_mT4_T5_T6_T7_T8_P12ihipStream_tbENKUlT_T0_E_clISt17integral_constantIbLb0EESY_IbLb1EEEEDaSU_SV_EUlSU_E_NS1_11comp_targetILNS1_3genE2ELNS1_11target_archE906ELNS1_3gpuE6ELNS1_3repE0EEENS1_30default_config_static_selectorELNS0_4arch9wavefront6targetE1EEEvT1_
		.amdhsa_group_segment_fixed_size 0
		.amdhsa_private_segment_fixed_size 0
		.amdhsa_kernarg_size 128
		.amdhsa_user_sgpr_count 2
		.amdhsa_user_sgpr_dispatch_ptr 0
		.amdhsa_user_sgpr_queue_ptr 0
		.amdhsa_user_sgpr_kernarg_segment_ptr 1
		.amdhsa_user_sgpr_dispatch_id 0
		.amdhsa_user_sgpr_kernarg_preload_length 0
		.amdhsa_user_sgpr_kernarg_preload_offset 0
		.amdhsa_user_sgpr_private_segment_size 0
		.amdhsa_uses_dynamic_stack 0
		.amdhsa_enable_private_segment 0
		.amdhsa_system_sgpr_workgroup_id_x 1
		.amdhsa_system_sgpr_workgroup_id_y 0
		.amdhsa_system_sgpr_workgroup_id_z 0
		.amdhsa_system_sgpr_workgroup_info 0
		.amdhsa_system_vgpr_workitem_id 0
		.amdhsa_next_free_vgpr 1
		.amdhsa_next_free_sgpr 0
		.amdhsa_accum_offset 4
		.amdhsa_reserve_vcc 0
		.amdhsa_float_round_mode_32 0
		.amdhsa_float_round_mode_16_64 0
		.amdhsa_float_denorm_mode_32 3
		.amdhsa_float_denorm_mode_16_64 3
		.amdhsa_dx10_clamp 1
		.amdhsa_ieee_mode 1
		.amdhsa_fp16_overflow 0
		.amdhsa_tg_split 0
		.amdhsa_exception_fp_ieee_invalid_op 0
		.amdhsa_exception_fp_denorm_src 0
		.amdhsa_exception_fp_ieee_div_zero 0
		.amdhsa_exception_fp_ieee_overflow 0
		.amdhsa_exception_fp_ieee_underflow 0
		.amdhsa_exception_fp_ieee_inexact 0
		.amdhsa_exception_int_div_zero 0
	.end_amdhsa_kernel
	.section	.text._ZN7rocprim17ROCPRIM_400000_NS6detail17trampoline_kernelINS0_14default_configENS1_33run_length_encode_config_selectorIajNS0_4plusIjEEEEZZNS1_33reduce_by_key_impl_wrapped_configILNS1_25lookback_scan_determinismE0ES3_S7_PKaNS0_17constant_iteratorIjlEEPaPlSF_S6_NS0_8equal_toIaEEEE10hipError_tPvRmT2_T3_mT4_T5_T6_T7_T8_P12ihipStream_tbENKUlT_T0_E_clISt17integral_constantIbLb0EESY_IbLb1EEEEDaSU_SV_EUlSU_E_NS1_11comp_targetILNS1_3genE2ELNS1_11target_archE906ELNS1_3gpuE6ELNS1_3repE0EEENS1_30default_config_static_selectorELNS0_4arch9wavefront6targetE1EEEvT1_,"axG",@progbits,_ZN7rocprim17ROCPRIM_400000_NS6detail17trampoline_kernelINS0_14default_configENS1_33run_length_encode_config_selectorIajNS0_4plusIjEEEEZZNS1_33reduce_by_key_impl_wrapped_configILNS1_25lookback_scan_determinismE0ES3_S7_PKaNS0_17constant_iteratorIjlEEPaPlSF_S6_NS0_8equal_toIaEEEE10hipError_tPvRmT2_T3_mT4_T5_T6_T7_T8_P12ihipStream_tbENKUlT_T0_E_clISt17integral_constantIbLb0EESY_IbLb1EEEEDaSU_SV_EUlSU_E_NS1_11comp_targetILNS1_3genE2ELNS1_11target_archE906ELNS1_3gpuE6ELNS1_3repE0EEENS1_30default_config_static_selectorELNS0_4arch9wavefront6targetE1EEEvT1_,comdat
.Lfunc_end266:
	.size	_ZN7rocprim17ROCPRIM_400000_NS6detail17trampoline_kernelINS0_14default_configENS1_33run_length_encode_config_selectorIajNS0_4plusIjEEEEZZNS1_33reduce_by_key_impl_wrapped_configILNS1_25lookback_scan_determinismE0ES3_S7_PKaNS0_17constant_iteratorIjlEEPaPlSF_S6_NS0_8equal_toIaEEEE10hipError_tPvRmT2_T3_mT4_T5_T6_T7_T8_P12ihipStream_tbENKUlT_T0_E_clISt17integral_constantIbLb0EESY_IbLb1EEEEDaSU_SV_EUlSU_E_NS1_11comp_targetILNS1_3genE2ELNS1_11target_archE906ELNS1_3gpuE6ELNS1_3repE0EEENS1_30default_config_static_selectorELNS0_4arch9wavefront6targetE1EEEvT1_, .Lfunc_end266-_ZN7rocprim17ROCPRIM_400000_NS6detail17trampoline_kernelINS0_14default_configENS1_33run_length_encode_config_selectorIajNS0_4plusIjEEEEZZNS1_33reduce_by_key_impl_wrapped_configILNS1_25lookback_scan_determinismE0ES3_S7_PKaNS0_17constant_iteratorIjlEEPaPlSF_S6_NS0_8equal_toIaEEEE10hipError_tPvRmT2_T3_mT4_T5_T6_T7_T8_P12ihipStream_tbENKUlT_T0_E_clISt17integral_constantIbLb0EESY_IbLb1EEEEDaSU_SV_EUlSU_E_NS1_11comp_targetILNS1_3genE2ELNS1_11target_archE906ELNS1_3gpuE6ELNS1_3repE0EEENS1_30default_config_static_selectorELNS0_4arch9wavefront6targetE1EEEvT1_
                                        ; -- End function
	.section	.AMDGPU.csdata,"",@progbits
; Kernel info:
; codeLenInByte = 0
; NumSgprs: 6
; NumVgprs: 0
; NumAgprs: 0
; TotalNumVgprs: 0
; ScratchSize: 0
; MemoryBound: 0
; FloatMode: 240
; IeeeMode: 1
; LDSByteSize: 0 bytes/workgroup (compile time only)
; SGPRBlocks: 0
; VGPRBlocks: 0
; NumSGPRsForWavesPerEU: 6
; NumVGPRsForWavesPerEU: 1
; AccumOffset: 4
; Occupancy: 8
; WaveLimiterHint : 0
; COMPUTE_PGM_RSRC2:SCRATCH_EN: 0
; COMPUTE_PGM_RSRC2:USER_SGPR: 2
; COMPUTE_PGM_RSRC2:TRAP_HANDLER: 0
; COMPUTE_PGM_RSRC2:TGID_X_EN: 1
; COMPUTE_PGM_RSRC2:TGID_Y_EN: 0
; COMPUTE_PGM_RSRC2:TGID_Z_EN: 0
; COMPUTE_PGM_RSRC2:TIDIG_COMP_CNT: 0
; COMPUTE_PGM_RSRC3_GFX90A:ACCUM_OFFSET: 0
; COMPUTE_PGM_RSRC3_GFX90A:TG_SPLIT: 0
	.section	.text._ZN7rocprim17ROCPRIM_400000_NS6detail17trampoline_kernelINS0_14default_configENS1_33run_length_encode_config_selectorIajNS0_4plusIjEEEEZZNS1_33reduce_by_key_impl_wrapped_configILNS1_25lookback_scan_determinismE0ES3_S7_PKaNS0_17constant_iteratorIjlEEPaPlSF_S6_NS0_8equal_toIaEEEE10hipError_tPvRmT2_T3_mT4_T5_T6_T7_T8_P12ihipStream_tbENKUlT_T0_E_clISt17integral_constantIbLb0EESY_IbLb1EEEEDaSU_SV_EUlSU_E_NS1_11comp_targetILNS1_3genE10ELNS1_11target_archE1201ELNS1_3gpuE5ELNS1_3repE0EEENS1_30default_config_static_selectorELNS0_4arch9wavefront6targetE1EEEvT1_,"axG",@progbits,_ZN7rocprim17ROCPRIM_400000_NS6detail17trampoline_kernelINS0_14default_configENS1_33run_length_encode_config_selectorIajNS0_4plusIjEEEEZZNS1_33reduce_by_key_impl_wrapped_configILNS1_25lookback_scan_determinismE0ES3_S7_PKaNS0_17constant_iteratorIjlEEPaPlSF_S6_NS0_8equal_toIaEEEE10hipError_tPvRmT2_T3_mT4_T5_T6_T7_T8_P12ihipStream_tbENKUlT_T0_E_clISt17integral_constantIbLb0EESY_IbLb1EEEEDaSU_SV_EUlSU_E_NS1_11comp_targetILNS1_3genE10ELNS1_11target_archE1201ELNS1_3gpuE5ELNS1_3repE0EEENS1_30default_config_static_selectorELNS0_4arch9wavefront6targetE1EEEvT1_,comdat
	.protected	_ZN7rocprim17ROCPRIM_400000_NS6detail17trampoline_kernelINS0_14default_configENS1_33run_length_encode_config_selectorIajNS0_4plusIjEEEEZZNS1_33reduce_by_key_impl_wrapped_configILNS1_25lookback_scan_determinismE0ES3_S7_PKaNS0_17constant_iteratorIjlEEPaPlSF_S6_NS0_8equal_toIaEEEE10hipError_tPvRmT2_T3_mT4_T5_T6_T7_T8_P12ihipStream_tbENKUlT_T0_E_clISt17integral_constantIbLb0EESY_IbLb1EEEEDaSU_SV_EUlSU_E_NS1_11comp_targetILNS1_3genE10ELNS1_11target_archE1201ELNS1_3gpuE5ELNS1_3repE0EEENS1_30default_config_static_selectorELNS0_4arch9wavefront6targetE1EEEvT1_ ; -- Begin function _ZN7rocprim17ROCPRIM_400000_NS6detail17trampoline_kernelINS0_14default_configENS1_33run_length_encode_config_selectorIajNS0_4plusIjEEEEZZNS1_33reduce_by_key_impl_wrapped_configILNS1_25lookback_scan_determinismE0ES3_S7_PKaNS0_17constant_iteratorIjlEEPaPlSF_S6_NS0_8equal_toIaEEEE10hipError_tPvRmT2_T3_mT4_T5_T6_T7_T8_P12ihipStream_tbENKUlT_T0_E_clISt17integral_constantIbLb0EESY_IbLb1EEEEDaSU_SV_EUlSU_E_NS1_11comp_targetILNS1_3genE10ELNS1_11target_archE1201ELNS1_3gpuE5ELNS1_3repE0EEENS1_30default_config_static_selectorELNS0_4arch9wavefront6targetE1EEEvT1_
	.globl	_ZN7rocprim17ROCPRIM_400000_NS6detail17trampoline_kernelINS0_14default_configENS1_33run_length_encode_config_selectorIajNS0_4plusIjEEEEZZNS1_33reduce_by_key_impl_wrapped_configILNS1_25lookback_scan_determinismE0ES3_S7_PKaNS0_17constant_iteratorIjlEEPaPlSF_S6_NS0_8equal_toIaEEEE10hipError_tPvRmT2_T3_mT4_T5_T6_T7_T8_P12ihipStream_tbENKUlT_T0_E_clISt17integral_constantIbLb0EESY_IbLb1EEEEDaSU_SV_EUlSU_E_NS1_11comp_targetILNS1_3genE10ELNS1_11target_archE1201ELNS1_3gpuE5ELNS1_3repE0EEENS1_30default_config_static_selectorELNS0_4arch9wavefront6targetE1EEEvT1_
	.p2align	8
	.type	_ZN7rocprim17ROCPRIM_400000_NS6detail17trampoline_kernelINS0_14default_configENS1_33run_length_encode_config_selectorIajNS0_4plusIjEEEEZZNS1_33reduce_by_key_impl_wrapped_configILNS1_25lookback_scan_determinismE0ES3_S7_PKaNS0_17constant_iteratorIjlEEPaPlSF_S6_NS0_8equal_toIaEEEE10hipError_tPvRmT2_T3_mT4_T5_T6_T7_T8_P12ihipStream_tbENKUlT_T0_E_clISt17integral_constantIbLb0EESY_IbLb1EEEEDaSU_SV_EUlSU_E_NS1_11comp_targetILNS1_3genE10ELNS1_11target_archE1201ELNS1_3gpuE5ELNS1_3repE0EEENS1_30default_config_static_selectorELNS0_4arch9wavefront6targetE1EEEvT1_,@function
_ZN7rocprim17ROCPRIM_400000_NS6detail17trampoline_kernelINS0_14default_configENS1_33run_length_encode_config_selectorIajNS0_4plusIjEEEEZZNS1_33reduce_by_key_impl_wrapped_configILNS1_25lookback_scan_determinismE0ES3_S7_PKaNS0_17constant_iteratorIjlEEPaPlSF_S6_NS0_8equal_toIaEEEE10hipError_tPvRmT2_T3_mT4_T5_T6_T7_T8_P12ihipStream_tbENKUlT_T0_E_clISt17integral_constantIbLb0EESY_IbLb1EEEEDaSU_SV_EUlSU_E_NS1_11comp_targetILNS1_3genE10ELNS1_11target_archE1201ELNS1_3gpuE5ELNS1_3repE0EEENS1_30default_config_static_selectorELNS0_4arch9wavefront6targetE1EEEvT1_: ; @_ZN7rocprim17ROCPRIM_400000_NS6detail17trampoline_kernelINS0_14default_configENS1_33run_length_encode_config_selectorIajNS0_4plusIjEEEEZZNS1_33reduce_by_key_impl_wrapped_configILNS1_25lookback_scan_determinismE0ES3_S7_PKaNS0_17constant_iteratorIjlEEPaPlSF_S6_NS0_8equal_toIaEEEE10hipError_tPvRmT2_T3_mT4_T5_T6_T7_T8_P12ihipStream_tbENKUlT_T0_E_clISt17integral_constantIbLb0EESY_IbLb1EEEEDaSU_SV_EUlSU_E_NS1_11comp_targetILNS1_3genE10ELNS1_11target_archE1201ELNS1_3gpuE5ELNS1_3repE0EEENS1_30default_config_static_selectorELNS0_4arch9wavefront6targetE1EEEvT1_
; %bb.0:
	.section	.rodata,"a",@progbits
	.p2align	6, 0x0
	.amdhsa_kernel _ZN7rocprim17ROCPRIM_400000_NS6detail17trampoline_kernelINS0_14default_configENS1_33run_length_encode_config_selectorIajNS0_4plusIjEEEEZZNS1_33reduce_by_key_impl_wrapped_configILNS1_25lookback_scan_determinismE0ES3_S7_PKaNS0_17constant_iteratorIjlEEPaPlSF_S6_NS0_8equal_toIaEEEE10hipError_tPvRmT2_T3_mT4_T5_T6_T7_T8_P12ihipStream_tbENKUlT_T0_E_clISt17integral_constantIbLb0EESY_IbLb1EEEEDaSU_SV_EUlSU_E_NS1_11comp_targetILNS1_3genE10ELNS1_11target_archE1201ELNS1_3gpuE5ELNS1_3repE0EEENS1_30default_config_static_selectorELNS0_4arch9wavefront6targetE1EEEvT1_
		.amdhsa_group_segment_fixed_size 0
		.amdhsa_private_segment_fixed_size 0
		.amdhsa_kernarg_size 128
		.amdhsa_user_sgpr_count 2
		.amdhsa_user_sgpr_dispatch_ptr 0
		.amdhsa_user_sgpr_queue_ptr 0
		.amdhsa_user_sgpr_kernarg_segment_ptr 1
		.amdhsa_user_sgpr_dispatch_id 0
		.amdhsa_user_sgpr_kernarg_preload_length 0
		.amdhsa_user_sgpr_kernarg_preload_offset 0
		.amdhsa_user_sgpr_private_segment_size 0
		.amdhsa_uses_dynamic_stack 0
		.amdhsa_enable_private_segment 0
		.amdhsa_system_sgpr_workgroup_id_x 1
		.amdhsa_system_sgpr_workgroup_id_y 0
		.amdhsa_system_sgpr_workgroup_id_z 0
		.amdhsa_system_sgpr_workgroup_info 0
		.amdhsa_system_vgpr_workitem_id 0
		.amdhsa_next_free_vgpr 1
		.amdhsa_next_free_sgpr 0
		.amdhsa_accum_offset 4
		.amdhsa_reserve_vcc 0
		.amdhsa_float_round_mode_32 0
		.amdhsa_float_round_mode_16_64 0
		.amdhsa_float_denorm_mode_32 3
		.amdhsa_float_denorm_mode_16_64 3
		.amdhsa_dx10_clamp 1
		.amdhsa_ieee_mode 1
		.amdhsa_fp16_overflow 0
		.amdhsa_tg_split 0
		.amdhsa_exception_fp_ieee_invalid_op 0
		.amdhsa_exception_fp_denorm_src 0
		.amdhsa_exception_fp_ieee_div_zero 0
		.amdhsa_exception_fp_ieee_overflow 0
		.amdhsa_exception_fp_ieee_underflow 0
		.amdhsa_exception_fp_ieee_inexact 0
		.amdhsa_exception_int_div_zero 0
	.end_amdhsa_kernel
	.section	.text._ZN7rocprim17ROCPRIM_400000_NS6detail17trampoline_kernelINS0_14default_configENS1_33run_length_encode_config_selectorIajNS0_4plusIjEEEEZZNS1_33reduce_by_key_impl_wrapped_configILNS1_25lookback_scan_determinismE0ES3_S7_PKaNS0_17constant_iteratorIjlEEPaPlSF_S6_NS0_8equal_toIaEEEE10hipError_tPvRmT2_T3_mT4_T5_T6_T7_T8_P12ihipStream_tbENKUlT_T0_E_clISt17integral_constantIbLb0EESY_IbLb1EEEEDaSU_SV_EUlSU_E_NS1_11comp_targetILNS1_3genE10ELNS1_11target_archE1201ELNS1_3gpuE5ELNS1_3repE0EEENS1_30default_config_static_selectorELNS0_4arch9wavefront6targetE1EEEvT1_,"axG",@progbits,_ZN7rocprim17ROCPRIM_400000_NS6detail17trampoline_kernelINS0_14default_configENS1_33run_length_encode_config_selectorIajNS0_4plusIjEEEEZZNS1_33reduce_by_key_impl_wrapped_configILNS1_25lookback_scan_determinismE0ES3_S7_PKaNS0_17constant_iteratorIjlEEPaPlSF_S6_NS0_8equal_toIaEEEE10hipError_tPvRmT2_T3_mT4_T5_T6_T7_T8_P12ihipStream_tbENKUlT_T0_E_clISt17integral_constantIbLb0EESY_IbLb1EEEEDaSU_SV_EUlSU_E_NS1_11comp_targetILNS1_3genE10ELNS1_11target_archE1201ELNS1_3gpuE5ELNS1_3repE0EEENS1_30default_config_static_selectorELNS0_4arch9wavefront6targetE1EEEvT1_,comdat
.Lfunc_end267:
	.size	_ZN7rocprim17ROCPRIM_400000_NS6detail17trampoline_kernelINS0_14default_configENS1_33run_length_encode_config_selectorIajNS0_4plusIjEEEEZZNS1_33reduce_by_key_impl_wrapped_configILNS1_25lookback_scan_determinismE0ES3_S7_PKaNS0_17constant_iteratorIjlEEPaPlSF_S6_NS0_8equal_toIaEEEE10hipError_tPvRmT2_T3_mT4_T5_T6_T7_T8_P12ihipStream_tbENKUlT_T0_E_clISt17integral_constantIbLb0EESY_IbLb1EEEEDaSU_SV_EUlSU_E_NS1_11comp_targetILNS1_3genE10ELNS1_11target_archE1201ELNS1_3gpuE5ELNS1_3repE0EEENS1_30default_config_static_selectorELNS0_4arch9wavefront6targetE1EEEvT1_, .Lfunc_end267-_ZN7rocprim17ROCPRIM_400000_NS6detail17trampoline_kernelINS0_14default_configENS1_33run_length_encode_config_selectorIajNS0_4plusIjEEEEZZNS1_33reduce_by_key_impl_wrapped_configILNS1_25lookback_scan_determinismE0ES3_S7_PKaNS0_17constant_iteratorIjlEEPaPlSF_S6_NS0_8equal_toIaEEEE10hipError_tPvRmT2_T3_mT4_T5_T6_T7_T8_P12ihipStream_tbENKUlT_T0_E_clISt17integral_constantIbLb0EESY_IbLb1EEEEDaSU_SV_EUlSU_E_NS1_11comp_targetILNS1_3genE10ELNS1_11target_archE1201ELNS1_3gpuE5ELNS1_3repE0EEENS1_30default_config_static_selectorELNS0_4arch9wavefront6targetE1EEEvT1_
                                        ; -- End function
	.section	.AMDGPU.csdata,"",@progbits
; Kernel info:
; codeLenInByte = 0
; NumSgprs: 6
; NumVgprs: 0
; NumAgprs: 0
; TotalNumVgprs: 0
; ScratchSize: 0
; MemoryBound: 0
; FloatMode: 240
; IeeeMode: 1
; LDSByteSize: 0 bytes/workgroup (compile time only)
; SGPRBlocks: 0
; VGPRBlocks: 0
; NumSGPRsForWavesPerEU: 6
; NumVGPRsForWavesPerEU: 1
; AccumOffset: 4
; Occupancy: 8
; WaveLimiterHint : 0
; COMPUTE_PGM_RSRC2:SCRATCH_EN: 0
; COMPUTE_PGM_RSRC2:USER_SGPR: 2
; COMPUTE_PGM_RSRC2:TRAP_HANDLER: 0
; COMPUTE_PGM_RSRC2:TGID_X_EN: 1
; COMPUTE_PGM_RSRC2:TGID_Y_EN: 0
; COMPUTE_PGM_RSRC2:TGID_Z_EN: 0
; COMPUTE_PGM_RSRC2:TIDIG_COMP_CNT: 0
; COMPUTE_PGM_RSRC3_GFX90A:ACCUM_OFFSET: 0
; COMPUTE_PGM_RSRC3_GFX90A:TG_SPLIT: 0
	.section	.text._ZN7rocprim17ROCPRIM_400000_NS6detail17trampoline_kernelINS0_14default_configENS1_33run_length_encode_config_selectorIajNS0_4plusIjEEEEZZNS1_33reduce_by_key_impl_wrapped_configILNS1_25lookback_scan_determinismE0ES3_S7_PKaNS0_17constant_iteratorIjlEEPaPlSF_S6_NS0_8equal_toIaEEEE10hipError_tPvRmT2_T3_mT4_T5_T6_T7_T8_P12ihipStream_tbENKUlT_T0_E_clISt17integral_constantIbLb0EESY_IbLb1EEEEDaSU_SV_EUlSU_E_NS1_11comp_targetILNS1_3genE10ELNS1_11target_archE1200ELNS1_3gpuE4ELNS1_3repE0EEENS1_30default_config_static_selectorELNS0_4arch9wavefront6targetE1EEEvT1_,"axG",@progbits,_ZN7rocprim17ROCPRIM_400000_NS6detail17trampoline_kernelINS0_14default_configENS1_33run_length_encode_config_selectorIajNS0_4plusIjEEEEZZNS1_33reduce_by_key_impl_wrapped_configILNS1_25lookback_scan_determinismE0ES3_S7_PKaNS0_17constant_iteratorIjlEEPaPlSF_S6_NS0_8equal_toIaEEEE10hipError_tPvRmT2_T3_mT4_T5_T6_T7_T8_P12ihipStream_tbENKUlT_T0_E_clISt17integral_constantIbLb0EESY_IbLb1EEEEDaSU_SV_EUlSU_E_NS1_11comp_targetILNS1_3genE10ELNS1_11target_archE1200ELNS1_3gpuE4ELNS1_3repE0EEENS1_30default_config_static_selectorELNS0_4arch9wavefront6targetE1EEEvT1_,comdat
	.protected	_ZN7rocprim17ROCPRIM_400000_NS6detail17trampoline_kernelINS0_14default_configENS1_33run_length_encode_config_selectorIajNS0_4plusIjEEEEZZNS1_33reduce_by_key_impl_wrapped_configILNS1_25lookback_scan_determinismE0ES3_S7_PKaNS0_17constant_iteratorIjlEEPaPlSF_S6_NS0_8equal_toIaEEEE10hipError_tPvRmT2_T3_mT4_T5_T6_T7_T8_P12ihipStream_tbENKUlT_T0_E_clISt17integral_constantIbLb0EESY_IbLb1EEEEDaSU_SV_EUlSU_E_NS1_11comp_targetILNS1_3genE10ELNS1_11target_archE1200ELNS1_3gpuE4ELNS1_3repE0EEENS1_30default_config_static_selectorELNS0_4arch9wavefront6targetE1EEEvT1_ ; -- Begin function _ZN7rocprim17ROCPRIM_400000_NS6detail17trampoline_kernelINS0_14default_configENS1_33run_length_encode_config_selectorIajNS0_4plusIjEEEEZZNS1_33reduce_by_key_impl_wrapped_configILNS1_25lookback_scan_determinismE0ES3_S7_PKaNS0_17constant_iteratorIjlEEPaPlSF_S6_NS0_8equal_toIaEEEE10hipError_tPvRmT2_T3_mT4_T5_T6_T7_T8_P12ihipStream_tbENKUlT_T0_E_clISt17integral_constantIbLb0EESY_IbLb1EEEEDaSU_SV_EUlSU_E_NS1_11comp_targetILNS1_3genE10ELNS1_11target_archE1200ELNS1_3gpuE4ELNS1_3repE0EEENS1_30default_config_static_selectorELNS0_4arch9wavefront6targetE1EEEvT1_
	.globl	_ZN7rocprim17ROCPRIM_400000_NS6detail17trampoline_kernelINS0_14default_configENS1_33run_length_encode_config_selectorIajNS0_4plusIjEEEEZZNS1_33reduce_by_key_impl_wrapped_configILNS1_25lookback_scan_determinismE0ES3_S7_PKaNS0_17constant_iteratorIjlEEPaPlSF_S6_NS0_8equal_toIaEEEE10hipError_tPvRmT2_T3_mT4_T5_T6_T7_T8_P12ihipStream_tbENKUlT_T0_E_clISt17integral_constantIbLb0EESY_IbLb1EEEEDaSU_SV_EUlSU_E_NS1_11comp_targetILNS1_3genE10ELNS1_11target_archE1200ELNS1_3gpuE4ELNS1_3repE0EEENS1_30default_config_static_selectorELNS0_4arch9wavefront6targetE1EEEvT1_
	.p2align	8
	.type	_ZN7rocprim17ROCPRIM_400000_NS6detail17trampoline_kernelINS0_14default_configENS1_33run_length_encode_config_selectorIajNS0_4plusIjEEEEZZNS1_33reduce_by_key_impl_wrapped_configILNS1_25lookback_scan_determinismE0ES3_S7_PKaNS0_17constant_iteratorIjlEEPaPlSF_S6_NS0_8equal_toIaEEEE10hipError_tPvRmT2_T3_mT4_T5_T6_T7_T8_P12ihipStream_tbENKUlT_T0_E_clISt17integral_constantIbLb0EESY_IbLb1EEEEDaSU_SV_EUlSU_E_NS1_11comp_targetILNS1_3genE10ELNS1_11target_archE1200ELNS1_3gpuE4ELNS1_3repE0EEENS1_30default_config_static_selectorELNS0_4arch9wavefront6targetE1EEEvT1_,@function
_ZN7rocprim17ROCPRIM_400000_NS6detail17trampoline_kernelINS0_14default_configENS1_33run_length_encode_config_selectorIajNS0_4plusIjEEEEZZNS1_33reduce_by_key_impl_wrapped_configILNS1_25lookback_scan_determinismE0ES3_S7_PKaNS0_17constant_iteratorIjlEEPaPlSF_S6_NS0_8equal_toIaEEEE10hipError_tPvRmT2_T3_mT4_T5_T6_T7_T8_P12ihipStream_tbENKUlT_T0_E_clISt17integral_constantIbLb0EESY_IbLb1EEEEDaSU_SV_EUlSU_E_NS1_11comp_targetILNS1_3genE10ELNS1_11target_archE1200ELNS1_3gpuE4ELNS1_3repE0EEENS1_30default_config_static_selectorELNS0_4arch9wavefront6targetE1EEEvT1_: ; @_ZN7rocprim17ROCPRIM_400000_NS6detail17trampoline_kernelINS0_14default_configENS1_33run_length_encode_config_selectorIajNS0_4plusIjEEEEZZNS1_33reduce_by_key_impl_wrapped_configILNS1_25lookback_scan_determinismE0ES3_S7_PKaNS0_17constant_iteratorIjlEEPaPlSF_S6_NS0_8equal_toIaEEEE10hipError_tPvRmT2_T3_mT4_T5_T6_T7_T8_P12ihipStream_tbENKUlT_T0_E_clISt17integral_constantIbLb0EESY_IbLb1EEEEDaSU_SV_EUlSU_E_NS1_11comp_targetILNS1_3genE10ELNS1_11target_archE1200ELNS1_3gpuE4ELNS1_3repE0EEENS1_30default_config_static_selectorELNS0_4arch9wavefront6targetE1EEEvT1_
; %bb.0:
	.section	.rodata,"a",@progbits
	.p2align	6, 0x0
	.amdhsa_kernel _ZN7rocprim17ROCPRIM_400000_NS6detail17trampoline_kernelINS0_14default_configENS1_33run_length_encode_config_selectorIajNS0_4plusIjEEEEZZNS1_33reduce_by_key_impl_wrapped_configILNS1_25lookback_scan_determinismE0ES3_S7_PKaNS0_17constant_iteratorIjlEEPaPlSF_S6_NS0_8equal_toIaEEEE10hipError_tPvRmT2_T3_mT4_T5_T6_T7_T8_P12ihipStream_tbENKUlT_T0_E_clISt17integral_constantIbLb0EESY_IbLb1EEEEDaSU_SV_EUlSU_E_NS1_11comp_targetILNS1_3genE10ELNS1_11target_archE1200ELNS1_3gpuE4ELNS1_3repE0EEENS1_30default_config_static_selectorELNS0_4arch9wavefront6targetE1EEEvT1_
		.amdhsa_group_segment_fixed_size 0
		.amdhsa_private_segment_fixed_size 0
		.amdhsa_kernarg_size 128
		.amdhsa_user_sgpr_count 2
		.amdhsa_user_sgpr_dispatch_ptr 0
		.amdhsa_user_sgpr_queue_ptr 0
		.amdhsa_user_sgpr_kernarg_segment_ptr 1
		.amdhsa_user_sgpr_dispatch_id 0
		.amdhsa_user_sgpr_kernarg_preload_length 0
		.amdhsa_user_sgpr_kernarg_preload_offset 0
		.amdhsa_user_sgpr_private_segment_size 0
		.amdhsa_uses_dynamic_stack 0
		.amdhsa_enable_private_segment 0
		.amdhsa_system_sgpr_workgroup_id_x 1
		.amdhsa_system_sgpr_workgroup_id_y 0
		.amdhsa_system_sgpr_workgroup_id_z 0
		.amdhsa_system_sgpr_workgroup_info 0
		.amdhsa_system_vgpr_workitem_id 0
		.amdhsa_next_free_vgpr 1
		.amdhsa_next_free_sgpr 0
		.amdhsa_accum_offset 4
		.amdhsa_reserve_vcc 0
		.amdhsa_float_round_mode_32 0
		.amdhsa_float_round_mode_16_64 0
		.amdhsa_float_denorm_mode_32 3
		.amdhsa_float_denorm_mode_16_64 3
		.amdhsa_dx10_clamp 1
		.amdhsa_ieee_mode 1
		.amdhsa_fp16_overflow 0
		.amdhsa_tg_split 0
		.amdhsa_exception_fp_ieee_invalid_op 0
		.amdhsa_exception_fp_denorm_src 0
		.amdhsa_exception_fp_ieee_div_zero 0
		.amdhsa_exception_fp_ieee_overflow 0
		.amdhsa_exception_fp_ieee_underflow 0
		.amdhsa_exception_fp_ieee_inexact 0
		.amdhsa_exception_int_div_zero 0
	.end_amdhsa_kernel
	.section	.text._ZN7rocprim17ROCPRIM_400000_NS6detail17trampoline_kernelINS0_14default_configENS1_33run_length_encode_config_selectorIajNS0_4plusIjEEEEZZNS1_33reduce_by_key_impl_wrapped_configILNS1_25lookback_scan_determinismE0ES3_S7_PKaNS0_17constant_iteratorIjlEEPaPlSF_S6_NS0_8equal_toIaEEEE10hipError_tPvRmT2_T3_mT4_T5_T6_T7_T8_P12ihipStream_tbENKUlT_T0_E_clISt17integral_constantIbLb0EESY_IbLb1EEEEDaSU_SV_EUlSU_E_NS1_11comp_targetILNS1_3genE10ELNS1_11target_archE1200ELNS1_3gpuE4ELNS1_3repE0EEENS1_30default_config_static_selectorELNS0_4arch9wavefront6targetE1EEEvT1_,"axG",@progbits,_ZN7rocprim17ROCPRIM_400000_NS6detail17trampoline_kernelINS0_14default_configENS1_33run_length_encode_config_selectorIajNS0_4plusIjEEEEZZNS1_33reduce_by_key_impl_wrapped_configILNS1_25lookback_scan_determinismE0ES3_S7_PKaNS0_17constant_iteratorIjlEEPaPlSF_S6_NS0_8equal_toIaEEEE10hipError_tPvRmT2_T3_mT4_T5_T6_T7_T8_P12ihipStream_tbENKUlT_T0_E_clISt17integral_constantIbLb0EESY_IbLb1EEEEDaSU_SV_EUlSU_E_NS1_11comp_targetILNS1_3genE10ELNS1_11target_archE1200ELNS1_3gpuE4ELNS1_3repE0EEENS1_30default_config_static_selectorELNS0_4arch9wavefront6targetE1EEEvT1_,comdat
.Lfunc_end268:
	.size	_ZN7rocprim17ROCPRIM_400000_NS6detail17trampoline_kernelINS0_14default_configENS1_33run_length_encode_config_selectorIajNS0_4plusIjEEEEZZNS1_33reduce_by_key_impl_wrapped_configILNS1_25lookback_scan_determinismE0ES3_S7_PKaNS0_17constant_iteratorIjlEEPaPlSF_S6_NS0_8equal_toIaEEEE10hipError_tPvRmT2_T3_mT4_T5_T6_T7_T8_P12ihipStream_tbENKUlT_T0_E_clISt17integral_constantIbLb0EESY_IbLb1EEEEDaSU_SV_EUlSU_E_NS1_11comp_targetILNS1_3genE10ELNS1_11target_archE1200ELNS1_3gpuE4ELNS1_3repE0EEENS1_30default_config_static_selectorELNS0_4arch9wavefront6targetE1EEEvT1_, .Lfunc_end268-_ZN7rocprim17ROCPRIM_400000_NS6detail17trampoline_kernelINS0_14default_configENS1_33run_length_encode_config_selectorIajNS0_4plusIjEEEEZZNS1_33reduce_by_key_impl_wrapped_configILNS1_25lookback_scan_determinismE0ES3_S7_PKaNS0_17constant_iteratorIjlEEPaPlSF_S6_NS0_8equal_toIaEEEE10hipError_tPvRmT2_T3_mT4_T5_T6_T7_T8_P12ihipStream_tbENKUlT_T0_E_clISt17integral_constantIbLb0EESY_IbLb1EEEEDaSU_SV_EUlSU_E_NS1_11comp_targetILNS1_3genE10ELNS1_11target_archE1200ELNS1_3gpuE4ELNS1_3repE0EEENS1_30default_config_static_selectorELNS0_4arch9wavefront6targetE1EEEvT1_
                                        ; -- End function
	.section	.AMDGPU.csdata,"",@progbits
; Kernel info:
; codeLenInByte = 0
; NumSgprs: 6
; NumVgprs: 0
; NumAgprs: 0
; TotalNumVgprs: 0
; ScratchSize: 0
; MemoryBound: 0
; FloatMode: 240
; IeeeMode: 1
; LDSByteSize: 0 bytes/workgroup (compile time only)
; SGPRBlocks: 0
; VGPRBlocks: 0
; NumSGPRsForWavesPerEU: 6
; NumVGPRsForWavesPerEU: 1
; AccumOffset: 4
; Occupancy: 8
; WaveLimiterHint : 0
; COMPUTE_PGM_RSRC2:SCRATCH_EN: 0
; COMPUTE_PGM_RSRC2:USER_SGPR: 2
; COMPUTE_PGM_RSRC2:TRAP_HANDLER: 0
; COMPUTE_PGM_RSRC2:TGID_X_EN: 1
; COMPUTE_PGM_RSRC2:TGID_Y_EN: 0
; COMPUTE_PGM_RSRC2:TGID_Z_EN: 0
; COMPUTE_PGM_RSRC2:TIDIG_COMP_CNT: 0
; COMPUTE_PGM_RSRC3_GFX90A:ACCUM_OFFSET: 0
; COMPUTE_PGM_RSRC3_GFX90A:TG_SPLIT: 0
	.section	.text._ZN7rocprim17ROCPRIM_400000_NS6detail17trampoline_kernelINS0_14default_configENS1_33run_length_encode_config_selectorIajNS0_4plusIjEEEEZZNS1_33reduce_by_key_impl_wrapped_configILNS1_25lookback_scan_determinismE0ES3_S7_PKaNS0_17constant_iteratorIjlEEPaPlSF_S6_NS0_8equal_toIaEEEE10hipError_tPvRmT2_T3_mT4_T5_T6_T7_T8_P12ihipStream_tbENKUlT_T0_E_clISt17integral_constantIbLb0EESY_IbLb1EEEEDaSU_SV_EUlSU_E_NS1_11comp_targetILNS1_3genE9ELNS1_11target_archE1100ELNS1_3gpuE3ELNS1_3repE0EEENS1_30default_config_static_selectorELNS0_4arch9wavefront6targetE1EEEvT1_,"axG",@progbits,_ZN7rocprim17ROCPRIM_400000_NS6detail17trampoline_kernelINS0_14default_configENS1_33run_length_encode_config_selectorIajNS0_4plusIjEEEEZZNS1_33reduce_by_key_impl_wrapped_configILNS1_25lookback_scan_determinismE0ES3_S7_PKaNS0_17constant_iteratorIjlEEPaPlSF_S6_NS0_8equal_toIaEEEE10hipError_tPvRmT2_T3_mT4_T5_T6_T7_T8_P12ihipStream_tbENKUlT_T0_E_clISt17integral_constantIbLb0EESY_IbLb1EEEEDaSU_SV_EUlSU_E_NS1_11comp_targetILNS1_3genE9ELNS1_11target_archE1100ELNS1_3gpuE3ELNS1_3repE0EEENS1_30default_config_static_selectorELNS0_4arch9wavefront6targetE1EEEvT1_,comdat
	.protected	_ZN7rocprim17ROCPRIM_400000_NS6detail17trampoline_kernelINS0_14default_configENS1_33run_length_encode_config_selectorIajNS0_4plusIjEEEEZZNS1_33reduce_by_key_impl_wrapped_configILNS1_25lookback_scan_determinismE0ES3_S7_PKaNS0_17constant_iteratorIjlEEPaPlSF_S6_NS0_8equal_toIaEEEE10hipError_tPvRmT2_T3_mT4_T5_T6_T7_T8_P12ihipStream_tbENKUlT_T0_E_clISt17integral_constantIbLb0EESY_IbLb1EEEEDaSU_SV_EUlSU_E_NS1_11comp_targetILNS1_3genE9ELNS1_11target_archE1100ELNS1_3gpuE3ELNS1_3repE0EEENS1_30default_config_static_selectorELNS0_4arch9wavefront6targetE1EEEvT1_ ; -- Begin function _ZN7rocprim17ROCPRIM_400000_NS6detail17trampoline_kernelINS0_14default_configENS1_33run_length_encode_config_selectorIajNS0_4plusIjEEEEZZNS1_33reduce_by_key_impl_wrapped_configILNS1_25lookback_scan_determinismE0ES3_S7_PKaNS0_17constant_iteratorIjlEEPaPlSF_S6_NS0_8equal_toIaEEEE10hipError_tPvRmT2_T3_mT4_T5_T6_T7_T8_P12ihipStream_tbENKUlT_T0_E_clISt17integral_constantIbLb0EESY_IbLb1EEEEDaSU_SV_EUlSU_E_NS1_11comp_targetILNS1_3genE9ELNS1_11target_archE1100ELNS1_3gpuE3ELNS1_3repE0EEENS1_30default_config_static_selectorELNS0_4arch9wavefront6targetE1EEEvT1_
	.globl	_ZN7rocprim17ROCPRIM_400000_NS6detail17trampoline_kernelINS0_14default_configENS1_33run_length_encode_config_selectorIajNS0_4plusIjEEEEZZNS1_33reduce_by_key_impl_wrapped_configILNS1_25lookback_scan_determinismE0ES3_S7_PKaNS0_17constant_iteratorIjlEEPaPlSF_S6_NS0_8equal_toIaEEEE10hipError_tPvRmT2_T3_mT4_T5_T6_T7_T8_P12ihipStream_tbENKUlT_T0_E_clISt17integral_constantIbLb0EESY_IbLb1EEEEDaSU_SV_EUlSU_E_NS1_11comp_targetILNS1_3genE9ELNS1_11target_archE1100ELNS1_3gpuE3ELNS1_3repE0EEENS1_30default_config_static_selectorELNS0_4arch9wavefront6targetE1EEEvT1_
	.p2align	8
	.type	_ZN7rocprim17ROCPRIM_400000_NS6detail17trampoline_kernelINS0_14default_configENS1_33run_length_encode_config_selectorIajNS0_4plusIjEEEEZZNS1_33reduce_by_key_impl_wrapped_configILNS1_25lookback_scan_determinismE0ES3_S7_PKaNS0_17constant_iteratorIjlEEPaPlSF_S6_NS0_8equal_toIaEEEE10hipError_tPvRmT2_T3_mT4_T5_T6_T7_T8_P12ihipStream_tbENKUlT_T0_E_clISt17integral_constantIbLb0EESY_IbLb1EEEEDaSU_SV_EUlSU_E_NS1_11comp_targetILNS1_3genE9ELNS1_11target_archE1100ELNS1_3gpuE3ELNS1_3repE0EEENS1_30default_config_static_selectorELNS0_4arch9wavefront6targetE1EEEvT1_,@function
_ZN7rocprim17ROCPRIM_400000_NS6detail17trampoline_kernelINS0_14default_configENS1_33run_length_encode_config_selectorIajNS0_4plusIjEEEEZZNS1_33reduce_by_key_impl_wrapped_configILNS1_25lookback_scan_determinismE0ES3_S7_PKaNS0_17constant_iteratorIjlEEPaPlSF_S6_NS0_8equal_toIaEEEE10hipError_tPvRmT2_T3_mT4_T5_T6_T7_T8_P12ihipStream_tbENKUlT_T0_E_clISt17integral_constantIbLb0EESY_IbLb1EEEEDaSU_SV_EUlSU_E_NS1_11comp_targetILNS1_3genE9ELNS1_11target_archE1100ELNS1_3gpuE3ELNS1_3repE0EEENS1_30default_config_static_selectorELNS0_4arch9wavefront6targetE1EEEvT1_: ; @_ZN7rocprim17ROCPRIM_400000_NS6detail17trampoline_kernelINS0_14default_configENS1_33run_length_encode_config_selectorIajNS0_4plusIjEEEEZZNS1_33reduce_by_key_impl_wrapped_configILNS1_25lookback_scan_determinismE0ES3_S7_PKaNS0_17constant_iteratorIjlEEPaPlSF_S6_NS0_8equal_toIaEEEE10hipError_tPvRmT2_T3_mT4_T5_T6_T7_T8_P12ihipStream_tbENKUlT_T0_E_clISt17integral_constantIbLb0EESY_IbLb1EEEEDaSU_SV_EUlSU_E_NS1_11comp_targetILNS1_3genE9ELNS1_11target_archE1100ELNS1_3gpuE3ELNS1_3repE0EEENS1_30default_config_static_selectorELNS0_4arch9wavefront6targetE1EEEvT1_
; %bb.0:
	.section	.rodata,"a",@progbits
	.p2align	6, 0x0
	.amdhsa_kernel _ZN7rocprim17ROCPRIM_400000_NS6detail17trampoline_kernelINS0_14default_configENS1_33run_length_encode_config_selectorIajNS0_4plusIjEEEEZZNS1_33reduce_by_key_impl_wrapped_configILNS1_25lookback_scan_determinismE0ES3_S7_PKaNS0_17constant_iteratorIjlEEPaPlSF_S6_NS0_8equal_toIaEEEE10hipError_tPvRmT2_T3_mT4_T5_T6_T7_T8_P12ihipStream_tbENKUlT_T0_E_clISt17integral_constantIbLb0EESY_IbLb1EEEEDaSU_SV_EUlSU_E_NS1_11comp_targetILNS1_3genE9ELNS1_11target_archE1100ELNS1_3gpuE3ELNS1_3repE0EEENS1_30default_config_static_selectorELNS0_4arch9wavefront6targetE1EEEvT1_
		.amdhsa_group_segment_fixed_size 0
		.amdhsa_private_segment_fixed_size 0
		.amdhsa_kernarg_size 128
		.amdhsa_user_sgpr_count 2
		.amdhsa_user_sgpr_dispatch_ptr 0
		.amdhsa_user_sgpr_queue_ptr 0
		.amdhsa_user_sgpr_kernarg_segment_ptr 1
		.amdhsa_user_sgpr_dispatch_id 0
		.amdhsa_user_sgpr_kernarg_preload_length 0
		.amdhsa_user_sgpr_kernarg_preload_offset 0
		.amdhsa_user_sgpr_private_segment_size 0
		.amdhsa_uses_dynamic_stack 0
		.amdhsa_enable_private_segment 0
		.amdhsa_system_sgpr_workgroup_id_x 1
		.amdhsa_system_sgpr_workgroup_id_y 0
		.amdhsa_system_sgpr_workgroup_id_z 0
		.amdhsa_system_sgpr_workgroup_info 0
		.amdhsa_system_vgpr_workitem_id 0
		.amdhsa_next_free_vgpr 1
		.amdhsa_next_free_sgpr 0
		.amdhsa_accum_offset 4
		.amdhsa_reserve_vcc 0
		.amdhsa_float_round_mode_32 0
		.amdhsa_float_round_mode_16_64 0
		.amdhsa_float_denorm_mode_32 3
		.amdhsa_float_denorm_mode_16_64 3
		.amdhsa_dx10_clamp 1
		.amdhsa_ieee_mode 1
		.amdhsa_fp16_overflow 0
		.amdhsa_tg_split 0
		.amdhsa_exception_fp_ieee_invalid_op 0
		.amdhsa_exception_fp_denorm_src 0
		.amdhsa_exception_fp_ieee_div_zero 0
		.amdhsa_exception_fp_ieee_overflow 0
		.amdhsa_exception_fp_ieee_underflow 0
		.amdhsa_exception_fp_ieee_inexact 0
		.amdhsa_exception_int_div_zero 0
	.end_amdhsa_kernel
	.section	.text._ZN7rocprim17ROCPRIM_400000_NS6detail17trampoline_kernelINS0_14default_configENS1_33run_length_encode_config_selectorIajNS0_4plusIjEEEEZZNS1_33reduce_by_key_impl_wrapped_configILNS1_25lookback_scan_determinismE0ES3_S7_PKaNS0_17constant_iteratorIjlEEPaPlSF_S6_NS0_8equal_toIaEEEE10hipError_tPvRmT2_T3_mT4_T5_T6_T7_T8_P12ihipStream_tbENKUlT_T0_E_clISt17integral_constantIbLb0EESY_IbLb1EEEEDaSU_SV_EUlSU_E_NS1_11comp_targetILNS1_3genE9ELNS1_11target_archE1100ELNS1_3gpuE3ELNS1_3repE0EEENS1_30default_config_static_selectorELNS0_4arch9wavefront6targetE1EEEvT1_,"axG",@progbits,_ZN7rocprim17ROCPRIM_400000_NS6detail17trampoline_kernelINS0_14default_configENS1_33run_length_encode_config_selectorIajNS0_4plusIjEEEEZZNS1_33reduce_by_key_impl_wrapped_configILNS1_25lookback_scan_determinismE0ES3_S7_PKaNS0_17constant_iteratorIjlEEPaPlSF_S6_NS0_8equal_toIaEEEE10hipError_tPvRmT2_T3_mT4_T5_T6_T7_T8_P12ihipStream_tbENKUlT_T0_E_clISt17integral_constantIbLb0EESY_IbLb1EEEEDaSU_SV_EUlSU_E_NS1_11comp_targetILNS1_3genE9ELNS1_11target_archE1100ELNS1_3gpuE3ELNS1_3repE0EEENS1_30default_config_static_selectorELNS0_4arch9wavefront6targetE1EEEvT1_,comdat
.Lfunc_end269:
	.size	_ZN7rocprim17ROCPRIM_400000_NS6detail17trampoline_kernelINS0_14default_configENS1_33run_length_encode_config_selectorIajNS0_4plusIjEEEEZZNS1_33reduce_by_key_impl_wrapped_configILNS1_25lookback_scan_determinismE0ES3_S7_PKaNS0_17constant_iteratorIjlEEPaPlSF_S6_NS0_8equal_toIaEEEE10hipError_tPvRmT2_T3_mT4_T5_T6_T7_T8_P12ihipStream_tbENKUlT_T0_E_clISt17integral_constantIbLb0EESY_IbLb1EEEEDaSU_SV_EUlSU_E_NS1_11comp_targetILNS1_3genE9ELNS1_11target_archE1100ELNS1_3gpuE3ELNS1_3repE0EEENS1_30default_config_static_selectorELNS0_4arch9wavefront6targetE1EEEvT1_, .Lfunc_end269-_ZN7rocprim17ROCPRIM_400000_NS6detail17trampoline_kernelINS0_14default_configENS1_33run_length_encode_config_selectorIajNS0_4plusIjEEEEZZNS1_33reduce_by_key_impl_wrapped_configILNS1_25lookback_scan_determinismE0ES3_S7_PKaNS0_17constant_iteratorIjlEEPaPlSF_S6_NS0_8equal_toIaEEEE10hipError_tPvRmT2_T3_mT4_T5_T6_T7_T8_P12ihipStream_tbENKUlT_T0_E_clISt17integral_constantIbLb0EESY_IbLb1EEEEDaSU_SV_EUlSU_E_NS1_11comp_targetILNS1_3genE9ELNS1_11target_archE1100ELNS1_3gpuE3ELNS1_3repE0EEENS1_30default_config_static_selectorELNS0_4arch9wavefront6targetE1EEEvT1_
                                        ; -- End function
	.section	.AMDGPU.csdata,"",@progbits
; Kernel info:
; codeLenInByte = 0
; NumSgprs: 6
; NumVgprs: 0
; NumAgprs: 0
; TotalNumVgprs: 0
; ScratchSize: 0
; MemoryBound: 0
; FloatMode: 240
; IeeeMode: 1
; LDSByteSize: 0 bytes/workgroup (compile time only)
; SGPRBlocks: 0
; VGPRBlocks: 0
; NumSGPRsForWavesPerEU: 6
; NumVGPRsForWavesPerEU: 1
; AccumOffset: 4
; Occupancy: 8
; WaveLimiterHint : 0
; COMPUTE_PGM_RSRC2:SCRATCH_EN: 0
; COMPUTE_PGM_RSRC2:USER_SGPR: 2
; COMPUTE_PGM_RSRC2:TRAP_HANDLER: 0
; COMPUTE_PGM_RSRC2:TGID_X_EN: 1
; COMPUTE_PGM_RSRC2:TGID_Y_EN: 0
; COMPUTE_PGM_RSRC2:TGID_Z_EN: 0
; COMPUTE_PGM_RSRC2:TIDIG_COMP_CNT: 0
; COMPUTE_PGM_RSRC3_GFX90A:ACCUM_OFFSET: 0
; COMPUTE_PGM_RSRC3_GFX90A:TG_SPLIT: 0
	.section	.text._ZN7rocprim17ROCPRIM_400000_NS6detail17trampoline_kernelINS0_14default_configENS1_33run_length_encode_config_selectorIajNS0_4plusIjEEEEZZNS1_33reduce_by_key_impl_wrapped_configILNS1_25lookback_scan_determinismE0ES3_S7_PKaNS0_17constant_iteratorIjlEEPaPlSF_S6_NS0_8equal_toIaEEEE10hipError_tPvRmT2_T3_mT4_T5_T6_T7_T8_P12ihipStream_tbENKUlT_T0_E_clISt17integral_constantIbLb0EESY_IbLb1EEEEDaSU_SV_EUlSU_E_NS1_11comp_targetILNS1_3genE8ELNS1_11target_archE1030ELNS1_3gpuE2ELNS1_3repE0EEENS1_30default_config_static_selectorELNS0_4arch9wavefront6targetE1EEEvT1_,"axG",@progbits,_ZN7rocprim17ROCPRIM_400000_NS6detail17trampoline_kernelINS0_14default_configENS1_33run_length_encode_config_selectorIajNS0_4plusIjEEEEZZNS1_33reduce_by_key_impl_wrapped_configILNS1_25lookback_scan_determinismE0ES3_S7_PKaNS0_17constant_iteratorIjlEEPaPlSF_S6_NS0_8equal_toIaEEEE10hipError_tPvRmT2_T3_mT4_T5_T6_T7_T8_P12ihipStream_tbENKUlT_T0_E_clISt17integral_constantIbLb0EESY_IbLb1EEEEDaSU_SV_EUlSU_E_NS1_11comp_targetILNS1_3genE8ELNS1_11target_archE1030ELNS1_3gpuE2ELNS1_3repE0EEENS1_30default_config_static_selectorELNS0_4arch9wavefront6targetE1EEEvT1_,comdat
	.protected	_ZN7rocprim17ROCPRIM_400000_NS6detail17trampoline_kernelINS0_14default_configENS1_33run_length_encode_config_selectorIajNS0_4plusIjEEEEZZNS1_33reduce_by_key_impl_wrapped_configILNS1_25lookback_scan_determinismE0ES3_S7_PKaNS0_17constant_iteratorIjlEEPaPlSF_S6_NS0_8equal_toIaEEEE10hipError_tPvRmT2_T3_mT4_T5_T6_T7_T8_P12ihipStream_tbENKUlT_T0_E_clISt17integral_constantIbLb0EESY_IbLb1EEEEDaSU_SV_EUlSU_E_NS1_11comp_targetILNS1_3genE8ELNS1_11target_archE1030ELNS1_3gpuE2ELNS1_3repE0EEENS1_30default_config_static_selectorELNS0_4arch9wavefront6targetE1EEEvT1_ ; -- Begin function _ZN7rocprim17ROCPRIM_400000_NS6detail17trampoline_kernelINS0_14default_configENS1_33run_length_encode_config_selectorIajNS0_4plusIjEEEEZZNS1_33reduce_by_key_impl_wrapped_configILNS1_25lookback_scan_determinismE0ES3_S7_PKaNS0_17constant_iteratorIjlEEPaPlSF_S6_NS0_8equal_toIaEEEE10hipError_tPvRmT2_T3_mT4_T5_T6_T7_T8_P12ihipStream_tbENKUlT_T0_E_clISt17integral_constantIbLb0EESY_IbLb1EEEEDaSU_SV_EUlSU_E_NS1_11comp_targetILNS1_3genE8ELNS1_11target_archE1030ELNS1_3gpuE2ELNS1_3repE0EEENS1_30default_config_static_selectorELNS0_4arch9wavefront6targetE1EEEvT1_
	.globl	_ZN7rocprim17ROCPRIM_400000_NS6detail17trampoline_kernelINS0_14default_configENS1_33run_length_encode_config_selectorIajNS0_4plusIjEEEEZZNS1_33reduce_by_key_impl_wrapped_configILNS1_25lookback_scan_determinismE0ES3_S7_PKaNS0_17constant_iteratorIjlEEPaPlSF_S6_NS0_8equal_toIaEEEE10hipError_tPvRmT2_T3_mT4_T5_T6_T7_T8_P12ihipStream_tbENKUlT_T0_E_clISt17integral_constantIbLb0EESY_IbLb1EEEEDaSU_SV_EUlSU_E_NS1_11comp_targetILNS1_3genE8ELNS1_11target_archE1030ELNS1_3gpuE2ELNS1_3repE0EEENS1_30default_config_static_selectorELNS0_4arch9wavefront6targetE1EEEvT1_
	.p2align	8
	.type	_ZN7rocprim17ROCPRIM_400000_NS6detail17trampoline_kernelINS0_14default_configENS1_33run_length_encode_config_selectorIajNS0_4plusIjEEEEZZNS1_33reduce_by_key_impl_wrapped_configILNS1_25lookback_scan_determinismE0ES3_S7_PKaNS0_17constant_iteratorIjlEEPaPlSF_S6_NS0_8equal_toIaEEEE10hipError_tPvRmT2_T3_mT4_T5_T6_T7_T8_P12ihipStream_tbENKUlT_T0_E_clISt17integral_constantIbLb0EESY_IbLb1EEEEDaSU_SV_EUlSU_E_NS1_11comp_targetILNS1_3genE8ELNS1_11target_archE1030ELNS1_3gpuE2ELNS1_3repE0EEENS1_30default_config_static_selectorELNS0_4arch9wavefront6targetE1EEEvT1_,@function
_ZN7rocprim17ROCPRIM_400000_NS6detail17trampoline_kernelINS0_14default_configENS1_33run_length_encode_config_selectorIajNS0_4plusIjEEEEZZNS1_33reduce_by_key_impl_wrapped_configILNS1_25lookback_scan_determinismE0ES3_S7_PKaNS0_17constant_iteratorIjlEEPaPlSF_S6_NS0_8equal_toIaEEEE10hipError_tPvRmT2_T3_mT4_T5_T6_T7_T8_P12ihipStream_tbENKUlT_T0_E_clISt17integral_constantIbLb0EESY_IbLb1EEEEDaSU_SV_EUlSU_E_NS1_11comp_targetILNS1_3genE8ELNS1_11target_archE1030ELNS1_3gpuE2ELNS1_3repE0EEENS1_30default_config_static_selectorELNS0_4arch9wavefront6targetE1EEEvT1_: ; @_ZN7rocprim17ROCPRIM_400000_NS6detail17trampoline_kernelINS0_14default_configENS1_33run_length_encode_config_selectorIajNS0_4plusIjEEEEZZNS1_33reduce_by_key_impl_wrapped_configILNS1_25lookback_scan_determinismE0ES3_S7_PKaNS0_17constant_iteratorIjlEEPaPlSF_S6_NS0_8equal_toIaEEEE10hipError_tPvRmT2_T3_mT4_T5_T6_T7_T8_P12ihipStream_tbENKUlT_T0_E_clISt17integral_constantIbLb0EESY_IbLb1EEEEDaSU_SV_EUlSU_E_NS1_11comp_targetILNS1_3genE8ELNS1_11target_archE1030ELNS1_3gpuE2ELNS1_3repE0EEENS1_30default_config_static_selectorELNS0_4arch9wavefront6targetE1EEEvT1_
; %bb.0:
	.section	.rodata,"a",@progbits
	.p2align	6, 0x0
	.amdhsa_kernel _ZN7rocprim17ROCPRIM_400000_NS6detail17trampoline_kernelINS0_14default_configENS1_33run_length_encode_config_selectorIajNS0_4plusIjEEEEZZNS1_33reduce_by_key_impl_wrapped_configILNS1_25lookback_scan_determinismE0ES3_S7_PKaNS0_17constant_iteratorIjlEEPaPlSF_S6_NS0_8equal_toIaEEEE10hipError_tPvRmT2_T3_mT4_T5_T6_T7_T8_P12ihipStream_tbENKUlT_T0_E_clISt17integral_constantIbLb0EESY_IbLb1EEEEDaSU_SV_EUlSU_E_NS1_11comp_targetILNS1_3genE8ELNS1_11target_archE1030ELNS1_3gpuE2ELNS1_3repE0EEENS1_30default_config_static_selectorELNS0_4arch9wavefront6targetE1EEEvT1_
		.amdhsa_group_segment_fixed_size 0
		.amdhsa_private_segment_fixed_size 0
		.amdhsa_kernarg_size 128
		.amdhsa_user_sgpr_count 2
		.amdhsa_user_sgpr_dispatch_ptr 0
		.amdhsa_user_sgpr_queue_ptr 0
		.amdhsa_user_sgpr_kernarg_segment_ptr 1
		.amdhsa_user_sgpr_dispatch_id 0
		.amdhsa_user_sgpr_kernarg_preload_length 0
		.amdhsa_user_sgpr_kernarg_preload_offset 0
		.amdhsa_user_sgpr_private_segment_size 0
		.amdhsa_uses_dynamic_stack 0
		.amdhsa_enable_private_segment 0
		.amdhsa_system_sgpr_workgroup_id_x 1
		.amdhsa_system_sgpr_workgroup_id_y 0
		.amdhsa_system_sgpr_workgroup_id_z 0
		.amdhsa_system_sgpr_workgroup_info 0
		.amdhsa_system_vgpr_workitem_id 0
		.amdhsa_next_free_vgpr 1
		.amdhsa_next_free_sgpr 0
		.amdhsa_accum_offset 4
		.amdhsa_reserve_vcc 0
		.amdhsa_float_round_mode_32 0
		.amdhsa_float_round_mode_16_64 0
		.amdhsa_float_denorm_mode_32 3
		.amdhsa_float_denorm_mode_16_64 3
		.amdhsa_dx10_clamp 1
		.amdhsa_ieee_mode 1
		.amdhsa_fp16_overflow 0
		.amdhsa_tg_split 0
		.amdhsa_exception_fp_ieee_invalid_op 0
		.amdhsa_exception_fp_denorm_src 0
		.amdhsa_exception_fp_ieee_div_zero 0
		.amdhsa_exception_fp_ieee_overflow 0
		.amdhsa_exception_fp_ieee_underflow 0
		.amdhsa_exception_fp_ieee_inexact 0
		.amdhsa_exception_int_div_zero 0
	.end_amdhsa_kernel
	.section	.text._ZN7rocprim17ROCPRIM_400000_NS6detail17trampoline_kernelINS0_14default_configENS1_33run_length_encode_config_selectorIajNS0_4plusIjEEEEZZNS1_33reduce_by_key_impl_wrapped_configILNS1_25lookback_scan_determinismE0ES3_S7_PKaNS0_17constant_iteratorIjlEEPaPlSF_S6_NS0_8equal_toIaEEEE10hipError_tPvRmT2_T3_mT4_T5_T6_T7_T8_P12ihipStream_tbENKUlT_T0_E_clISt17integral_constantIbLb0EESY_IbLb1EEEEDaSU_SV_EUlSU_E_NS1_11comp_targetILNS1_3genE8ELNS1_11target_archE1030ELNS1_3gpuE2ELNS1_3repE0EEENS1_30default_config_static_selectorELNS0_4arch9wavefront6targetE1EEEvT1_,"axG",@progbits,_ZN7rocprim17ROCPRIM_400000_NS6detail17trampoline_kernelINS0_14default_configENS1_33run_length_encode_config_selectorIajNS0_4plusIjEEEEZZNS1_33reduce_by_key_impl_wrapped_configILNS1_25lookback_scan_determinismE0ES3_S7_PKaNS0_17constant_iteratorIjlEEPaPlSF_S6_NS0_8equal_toIaEEEE10hipError_tPvRmT2_T3_mT4_T5_T6_T7_T8_P12ihipStream_tbENKUlT_T0_E_clISt17integral_constantIbLb0EESY_IbLb1EEEEDaSU_SV_EUlSU_E_NS1_11comp_targetILNS1_3genE8ELNS1_11target_archE1030ELNS1_3gpuE2ELNS1_3repE0EEENS1_30default_config_static_selectorELNS0_4arch9wavefront6targetE1EEEvT1_,comdat
.Lfunc_end270:
	.size	_ZN7rocprim17ROCPRIM_400000_NS6detail17trampoline_kernelINS0_14default_configENS1_33run_length_encode_config_selectorIajNS0_4plusIjEEEEZZNS1_33reduce_by_key_impl_wrapped_configILNS1_25lookback_scan_determinismE0ES3_S7_PKaNS0_17constant_iteratorIjlEEPaPlSF_S6_NS0_8equal_toIaEEEE10hipError_tPvRmT2_T3_mT4_T5_T6_T7_T8_P12ihipStream_tbENKUlT_T0_E_clISt17integral_constantIbLb0EESY_IbLb1EEEEDaSU_SV_EUlSU_E_NS1_11comp_targetILNS1_3genE8ELNS1_11target_archE1030ELNS1_3gpuE2ELNS1_3repE0EEENS1_30default_config_static_selectorELNS0_4arch9wavefront6targetE1EEEvT1_, .Lfunc_end270-_ZN7rocprim17ROCPRIM_400000_NS6detail17trampoline_kernelINS0_14default_configENS1_33run_length_encode_config_selectorIajNS0_4plusIjEEEEZZNS1_33reduce_by_key_impl_wrapped_configILNS1_25lookback_scan_determinismE0ES3_S7_PKaNS0_17constant_iteratorIjlEEPaPlSF_S6_NS0_8equal_toIaEEEE10hipError_tPvRmT2_T3_mT4_T5_T6_T7_T8_P12ihipStream_tbENKUlT_T0_E_clISt17integral_constantIbLb0EESY_IbLb1EEEEDaSU_SV_EUlSU_E_NS1_11comp_targetILNS1_3genE8ELNS1_11target_archE1030ELNS1_3gpuE2ELNS1_3repE0EEENS1_30default_config_static_selectorELNS0_4arch9wavefront6targetE1EEEvT1_
                                        ; -- End function
	.section	.AMDGPU.csdata,"",@progbits
; Kernel info:
; codeLenInByte = 0
; NumSgprs: 6
; NumVgprs: 0
; NumAgprs: 0
; TotalNumVgprs: 0
; ScratchSize: 0
; MemoryBound: 0
; FloatMode: 240
; IeeeMode: 1
; LDSByteSize: 0 bytes/workgroup (compile time only)
; SGPRBlocks: 0
; VGPRBlocks: 0
; NumSGPRsForWavesPerEU: 6
; NumVGPRsForWavesPerEU: 1
; AccumOffset: 4
; Occupancy: 8
; WaveLimiterHint : 0
; COMPUTE_PGM_RSRC2:SCRATCH_EN: 0
; COMPUTE_PGM_RSRC2:USER_SGPR: 2
; COMPUTE_PGM_RSRC2:TRAP_HANDLER: 0
; COMPUTE_PGM_RSRC2:TGID_X_EN: 1
; COMPUTE_PGM_RSRC2:TGID_Y_EN: 0
; COMPUTE_PGM_RSRC2:TGID_Z_EN: 0
; COMPUTE_PGM_RSRC2:TIDIG_COMP_CNT: 0
; COMPUTE_PGM_RSRC3_GFX90A:ACCUM_OFFSET: 0
; COMPUTE_PGM_RSRC3_GFX90A:TG_SPLIT: 0
	.section	.text._ZN2at6native8internal12_GLOBAL__N_126adjacent_difference_kernelIPKdEEvlT_Pi,"axG",@progbits,_ZN2at6native8internal12_GLOBAL__N_126adjacent_difference_kernelIPKdEEvlT_Pi,comdat
	.globl	_ZN2at6native8internal12_GLOBAL__N_126adjacent_difference_kernelIPKdEEvlT_Pi ; -- Begin function _ZN2at6native8internal12_GLOBAL__N_126adjacent_difference_kernelIPKdEEvlT_Pi
	.p2align	8
	.type	_ZN2at6native8internal12_GLOBAL__N_126adjacent_difference_kernelIPKdEEvlT_Pi,@function
_ZN2at6native8internal12_GLOBAL__N_126adjacent_difference_kernelIPKdEEvlT_Pi: ; @_ZN2at6native8internal12_GLOBAL__N_126adjacent_difference_kernelIPKdEEvlT_Pi
; %bb.0:
	s_load_dword s3, s[0:1], 0x24
	s_load_dwordx4 s[4:7], s[0:1], 0x0
	s_add_u32 s10, s0, 24
	s_addc_u32 s11, s1, 0
	v_mov_b32_e32 v1, 0
	s_waitcnt lgkmcnt(0)
	s_and_b32 s12, s3, 0xffff
	v_mov_b32_e32 v2, s2
	v_mad_u64_u32 v[4:5], s[8:9], s12, v2, v[0:1]
	v_cmp_gt_i64_e32 vcc, s[4:5], v[4:5]
	s_and_saveexec_b64 s[8:9], vcc
	s_cbranch_execz .LBB271_5
; %bb.1:
	s_load_dword s13, s[10:11], 0x0
	s_load_dwordx2 s[8:9], s[0:1], 0x10
	s_mul_hi_u32 s1, s12, s2
	s_mul_i32 s0, s12, s2
	s_mov_b32 s3, 0
	s_waitcnt lgkmcnt(0)
	s_mul_i32 s2, s13, s12
	v_mov_b32_e32 v2, v1
	v_mov_b32_e32 v3, v4
	s_mov_b32 s10, s3
	s_mov_b32 s11, s2
	s_mov_b64 s[12:13], 0
	v_mov_b64_e32 v[4:5], v[0:1]
	s_branch .LBB271_3
.LBB271_2:                              ;   in Loop: Header=BB271_3 Depth=1
	s_or_b64 exec, exec, s[14:15]
	v_ashrrev_i64 v[6:7], 30, v[2:3]
	v_lshl_add_u64 v[6:7], s[8:9], 0, v[6:7]
	v_lshl_add_u64 v[4:5], v[4:5], 0, s[2:3]
	global_store_dword v[6:7], v0, off
	v_lshl_add_u64 v[6:7], s[0:1], 0, v[4:5]
	v_cmp_le_i64_e32 vcc, s[4:5], v[6:7]
	s_or_b64 s[12:13], vcc, s[12:13]
	v_lshl_add_u64 v[2:3], v[2:3], 0, s[10:11]
	s_andn2_b64 exec, exec, s[12:13]
	s_cbranch_execz .LBB271_5
.LBB271_3:                              ; =>This Inner Loop Header: Depth=1
	v_add_u32_e32 v0, s0, v4
	v_cmp_lt_i32_e32 vcc, 0, v0
	v_mov_b32_e32 v0, 0
	s_and_saveexec_b64 s[14:15], vcc
	s_cbranch_execz .LBB271_2
; %bb.4:                                ;   in Loop: Header=BB271_3 Depth=1
	v_add_u32_e32 v8, s0, v4
	v_and_b32_e32 v0, 0x7fffffff, v8
	v_lshl_add_u64 v[6:7], v[0:1], 3, s[6:7]
	v_add_u32_e32 v0, -1, v8
	v_lshl_add_u64 v[8:9], v[0:1], 3, s[6:7]
	global_load_dwordx2 v[10:11], v[6:7], off
	global_load_dwordx2 v[12:13], v[8:9], off
	s_waitcnt vmcnt(0)
	v_cmp_neq_f64_e32 vcc, v[10:11], v[12:13]
	s_nop 1
	v_cndmask_b32_e64 v0, 0, 1, vcc
	s_branch .LBB271_2
.LBB271_5:
	s_endpgm
	.section	.rodata,"a",@progbits
	.p2align	6, 0x0
	.amdhsa_kernel _ZN2at6native8internal12_GLOBAL__N_126adjacent_difference_kernelIPKdEEvlT_Pi
		.amdhsa_group_segment_fixed_size 0
		.amdhsa_private_segment_fixed_size 0
		.amdhsa_kernarg_size 280
		.amdhsa_user_sgpr_count 2
		.amdhsa_user_sgpr_dispatch_ptr 0
		.amdhsa_user_sgpr_queue_ptr 0
		.amdhsa_user_sgpr_kernarg_segment_ptr 1
		.amdhsa_user_sgpr_dispatch_id 0
		.amdhsa_user_sgpr_kernarg_preload_length 0
		.amdhsa_user_sgpr_kernarg_preload_offset 0
		.amdhsa_user_sgpr_private_segment_size 0
		.amdhsa_uses_dynamic_stack 0
		.amdhsa_enable_private_segment 0
		.amdhsa_system_sgpr_workgroup_id_x 1
		.amdhsa_system_sgpr_workgroup_id_y 0
		.amdhsa_system_sgpr_workgroup_id_z 0
		.amdhsa_system_sgpr_workgroup_info 0
		.amdhsa_system_vgpr_workitem_id 0
		.amdhsa_next_free_vgpr 14
		.amdhsa_next_free_sgpr 16
		.amdhsa_accum_offset 16
		.amdhsa_reserve_vcc 1
		.amdhsa_float_round_mode_32 0
		.amdhsa_float_round_mode_16_64 0
		.amdhsa_float_denorm_mode_32 3
		.amdhsa_float_denorm_mode_16_64 3
		.amdhsa_dx10_clamp 1
		.amdhsa_ieee_mode 1
		.amdhsa_fp16_overflow 0
		.amdhsa_tg_split 0
		.amdhsa_exception_fp_ieee_invalid_op 0
		.amdhsa_exception_fp_denorm_src 0
		.amdhsa_exception_fp_ieee_div_zero 0
		.amdhsa_exception_fp_ieee_overflow 0
		.amdhsa_exception_fp_ieee_underflow 0
		.amdhsa_exception_fp_ieee_inexact 0
		.amdhsa_exception_int_div_zero 0
	.end_amdhsa_kernel
	.section	.text._ZN2at6native8internal12_GLOBAL__N_126adjacent_difference_kernelIPKdEEvlT_Pi,"axG",@progbits,_ZN2at6native8internal12_GLOBAL__N_126adjacent_difference_kernelIPKdEEvlT_Pi,comdat
.Lfunc_end271:
	.size	_ZN2at6native8internal12_GLOBAL__N_126adjacent_difference_kernelIPKdEEvlT_Pi, .Lfunc_end271-_ZN2at6native8internal12_GLOBAL__N_126adjacent_difference_kernelIPKdEEvlT_Pi
                                        ; -- End function
	.section	.AMDGPU.csdata,"",@progbits
; Kernel info:
; codeLenInByte = 292
; NumSgprs: 22
; NumVgprs: 14
; NumAgprs: 0
; TotalNumVgprs: 14
; ScratchSize: 0
; MemoryBound: 0
; FloatMode: 240
; IeeeMode: 1
; LDSByteSize: 0 bytes/workgroup (compile time only)
; SGPRBlocks: 2
; VGPRBlocks: 1
; NumSGPRsForWavesPerEU: 22
; NumVGPRsForWavesPerEU: 14
; AccumOffset: 16
; Occupancy: 8
; WaveLimiterHint : 0
; COMPUTE_PGM_RSRC2:SCRATCH_EN: 0
; COMPUTE_PGM_RSRC2:USER_SGPR: 2
; COMPUTE_PGM_RSRC2:TRAP_HANDLER: 0
; COMPUTE_PGM_RSRC2:TGID_X_EN: 1
; COMPUTE_PGM_RSRC2:TGID_Y_EN: 0
; COMPUTE_PGM_RSRC2:TGID_Z_EN: 0
; COMPUTE_PGM_RSRC2:TIDIG_COMP_CNT: 0
; COMPUTE_PGM_RSRC3_GFX90A:ACCUM_OFFSET: 3
; COMPUTE_PGM_RSRC3_GFX90A:TG_SPLIT: 0
	.section	.text._ZN7rocprim17ROCPRIM_400000_NS6detail17trampoline_kernelINS0_14default_configENS1_25partition_config_selectorILNS1_17partition_subalgoE8EdNS0_10empty_typeEbEEZZNS1_14partition_implILS5_8ELb0ES3_jPKdPS6_PKS6_NS0_5tupleIJPdS6_EEENSE_IJSB_SB_EEENS0_18inequality_wrapperIN6hipcub16HIPCUB_304000_NS8EqualityEEEPlJS6_EEE10hipError_tPvRmT3_T4_T5_T6_T7_T9_mT8_P12ihipStream_tbDpT10_ENKUlT_T0_E_clISt17integral_constantIbLb0EES17_EEDaS12_S13_EUlS12_E_NS1_11comp_targetILNS1_3genE0ELNS1_11target_archE4294967295ELNS1_3gpuE0ELNS1_3repE0EEENS1_30default_config_static_selectorELNS0_4arch9wavefront6targetE1EEEvT1_,"axG",@progbits,_ZN7rocprim17ROCPRIM_400000_NS6detail17trampoline_kernelINS0_14default_configENS1_25partition_config_selectorILNS1_17partition_subalgoE8EdNS0_10empty_typeEbEEZZNS1_14partition_implILS5_8ELb0ES3_jPKdPS6_PKS6_NS0_5tupleIJPdS6_EEENSE_IJSB_SB_EEENS0_18inequality_wrapperIN6hipcub16HIPCUB_304000_NS8EqualityEEEPlJS6_EEE10hipError_tPvRmT3_T4_T5_T6_T7_T9_mT8_P12ihipStream_tbDpT10_ENKUlT_T0_E_clISt17integral_constantIbLb0EES17_EEDaS12_S13_EUlS12_E_NS1_11comp_targetILNS1_3genE0ELNS1_11target_archE4294967295ELNS1_3gpuE0ELNS1_3repE0EEENS1_30default_config_static_selectorELNS0_4arch9wavefront6targetE1EEEvT1_,comdat
	.protected	_ZN7rocprim17ROCPRIM_400000_NS6detail17trampoline_kernelINS0_14default_configENS1_25partition_config_selectorILNS1_17partition_subalgoE8EdNS0_10empty_typeEbEEZZNS1_14partition_implILS5_8ELb0ES3_jPKdPS6_PKS6_NS0_5tupleIJPdS6_EEENSE_IJSB_SB_EEENS0_18inequality_wrapperIN6hipcub16HIPCUB_304000_NS8EqualityEEEPlJS6_EEE10hipError_tPvRmT3_T4_T5_T6_T7_T9_mT8_P12ihipStream_tbDpT10_ENKUlT_T0_E_clISt17integral_constantIbLb0EES17_EEDaS12_S13_EUlS12_E_NS1_11comp_targetILNS1_3genE0ELNS1_11target_archE4294967295ELNS1_3gpuE0ELNS1_3repE0EEENS1_30default_config_static_selectorELNS0_4arch9wavefront6targetE1EEEvT1_ ; -- Begin function _ZN7rocprim17ROCPRIM_400000_NS6detail17trampoline_kernelINS0_14default_configENS1_25partition_config_selectorILNS1_17partition_subalgoE8EdNS0_10empty_typeEbEEZZNS1_14partition_implILS5_8ELb0ES3_jPKdPS6_PKS6_NS0_5tupleIJPdS6_EEENSE_IJSB_SB_EEENS0_18inequality_wrapperIN6hipcub16HIPCUB_304000_NS8EqualityEEEPlJS6_EEE10hipError_tPvRmT3_T4_T5_T6_T7_T9_mT8_P12ihipStream_tbDpT10_ENKUlT_T0_E_clISt17integral_constantIbLb0EES17_EEDaS12_S13_EUlS12_E_NS1_11comp_targetILNS1_3genE0ELNS1_11target_archE4294967295ELNS1_3gpuE0ELNS1_3repE0EEENS1_30default_config_static_selectorELNS0_4arch9wavefront6targetE1EEEvT1_
	.globl	_ZN7rocprim17ROCPRIM_400000_NS6detail17trampoline_kernelINS0_14default_configENS1_25partition_config_selectorILNS1_17partition_subalgoE8EdNS0_10empty_typeEbEEZZNS1_14partition_implILS5_8ELb0ES3_jPKdPS6_PKS6_NS0_5tupleIJPdS6_EEENSE_IJSB_SB_EEENS0_18inequality_wrapperIN6hipcub16HIPCUB_304000_NS8EqualityEEEPlJS6_EEE10hipError_tPvRmT3_T4_T5_T6_T7_T9_mT8_P12ihipStream_tbDpT10_ENKUlT_T0_E_clISt17integral_constantIbLb0EES17_EEDaS12_S13_EUlS12_E_NS1_11comp_targetILNS1_3genE0ELNS1_11target_archE4294967295ELNS1_3gpuE0ELNS1_3repE0EEENS1_30default_config_static_selectorELNS0_4arch9wavefront6targetE1EEEvT1_
	.p2align	8
	.type	_ZN7rocprim17ROCPRIM_400000_NS6detail17trampoline_kernelINS0_14default_configENS1_25partition_config_selectorILNS1_17partition_subalgoE8EdNS0_10empty_typeEbEEZZNS1_14partition_implILS5_8ELb0ES3_jPKdPS6_PKS6_NS0_5tupleIJPdS6_EEENSE_IJSB_SB_EEENS0_18inequality_wrapperIN6hipcub16HIPCUB_304000_NS8EqualityEEEPlJS6_EEE10hipError_tPvRmT3_T4_T5_T6_T7_T9_mT8_P12ihipStream_tbDpT10_ENKUlT_T0_E_clISt17integral_constantIbLb0EES17_EEDaS12_S13_EUlS12_E_NS1_11comp_targetILNS1_3genE0ELNS1_11target_archE4294967295ELNS1_3gpuE0ELNS1_3repE0EEENS1_30default_config_static_selectorELNS0_4arch9wavefront6targetE1EEEvT1_,@function
_ZN7rocprim17ROCPRIM_400000_NS6detail17trampoline_kernelINS0_14default_configENS1_25partition_config_selectorILNS1_17partition_subalgoE8EdNS0_10empty_typeEbEEZZNS1_14partition_implILS5_8ELb0ES3_jPKdPS6_PKS6_NS0_5tupleIJPdS6_EEENSE_IJSB_SB_EEENS0_18inequality_wrapperIN6hipcub16HIPCUB_304000_NS8EqualityEEEPlJS6_EEE10hipError_tPvRmT3_T4_T5_T6_T7_T9_mT8_P12ihipStream_tbDpT10_ENKUlT_T0_E_clISt17integral_constantIbLb0EES17_EEDaS12_S13_EUlS12_E_NS1_11comp_targetILNS1_3genE0ELNS1_11target_archE4294967295ELNS1_3gpuE0ELNS1_3repE0EEENS1_30default_config_static_selectorELNS0_4arch9wavefront6targetE1EEEvT1_: ; @_ZN7rocprim17ROCPRIM_400000_NS6detail17trampoline_kernelINS0_14default_configENS1_25partition_config_selectorILNS1_17partition_subalgoE8EdNS0_10empty_typeEbEEZZNS1_14partition_implILS5_8ELb0ES3_jPKdPS6_PKS6_NS0_5tupleIJPdS6_EEENSE_IJSB_SB_EEENS0_18inequality_wrapperIN6hipcub16HIPCUB_304000_NS8EqualityEEEPlJS6_EEE10hipError_tPvRmT3_T4_T5_T6_T7_T9_mT8_P12ihipStream_tbDpT10_ENKUlT_T0_E_clISt17integral_constantIbLb0EES17_EEDaS12_S13_EUlS12_E_NS1_11comp_targetILNS1_3genE0ELNS1_11target_archE4294967295ELNS1_3gpuE0ELNS1_3repE0EEENS1_30default_config_static_selectorELNS0_4arch9wavefront6targetE1EEEvT1_
; %bb.0:
	.section	.rodata,"a",@progbits
	.p2align	6, 0x0
	.amdhsa_kernel _ZN7rocprim17ROCPRIM_400000_NS6detail17trampoline_kernelINS0_14default_configENS1_25partition_config_selectorILNS1_17partition_subalgoE8EdNS0_10empty_typeEbEEZZNS1_14partition_implILS5_8ELb0ES3_jPKdPS6_PKS6_NS0_5tupleIJPdS6_EEENSE_IJSB_SB_EEENS0_18inequality_wrapperIN6hipcub16HIPCUB_304000_NS8EqualityEEEPlJS6_EEE10hipError_tPvRmT3_T4_T5_T6_T7_T9_mT8_P12ihipStream_tbDpT10_ENKUlT_T0_E_clISt17integral_constantIbLb0EES17_EEDaS12_S13_EUlS12_E_NS1_11comp_targetILNS1_3genE0ELNS1_11target_archE4294967295ELNS1_3gpuE0ELNS1_3repE0EEENS1_30default_config_static_selectorELNS0_4arch9wavefront6targetE1EEEvT1_
		.amdhsa_group_segment_fixed_size 0
		.amdhsa_private_segment_fixed_size 0
		.amdhsa_kernarg_size 112
		.amdhsa_user_sgpr_count 2
		.amdhsa_user_sgpr_dispatch_ptr 0
		.amdhsa_user_sgpr_queue_ptr 0
		.amdhsa_user_sgpr_kernarg_segment_ptr 1
		.amdhsa_user_sgpr_dispatch_id 0
		.amdhsa_user_sgpr_kernarg_preload_length 0
		.amdhsa_user_sgpr_kernarg_preload_offset 0
		.amdhsa_user_sgpr_private_segment_size 0
		.amdhsa_uses_dynamic_stack 0
		.amdhsa_enable_private_segment 0
		.amdhsa_system_sgpr_workgroup_id_x 1
		.amdhsa_system_sgpr_workgroup_id_y 0
		.amdhsa_system_sgpr_workgroup_id_z 0
		.amdhsa_system_sgpr_workgroup_info 0
		.amdhsa_system_vgpr_workitem_id 0
		.amdhsa_next_free_vgpr 1
		.amdhsa_next_free_sgpr 0
		.amdhsa_accum_offset 4
		.amdhsa_reserve_vcc 0
		.amdhsa_float_round_mode_32 0
		.amdhsa_float_round_mode_16_64 0
		.amdhsa_float_denorm_mode_32 3
		.amdhsa_float_denorm_mode_16_64 3
		.amdhsa_dx10_clamp 1
		.amdhsa_ieee_mode 1
		.amdhsa_fp16_overflow 0
		.amdhsa_tg_split 0
		.amdhsa_exception_fp_ieee_invalid_op 0
		.amdhsa_exception_fp_denorm_src 0
		.amdhsa_exception_fp_ieee_div_zero 0
		.amdhsa_exception_fp_ieee_overflow 0
		.amdhsa_exception_fp_ieee_underflow 0
		.amdhsa_exception_fp_ieee_inexact 0
		.amdhsa_exception_int_div_zero 0
	.end_amdhsa_kernel
	.section	.text._ZN7rocprim17ROCPRIM_400000_NS6detail17trampoline_kernelINS0_14default_configENS1_25partition_config_selectorILNS1_17partition_subalgoE8EdNS0_10empty_typeEbEEZZNS1_14partition_implILS5_8ELb0ES3_jPKdPS6_PKS6_NS0_5tupleIJPdS6_EEENSE_IJSB_SB_EEENS0_18inequality_wrapperIN6hipcub16HIPCUB_304000_NS8EqualityEEEPlJS6_EEE10hipError_tPvRmT3_T4_T5_T6_T7_T9_mT8_P12ihipStream_tbDpT10_ENKUlT_T0_E_clISt17integral_constantIbLb0EES17_EEDaS12_S13_EUlS12_E_NS1_11comp_targetILNS1_3genE0ELNS1_11target_archE4294967295ELNS1_3gpuE0ELNS1_3repE0EEENS1_30default_config_static_selectorELNS0_4arch9wavefront6targetE1EEEvT1_,"axG",@progbits,_ZN7rocprim17ROCPRIM_400000_NS6detail17trampoline_kernelINS0_14default_configENS1_25partition_config_selectorILNS1_17partition_subalgoE8EdNS0_10empty_typeEbEEZZNS1_14partition_implILS5_8ELb0ES3_jPKdPS6_PKS6_NS0_5tupleIJPdS6_EEENSE_IJSB_SB_EEENS0_18inequality_wrapperIN6hipcub16HIPCUB_304000_NS8EqualityEEEPlJS6_EEE10hipError_tPvRmT3_T4_T5_T6_T7_T9_mT8_P12ihipStream_tbDpT10_ENKUlT_T0_E_clISt17integral_constantIbLb0EES17_EEDaS12_S13_EUlS12_E_NS1_11comp_targetILNS1_3genE0ELNS1_11target_archE4294967295ELNS1_3gpuE0ELNS1_3repE0EEENS1_30default_config_static_selectorELNS0_4arch9wavefront6targetE1EEEvT1_,comdat
.Lfunc_end272:
	.size	_ZN7rocprim17ROCPRIM_400000_NS6detail17trampoline_kernelINS0_14default_configENS1_25partition_config_selectorILNS1_17partition_subalgoE8EdNS0_10empty_typeEbEEZZNS1_14partition_implILS5_8ELb0ES3_jPKdPS6_PKS6_NS0_5tupleIJPdS6_EEENSE_IJSB_SB_EEENS0_18inequality_wrapperIN6hipcub16HIPCUB_304000_NS8EqualityEEEPlJS6_EEE10hipError_tPvRmT3_T4_T5_T6_T7_T9_mT8_P12ihipStream_tbDpT10_ENKUlT_T0_E_clISt17integral_constantIbLb0EES17_EEDaS12_S13_EUlS12_E_NS1_11comp_targetILNS1_3genE0ELNS1_11target_archE4294967295ELNS1_3gpuE0ELNS1_3repE0EEENS1_30default_config_static_selectorELNS0_4arch9wavefront6targetE1EEEvT1_, .Lfunc_end272-_ZN7rocprim17ROCPRIM_400000_NS6detail17trampoline_kernelINS0_14default_configENS1_25partition_config_selectorILNS1_17partition_subalgoE8EdNS0_10empty_typeEbEEZZNS1_14partition_implILS5_8ELb0ES3_jPKdPS6_PKS6_NS0_5tupleIJPdS6_EEENSE_IJSB_SB_EEENS0_18inequality_wrapperIN6hipcub16HIPCUB_304000_NS8EqualityEEEPlJS6_EEE10hipError_tPvRmT3_T4_T5_T6_T7_T9_mT8_P12ihipStream_tbDpT10_ENKUlT_T0_E_clISt17integral_constantIbLb0EES17_EEDaS12_S13_EUlS12_E_NS1_11comp_targetILNS1_3genE0ELNS1_11target_archE4294967295ELNS1_3gpuE0ELNS1_3repE0EEENS1_30default_config_static_selectorELNS0_4arch9wavefront6targetE1EEEvT1_
                                        ; -- End function
	.section	.AMDGPU.csdata,"",@progbits
; Kernel info:
; codeLenInByte = 0
; NumSgprs: 6
; NumVgprs: 0
; NumAgprs: 0
; TotalNumVgprs: 0
; ScratchSize: 0
; MemoryBound: 0
; FloatMode: 240
; IeeeMode: 1
; LDSByteSize: 0 bytes/workgroup (compile time only)
; SGPRBlocks: 0
; VGPRBlocks: 0
; NumSGPRsForWavesPerEU: 6
; NumVGPRsForWavesPerEU: 1
; AccumOffset: 4
; Occupancy: 8
; WaveLimiterHint : 0
; COMPUTE_PGM_RSRC2:SCRATCH_EN: 0
; COMPUTE_PGM_RSRC2:USER_SGPR: 2
; COMPUTE_PGM_RSRC2:TRAP_HANDLER: 0
; COMPUTE_PGM_RSRC2:TGID_X_EN: 1
; COMPUTE_PGM_RSRC2:TGID_Y_EN: 0
; COMPUTE_PGM_RSRC2:TGID_Z_EN: 0
; COMPUTE_PGM_RSRC2:TIDIG_COMP_CNT: 0
; COMPUTE_PGM_RSRC3_GFX90A:ACCUM_OFFSET: 0
; COMPUTE_PGM_RSRC3_GFX90A:TG_SPLIT: 0
	.section	.text._ZN7rocprim17ROCPRIM_400000_NS6detail17trampoline_kernelINS0_14default_configENS1_25partition_config_selectorILNS1_17partition_subalgoE8EdNS0_10empty_typeEbEEZZNS1_14partition_implILS5_8ELb0ES3_jPKdPS6_PKS6_NS0_5tupleIJPdS6_EEENSE_IJSB_SB_EEENS0_18inequality_wrapperIN6hipcub16HIPCUB_304000_NS8EqualityEEEPlJS6_EEE10hipError_tPvRmT3_T4_T5_T6_T7_T9_mT8_P12ihipStream_tbDpT10_ENKUlT_T0_E_clISt17integral_constantIbLb0EES17_EEDaS12_S13_EUlS12_E_NS1_11comp_targetILNS1_3genE5ELNS1_11target_archE942ELNS1_3gpuE9ELNS1_3repE0EEENS1_30default_config_static_selectorELNS0_4arch9wavefront6targetE1EEEvT1_,"axG",@progbits,_ZN7rocprim17ROCPRIM_400000_NS6detail17trampoline_kernelINS0_14default_configENS1_25partition_config_selectorILNS1_17partition_subalgoE8EdNS0_10empty_typeEbEEZZNS1_14partition_implILS5_8ELb0ES3_jPKdPS6_PKS6_NS0_5tupleIJPdS6_EEENSE_IJSB_SB_EEENS0_18inequality_wrapperIN6hipcub16HIPCUB_304000_NS8EqualityEEEPlJS6_EEE10hipError_tPvRmT3_T4_T5_T6_T7_T9_mT8_P12ihipStream_tbDpT10_ENKUlT_T0_E_clISt17integral_constantIbLb0EES17_EEDaS12_S13_EUlS12_E_NS1_11comp_targetILNS1_3genE5ELNS1_11target_archE942ELNS1_3gpuE9ELNS1_3repE0EEENS1_30default_config_static_selectorELNS0_4arch9wavefront6targetE1EEEvT1_,comdat
	.protected	_ZN7rocprim17ROCPRIM_400000_NS6detail17trampoline_kernelINS0_14default_configENS1_25partition_config_selectorILNS1_17partition_subalgoE8EdNS0_10empty_typeEbEEZZNS1_14partition_implILS5_8ELb0ES3_jPKdPS6_PKS6_NS0_5tupleIJPdS6_EEENSE_IJSB_SB_EEENS0_18inequality_wrapperIN6hipcub16HIPCUB_304000_NS8EqualityEEEPlJS6_EEE10hipError_tPvRmT3_T4_T5_T6_T7_T9_mT8_P12ihipStream_tbDpT10_ENKUlT_T0_E_clISt17integral_constantIbLb0EES17_EEDaS12_S13_EUlS12_E_NS1_11comp_targetILNS1_3genE5ELNS1_11target_archE942ELNS1_3gpuE9ELNS1_3repE0EEENS1_30default_config_static_selectorELNS0_4arch9wavefront6targetE1EEEvT1_ ; -- Begin function _ZN7rocprim17ROCPRIM_400000_NS6detail17trampoline_kernelINS0_14default_configENS1_25partition_config_selectorILNS1_17partition_subalgoE8EdNS0_10empty_typeEbEEZZNS1_14partition_implILS5_8ELb0ES3_jPKdPS6_PKS6_NS0_5tupleIJPdS6_EEENSE_IJSB_SB_EEENS0_18inequality_wrapperIN6hipcub16HIPCUB_304000_NS8EqualityEEEPlJS6_EEE10hipError_tPvRmT3_T4_T5_T6_T7_T9_mT8_P12ihipStream_tbDpT10_ENKUlT_T0_E_clISt17integral_constantIbLb0EES17_EEDaS12_S13_EUlS12_E_NS1_11comp_targetILNS1_3genE5ELNS1_11target_archE942ELNS1_3gpuE9ELNS1_3repE0EEENS1_30default_config_static_selectorELNS0_4arch9wavefront6targetE1EEEvT1_
	.globl	_ZN7rocprim17ROCPRIM_400000_NS6detail17trampoline_kernelINS0_14default_configENS1_25partition_config_selectorILNS1_17partition_subalgoE8EdNS0_10empty_typeEbEEZZNS1_14partition_implILS5_8ELb0ES3_jPKdPS6_PKS6_NS0_5tupleIJPdS6_EEENSE_IJSB_SB_EEENS0_18inequality_wrapperIN6hipcub16HIPCUB_304000_NS8EqualityEEEPlJS6_EEE10hipError_tPvRmT3_T4_T5_T6_T7_T9_mT8_P12ihipStream_tbDpT10_ENKUlT_T0_E_clISt17integral_constantIbLb0EES17_EEDaS12_S13_EUlS12_E_NS1_11comp_targetILNS1_3genE5ELNS1_11target_archE942ELNS1_3gpuE9ELNS1_3repE0EEENS1_30default_config_static_selectorELNS0_4arch9wavefront6targetE1EEEvT1_
	.p2align	8
	.type	_ZN7rocprim17ROCPRIM_400000_NS6detail17trampoline_kernelINS0_14default_configENS1_25partition_config_selectorILNS1_17partition_subalgoE8EdNS0_10empty_typeEbEEZZNS1_14partition_implILS5_8ELb0ES3_jPKdPS6_PKS6_NS0_5tupleIJPdS6_EEENSE_IJSB_SB_EEENS0_18inequality_wrapperIN6hipcub16HIPCUB_304000_NS8EqualityEEEPlJS6_EEE10hipError_tPvRmT3_T4_T5_T6_T7_T9_mT8_P12ihipStream_tbDpT10_ENKUlT_T0_E_clISt17integral_constantIbLb0EES17_EEDaS12_S13_EUlS12_E_NS1_11comp_targetILNS1_3genE5ELNS1_11target_archE942ELNS1_3gpuE9ELNS1_3repE0EEENS1_30default_config_static_selectorELNS0_4arch9wavefront6targetE1EEEvT1_,@function
_ZN7rocprim17ROCPRIM_400000_NS6detail17trampoline_kernelINS0_14default_configENS1_25partition_config_selectorILNS1_17partition_subalgoE8EdNS0_10empty_typeEbEEZZNS1_14partition_implILS5_8ELb0ES3_jPKdPS6_PKS6_NS0_5tupleIJPdS6_EEENSE_IJSB_SB_EEENS0_18inequality_wrapperIN6hipcub16HIPCUB_304000_NS8EqualityEEEPlJS6_EEE10hipError_tPvRmT3_T4_T5_T6_T7_T9_mT8_P12ihipStream_tbDpT10_ENKUlT_T0_E_clISt17integral_constantIbLb0EES17_EEDaS12_S13_EUlS12_E_NS1_11comp_targetILNS1_3genE5ELNS1_11target_archE942ELNS1_3gpuE9ELNS1_3repE0EEENS1_30default_config_static_selectorELNS0_4arch9wavefront6targetE1EEEvT1_: ; @_ZN7rocprim17ROCPRIM_400000_NS6detail17trampoline_kernelINS0_14default_configENS1_25partition_config_selectorILNS1_17partition_subalgoE8EdNS0_10empty_typeEbEEZZNS1_14partition_implILS5_8ELb0ES3_jPKdPS6_PKS6_NS0_5tupleIJPdS6_EEENSE_IJSB_SB_EEENS0_18inequality_wrapperIN6hipcub16HIPCUB_304000_NS8EqualityEEEPlJS6_EEE10hipError_tPvRmT3_T4_T5_T6_T7_T9_mT8_P12ihipStream_tbDpT10_ENKUlT_T0_E_clISt17integral_constantIbLb0EES17_EEDaS12_S13_EUlS12_E_NS1_11comp_targetILNS1_3genE5ELNS1_11target_archE942ELNS1_3gpuE9ELNS1_3repE0EEENS1_30default_config_static_selectorELNS0_4arch9wavefront6targetE1EEEvT1_
; %bb.0:
	s_load_dwordx2 s[8:9], s[0:1], 0x50
	s_load_dwordx4 s[4:7], s[0:1], 0x8
	s_load_dwordx4 s[20:23], s[0:1], 0x40
	s_load_dword s3, s[0:1], 0x68
	s_waitcnt lgkmcnt(0)
	v_mov_b32_e32 v3, s9
	s_lshl_b64 s[10:11], s[6:7], 3
	s_add_u32 s10, s4, s10
	s_mul_i32 s9, s3, 0xe00
	s_addc_u32 s11, s5, s11
	s_add_i32 s12, s3, -1
	s_add_i32 s3, s9, s6
	s_sub_i32 s3, s8, s3
	v_mov_b32_e32 v2, s8
	s_add_u32 s8, s6, s9
	s_addc_u32 s9, s7, 0
	s_cmp_eq_u32 s2, s12
	s_load_dwordx2 s[22:23], s[22:23], 0x0
	v_cmp_ge_u64_e32 vcc, s[8:9], v[2:3]
	s_cselect_b64 s[24:25], -1, 0
	s_mul_i32 s4, s2, 0xe00
	s_mov_b32 s5, 0
	s_and_b64 s[16:17], s[24:25], vcc
	s_xor_b64 s[26:27], s[16:17], -1
	s_lshl_b64 s[4:5], s[4:5], 3
	s_add_u32 s4, s10, s4
	s_mov_b64 s[8:9], -1
	s_addc_u32 s5, s11, s5
	s_and_b64 vcc, exec, s[26:27]
	s_cbranch_vccz .LBB273_2
; %bb.1:
	v_lshlrev_b32_e32 v2, 3, v0
	v_mov_b32_e32 v3, 0
	v_lshl_add_u64 v[4:5], s[4:5], 0, v[2:3]
	v_add_co_u32_e32 v8, vcc, 0x1000, v4
	global_load_dwordx2 v[6:7], v2, s[4:5]
	s_nop 0
	v_addc_co_u32_e32 v9, vcc, 0, v5, vcc
	v_add_co_u32_e32 v10, vcc, 0x2000, v4
	s_mov_b64 s[8:9], 0
	s_nop 0
	v_addc_co_u32_e32 v11, vcc, 0, v5, vcc
	v_add_co_u32_e32 v12, vcc, 0x3000, v4
	s_nop 1
	v_addc_co_u32_e32 v13, vcc, 0, v5, vcc
	v_add_co_u32_e32 v14, vcc, 0x4000, v4
	s_nop 1
	v_addc_co_u32_e32 v15, vcc, 0, v5, vcc
	global_load_dwordx2 v[16:17], v[8:9], off
	global_load_dwordx2 v[18:19], v[10:11], off
	;; [unrolled: 1-line block ×4, first 2 shown]
	v_add_co_u32_e32 v8, vcc, 0x5000, v4
	s_nop 1
	v_addc_co_u32_e32 v9, vcc, 0, v5, vcc
	v_add_co_u32_e32 v4, vcc, 0x6000, v4
	global_load_dwordx2 v[8:9], v[8:9], off
	s_nop 0
	v_addc_co_u32_e32 v5, vcc, 0, v5, vcc
	global_load_dwordx2 v[4:5], v[4:5], off
	s_waitcnt vmcnt(5)
	ds_write2st64_b64 v2, v[6:7], v[16:17] offset1:8
	s_waitcnt vmcnt(3)
	ds_write2st64_b64 v2, v[18:19], v[20:21] offset0:16 offset1:24
	s_waitcnt vmcnt(1)
	ds_write2st64_b64 v2, v[22:23], v[8:9] offset0:32 offset1:40
	s_waitcnt vmcnt(0)
	ds_write_b64 v2, v[4:5] offset:24576
	s_waitcnt lgkmcnt(0)
	s_barrier
.LBB273_2:
	s_andn2_b64 vcc, exec, s[8:9]
	s_addk_i32 s3, 0xe00
	s_cbranch_vccnz .LBB273_18
; %bb.3:
	v_cmp_gt_u32_e32 vcc, s3, v0
                                        ; implicit-def: $vgpr2_vgpr3_vgpr4_vgpr5_vgpr6_vgpr7_vgpr8_vgpr9_vgpr10_vgpr11_vgpr12_vgpr13_vgpr14_vgpr15_vgpr16_vgpr17
	s_and_saveexec_b64 s[8:9], vcc
	s_cbranch_execz .LBB273_5
; %bb.4:
	v_lshlrev_b32_e32 v1, 3, v0
	global_load_dwordx2 v[2:3], v1, s[4:5]
.LBB273_5:
	s_or_b64 exec, exec, s[8:9]
	v_or_b32_e32 v1, 0x200, v0
	v_cmp_gt_u32_e32 vcc, s3, v1
	s_and_saveexec_b64 s[8:9], vcc
	s_cbranch_execz .LBB273_7
; %bb.6:
	v_lshlrev_b32_e32 v1, 3, v1
	global_load_dwordx2 v[4:5], v1, s[4:5]
.LBB273_7:
	s_or_b64 exec, exec, s[8:9]
	v_or_b32_e32 v1, 0x400, v0
	v_cmp_gt_u32_e32 vcc, s3, v1
	;; [unrolled: 9-line block ×6, first 2 shown]
	s_and_saveexec_b64 s[8:9], vcc
	s_cbranch_execz .LBB273_17
; %bb.16:
	v_lshlrev_b32_e32 v1, 3, v1
	global_load_dwordx2 v[14:15], v1, s[4:5]
.LBB273_17:
	s_or_b64 exec, exec, s[8:9]
	v_lshlrev_b32_e32 v1, 3, v0
	s_waitcnt vmcnt(0)
	ds_write2st64_b64 v1, v[2:3], v[4:5] offset1:8
	ds_write2st64_b64 v1, v[6:7], v[8:9] offset0:16 offset1:24
	ds_write2st64_b64 v1, v[10:11], v[12:13] offset0:32 offset1:40
	ds_write_b64 v1, v[14:15] offset:24576
	s_waitcnt lgkmcnt(0)
	s_barrier
.LBB273_18:
	v_mul_u32_u24_e32 v18, 7, v0
	v_lshlrev_b32_e32 v1, 3, v18
	s_waitcnt lgkmcnt(0)
	ds_read2_b64 v[10:13], v1 offset1:1
	ds_read2_b64 v[6:9], v1 offset0:2 offset1:3
	ds_read2_b64 v[2:5], v1 offset0:4 offset1:5
	ds_read_b64 v[14:15], v1 offset:48
	s_cmp_lg_u32 s2, 0
	s_cselect_b64 s[30:31], -1, 0
	s_cmp_lg_u64 s[6:7], 0
	s_cselect_b64 s[6:7], -1, 0
	s_or_b64 s[6:7], s[30:31], s[6:7]
	v_mad_u32_u24 v20, v0, 7, 1
	v_mad_u32_u24 v19, v0, 7, 2
	v_mad_u32_u24 v23, v0, 7, 3
	v_mad_u32_u24 v21, v0, 7, 4
	v_mad_u32_u24 v24, v0, 7, 5
	v_mad_u32_u24 v22, v0, 7, 6
	s_mov_b64 s[18:19], 0
	s_and_b64 vcc, exec, s[6:7]
	s_waitcnt lgkmcnt(0)
	s_barrier
	s_cbranch_vccz .LBB273_23
; %bb.19:
	s_add_u32 s4, s4, -8
	s_addc_u32 s5, s5, -1
	s_load_dwordx2 s[6:7], s[4:5], 0x0
	v_lshlrev_b32_e32 v29, 3, v0
	s_and_b64 vcc, exec, s[26:27]
	ds_write_b64 v29, v[14:15]
	s_cbranch_vccz .LBB273_25
; %bb.20:
	v_cmp_ne_u32_e32 vcc, 0, v0
	s_waitcnt lgkmcnt(0)
	v_mov_b64_e32 v[16:17], s[6:7]
	s_barrier
	s_and_saveexec_b64 s[4:5], vcc
	s_cbranch_execz .LBB273_22
; %bb.21:
	v_add_u32_e32 v16, -8, v29
	ds_read_b64 v[16:17], v16
.LBB273_22:
	s_or_b64 exec, exec, s[4:5]
	v_cmp_neq_f64_e32 vcc, v[4:5], v[14:15]
	s_waitcnt lgkmcnt(0)
	v_cmp_neq_f64_e64 s[4:5], v[16:17], v[10:11]
	v_cndmask_b32_e64 v27, 0, 1, vcc
	v_cmp_neq_f64_e32 vcc, v[2:3], v[4:5]
	s_nop 1
	v_cndmask_b32_e64 v25, 0, 1, vcc
	v_cmp_neq_f64_e32 vcc, v[8:9], v[2:3]
	s_nop 1
	;; [unrolled: 3-line block ×3, first 2 shown]
	v_cndmask_b32_e64 v28, 0, 1, vcc
	v_cmp_neq_f64_e32 vcc, v[12:13], v[6:7]
	v_lshlrev_b16_e32 v16, 8, v28
	s_nop 0
	v_cndmask_b32_e64 v30, 0, 1, vcc
	v_cmp_neq_f64_e32 vcc, v[10:11], v[12:13]
	v_or_b32_sdwa v16, v30, v16 dst_sel:WORD_1 dst_unused:UNUSED_PAD src0_sel:DWORD src1_sel:DWORD
	s_nop 0
	v_cndmask_b32_e64 v31, 0, 1, vcc
	v_lshlrev_b16_e32 v17, 8, v31
	v_or_b32_e32 v28, v17, v16
	s_branch .LBB273_29
.LBB273_23:
                                        ; implicit-def: $sgpr4_sgpr5
                                        ; implicit-def: $vgpr27
                                        ; implicit-def: $vgpr25
                                        ; implicit-def: $vgpr26
                                        ; implicit-def: $vgpr28
	s_branch .LBB273_30
.LBB273_24:
                                        ; implicit-def: $vgpr16_vgpr17
	s_and_saveexec_b64 s[6:7], s[18:19]
	s_cbranch_execnz .LBB273_38
	s_branch .LBB273_39
.LBB273_25:
                                        ; implicit-def: $sgpr4_sgpr5
                                        ; implicit-def: $vgpr27
                                        ; implicit-def: $vgpr25
                                        ; implicit-def: $vgpr26
                                        ; implicit-def: $vgpr28
	s_cbranch_execz .LBB273_29
; %bb.26:
	v_cmp_ne_u32_e32 vcc, 0, v0
	s_waitcnt lgkmcnt(0)
	v_mov_b64_e32 v[16:17], s[6:7]
	s_barrier
	s_and_saveexec_b64 s[4:5], vcc
	s_cbranch_execz .LBB273_28
; %bb.27:
	v_add_u32_e32 v16, -8, v29
	ds_read_b64 v[16:17], v16
.LBB273_28:
	s_or_b64 exec, exec, s[4:5]
	v_cmp_gt_u32_e32 vcc, s3, v22
	v_cmp_neq_f64_e64 s[4:5], v[4:5], v[14:15]
	s_and_b64 s[4:5], vcc, s[4:5]
	v_cmp_gt_u32_e32 vcc, s3, v24
	v_cndmask_b32_e64 v27, 0, 1, s[4:5]
	v_cmp_neq_f64_e64 s[4:5], v[2:3], v[4:5]
	s_and_b64 s[4:5], vcc, s[4:5]
	v_cmp_gt_u32_e32 vcc, s3, v21
	v_cndmask_b32_e64 v25, 0, 1, s[4:5]
	;; [unrolled: 4-line block ×6, first 2 shown]
	s_waitcnt lgkmcnt(0)
	v_cmp_neq_f64_e64 s[4:5], v[16:17], v[10:11]
	v_lshlrev_b16_e32 v16, 8, v28
	v_or_b32_sdwa v16, v29, v16 dst_sel:WORD_1 dst_unused:UNUSED_PAD src0_sel:DWORD src1_sel:DWORD
	v_lshlrev_b16_e32 v17, 8, v30
	s_and_b64 s[4:5], vcc, s[4:5]
	v_or_b32_e32 v28, v17, v16
.LBB273_29:
	s_waitcnt lgkmcnt(0)
	s_mov_b64 s[18:19], -1
	s_cbranch_execnz .LBB273_24
.LBB273_30:
	s_movk_i32 s4, 0xffd0
	v_mad_i32_i24 v29, v0, s4, v1
	s_and_b64 vcc, exec, s[26:27]
	v_cmp_neq_f64_e64 s[14:15], v[4:5], v[14:15]
	v_cmp_neq_f64_e64 s[4:5], v[2:3], v[4:5]
	;; [unrolled: 1-line block ×6, first 2 shown]
	ds_write_b64 v29, v[14:15]
	s_cbranch_vccz .LBB273_34
; %bb.31:
	v_cndmask_b32_e64 v25, 0, 1, s[4:5]
	v_cndmask_b32_e64 v16, 0, 1, s[8:9]
	;; [unrolled: 1-line block ×5, first 2 shown]
	v_lshlrev_b16_e32 v17, 8, v25
	v_lshlrev_b16_e32 v16, 8, v16
	v_or_b32_e32 v17, v26, v17
	v_or_b32_sdwa v16, v28, v16 dst_sel:WORD_1 dst_unused:UNUSED_PAD src0_sel:DWORD src1_sel:DWORD
	v_lshlrev_b16_e32 v28, 8, v30
	v_and_b32_e32 v17, 0xffff, v17
	v_cndmask_b32_e64 v27, 0, 1, s[14:15]
	v_or_b32_e32 v28, 1, v28
	v_lshl_or_b32 v17, v27, 16, v17
	v_or_b32_sdwa v16, v28, v16 dst_sel:DWORD dst_unused:UNUSED_PAD src0_sel:WORD_0 src1_sel:DWORD
	v_cmp_ne_u32_e32 vcc, 0, v0
	s_waitcnt lgkmcnt(0)
	s_barrier
	s_waitcnt lgkmcnt(0)
                                        ; implicit-def: $sgpr4_sgpr5
                                        ; implicit-def: $vgpr28
	s_and_saveexec_b64 s[6:7], vcc
	s_xor_b64 s[6:7], exec, s[6:7]
	s_cbranch_execz .LBB273_33
; %bb.32:
	v_add_u32_e32 v17, -8, v29
	ds_read_b64 v[30:31], v17
	s_mov_b32 s4, 0x3020104
	v_perm_b32 v28, v16, v16, s4
	s_or_b64 s[18:19], s[18:19], exec
                                        ; implicit-def: $vgpr16_vgpr17
	s_waitcnt lgkmcnt(0)
	v_cmp_neq_f64_e32 vcc, v[30:31], v[10:11]
	s_and_b64 s[4:5], vcc, exec
.LBB273_33:
	s_or_b64 exec, exec, s[6:7]
	s_branch .LBB273_37
.LBB273_34:
                                        ; implicit-def: $sgpr4_sgpr5
                                        ; implicit-def: $vgpr27
                                        ; implicit-def: $vgpr25
                                        ; implicit-def: $vgpr26
                                        ; implicit-def: $vgpr28
                                        ; implicit-def: $vgpr16_vgpr17
	s_cbranch_execz .LBB273_37
; %bb.35:
	v_cmp_gt_u32_e64 s[6:7], s3, v24
	v_cmp_neq_f64_e64 s[8:9], v[2:3], v[4:5]
	s_and_b64 s[6:7], s[6:7], s[8:9]
	v_cndmask_b32_e64 v25, 0, 1, s[6:7]
	v_cmp_gt_u32_e64 s[6:7], s3, v21
	v_cmp_neq_f64_e64 s[8:9], v[8:9], v[2:3]
	s_and_b64 s[6:7], s[6:7], s[8:9]
	v_cndmask_b32_e64 v26, 0, 1, s[6:7]
	;; [unrolled: 4-line block ×4, first 2 shown]
	v_cmp_gt_u32_e64 s[6:7], s3, v20
	v_cmp_neq_f64_e64 s[8:9], v[10:11], v[12:13]
	s_and_b64 s[6:7], s[6:7], s[8:9]
	v_cmp_gt_u32_e32 vcc, s3, v22
	v_cmp_neq_f64_e64 s[4:5], v[4:5], v[14:15]
	v_cndmask_b32_e64 v30, 0, 1, s[6:7]
	v_lshlrev_b16_e32 v17, 8, v25
	v_lshlrev_b16_e32 v16, 8, v16
	v_or_b32_e32 v17, v26, v17
	s_and_b64 s[4:5], vcc, s[4:5]
	v_or_b32_sdwa v16, v28, v16 dst_sel:WORD_1 dst_unused:UNUSED_PAD src0_sel:DWORD src1_sel:DWORD
	v_lshlrev_b16_e32 v28, 8, v30
	v_and_b32_e32 v17, 0xffff, v17
	v_cndmask_b32_e64 v27, 0, 1, s[4:5]
	v_or_b32_e32 v28, 1, v28
	v_lshl_or_b32 v17, v27, 16, v17
	v_or_b32_sdwa v16, v28, v16 dst_sel:DWORD dst_unused:UNUSED_PAD src0_sel:WORD_0 src1_sel:DWORD
	v_cmp_ne_u32_e32 vcc, 0, v0
	s_waitcnt lgkmcnt(0)
	s_barrier
	s_waitcnt lgkmcnt(0)
                                        ; implicit-def: $sgpr4_sgpr5
                                        ; implicit-def: $vgpr28
	s_and_saveexec_b64 s[6:7], vcc
	s_cbranch_execz .LBB273_123
; %bb.36:
	v_add_u32_e32 v17, -8, v29
	ds_read_b64 v[30:31], v17
	s_mov_b32 s4, 0x3020104
	v_cmp_gt_u32_e32 vcc, s3, v18
	v_perm_b32 v28, v16, v16, s4
	s_or_b64 s[18:19], s[18:19], exec
	s_waitcnt lgkmcnt(0)
	v_cmp_neq_f64_e64 s[4:5], v[30:31], v[10:11]
	s_and_b64 s[4:5], vcc, s[4:5]
	s_and_b64 s[4:5], s[4:5], exec
                                        ; implicit-def: $vgpr16_vgpr17
	s_or_b64 exec, exec, s[6:7]
.LBB273_37:
	s_and_saveexec_b64 s[6:7], s[18:19]
	s_cbranch_execz .LBB273_39
.LBB273_38:
	v_lshlrev_b16_e32 v17, 8, v25
	v_and_b32_e32 v25, 0xff, v27
	v_or_b32_sdwa v17, v26, v17 dst_sel:DWORD dst_unused:UNUSED_PAD src0_sel:BYTE_0 src1_sel:DWORD
	v_lshlrev_b32_e32 v25, 16, v25
	v_cndmask_b32_e64 v16, 0, 1, s[4:5]
	s_movk_i32 s4, 0xff
	v_or_b32_sdwa v17, v17, v25 dst_sel:DWORD dst_unused:UNUSED_PAD src0_sel:WORD_0 src1_sel:DWORD
	v_lshrrev_b32_e32 v25, 24, v28
	v_lshlrev_b16_e32 v25, 8, v25
	v_and_b32_sdwa v26, v28, s4 dst_sel:DWORD dst_unused:UNUSED_PAD src0_sel:WORD_1 src1_sel:DWORD
	v_or_b32_sdwa v25, v26, v25 dst_sel:WORD_1 dst_unused:UNUSED_PAD src0_sel:DWORD src1_sel:DWORD
	v_mov_b32_e32 v26, 8
	v_lshrrev_b32_sdwa v26, v26, v28 dst_sel:BYTE_1 dst_unused:UNUSED_PAD src0_sel:DWORD src1_sel:DWORD
	s_nop 0
	v_or_b32_e32 v16, v16, v26
	v_or_b32_sdwa v16, v16, v25 dst_sel:DWORD dst_unused:UNUSED_PAD src0_sel:WORD_0 src1_sel:DWORD
.LBB273_39:
	s_or_b64 exec, exec, s[6:7]
	s_load_dwordx2 s[28:29], s[0:1], 0x60
	s_andn2_b64 vcc, exec, s[16:17]
	s_cbranch_vccnz .LBB273_41
; %bb.40:
	v_and_b32_e32 v25, 0xffff0000, v16
	v_cmp_gt_u32_e32 vcc, s3, v18
	s_mov_b32 s4, 0x40c0100
	s_nop 0
	v_cndmask_b32_e32 v18, v25, v16, vcc
	v_and_b32_e32 v18, 0xffff00ff, v18
	v_cmp_gt_u32_e32 vcc, s3, v20
	s_nop 1
	v_cndmask_b32_e32 v18, v18, v16, vcc
	v_lshrrev_b32_e32 v20, 24, v18
	v_perm_b32 v18, v20, v18, s4
	v_cmp_gt_u32_e32 vcc, s3, v19
	v_and_b32_e32 v19, 0xffffff00, v17
	s_nop 0
	v_cndmask_b32_e32 v18, v18, v16, vcc
	v_and_b32_e32 v18, 0xffffff, v18
	v_cmp_gt_u32_e32 vcc, s3, v23
	s_nop 1
	v_cndmask_b32_e32 v18, v18, v16, vcc
	v_cmp_gt_u32_e32 vcc, s3, v21
	s_nop 1
	v_cndmask_b32_e32 v19, v19, v17, vcc
	v_and_b32_e32 v19, 0xffff00ff, v19
	v_cndmask_b32_e32 v18, v18, v16, vcc
	v_cmp_gt_u32_e32 vcc, s3, v24
	s_nop 1
	v_cndmask_b32_e32 v19, v19, v17, vcc
	v_lshrrev_b32_e32 v20, 24, v19
	v_cndmask_b32_e32 v18, v18, v16, vcc
	v_perm_b32 v19, v20, v19, s4
	v_cmp_gt_u32_e32 vcc, s3, v22
	s_mov_b32 s3, 0x3020104
	s_nop 0
	v_cndmask_b32_e32 v16, v18, v16, vcc
	v_cndmask_b32_e32 v17, v19, v17, vcc
	v_mov_b32_e32 v18, 8
	v_lshrrev_b32_sdwa v18, v18, v17 dst_sel:BYTE_1 dst_unused:UNUSED_PAD src0_sel:DWORD src1_sel:DWORD
	v_perm_b32 v16, v16, v16, s3
	v_or_b32_sdwa v18, v17, v18 dst_sel:DWORD dst_unused:UNUSED_PAD src0_sel:BYTE_0 src1_sel:DWORD
	v_and_b32_e32 v18, 0xffff, v18
	v_bfe_u32 v17, v17, 16, 8
	v_lshl_or_b32 v17, v17, 16, v18
.LBB273_41:
	v_and_b32_e32 v29, 0xff, v16
	v_bfe_u32 v31, v16, 8, 8
	v_bfe_u32 v33, v16, 16, 8
	v_alignbit_b32 v18, v17, v16, 24
	v_and_b32_e32 v35, 0xff, v18
	v_and_b32_e32 v36, 0xff, v17
	v_add3_u32 v19, v31, v29, v33
	v_bfe_u32 v37, v17, 8, 8
	v_bfe_u32 v18, v17, 16, 8
	v_add3_u32 v19, v19, v35, v36
	v_add3_u32 v40, v19, v37, v18
	v_mbcnt_lo_u32_b32 v18, -1, 0
	v_mbcnt_hi_u32_b32 v38, -1, v18
	v_and_b32_e32 v18, 15, v38
	v_cmp_eq_u32_e64 s[14:15], 0, v18
	v_cmp_lt_u32_e64 s[12:13], 1, v18
	v_cmp_lt_u32_e64 s[10:11], 3, v18
	;; [unrolled: 1-line block ×3, first 2 shown]
	v_and_b32_e32 v18, 16, v38
	v_cmp_eq_u32_e64 s[6:7], 0, v18
	v_or_b32_e32 v18, 63, v0
	v_cmp_lt_u32_e64 s[18:19], 31, v38
	v_lshrrev_b32_e32 v39, 6, v0
	v_cmp_eq_u32_e64 s[4:5], v18, v0
	s_and_b64 vcc, exec, s[30:31]
	s_waitcnt lgkmcnt(0)
	s_barrier
	s_cbranch_vccz .LBB273_68
; %bb.42:
	v_mov_b32_dpp v18, v40 row_shr:1 row_mask:0xf bank_mask:0xf
	v_cndmask_b32_e64 v18, v18, 0, s[14:15]
	v_add_u32_e32 v18, v18, v40
	s_nop 1
	v_mov_b32_dpp v19, v18 row_shr:2 row_mask:0xf bank_mask:0xf
	v_cndmask_b32_e64 v19, 0, v19, s[12:13]
	v_add_u32_e32 v18, v18, v19
	s_nop 1
	;; [unrolled: 4-line block ×4, first 2 shown]
	v_mov_b32_dpp v19, v18 row_bcast:15 row_mask:0xf bank_mask:0xf
	v_cndmask_b32_e64 v19, v19, 0, s[6:7]
	v_add_u32_e32 v18, v18, v19
	s_nop 1
	v_mov_b32_dpp v19, v18 row_bcast:31 row_mask:0xf bank_mask:0xf
	v_cndmask_b32_e64 v19, 0, v19, s[18:19]
	v_add_u32_e32 v18, v18, v19
	s_and_saveexec_b64 s[16:17], s[4:5]
	s_cbranch_execz .LBB273_44
; %bb.43:
	v_lshlrev_b32_e32 v19, 2, v39
	ds_write_b32 v19, v18
.LBB273_44:
	s_or_b64 exec, exec, s[16:17]
	v_cmp_gt_u32_e32 vcc, 8, v0
	s_waitcnt lgkmcnt(0)
	s_barrier
	s_and_saveexec_b64 s[16:17], vcc
	s_cbranch_execz .LBB273_46
; %bb.45:
	v_lshlrev_b32_e32 v19, 2, v0
	ds_read_b32 v20, v19
	v_and_b32_e32 v21, 7, v38
	v_cmp_ne_u32_e32 vcc, 0, v21
	s_waitcnt lgkmcnt(0)
	v_mov_b32_dpp v22, v20 row_shr:1 row_mask:0xf bank_mask:0xf
	v_cndmask_b32_e32 v22, 0, v22, vcc
	v_add_u32_e32 v20, v22, v20
	v_cmp_lt_u32_e32 vcc, 1, v21
	s_nop 0
	v_mov_b32_dpp v22, v20 row_shr:2 row_mask:0xf bank_mask:0xf
	v_cndmask_b32_e32 v22, 0, v22, vcc
	v_add_u32_e32 v20, v20, v22
	v_cmp_lt_u32_e32 vcc, 3, v21
	s_nop 0
	v_mov_b32_dpp v22, v20 row_shr:4 row_mask:0xf bank_mask:0xf
	v_cndmask_b32_e32 v21, 0, v22, vcc
	v_add_u32_e32 v20, v20, v21
	ds_write_b32 v19, v20
.LBB273_46:
	s_or_b64 exec, exec, s[16:17]
	v_cmp_gt_u32_e32 vcc, 64, v0
	v_cmp_lt_u32_e64 s[16:17], 63, v0
	s_waitcnt lgkmcnt(0)
	s_barrier
	s_waitcnt lgkmcnt(0)
                                        ; implicit-def: $vgpr28
	s_and_saveexec_b64 s[30:31], s[16:17]
	s_cbranch_execz .LBB273_48
; %bb.47:
	v_lshl_add_u32 v19, v39, 2, -4
	ds_read_b32 v28, v19
	s_waitcnt lgkmcnt(0)
	v_add_u32_e32 v18, v28, v18
.LBB273_48:
	s_or_b64 exec, exec, s[30:31]
	v_add_u32_e32 v19, -1, v38
	v_and_b32_e32 v20, 64, v38
	v_cmp_lt_i32_e64 s[16:17], v19, v20
	s_nop 1
	v_cndmask_b32_e64 v19, v19, v38, s[16:17]
	v_lshlrev_b32_e32 v19, 2, v19
	ds_bpermute_b32 v30, v19, v18
	v_cmp_eq_u32_e64 s[16:17], 0, v38
	s_and_saveexec_b64 s[30:31], vcc
	s_cbranch_execz .LBB273_67
; %bb.49:
	v_mov_b32_e32 v25, 0
	ds_read_b32 v18, v25 offset:28
	s_and_saveexec_b64 s[34:35], s[16:17]
	s_cbranch_execz .LBB273_51
; %bb.50:
	s_add_i32 s36, s2, 64
	s_mov_b32 s37, 0
	s_lshl_b64 s[36:37], s[36:37], 3
	s_add_u32 s36, s28, s36
	v_mov_b32_e32 v19, 1
	s_addc_u32 s37, s29, s37
	s_waitcnt lgkmcnt(0)
	global_store_dwordx2 v25, v[18:19], s[36:37] sc1
.LBB273_51:
	s_or_b64 exec, exec, s[34:35]
	v_xad_u32 v20, v38, -1, s2
	v_add_u32_e32 v24, 64, v20
	v_lshl_add_u64 v[26:27], v[24:25], 3, s[28:29]
	global_load_dwordx2 v[22:23], v[26:27], off sc1
	s_waitcnt vmcnt(0)
	v_cmp_eq_u16_sdwa s[36:37], v23, v25 src0_sel:BYTE_0 src1_sel:DWORD
	s_and_saveexec_b64 s[34:35], s[36:37]
	s_cbranch_execz .LBB273_55
; %bb.52:
	s_mov_b64 s[36:37], 0
	v_mov_b32_e32 v19, 0
.LBB273_53:                             ; =>This Inner Loop Header: Depth=1
	global_load_dwordx2 v[22:23], v[26:27], off sc1
	s_waitcnt vmcnt(0)
	v_cmp_ne_u16_sdwa s[38:39], v23, v19 src0_sel:BYTE_0 src1_sel:DWORD
	s_or_b64 s[36:37], s[38:39], s[36:37]
	s_andn2_b64 exec, exec, s[36:37]
	s_cbranch_execnz .LBB273_53
; %bb.54:
	s_or_b64 exec, exec, s[36:37]
.LBB273_55:
	s_or_b64 exec, exec, s[34:35]
	v_and_b32_e32 v34, 63, v38
	v_mov_b32_e32 v32, 2
	v_cmp_ne_u32_e32 vcc, 63, v34
	v_cmp_eq_u16_sdwa s[34:35], v23, v32 src0_sel:BYTE_0 src1_sel:DWORD
	v_lshlrev_b64 v[24:25], v38, -1
	v_addc_co_u32_e32 v26, vcc, 0, v38, vcc
	v_and_b32_e32 v19, s35, v25
	v_lshlrev_b32_e32 v41, 2, v26
	v_or_b32_e32 v19, 0x80000000, v19
	ds_bpermute_b32 v26, v41, v22
	v_and_b32_e32 v21, s34, v24
	v_ffbl_b32_e32 v19, v19
	v_add_u32_e32 v19, 32, v19
	v_ffbl_b32_e32 v21, v21
	v_min_u32_e32 v19, v21, v19
	v_cmp_lt_u32_e32 vcc, v34, v19
	v_add_u32_e32 v43, 2, v34
	v_add_u32_e32 v45, 4, v34
	s_waitcnt lgkmcnt(0)
	v_cndmask_b32_e32 v21, 0, v26, vcc
	v_cmp_gt_u32_e32 vcc, 62, v34
	v_add_u32_e32 v21, v21, v22
	v_add_u32_e32 v47, 8, v34
	v_cndmask_b32_e64 v22, 0, 1, vcc
	v_lshlrev_b32_e32 v22, 1, v22
	v_add_lshl_u32 v42, v22, v38, 2
	ds_bpermute_b32 v22, v42, v21
	v_cmp_le_u32_e32 vcc, v43, v19
	v_add_u32_e32 v49, 16, v34
	v_add_u32_e32 v51, 32, v34
	s_waitcnt lgkmcnt(0)
	v_cndmask_b32_e32 v22, 0, v22, vcc
	v_cmp_gt_u32_e32 vcc, 60, v34
	v_add_u32_e32 v21, v21, v22
	s_nop 0
	v_cndmask_b32_e64 v22, 0, 1, vcc
	v_lshlrev_b32_e32 v22, 2, v22
	v_add_lshl_u32 v44, v22, v38, 2
	ds_bpermute_b32 v22, v44, v21
	v_cmp_le_u32_e32 vcc, v45, v19
	s_waitcnt lgkmcnt(0)
	s_nop 0
	v_cndmask_b32_e32 v22, 0, v22, vcc
	v_cmp_gt_u32_e32 vcc, 56, v34
	v_add_u32_e32 v21, v21, v22
	s_nop 0
	v_cndmask_b32_e64 v22, 0, 1, vcc
	v_lshlrev_b32_e32 v22, 3, v22
	v_add_lshl_u32 v46, v22, v38, 2
	ds_bpermute_b32 v22, v46, v21
	v_cmp_le_u32_e32 vcc, v47, v19
	s_waitcnt lgkmcnt(0)
	s_nop 0
	;; [unrolled: 11-line block ×4, first 2 shown]
	v_cndmask_b32_e32 v19, 0, v22, vcc
	v_add_u32_e32 v22, v21, v19
	v_mov_b32_e32 v21, 0
	s_branch .LBB273_57
.LBB273_56:                             ;   in Loop: Header=BB273_57 Depth=1
	s_or_b64 exec, exec, s[34:35]
	v_cmp_eq_u16_sdwa s[34:35], v23, v32 src0_sel:BYTE_0 src1_sel:DWORD
	ds_bpermute_b32 v52, v41, v22
	v_subrev_u32_e32 v20, 64, v20
	v_and_b32_e32 v26, s35, v25
	v_or_b32_e32 v26, 0x80000000, v26
	v_and_b32_e32 v27, s34, v24
	v_ffbl_b32_e32 v26, v26
	v_add_u32_e32 v26, 32, v26
	v_ffbl_b32_e32 v27, v27
	v_min_u32_e32 v26, v27, v26
	v_cmp_lt_u32_e32 vcc, v34, v26
	s_waitcnt lgkmcnt(0)
	s_nop 0
	v_cndmask_b32_e32 v27, 0, v52, vcc
	v_add_u32_e32 v22, v27, v22
	ds_bpermute_b32 v27, v42, v22
	v_cmp_le_u32_e32 vcc, v43, v26
	s_waitcnt lgkmcnt(0)
	s_nop 0
	v_cndmask_b32_e32 v27, 0, v27, vcc
	v_add_u32_e32 v22, v22, v27
	ds_bpermute_b32 v27, v44, v22
	v_cmp_le_u32_e32 vcc, v45, v26
	s_waitcnt lgkmcnt(0)
	s_nop 0
	v_cndmask_b32_e32 v27, 0, v27, vcc
	v_add_u32_e32 v22, v22, v27
	ds_bpermute_b32 v27, v46, v22
	v_cmp_le_u32_e32 vcc, v47, v26
	s_waitcnt lgkmcnt(0)
	s_nop 0
	v_cndmask_b32_e32 v27, 0, v27, vcc
	v_add_u32_e32 v22, v22, v27
	ds_bpermute_b32 v27, v48, v22
	v_cmp_le_u32_e32 vcc, v49, v26
	s_waitcnt lgkmcnt(0)
	s_nop 0
	v_cndmask_b32_e32 v27, 0, v27, vcc
	v_add_u32_e32 v22, v22, v27
	ds_bpermute_b32 v27, v50, v22
	v_cmp_le_u32_e32 vcc, v51, v26
	s_waitcnt lgkmcnt(0)
	s_nop 0
	v_cndmask_b32_e32 v26, 0, v27, vcc
	v_add3_u32 v22, v26, v19, v22
.LBB273_57:                             ; =>This Loop Header: Depth=1
                                        ;     Child Loop BB273_60 Depth 2
	v_cmp_ne_u16_sdwa s[34:35], v23, v32 src0_sel:BYTE_0 src1_sel:DWORD
	s_nop 1
	v_cndmask_b32_e64 v19, 0, 1, s[34:35]
	;;#ASMSTART
	;;#ASMEND
	s_nop 0
	v_cmp_ne_u32_e32 vcc, 0, v19
	s_cmp_lg_u64 vcc, exec
	v_mov_b32_e32 v19, v22
	s_cbranch_scc1 .LBB273_62
; %bb.58:                               ;   in Loop: Header=BB273_57 Depth=1
	v_lshl_add_u64 v[26:27], v[20:21], 3, s[28:29]
	global_load_dwordx2 v[22:23], v[26:27], off sc1
	s_waitcnt vmcnt(0)
	v_cmp_eq_u16_sdwa s[36:37], v23, v21 src0_sel:BYTE_0 src1_sel:DWORD
	s_and_saveexec_b64 s[34:35], s[36:37]
	s_cbranch_execz .LBB273_56
; %bb.59:                               ;   in Loop: Header=BB273_57 Depth=1
	s_mov_b64 s[36:37], 0
.LBB273_60:                             ;   Parent Loop BB273_57 Depth=1
                                        ; =>  This Inner Loop Header: Depth=2
	global_load_dwordx2 v[22:23], v[26:27], off sc1
	s_waitcnt vmcnt(0)
	v_cmp_ne_u16_sdwa s[38:39], v23, v21 src0_sel:BYTE_0 src1_sel:DWORD
	s_or_b64 s[36:37], s[38:39], s[36:37]
	s_andn2_b64 exec, exec, s[36:37]
	s_cbranch_execnz .LBB273_60
; %bb.61:                               ;   in Loop: Header=BB273_57 Depth=1
	s_or_b64 exec, exec, s[36:37]
	s_branch .LBB273_56
.LBB273_62:                             ;   in Loop: Header=BB273_57 Depth=1
                                        ; implicit-def: $vgpr22
                                        ; implicit-def: $vgpr23
	s_cbranch_execz .LBB273_57
; %bb.63:
	s_and_saveexec_b64 s[34:35], s[16:17]
	s_cbranch_execz .LBB273_65
; %bb.64:
	s_add_i32 s2, s2, 64
	s_mov_b32 s3, 0
	s_lshl_b64 s[2:3], s[2:3], 3
	s_add_u32 s2, s28, s2
	v_add_u32_e32 v20, v19, v18
	v_mov_b32_e32 v21, 2
	s_addc_u32 s3, s29, s3
	v_mov_b32_e32 v22, 0
	global_store_dwordx2 v22, v[20:21], s[2:3] sc1
	ds_write_b64 v22, v[18:19] offset:28672
.LBB273_65:
	s_or_b64 exec, exec, s[34:35]
	v_cmp_eq_u32_e32 vcc, 0, v0
	s_and_b64 exec, exec, vcc
	s_cbranch_execz .LBB273_67
; %bb.66:
	v_mov_b32_e32 v18, 0
	ds_write_b32 v18, v19 offset:28
.LBB273_67:
	s_or_b64 exec, exec, s[30:31]
	v_mov_b32_e32 v18, 0
	s_waitcnt lgkmcnt(0)
	s_barrier
	ds_read_b32 v19, v18 offset:28
	v_cndmask_b32_e64 v20, v30, v28, s[16:17]
	v_cmp_ne_u32_e32 vcc, 0, v0
	s_waitcnt lgkmcnt(0)
	s_barrier
	v_cndmask_b32_e32 v20, 0, v20, vcc
	v_add_u32_e32 v34, v19, v20
	v_add_u32_e32 v32, v34, v29
	;; [unrolled: 1-line block ×3, first 2 shown]
	ds_read_b64 v[18:19], v18 offset:28672
	v_add_u32_e32 v28, v30, v33
	v_add_u32_e32 v26, v28, v35
	;; [unrolled: 1-line block ×4, first 2 shown]
	s_load_dwordx2 s[2:3], s[0:1], 0x28
	v_lshrrev_b64 v[20:21], 24, v[16:17]
	s_branch .LBB273_78
.LBB273_68:
                                        ; implicit-def: $vgpr19
                                        ; implicit-def: $vgpr22
                                        ; implicit-def: $vgpr24
                                        ; implicit-def: $vgpr26
                                        ; implicit-def: $vgpr28
                                        ; implicit-def: $vgpr30
                                        ; implicit-def: $vgpr32
                                        ; implicit-def: $vgpr34
	s_load_dwordx2 s[2:3], s[0:1], 0x28
	v_lshrrev_b64 v[20:21], 24, v[16:17]
	s_cbranch_execz .LBB273_78
; %bb.69:
	s_waitcnt lgkmcnt(0)
	v_mov_b32_dpp v18, v40 row_shr:1 row_mask:0xf bank_mask:0xf
	v_cndmask_b32_e64 v18, v18, 0, s[14:15]
	v_add_u32_e32 v18, v18, v40
	s_nop 1
	v_mov_b32_dpp v19, v18 row_shr:2 row_mask:0xf bank_mask:0xf
	v_cndmask_b32_e64 v19, 0, v19, s[12:13]
	v_add_u32_e32 v18, v18, v19
	s_nop 1
	;; [unrolled: 4-line block ×4, first 2 shown]
	v_mov_b32_dpp v19, v18 row_bcast:15 row_mask:0xf bank_mask:0xf
	v_cndmask_b32_e64 v19, v19, 0, s[6:7]
	v_add_u32_e32 v18, v18, v19
	s_nop 1
	v_mov_b32_dpp v19, v18 row_bcast:31 row_mask:0xf bank_mask:0xf
	v_cndmask_b32_e64 v19, 0, v19, s[18:19]
	v_add_u32_e32 v18, v18, v19
	s_and_saveexec_b64 s[0:1], s[4:5]
	s_cbranch_execz .LBB273_71
; %bb.70:
	v_lshlrev_b32_e32 v19, 2, v39
	ds_write_b32 v19, v18
.LBB273_71:
	s_or_b64 exec, exec, s[0:1]
	v_cmp_gt_u32_e32 vcc, 8, v0
	s_waitcnt lgkmcnt(0)
	s_barrier
	s_and_saveexec_b64 s[0:1], vcc
	s_cbranch_execz .LBB273_73
; %bb.72:
	s_movk_i32 s4, 0xffcc
	v_mad_i32_i24 v1, v0, s4, v1
	ds_read_b32 v19, v1
	v_and_b32_e32 v21, 7, v38
	v_cmp_ne_u32_e32 vcc, 0, v21
	s_waitcnt lgkmcnt(0)
	v_mov_b32_dpp v22, v19 row_shr:1 row_mask:0xf bank_mask:0xf
	v_cndmask_b32_e32 v22, 0, v22, vcc
	v_add_u32_e32 v19, v22, v19
	v_cmp_lt_u32_e32 vcc, 1, v21
	s_nop 0
	v_mov_b32_dpp v22, v19 row_shr:2 row_mask:0xf bank_mask:0xf
	v_cndmask_b32_e32 v22, 0, v22, vcc
	v_add_u32_e32 v19, v19, v22
	v_cmp_lt_u32_e32 vcc, 3, v21
	s_nop 0
	v_mov_b32_dpp v22, v19 row_shr:4 row_mask:0xf bank_mask:0xf
	v_cndmask_b32_e32 v21, 0, v22, vcc
	v_add_u32_e32 v19, v19, v21
	ds_write_b32 v1, v19
.LBB273_73:
	s_or_b64 exec, exec, s[0:1]
	v_cmp_lt_u32_e32 vcc, 63, v0
	v_mov_b32_e32 v19, 0
	v_mov_b32_e32 v1, 0
	s_waitcnt lgkmcnt(0)
	s_barrier
	s_and_saveexec_b64 s[0:1], vcc
	s_cbranch_execz .LBB273_75
; %bb.74:
	v_lshl_add_u32 v1, v39, 2, -4
	ds_read_b32 v1, v1
.LBB273_75:
	s_or_b64 exec, exec, s[0:1]
	v_add_u32_e32 v21, -1, v38
	v_and_b32_e32 v22, 64, v38
	v_cmp_lt_i32_e32 vcc, v21, v22
	s_waitcnt lgkmcnt(0)
	v_add_u32_e32 v18, v1, v18
	v_cndmask_b32_e32 v21, v21, v38, vcc
	v_lshlrev_b32_e32 v21, 2, v21
	ds_bpermute_b32 v21, v21, v18
	ds_read_b32 v18, v19 offset:28
	v_cmp_eq_u32_e32 vcc, 0, v0
	s_and_saveexec_b64 s[0:1], vcc
	s_cbranch_execz .LBB273_77
; %bb.76:
	v_mov_b32_e32 v22, 0
	v_mov_b32_e32 v19, 2
	s_waitcnt lgkmcnt(0)
	global_store_dwordx2 v22, v[18:19], s[28:29] offset:512 sc1
.LBB273_77:
	s_or_b64 exec, exec, s[0:1]
	v_cmp_eq_u32_e64 s[0:1], 0, v38
	v_mov_b32_e32 v19, 0
	s_waitcnt lgkmcnt(0)
	v_cndmask_b32_e64 v1, v21, v1, s[0:1]
	v_cndmask_b32_e64 v34, v1, 0, vcc
	v_add_u32_e32 v32, v34, v29
	v_add_u32_e32 v30, v32, v31
	v_add_u32_e32 v28, v30, v33
	v_add_u32_e32 v26, v28, v35
	v_add_u32_e32 v24, v26, v36
	v_add_u32_e32 v22, v24, v37
	s_barrier
.LBB273_78:
	s_movk_i32 s0, 0x201
	s_waitcnt lgkmcnt(0)
	v_cmp_gt_u32_e32 vcc, s0, v18
	v_lshrrev_b32_e32 v21, 8, v16
	v_lshrrev_b32_e32 v1, 8, v17
	s_mov_b64 s[0:1], -1
	s_cbranch_vccnz .LBB273_82
; %bb.79:
	s_and_b64 vcc, exec, s[0:1]
	s_cbranch_vccnz .LBB273_104
.LBB273_80:
	v_cmp_eq_u32_e32 vcc, 0, v0
	s_and_b64 s[0:1], vcc, s[24:25]
	s_and_saveexec_b64 s[2:3], s[0:1]
	s_cbranch_execnz .LBB273_122
.LBB273_81:
	s_endpgm
.LBB273_82:
	v_add_u32_e32 v23, v19, v18
	s_lshl_b64 s[0:1], s[22:23], 3
	s_add_u32 s0, s2, s0
	v_cmp_lt_u32_e32 vcc, v34, v23
	s_addc_u32 s1, s3, s1
	s_or_b64 s[6:7], s[26:27], vcc
	s_and_saveexec_b64 s[4:5], s[6:7]
	s_cbranch_execz .LBB273_85
; %bb.83:
	v_and_b32_e32 v25, 1, v16
	v_cmp_eq_u32_e32 vcc, 1, v25
	s_and_b64 exec, exec, vcc
	s_cbranch_execz .LBB273_85
; %bb.84:
	v_mov_b32_e32 v35, 0
	v_lshl_add_u64 v[36:37], v[34:35], 3, s[0:1]
	global_store_dwordx2 v[36:37], v[10:11], off
.LBB273_85:
	s_or_b64 exec, exec, s[4:5]
	v_cmp_lt_u32_e32 vcc, v32, v23
	s_or_b64 s[6:7], s[26:27], vcc
	s_and_saveexec_b64 s[4:5], s[6:7]
	s_cbranch_execz .LBB273_88
; %bb.86:
	v_and_b32_e32 v25, 1, v21
	v_cmp_eq_u32_e32 vcc, 1, v25
	s_and_b64 exec, exec, vcc
	s_cbranch_execz .LBB273_88
; %bb.87:
	v_mov_b32_e32 v33, 0
	v_lshl_add_u64 v[36:37], v[32:33], 3, s[0:1]
	global_store_dwordx2 v[36:37], v[12:13], off
.LBB273_88:
	s_or_b64 exec, exec, s[4:5]
	v_cmp_lt_u32_e32 vcc, v30, v23
	s_or_b64 s[6:7], s[26:27], vcc
	s_and_saveexec_b64 s[4:5], s[6:7]
	s_cbranch_execz .LBB273_91
; %bb.89:
	v_mov_b32_e32 v25, 1
	v_and_b32_sdwa v25, v25, v16 dst_sel:DWORD dst_unused:UNUSED_PAD src0_sel:DWORD src1_sel:WORD_1
	v_cmp_eq_u32_e32 vcc, 1, v25
	s_and_b64 exec, exec, vcc
	s_cbranch_execz .LBB273_91
; %bb.90:
	v_mov_b32_e32 v31, 0
	v_lshl_add_u64 v[36:37], v[30:31], 3, s[0:1]
	global_store_dwordx2 v[36:37], v[6:7], off
.LBB273_91:
	s_or_b64 exec, exec, s[4:5]
	v_cmp_lt_u32_e32 vcc, v28, v23
	s_or_b64 s[6:7], s[26:27], vcc
	s_and_saveexec_b64 s[4:5], s[6:7]
	s_cbranch_execz .LBB273_94
; %bb.92:
	v_and_b32_e32 v25, 1, v20
	v_cmp_eq_u32_e32 vcc, 1, v25
	s_and_b64 exec, exec, vcc
	s_cbranch_execz .LBB273_94
; %bb.93:
	v_mov_b32_e32 v29, 0
	v_lshl_add_u64 v[36:37], v[28:29], 3, s[0:1]
	global_store_dwordx2 v[36:37], v[8:9], off
.LBB273_94:
	s_or_b64 exec, exec, s[4:5]
	v_cmp_lt_u32_e32 vcc, v26, v23
	s_or_b64 s[6:7], s[26:27], vcc
	s_and_saveexec_b64 s[4:5], s[6:7]
	s_cbranch_execz .LBB273_97
; %bb.95:
	v_and_b32_e32 v25, 1, v17
	v_cmp_eq_u32_e32 vcc, 1, v25
	s_and_b64 exec, exec, vcc
	s_cbranch_execz .LBB273_97
; %bb.96:
	v_mov_b32_e32 v27, 0
	v_lshl_add_u64 v[36:37], v[26:27], 3, s[0:1]
	global_store_dwordx2 v[36:37], v[2:3], off
.LBB273_97:
	;; [unrolled: 15-line block ×3, first 2 shown]
	s_or_b64 exec, exec, s[4:5]
	v_cmp_lt_u32_e32 vcc, v22, v23
	s_or_b64 s[6:7], s[26:27], vcc
	s_and_saveexec_b64 s[4:5], s[6:7]
	s_cbranch_execz .LBB273_103
; %bb.101:
	v_mov_b32_e32 v23, 1
	v_and_b32_sdwa v23, v23, v17 dst_sel:DWORD dst_unused:UNUSED_PAD src0_sel:DWORD src1_sel:WORD_1
	v_cmp_eq_u32_e32 vcc, 1, v23
	s_and_b64 exec, exec, vcc
	s_cbranch_execz .LBB273_103
; %bb.102:
	v_mov_b32_e32 v23, 0
	v_lshl_add_u64 v[36:37], v[22:23], 3, s[0:1]
	global_store_dwordx2 v[36:37], v[14:15], off
.LBB273_103:
	s_or_b64 exec, exec, s[4:5]
	s_branch .LBB273_80
.LBB273_104:
	v_and_b32_e32 v23, 1, v16
	v_cmp_eq_u32_e32 vcc, 1, v23
	s_and_saveexec_b64 s[0:1], vcc
	s_cbranch_execz .LBB273_106
; %bb.105:
	v_sub_u32_e32 v23, v34, v19
	v_lshlrev_b32_e32 v23, 3, v23
	ds_write_b64 v23, v[10:11]
.LBB273_106:
	s_or_b64 exec, exec, s[0:1]
	v_and_b32_e32 v10, 1, v21
	v_cmp_eq_u32_e32 vcc, 1, v10
	s_and_saveexec_b64 s[0:1], vcc
	s_cbranch_execz .LBB273_108
; %bb.107:
	v_sub_u32_e32 v10, v32, v19
	v_lshlrev_b32_e32 v10, 3, v10
	ds_write_b64 v10, v[12:13]
.LBB273_108:
	s_or_b64 exec, exec, s[0:1]
	v_mov_b32_e32 v10, 1
	v_and_b32_sdwa v10, v10, v16 dst_sel:DWORD dst_unused:UNUSED_PAD src0_sel:DWORD src1_sel:WORD_1
	v_cmp_eq_u32_e32 vcc, 1, v10
	s_and_saveexec_b64 s[0:1], vcc
	s_cbranch_execz .LBB273_110
; %bb.109:
	v_sub_u32_e32 v10, v30, v19
	v_lshlrev_b32_e32 v10, 3, v10
	ds_write_b64 v10, v[6:7]
.LBB273_110:
	s_or_b64 exec, exec, s[0:1]
	v_and_b32_e32 v6, 1, v20
	v_cmp_eq_u32_e32 vcc, 1, v6
	s_and_saveexec_b64 s[0:1], vcc
	s_cbranch_execz .LBB273_112
; %bb.111:
	v_sub_u32_e32 v6, v28, v19
	v_lshlrev_b32_e32 v6, 3, v6
	ds_write_b64 v6, v[8:9]
.LBB273_112:
	s_or_b64 exec, exec, s[0:1]
	v_and_b32_e32 v6, 1, v17
	;; [unrolled: 10-line block ×3, first 2 shown]
	v_cmp_eq_u32_e32 vcc, 1, v1
	s_and_saveexec_b64 s[0:1], vcc
	s_cbranch_execz .LBB273_116
; %bb.115:
	v_sub_u32_e32 v1, v24, v19
	v_lshlrev_b32_e32 v1, 3, v1
	ds_write_b64 v1, v[4:5]
.LBB273_116:
	s_or_b64 exec, exec, s[0:1]
	v_mov_b32_e32 v1, 1
	v_and_b32_sdwa v1, v1, v17 dst_sel:DWORD dst_unused:UNUSED_PAD src0_sel:DWORD src1_sel:WORD_1
	v_cmp_eq_u32_e32 vcc, 1, v1
	s_and_saveexec_b64 s[0:1], vcc
	s_cbranch_execz .LBB273_118
; %bb.117:
	v_sub_u32_e32 v1, v22, v19
	v_lshlrev_b32_e32 v1, 3, v1
	ds_write_b64 v1, v[14:15]
.LBB273_118:
	s_or_b64 exec, exec, s[0:1]
	v_cmp_lt_u32_e32 vcc, v0, v18
	s_waitcnt lgkmcnt(0)
	s_barrier
	s_and_saveexec_b64 s[0:1], vcc
	s_cbranch_execz .LBB273_121
; %bb.119:
	v_mov_b32_e32 v5, 0
	v_mov_b32_e32 v4, v19
	s_lshl_b64 s[4:5], s[22:23], 3
	v_lshlrev_b64 v[6:7], 3, v[4:5]
	v_lshl_add_u64 v[6:7], s[4:5], 0, v[6:7]
	v_lshlrev_b32_e32 v2, 3, v0
	v_mov_b32_e32 v3, v5
	v_lshl_add_u64 v[4:5], s[2:3], 0, v[6:7]
	v_lshl_add_u64 v[4:5], v[4:5], 0, v[2:3]
	s_mov_b64 s[2:3], 0
	s_mov_b64 s[4:5], 0x1000
	v_mov_b32_e32 v1, v0
.LBB273_120:                            ; =>This Inner Loop Header: Depth=1
	ds_read_b64 v[6:7], v2
	v_add_u32_e32 v1, 0x200, v1
	v_cmp_ge_u32_e32 vcc, v1, v18
	v_add_u32_e32 v2, 0x1000, v2
	s_or_b64 s[2:3], vcc, s[2:3]
	s_waitcnt lgkmcnt(0)
	global_store_dwordx2 v[4:5], v[6:7], off
	v_lshl_add_u64 v[4:5], v[4:5], 0, s[4:5]
	s_andn2_b64 exec, exec, s[2:3]
	s_cbranch_execnz .LBB273_120
.LBB273_121:
	s_or_b64 exec, exec, s[0:1]
	v_cmp_eq_u32_e32 vcc, 0, v0
	s_and_b64 s[0:1], vcc, s[24:25]
	s_and_saveexec_b64 s[2:3], s[0:1]
	s_cbranch_execz .LBB273_81
.LBB273_122:
	v_mov_b32_e32 v1, 0
	v_mov_b32_e32 v0, v18
	v_lshl_add_u64 v[2:3], s[22:23], 0, v[0:1]
	v_mov_b32_e32 v0, v19
	v_lshl_add_u64 v[2:3], v[2:3], 0, v[0:1]
	global_store_dwordx2 v1, v[2:3], s[20:21]
	s_endpgm
.LBB273_123:
	s_or_b64 exec, exec, s[6:7]
	s_and_saveexec_b64 s[6:7], s[18:19]
	s_cbranch_execnz .LBB273_38
	s_branch .LBB273_39
	.section	.rodata,"a",@progbits
	.p2align	6, 0x0
	.amdhsa_kernel _ZN7rocprim17ROCPRIM_400000_NS6detail17trampoline_kernelINS0_14default_configENS1_25partition_config_selectorILNS1_17partition_subalgoE8EdNS0_10empty_typeEbEEZZNS1_14partition_implILS5_8ELb0ES3_jPKdPS6_PKS6_NS0_5tupleIJPdS6_EEENSE_IJSB_SB_EEENS0_18inequality_wrapperIN6hipcub16HIPCUB_304000_NS8EqualityEEEPlJS6_EEE10hipError_tPvRmT3_T4_T5_T6_T7_T9_mT8_P12ihipStream_tbDpT10_ENKUlT_T0_E_clISt17integral_constantIbLb0EES17_EEDaS12_S13_EUlS12_E_NS1_11comp_targetILNS1_3genE5ELNS1_11target_archE942ELNS1_3gpuE9ELNS1_3repE0EEENS1_30default_config_static_selectorELNS0_4arch9wavefront6targetE1EEEvT1_
		.amdhsa_group_segment_fixed_size 28680
		.amdhsa_private_segment_fixed_size 0
		.amdhsa_kernarg_size 112
		.amdhsa_user_sgpr_count 2
		.amdhsa_user_sgpr_dispatch_ptr 0
		.amdhsa_user_sgpr_queue_ptr 0
		.amdhsa_user_sgpr_kernarg_segment_ptr 1
		.amdhsa_user_sgpr_dispatch_id 0
		.amdhsa_user_sgpr_kernarg_preload_length 0
		.amdhsa_user_sgpr_kernarg_preload_offset 0
		.amdhsa_user_sgpr_private_segment_size 0
		.amdhsa_uses_dynamic_stack 0
		.amdhsa_enable_private_segment 0
		.amdhsa_system_sgpr_workgroup_id_x 1
		.amdhsa_system_sgpr_workgroup_id_y 0
		.amdhsa_system_sgpr_workgroup_id_z 0
		.amdhsa_system_sgpr_workgroup_info 0
		.amdhsa_system_vgpr_workitem_id 0
		.amdhsa_next_free_vgpr 53
		.amdhsa_next_free_sgpr 40
		.amdhsa_accum_offset 56
		.amdhsa_reserve_vcc 1
		.amdhsa_float_round_mode_32 0
		.amdhsa_float_round_mode_16_64 0
		.amdhsa_float_denorm_mode_32 3
		.amdhsa_float_denorm_mode_16_64 3
		.amdhsa_dx10_clamp 1
		.amdhsa_ieee_mode 1
		.amdhsa_fp16_overflow 0
		.amdhsa_tg_split 0
		.amdhsa_exception_fp_ieee_invalid_op 0
		.amdhsa_exception_fp_denorm_src 0
		.amdhsa_exception_fp_ieee_div_zero 0
		.amdhsa_exception_fp_ieee_overflow 0
		.amdhsa_exception_fp_ieee_underflow 0
		.amdhsa_exception_fp_ieee_inexact 0
		.amdhsa_exception_int_div_zero 0
	.end_amdhsa_kernel
	.section	.text._ZN7rocprim17ROCPRIM_400000_NS6detail17trampoline_kernelINS0_14default_configENS1_25partition_config_selectorILNS1_17partition_subalgoE8EdNS0_10empty_typeEbEEZZNS1_14partition_implILS5_8ELb0ES3_jPKdPS6_PKS6_NS0_5tupleIJPdS6_EEENSE_IJSB_SB_EEENS0_18inequality_wrapperIN6hipcub16HIPCUB_304000_NS8EqualityEEEPlJS6_EEE10hipError_tPvRmT3_T4_T5_T6_T7_T9_mT8_P12ihipStream_tbDpT10_ENKUlT_T0_E_clISt17integral_constantIbLb0EES17_EEDaS12_S13_EUlS12_E_NS1_11comp_targetILNS1_3genE5ELNS1_11target_archE942ELNS1_3gpuE9ELNS1_3repE0EEENS1_30default_config_static_selectorELNS0_4arch9wavefront6targetE1EEEvT1_,"axG",@progbits,_ZN7rocprim17ROCPRIM_400000_NS6detail17trampoline_kernelINS0_14default_configENS1_25partition_config_selectorILNS1_17partition_subalgoE8EdNS0_10empty_typeEbEEZZNS1_14partition_implILS5_8ELb0ES3_jPKdPS6_PKS6_NS0_5tupleIJPdS6_EEENSE_IJSB_SB_EEENS0_18inequality_wrapperIN6hipcub16HIPCUB_304000_NS8EqualityEEEPlJS6_EEE10hipError_tPvRmT3_T4_T5_T6_T7_T9_mT8_P12ihipStream_tbDpT10_ENKUlT_T0_E_clISt17integral_constantIbLb0EES17_EEDaS12_S13_EUlS12_E_NS1_11comp_targetILNS1_3genE5ELNS1_11target_archE942ELNS1_3gpuE9ELNS1_3repE0EEENS1_30default_config_static_selectorELNS0_4arch9wavefront6targetE1EEEvT1_,comdat
.Lfunc_end273:
	.size	_ZN7rocprim17ROCPRIM_400000_NS6detail17trampoline_kernelINS0_14default_configENS1_25partition_config_selectorILNS1_17partition_subalgoE8EdNS0_10empty_typeEbEEZZNS1_14partition_implILS5_8ELb0ES3_jPKdPS6_PKS6_NS0_5tupleIJPdS6_EEENSE_IJSB_SB_EEENS0_18inequality_wrapperIN6hipcub16HIPCUB_304000_NS8EqualityEEEPlJS6_EEE10hipError_tPvRmT3_T4_T5_T6_T7_T9_mT8_P12ihipStream_tbDpT10_ENKUlT_T0_E_clISt17integral_constantIbLb0EES17_EEDaS12_S13_EUlS12_E_NS1_11comp_targetILNS1_3genE5ELNS1_11target_archE942ELNS1_3gpuE9ELNS1_3repE0EEENS1_30default_config_static_selectorELNS0_4arch9wavefront6targetE1EEEvT1_, .Lfunc_end273-_ZN7rocprim17ROCPRIM_400000_NS6detail17trampoline_kernelINS0_14default_configENS1_25partition_config_selectorILNS1_17partition_subalgoE8EdNS0_10empty_typeEbEEZZNS1_14partition_implILS5_8ELb0ES3_jPKdPS6_PKS6_NS0_5tupleIJPdS6_EEENSE_IJSB_SB_EEENS0_18inequality_wrapperIN6hipcub16HIPCUB_304000_NS8EqualityEEEPlJS6_EEE10hipError_tPvRmT3_T4_T5_T6_T7_T9_mT8_P12ihipStream_tbDpT10_ENKUlT_T0_E_clISt17integral_constantIbLb0EES17_EEDaS12_S13_EUlS12_E_NS1_11comp_targetILNS1_3genE5ELNS1_11target_archE942ELNS1_3gpuE9ELNS1_3repE0EEENS1_30default_config_static_selectorELNS0_4arch9wavefront6targetE1EEEvT1_
                                        ; -- End function
	.section	.AMDGPU.csdata,"",@progbits
; Kernel info:
; codeLenInByte = 5336
; NumSgprs: 46
; NumVgprs: 53
; NumAgprs: 0
; TotalNumVgprs: 53
; ScratchSize: 0
; MemoryBound: 0
; FloatMode: 240
; IeeeMode: 1
; LDSByteSize: 28680 bytes/workgroup (compile time only)
; SGPRBlocks: 5
; VGPRBlocks: 6
; NumSGPRsForWavesPerEU: 46
; NumVGPRsForWavesPerEU: 53
; AccumOffset: 56
; Occupancy: 4
; WaveLimiterHint : 1
; COMPUTE_PGM_RSRC2:SCRATCH_EN: 0
; COMPUTE_PGM_RSRC2:USER_SGPR: 2
; COMPUTE_PGM_RSRC2:TRAP_HANDLER: 0
; COMPUTE_PGM_RSRC2:TGID_X_EN: 1
; COMPUTE_PGM_RSRC2:TGID_Y_EN: 0
; COMPUTE_PGM_RSRC2:TGID_Z_EN: 0
; COMPUTE_PGM_RSRC2:TIDIG_COMP_CNT: 0
; COMPUTE_PGM_RSRC3_GFX90A:ACCUM_OFFSET: 13
; COMPUTE_PGM_RSRC3_GFX90A:TG_SPLIT: 0
	.section	.text._ZN7rocprim17ROCPRIM_400000_NS6detail17trampoline_kernelINS0_14default_configENS1_25partition_config_selectorILNS1_17partition_subalgoE8EdNS0_10empty_typeEbEEZZNS1_14partition_implILS5_8ELb0ES3_jPKdPS6_PKS6_NS0_5tupleIJPdS6_EEENSE_IJSB_SB_EEENS0_18inequality_wrapperIN6hipcub16HIPCUB_304000_NS8EqualityEEEPlJS6_EEE10hipError_tPvRmT3_T4_T5_T6_T7_T9_mT8_P12ihipStream_tbDpT10_ENKUlT_T0_E_clISt17integral_constantIbLb0EES17_EEDaS12_S13_EUlS12_E_NS1_11comp_targetILNS1_3genE4ELNS1_11target_archE910ELNS1_3gpuE8ELNS1_3repE0EEENS1_30default_config_static_selectorELNS0_4arch9wavefront6targetE1EEEvT1_,"axG",@progbits,_ZN7rocprim17ROCPRIM_400000_NS6detail17trampoline_kernelINS0_14default_configENS1_25partition_config_selectorILNS1_17partition_subalgoE8EdNS0_10empty_typeEbEEZZNS1_14partition_implILS5_8ELb0ES3_jPKdPS6_PKS6_NS0_5tupleIJPdS6_EEENSE_IJSB_SB_EEENS0_18inequality_wrapperIN6hipcub16HIPCUB_304000_NS8EqualityEEEPlJS6_EEE10hipError_tPvRmT3_T4_T5_T6_T7_T9_mT8_P12ihipStream_tbDpT10_ENKUlT_T0_E_clISt17integral_constantIbLb0EES17_EEDaS12_S13_EUlS12_E_NS1_11comp_targetILNS1_3genE4ELNS1_11target_archE910ELNS1_3gpuE8ELNS1_3repE0EEENS1_30default_config_static_selectorELNS0_4arch9wavefront6targetE1EEEvT1_,comdat
	.protected	_ZN7rocprim17ROCPRIM_400000_NS6detail17trampoline_kernelINS0_14default_configENS1_25partition_config_selectorILNS1_17partition_subalgoE8EdNS0_10empty_typeEbEEZZNS1_14partition_implILS5_8ELb0ES3_jPKdPS6_PKS6_NS0_5tupleIJPdS6_EEENSE_IJSB_SB_EEENS0_18inequality_wrapperIN6hipcub16HIPCUB_304000_NS8EqualityEEEPlJS6_EEE10hipError_tPvRmT3_T4_T5_T6_T7_T9_mT8_P12ihipStream_tbDpT10_ENKUlT_T0_E_clISt17integral_constantIbLb0EES17_EEDaS12_S13_EUlS12_E_NS1_11comp_targetILNS1_3genE4ELNS1_11target_archE910ELNS1_3gpuE8ELNS1_3repE0EEENS1_30default_config_static_selectorELNS0_4arch9wavefront6targetE1EEEvT1_ ; -- Begin function _ZN7rocprim17ROCPRIM_400000_NS6detail17trampoline_kernelINS0_14default_configENS1_25partition_config_selectorILNS1_17partition_subalgoE8EdNS0_10empty_typeEbEEZZNS1_14partition_implILS5_8ELb0ES3_jPKdPS6_PKS6_NS0_5tupleIJPdS6_EEENSE_IJSB_SB_EEENS0_18inequality_wrapperIN6hipcub16HIPCUB_304000_NS8EqualityEEEPlJS6_EEE10hipError_tPvRmT3_T4_T5_T6_T7_T9_mT8_P12ihipStream_tbDpT10_ENKUlT_T0_E_clISt17integral_constantIbLb0EES17_EEDaS12_S13_EUlS12_E_NS1_11comp_targetILNS1_3genE4ELNS1_11target_archE910ELNS1_3gpuE8ELNS1_3repE0EEENS1_30default_config_static_selectorELNS0_4arch9wavefront6targetE1EEEvT1_
	.globl	_ZN7rocprim17ROCPRIM_400000_NS6detail17trampoline_kernelINS0_14default_configENS1_25partition_config_selectorILNS1_17partition_subalgoE8EdNS0_10empty_typeEbEEZZNS1_14partition_implILS5_8ELb0ES3_jPKdPS6_PKS6_NS0_5tupleIJPdS6_EEENSE_IJSB_SB_EEENS0_18inequality_wrapperIN6hipcub16HIPCUB_304000_NS8EqualityEEEPlJS6_EEE10hipError_tPvRmT3_T4_T5_T6_T7_T9_mT8_P12ihipStream_tbDpT10_ENKUlT_T0_E_clISt17integral_constantIbLb0EES17_EEDaS12_S13_EUlS12_E_NS1_11comp_targetILNS1_3genE4ELNS1_11target_archE910ELNS1_3gpuE8ELNS1_3repE0EEENS1_30default_config_static_selectorELNS0_4arch9wavefront6targetE1EEEvT1_
	.p2align	8
	.type	_ZN7rocprim17ROCPRIM_400000_NS6detail17trampoline_kernelINS0_14default_configENS1_25partition_config_selectorILNS1_17partition_subalgoE8EdNS0_10empty_typeEbEEZZNS1_14partition_implILS5_8ELb0ES3_jPKdPS6_PKS6_NS0_5tupleIJPdS6_EEENSE_IJSB_SB_EEENS0_18inequality_wrapperIN6hipcub16HIPCUB_304000_NS8EqualityEEEPlJS6_EEE10hipError_tPvRmT3_T4_T5_T6_T7_T9_mT8_P12ihipStream_tbDpT10_ENKUlT_T0_E_clISt17integral_constantIbLb0EES17_EEDaS12_S13_EUlS12_E_NS1_11comp_targetILNS1_3genE4ELNS1_11target_archE910ELNS1_3gpuE8ELNS1_3repE0EEENS1_30default_config_static_selectorELNS0_4arch9wavefront6targetE1EEEvT1_,@function
_ZN7rocprim17ROCPRIM_400000_NS6detail17trampoline_kernelINS0_14default_configENS1_25partition_config_selectorILNS1_17partition_subalgoE8EdNS0_10empty_typeEbEEZZNS1_14partition_implILS5_8ELb0ES3_jPKdPS6_PKS6_NS0_5tupleIJPdS6_EEENSE_IJSB_SB_EEENS0_18inequality_wrapperIN6hipcub16HIPCUB_304000_NS8EqualityEEEPlJS6_EEE10hipError_tPvRmT3_T4_T5_T6_T7_T9_mT8_P12ihipStream_tbDpT10_ENKUlT_T0_E_clISt17integral_constantIbLb0EES17_EEDaS12_S13_EUlS12_E_NS1_11comp_targetILNS1_3genE4ELNS1_11target_archE910ELNS1_3gpuE8ELNS1_3repE0EEENS1_30default_config_static_selectorELNS0_4arch9wavefront6targetE1EEEvT1_: ; @_ZN7rocprim17ROCPRIM_400000_NS6detail17trampoline_kernelINS0_14default_configENS1_25partition_config_selectorILNS1_17partition_subalgoE8EdNS0_10empty_typeEbEEZZNS1_14partition_implILS5_8ELb0ES3_jPKdPS6_PKS6_NS0_5tupleIJPdS6_EEENSE_IJSB_SB_EEENS0_18inequality_wrapperIN6hipcub16HIPCUB_304000_NS8EqualityEEEPlJS6_EEE10hipError_tPvRmT3_T4_T5_T6_T7_T9_mT8_P12ihipStream_tbDpT10_ENKUlT_T0_E_clISt17integral_constantIbLb0EES17_EEDaS12_S13_EUlS12_E_NS1_11comp_targetILNS1_3genE4ELNS1_11target_archE910ELNS1_3gpuE8ELNS1_3repE0EEENS1_30default_config_static_selectorELNS0_4arch9wavefront6targetE1EEEvT1_
; %bb.0:
	.section	.rodata,"a",@progbits
	.p2align	6, 0x0
	.amdhsa_kernel _ZN7rocprim17ROCPRIM_400000_NS6detail17trampoline_kernelINS0_14default_configENS1_25partition_config_selectorILNS1_17partition_subalgoE8EdNS0_10empty_typeEbEEZZNS1_14partition_implILS5_8ELb0ES3_jPKdPS6_PKS6_NS0_5tupleIJPdS6_EEENSE_IJSB_SB_EEENS0_18inequality_wrapperIN6hipcub16HIPCUB_304000_NS8EqualityEEEPlJS6_EEE10hipError_tPvRmT3_T4_T5_T6_T7_T9_mT8_P12ihipStream_tbDpT10_ENKUlT_T0_E_clISt17integral_constantIbLb0EES17_EEDaS12_S13_EUlS12_E_NS1_11comp_targetILNS1_3genE4ELNS1_11target_archE910ELNS1_3gpuE8ELNS1_3repE0EEENS1_30default_config_static_selectorELNS0_4arch9wavefront6targetE1EEEvT1_
		.amdhsa_group_segment_fixed_size 0
		.amdhsa_private_segment_fixed_size 0
		.amdhsa_kernarg_size 112
		.amdhsa_user_sgpr_count 2
		.amdhsa_user_sgpr_dispatch_ptr 0
		.amdhsa_user_sgpr_queue_ptr 0
		.amdhsa_user_sgpr_kernarg_segment_ptr 1
		.amdhsa_user_sgpr_dispatch_id 0
		.amdhsa_user_sgpr_kernarg_preload_length 0
		.amdhsa_user_sgpr_kernarg_preload_offset 0
		.amdhsa_user_sgpr_private_segment_size 0
		.amdhsa_uses_dynamic_stack 0
		.amdhsa_enable_private_segment 0
		.amdhsa_system_sgpr_workgroup_id_x 1
		.amdhsa_system_sgpr_workgroup_id_y 0
		.amdhsa_system_sgpr_workgroup_id_z 0
		.amdhsa_system_sgpr_workgroup_info 0
		.amdhsa_system_vgpr_workitem_id 0
		.amdhsa_next_free_vgpr 1
		.amdhsa_next_free_sgpr 0
		.amdhsa_accum_offset 4
		.amdhsa_reserve_vcc 0
		.amdhsa_float_round_mode_32 0
		.amdhsa_float_round_mode_16_64 0
		.amdhsa_float_denorm_mode_32 3
		.amdhsa_float_denorm_mode_16_64 3
		.amdhsa_dx10_clamp 1
		.amdhsa_ieee_mode 1
		.amdhsa_fp16_overflow 0
		.amdhsa_tg_split 0
		.amdhsa_exception_fp_ieee_invalid_op 0
		.amdhsa_exception_fp_denorm_src 0
		.amdhsa_exception_fp_ieee_div_zero 0
		.amdhsa_exception_fp_ieee_overflow 0
		.amdhsa_exception_fp_ieee_underflow 0
		.amdhsa_exception_fp_ieee_inexact 0
		.amdhsa_exception_int_div_zero 0
	.end_amdhsa_kernel
	.section	.text._ZN7rocprim17ROCPRIM_400000_NS6detail17trampoline_kernelINS0_14default_configENS1_25partition_config_selectorILNS1_17partition_subalgoE8EdNS0_10empty_typeEbEEZZNS1_14partition_implILS5_8ELb0ES3_jPKdPS6_PKS6_NS0_5tupleIJPdS6_EEENSE_IJSB_SB_EEENS0_18inequality_wrapperIN6hipcub16HIPCUB_304000_NS8EqualityEEEPlJS6_EEE10hipError_tPvRmT3_T4_T5_T6_T7_T9_mT8_P12ihipStream_tbDpT10_ENKUlT_T0_E_clISt17integral_constantIbLb0EES17_EEDaS12_S13_EUlS12_E_NS1_11comp_targetILNS1_3genE4ELNS1_11target_archE910ELNS1_3gpuE8ELNS1_3repE0EEENS1_30default_config_static_selectorELNS0_4arch9wavefront6targetE1EEEvT1_,"axG",@progbits,_ZN7rocprim17ROCPRIM_400000_NS6detail17trampoline_kernelINS0_14default_configENS1_25partition_config_selectorILNS1_17partition_subalgoE8EdNS0_10empty_typeEbEEZZNS1_14partition_implILS5_8ELb0ES3_jPKdPS6_PKS6_NS0_5tupleIJPdS6_EEENSE_IJSB_SB_EEENS0_18inequality_wrapperIN6hipcub16HIPCUB_304000_NS8EqualityEEEPlJS6_EEE10hipError_tPvRmT3_T4_T5_T6_T7_T9_mT8_P12ihipStream_tbDpT10_ENKUlT_T0_E_clISt17integral_constantIbLb0EES17_EEDaS12_S13_EUlS12_E_NS1_11comp_targetILNS1_3genE4ELNS1_11target_archE910ELNS1_3gpuE8ELNS1_3repE0EEENS1_30default_config_static_selectorELNS0_4arch9wavefront6targetE1EEEvT1_,comdat
.Lfunc_end274:
	.size	_ZN7rocprim17ROCPRIM_400000_NS6detail17trampoline_kernelINS0_14default_configENS1_25partition_config_selectorILNS1_17partition_subalgoE8EdNS0_10empty_typeEbEEZZNS1_14partition_implILS5_8ELb0ES3_jPKdPS6_PKS6_NS0_5tupleIJPdS6_EEENSE_IJSB_SB_EEENS0_18inequality_wrapperIN6hipcub16HIPCUB_304000_NS8EqualityEEEPlJS6_EEE10hipError_tPvRmT3_T4_T5_T6_T7_T9_mT8_P12ihipStream_tbDpT10_ENKUlT_T0_E_clISt17integral_constantIbLb0EES17_EEDaS12_S13_EUlS12_E_NS1_11comp_targetILNS1_3genE4ELNS1_11target_archE910ELNS1_3gpuE8ELNS1_3repE0EEENS1_30default_config_static_selectorELNS0_4arch9wavefront6targetE1EEEvT1_, .Lfunc_end274-_ZN7rocprim17ROCPRIM_400000_NS6detail17trampoline_kernelINS0_14default_configENS1_25partition_config_selectorILNS1_17partition_subalgoE8EdNS0_10empty_typeEbEEZZNS1_14partition_implILS5_8ELb0ES3_jPKdPS6_PKS6_NS0_5tupleIJPdS6_EEENSE_IJSB_SB_EEENS0_18inequality_wrapperIN6hipcub16HIPCUB_304000_NS8EqualityEEEPlJS6_EEE10hipError_tPvRmT3_T4_T5_T6_T7_T9_mT8_P12ihipStream_tbDpT10_ENKUlT_T0_E_clISt17integral_constantIbLb0EES17_EEDaS12_S13_EUlS12_E_NS1_11comp_targetILNS1_3genE4ELNS1_11target_archE910ELNS1_3gpuE8ELNS1_3repE0EEENS1_30default_config_static_selectorELNS0_4arch9wavefront6targetE1EEEvT1_
                                        ; -- End function
	.section	.AMDGPU.csdata,"",@progbits
; Kernel info:
; codeLenInByte = 0
; NumSgprs: 6
; NumVgprs: 0
; NumAgprs: 0
; TotalNumVgprs: 0
; ScratchSize: 0
; MemoryBound: 0
; FloatMode: 240
; IeeeMode: 1
; LDSByteSize: 0 bytes/workgroup (compile time only)
; SGPRBlocks: 0
; VGPRBlocks: 0
; NumSGPRsForWavesPerEU: 6
; NumVGPRsForWavesPerEU: 1
; AccumOffset: 4
; Occupancy: 8
; WaveLimiterHint : 0
; COMPUTE_PGM_RSRC2:SCRATCH_EN: 0
; COMPUTE_PGM_RSRC2:USER_SGPR: 2
; COMPUTE_PGM_RSRC2:TRAP_HANDLER: 0
; COMPUTE_PGM_RSRC2:TGID_X_EN: 1
; COMPUTE_PGM_RSRC2:TGID_Y_EN: 0
; COMPUTE_PGM_RSRC2:TGID_Z_EN: 0
; COMPUTE_PGM_RSRC2:TIDIG_COMP_CNT: 0
; COMPUTE_PGM_RSRC3_GFX90A:ACCUM_OFFSET: 0
; COMPUTE_PGM_RSRC3_GFX90A:TG_SPLIT: 0
	.section	.text._ZN7rocprim17ROCPRIM_400000_NS6detail17trampoline_kernelINS0_14default_configENS1_25partition_config_selectorILNS1_17partition_subalgoE8EdNS0_10empty_typeEbEEZZNS1_14partition_implILS5_8ELb0ES3_jPKdPS6_PKS6_NS0_5tupleIJPdS6_EEENSE_IJSB_SB_EEENS0_18inequality_wrapperIN6hipcub16HIPCUB_304000_NS8EqualityEEEPlJS6_EEE10hipError_tPvRmT3_T4_T5_T6_T7_T9_mT8_P12ihipStream_tbDpT10_ENKUlT_T0_E_clISt17integral_constantIbLb0EES17_EEDaS12_S13_EUlS12_E_NS1_11comp_targetILNS1_3genE3ELNS1_11target_archE908ELNS1_3gpuE7ELNS1_3repE0EEENS1_30default_config_static_selectorELNS0_4arch9wavefront6targetE1EEEvT1_,"axG",@progbits,_ZN7rocprim17ROCPRIM_400000_NS6detail17trampoline_kernelINS0_14default_configENS1_25partition_config_selectorILNS1_17partition_subalgoE8EdNS0_10empty_typeEbEEZZNS1_14partition_implILS5_8ELb0ES3_jPKdPS6_PKS6_NS0_5tupleIJPdS6_EEENSE_IJSB_SB_EEENS0_18inequality_wrapperIN6hipcub16HIPCUB_304000_NS8EqualityEEEPlJS6_EEE10hipError_tPvRmT3_T4_T5_T6_T7_T9_mT8_P12ihipStream_tbDpT10_ENKUlT_T0_E_clISt17integral_constantIbLb0EES17_EEDaS12_S13_EUlS12_E_NS1_11comp_targetILNS1_3genE3ELNS1_11target_archE908ELNS1_3gpuE7ELNS1_3repE0EEENS1_30default_config_static_selectorELNS0_4arch9wavefront6targetE1EEEvT1_,comdat
	.protected	_ZN7rocprim17ROCPRIM_400000_NS6detail17trampoline_kernelINS0_14default_configENS1_25partition_config_selectorILNS1_17partition_subalgoE8EdNS0_10empty_typeEbEEZZNS1_14partition_implILS5_8ELb0ES3_jPKdPS6_PKS6_NS0_5tupleIJPdS6_EEENSE_IJSB_SB_EEENS0_18inequality_wrapperIN6hipcub16HIPCUB_304000_NS8EqualityEEEPlJS6_EEE10hipError_tPvRmT3_T4_T5_T6_T7_T9_mT8_P12ihipStream_tbDpT10_ENKUlT_T0_E_clISt17integral_constantIbLb0EES17_EEDaS12_S13_EUlS12_E_NS1_11comp_targetILNS1_3genE3ELNS1_11target_archE908ELNS1_3gpuE7ELNS1_3repE0EEENS1_30default_config_static_selectorELNS0_4arch9wavefront6targetE1EEEvT1_ ; -- Begin function _ZN7rocprim17ROCPRIM_400000_NS6detail17trampoline_kernelINS0_14default_configENS1_25partition_config_selectorILNS1_17partition_subalgoE8EdNS0_10empty_typeEbEEZZNS1_14partition_implILS5_8ELb0ES3_jPKdPS6_PKS6_NS0_5tupleIJPdS6_EEENSE_IJSB_SB_EEENS0_18inequality_wrapperIN6hipcub16HIPCUB_304000_NS8EqualityEEEPlJS6_EEE10hipError_tPvRmT3_T4_T5_T6_T7_T9_mT8_P12ihipStream_tbDpT10_ENKUlT_T0_E_clISt17integral_constantIbLb0EES17_EEDaS12_S13_EUlS12_E_NS1_11comp_targetILNS1_3genE3ELNS1_11target_archE908ELNS1_3gpuE7ELNS1_3repE0EEENS1_30default_config_static_selectorELNS0_4arch9wavefront6targetE1EEEvT1_
	.globl	_ZN7rocprim17ROCPRIM_400000_NS6detail17trampoline_kernelINS0_14default_configENS1_25partition_config_selectorILNS1_17partition_subalgoE8EdNS0_10empty_typeEbEEZZNS1_14partition_implILS5_8ELb0ES3_jPKdPS6_PKS6_NS0_5tupleIJPdS6_EEENSE_IJSB_SB_EEENS0_18inequality_wrapperIN6hipcub16HIPCUB_304000_NS8EqualityEEEPlJS6_EEE10hipError_tPvRmT3_T4_T5_T6_T7_T9_mT8_P12ihipStream_tbDpT10_ENKUlT_T0_E_clISt17integral_constantIbLb0EES17_EEDaS12_S13_EUlS12_E_NS1_11comp_targetILNS1_3genE3ELNS1_11target_archE908ELNS1_3gpuE7ELNS1_3repE0EEENS1_30default_config_static_selectorELNS0_4arch9wavefront6targetE1EEEvT1_
	.p2align	8
	.type	_ZN7rocprim17ROCPRIM_400000_NS6detail17trampoline_kernelINS0_14default_configENS1_25partition_config_selectorILNS1_17partition_subalgoE8EdNS0_10empty_typeEbEEZZNS1_14partition_implILS5_8ELb0ES3_jPKdPS6_PKS6_NS0_5tupleIJPdS6_EEENSE_IJSB_SB_EEENS0_18inequality_wrapperIN6hipcub16HIPCUB_304000_NS8EqualityEEEPlJS6_EEE10hipError_tPvRmT3_T4_T5_T6_T7_T9_mT8_P12ihipStream_tbDpT10_ENKUlT_T0_E_clISt17integral_constantIbLb0EES17_EEDaS12_S13_EUlS12_E_NS1_11comp_targetILNS1_3genE3ELNS1_11target_archE908ELNS1_3gpuE7ELNS1_3repE0EEENS1_30default_config_static_selectorELNS0_4arch9wavefront6targetE1EEEvT1_,@function
_ZN7rocprim17ROCPRIM_400000_NS6detail17trampoline_kernelINS0_14default_configENS1_25partition_config_selectorILNS1_17partition_subalgoE8EdNS0_10empty_typeEbEEZZNS1_14partition_implILS5_8ELb0ES3_jPKdPS6_PKS6_NS0_5tupleIJPdS6_EEENSE_IJSB_SB_EEENS0_18inequality_wrapperIN6hipcub16HIPCUB_304000_NS8EqualityEEEPlJS6_EEE10hipError_tPvRmT3_T4_T5_T6_T7_T9_mT8_P12ihipStream_tbDpT10_ENKUlT_T0_E_clISt17integral_constantIbLb0EES17_EEDaS12_S13_EUlS12_E_NS1_11comp_targetILNS1_3genE3ELNS1_11target_archE908ELNS1_3gpuE7ELNS1_3repE0EEENS1_30default_config_static_selectorELNS0_4arch9wavefront6targetE1EEEvT1_: ; @_ZN7rocprim17ROCPRIM_400000_NS6detail17trampoline_kernelINS0_14default_configENS1_25partition_config_selectorILNS1_17partition_subalgoE8EdNS0_10empty_typeEbEEZZNS1_14partition_implILS5_8ELb0ES3_jPKdPS6_PKS6_NS0_5tupleIJPdS6_EEENSE_IJSB_SB_EEENS0_18inequality_wrapperIN6hipcub16HIPCUB_304000_NS8EqualityEEEPlJS6_EEE10hipError_tPvRmT3_T4_T5_T6_T7_T9_mT8_P12ihipStream_tbDpT10_ENKUlT_T0_E_clISt17integral_constantIbLb0EES17_EEDaS12_S13_EUlS12_E_NS1_11comp_targetILNS1_3genE3ELNS1_11target_archE908ELNS1_3gpuE7ELNS1_3repE0EEENS1_30default_config_static_selectorELNS0_4arch9wavefront6targetE1EEEvT1_
; %bb.0:
	.section	.rodata,"a",@progbits
	.p2align	6, 0x0
	.amdhsa_kernel _ZN7rocprim17ROCPRIM_400000_NS6detail17trampoline_kernelINS0_14default_configENS1_25partition_config_selectorILNS1_17partition_subalgoE8EdNS0_10empty_typeEbEEZZNS1_14partition_implILS5_8ELb0ES3_jPKdPS6_PKS6_NS0_5tupleIJPdS6_EEENSE_IJSB_SB_EEENS0_18inequality_wrapperIN6hipcub16HIPCUB_304000_NS8EqualityEEEPlJS6_EEE10hipError_tPvRmT3_T4_T5_T6_T7_T9_mT8_P12ihipStream_tbDpT10_ENKUlT_T0_E_clISt17integral_constantIbLb0EES17_EEDaS12_S13_EUlS12_E_NS1_11comp_targetILNS1_3genE3ELNS1_11target_archE908ELNS1_3gpuE7ELNS1_3repE0EEENS1_30default_config_static_selectorELNS0_4arch9wavefront6targetE1EEEvT1_
		.amdhsa_group_segment_fixed_size 0
		.amdhsa_private_segment_fixed_size 0
		.amdhsa_kernarg_size 112
		.amdhsa_user_sgpr_count 2
		.amdhsa_user_sgpr_dispatch_ptr 0
		.amdhsa_user_sgpr_queue_ptr 0
		.amdhsa_user_sgpr_kernarg_segment_ptr 1
		.amdhsa_user_sgpr_dispatch_id 0
		.amdhsa_user_sgpr_kernarg_preload_length 0
		.amdhsa_user_sgpr_kernarg_preload_offset 0
		.amdhsa_user_sgpr_private_segment_size 0
		.amdhsa_uses_dynamic_stack 0
		.amdhsa_enable_private_segment 0
		.amdhsa_system_sgpr_workgroup_id_x 1
		.amdhsa_system_sgpr_workgroup_id_y 0
		.amdhsa_system_sgpr_workgroup_id_z 0
		.amdhsa_system_sgpr_workgroup_info 0
		.amdhsa_system_vgpr_workitem_id 0
		.amdhsa_next_free_vgpr 1
		.amdhsa_next_free_sgpr 0
		.amdhsa_accum_offset 4
		.amdhsa_reserve_vcc 0
		.amdhsa_float_round_mode_32 0
		.amdhsa_float_round_mode_16_64 0
		.amdhsa_float_denorm_mode_32 3
		.amdhsa_float_denorm_mode_16_64 3
		.amdhsa_dx10_clamp 1
		.amdhsa_ieee_mode 1
		.amdhsa_fp16_overflow 0
		.amdhsa_tg_split 0
		.amdhsa_exception_fp_ieee_invalid_op 0
		.amdhsa_exception_fp_denorm_src 0
		.amdhsa_exception_fp_ieee_div_zero 0
		.amdhsa_exception_fp_ieee_overflow 0
		.amdhsa_exception_fp_ieee_underflow 0
		.amdhsa_exception_fp_ieee_inexact 0
		.amdhsa_exception_int_div_zero 0
	.end_amdhsa_kernel
	.section	.text._ZN7rocprim17ROCPRIM_400000_NS6detail17trampoline_kernelINS0_14default_configENS1_25partition_config_selectorILNS1_17partition_subalgoE8EdNS0_10empty_typeEbEEZZNS1_14partition_implILS5_8ELb0ES3_jPKdPS6_PKS6_NS0_5tupleIJPdS6_EEENSE_IJSB_SB_EEENS0_18inequality_wrapperIN6hipcub16HIPCUB_304000_NS8EqualityEEEPlJS6_EEE10hipError_tPvRmT3_T4_T5_T6_T7_T9_mT8_P12ihipStream_tbDpT10_ENKUlT_T0_E_clISt17integral_constantIbLb0EES17_EEDaS12_S13_EUlS12_E_NS1_11comp_targetILNS1_3genE3ELNS1_11target_archE908ELNS1_3gpuE7ELNS1_3repE0EEENS1_30default_config_static_selectorELNS0_4arch9wavefront6targetE1EEEvT1_,"axG",@progbits,_ZN7rocprim17ROCPRIM_400000_NS6detail17trampoline_kernelINS0_14default_configENS1_25partition_config_selectorILNS1_17partition_subalgoE8EdNS0_10empty_typeEbEEZZNS1_14partition_implILS5_8ELb0ES3_jPKdPS6_PKS6_NS0_5tupleIJPdS6_EEENSE_IJSB_SB_EEENS0_18inequality_wrapperIN6hipcub16HIPCUB_304000_NS8EqualityEEEPlJS6_EEE10hipError_tPvRmT3_T4_T5_T6_T7_T9_mT8_P12ihipStream_tbDpT10_ENKUlT_T0_E_clISt17integral_constantIbLb0EES17_EEDaS12_S13_EUlS12_E_NS1_11comp_targetILNS1_3genE3ELNS1_11target_archE908ELNS1_3gpuE7ELNS1_3repE0EEENS1_30default_config_static_selectorELNS0_4arch9wavefront6targetE1EEEvT1_,comdat
.Lfunc_end275:
	.size	_ZN7rocprim17ROCPRIM_400000_NS6detail17trampoline_kernelINS0_14default_configENS1_25partition_config_selectorILNS1_17partition_subalgoE8EdNS0_10empty_typeEbEEZZNS1_14partition_implILS5_8ELb0ES3_jPKdPS6_PKS6_NS0_5tupleIJPdS6_EEENSE_IJSB_SB_EEENS0_18inequality_wrapperIN6hipcub16HIPCUB_304000_NS8EqualityEEEPlJS6_EEE10hipError_tPvRmT3_T4_T5_T6_T7_T9_mT8_P12ihipStream_tbDpT10_ENKUlT_T0_E_clISt17integral_constantIbLb0EES17_EEDaS12_S13_EUlS12_E_NS1_11comp_targetILNS1_3genE3ELNS1_11target_archE908ELNS1_3gpuE7ELNS1_3repE0EEENS1_30default_config_static_selectorELNS0_4arch9wavefront6targetE1EEEvT1_, .Lfunc_end275-_ZN7rocprim17ROCPRIM_400000_NS6detail17trampoline_kernelINS0_14default_configENS1_25partition_config_selectorILNS1_17partition_subalgoE8EdNS0_10empty_typeEbEEZZNS1_14partition_implILS5_8ELb0ES3_jPKdPS6_PKS6_NS0_5tupleIJPdS6_EEENSE_IJSB_SB_EEENS0_18inequality_wrapperIN6hipcub16HIPCUB_304000_NS8EqualityEEEPlJS6_EEE10hipError_tPvRmT3_T4_T5_T6_T7_T9_mT8_P12ihipStream_tbDpT10_ENKUlT_T0_E_clISt17integral_constantIbLb0EES17_EEDaS12_S13_EUlS12_E_NS1_11comp_targetILNS1_3genE3ELNS1_11target_archE908ELNS1_3gpuE7ELNS1_3repE0EEENS1_30default_config_static_selectorELNS0_4arch9wavefront6targetE1EEEvT1_
                                        ; -- End function
	.section	.AMDGPU.csdata,"",@progbits
; Kernel info:
; codeLenInByte = 0
; NumSgprs: 6
; NumVgprs: 0
; NumAgprs: 0
; TotalNumVgprs: 0
; ScratchSize: 0
; MemoryBound: 0
; FloatMode: 240
; IeeeMode: 1
; LDSByteSize: 0 bytes/workgroup (compile time only)
; SGPRBlocks: 0
; VGPRBlocks: 0
; NumSGPRsForWavesPerEU: 6
; NumVGPRsForWavesPerEU: 1
; AccumOffset: 4
; Occupancy: 8
; WaveLimiterHint : 0
; COMPUTE_PGM_RSRC2:SCRATCH_EN: 0
; COMPUTE_PGM_RSRC2:USER_SGPR: 2
; COMPUTE_PGM_RSRC2:TRAP_HANDLER: 0
; COMPUTE_PGM_RSRC2:TGID_X_EN: 1
; COMPUTE_PGM_RSRC2:TGID_Y_EN: 0
; COMPUTE_PGM_RSRC2:TGID_Z_EN: 0
; COMPUTE_PGM_RSRC2:TIDIG_COMP_CNT: 0
; COMPUTE_PGM_RSRC3_GFX90A:ACCUM_OFFSET: 0
; COMPUTE_PGM_RSRC3_GFX90A:TG_SPLIT: 0
	.section	.text._ZN7rocprim17ROCPRIM_400000_NS6detail17trampoline_kernelINS0_14default_configENS1_25partition_config_selectorILNS1_17partition_subalgoE8EdNS0_10empty_typeEbEEZZNS1_14partition_implILS5_8ELb0ES3_jPKdPS6_PKS6_NS0_5tupleIJPdS6_EEENSE_IJSB_SB_EEENS0_18inequality_wrapperIN6hipcub16HIPCUB_304000_NS8EqualityEEEPlJS6_EEE10hipError_tPvRmT3_T4_T5_T6_T7_T9_mT8_P12ihipStream_tbDpT10_ENKUlT_T0_E_clISt17integral_constantIbLb0EES17_EEDaS12_S13_EUlS12_E_NS1_11comp_targetILNS1_3genE2ELNS1_11target_archE906ELNS1_3gpuE6ELNS1_3repE0EEENS1_30default_config_static_selectorELNS0_4arch9wavefront6targetE1EEEvT1_,"axG",@progbits,_ZN7rocprim17ROCPRIM_400000_NS6detail17trampoline_kernelINS0_14default_configENS1_25partition_config_selectorILNS1_17partition_subalgoE8EdNS0_10empty_typeEbEEZZNS1_14partition_implILS5_8ELb0ES3_jPKdPS6_PKS6_NS0_5tupleIJPdS6_EEENSE_IJSB_SB_EEENS0_18inequality_wrapperIN6hipcub16HIPCUB_304000_NS8EqualityEEEPlJS6_EEE10hipError_tPvRmT3_T4_T5_T6_T7_T9_mT8_P12ihipStream_tbDpT10_ENKUlT_T0_E_clISt17integral_constantIbLb0EES17_EEDaS12_S13_EUlS12_E_NS1_11comp_targetILNS1_3genE2ELNS1_11target_archE906ELNS1_3gpuE6ELNS1_3repE0EEENS1_30default_config_static_selectorELNS0_4arch9wavefront6targetE1EEEvT1_,comdat
	.protected	_ZN7rocprim17ROCPRIM_400000_NS6detail17trampoline_kernelINS0_14default_configENS1_25partition_config_selectorILNS1_17partition_subalgoE8EdNS0_10empty_typeEbEEZZNS1_14partition_implILS5_8ELb0ES3_jPKdPS6_PKS6_NS0_5tupleIJPdS6_EEENSE_IJSB_SB_EEENS0_18inequality_wrapperIN6hipcub16HIPCUB_304000_NS8EqualityEEEPlJS6_EEE10hipError_tPvRmT3_T4_T5_T6_T7_T9_mT8_P12ihipStream_tbDpT10_ENKUlT_T0_E_clISt17integral_constantIbLb0EES17_EEDaS12_S13_EUlS12_E_NS1_11comp_targetILNS1_3genE2ELNS1_11target_archE906ELNS1_3gpuE6ELNS1_3repE0EEENS1_30default_config_static_selectorELNS0_4arch9wavefront6targetE1EEEvT1_ ; -- Begin function _ZN7rocprim17ROCPRIM_400000_NS6detail17trampoline_kernelINS0_14default_configENS1_25partition_config_selectorILNS1_17partition_subalgoE8EdNS0_10empty_typeEbEEZZNS1_14partition_implILS5_8ELb0ES3_jPKdPS6_PKS6_NS0_5tupleIJPdS6_EEENSE_IJSB_SB_EEENS0_18inequality_wrapperIN6hipcub16HIPCUB_304000_NS8EqualityEEEPlJS6_EEE10hipError_tPvRmT3_T4_T5_T6_T7_T9_mT8_P12ihipStream_tbDpT10_ENKUlT_T0_E_clISt17integral_constantIbLb0EES17_EEDaS12_S13_EUlS12_E_NS1_11comp_targetILNS1_3genE2ELNS1_11target_archE906ELNS1_3gpuE6ELNS1_3repE0EEENS1_30default_config_static_selectorELNS0_4arch9wavefront6targetE1EEEvT1_
	.globl	_ZN7rocprim17ROCPRIM_400000_NS6detail17trampoline_kernelINS0_14default_configENS1_25partition_config_selectorILNS1_17partition_subalgoE8EdNS0_10empty_typeEbEEZZNS1_14partition_implILS5_8ELb0ES3_jPKdPS6_PKS6_NS0_5tupleIJPdS6_EEENSE_IJSB_SB_EEENS0_18inequality_wrapperIN6hipcub16HIPCUB_304000_NS8EqualityEEEPlJS6_EEE10hipError_tPvRmT3_T4_T5_T6_T7_T9_mT8_P12ihipStream_tbDpT10_ENKUlT_T0_E_clISt17integral_constantIbLb0EES17_EEDaS12_S13_EUlS12_E_NS1_11comp_targetILNS1_3genE2ELNS1_11target_archE906ELNS1_3gpuE6ELNS1_3repE0EEENS1_30default_config_static_selectorELNS0_4arch9wavefront6targetE1EEEvT1_
	.p2align	8
	.type	_ZN7rocprim17ROCPRIM_400000_NS6detail17trampoline_kernelINS0_14default_configENS1_25partition_config_selectorILNS1_17partition_subalgoE8EdNS0_10empty_typeEbEEZZNS1_14partition_implILS5_8ELb0ES3_jPKdPS6_PKS6_NS0_5tupleIJPdS6_EEENSE_IJSB_SB_EEENS0_18inequality_wrapperIN6hipcub16HIPCUB_304000_NS8EqualityEEEPlJS6_EEE10hipError_tPvRmT3_T4_T5_T6_T7_T9_mT8_P12ihipStream_tbDpT10_ENKUlT_T0_E_clISt17integral_constantIbLb0EES17_EEDaS12_S13_EUlS12_E_NS1_11comp_targetILNS1_3genE2ELNS1_11target_archE906ELNS1_3gpuE6ELNS1_3repE0EEENS1_30default_config_static_selectorELNS0_4arch9wavefront6targetE1EEEvT1_,@function
_ZN7rocprim17ROCPRIM_400000_NS6detail17trampoline_kernelINS0_14default_configENS1_25partition_config_selectorILNS1_17partition_subalgoE8EdNS0_10empty_typeEbEEZZNS1_14partition_implILS5_8ELb0ES3_jPKdPS6_PKS6_NS0_5tupleIJPdS6_EEENSE_IJSB_SB_EEENS0_18inequality_wrapperIN6hipcub16HIPCUB_304000_NS8EqualityEEEPlJS6_EEE10hipError_tPvRmT3_T4_T5_T6_T7_T9_mT8_P12ihipStream_tbDpT10_ENKUlT_T0_E_clISt17integral_constantIbLb0EES17_EEDaS12_S13_EUlS12_E_NS1_11comp_targetILNS1_3genE2ELNS1_11target_archE906ELNS1_3gpuE6ELNS1_3repE0EEENS1_30default_config_static_selectorELNS0_4arch9wavefront6targetE1EEEvT1_: ; @_ZN7rocprim17ROCPRIM_400000_NS6detail17trampoline_kernelINS0_14default_configENS1_25partition_config_selectorILNS1_17partition_subalgoE8EdNS0_10empty_typeEbEEZZNS1_14partition_implILS5_8ELb0ES3_jPKdPS6_PKS6_NS0_5tupleIJPdS6_EEENSE_IJSB_SB_EEENS0_18inequality_wrapperIN6hipcub16HIPCUB_304000_NS8EqualityEEEPlJS6_EEE10hipError_tPvRmT3_T4_T5_T6_T7_T9_mT8_P12ihipStream_tbDpT10_ENKUlT_T0_E_clISt17integral_constantIbLb0EES17_EEDaS12_S13_EUlS12_E_NS1_11comp_targetILNS1_3genE2ELNS1_11target_archE906ELNS1_3gpuE6ELNS1_3repE0EEENS1_30default_config_static_selectorELNS0_4arch9wavefront6targetE1EEEvT1_
; %bb.0:
	.section	.rodata,"a",@progbits
	.p2align	6, 0x0
	.amdhsa_kernel _ZN7rocprim17ROCPRIM_400000_NS6detail17trampoline_kernelINS0_14default_configENS1_25partition_config_selectorILNS1_17partition_subalgoE8EdNS0_10empty_typeEbEEZZNS1_14partition_implILS5_8ELb0ES3_jPKdPS6_PKS6_NS0_5tupleIJPdS6_EEENSE_IJSB_SB_EEENS0_18inequality_wrapperIN6hipcub16HIPCUB_304000_NS8EqualityEEEPlJS6_EEE10hipError_tPvRmT3_T4_T5_T6_T7_T9_mT8_P12ihipStream_tbDpT10_ENKUlT_T0_E_clISt17integral_constantIbLb0EES17_EEDaS12_S13_EUlS12_E_NS1_11comp_targetILNS1_3genE2ELNS1_11target_archE906ELNS1_3gpuE6ELNS1_3repE0EEENS1_30default_config_static_selectorELNS0_4arch9wavefront6targetE1EEEvT1_
		.amdhsa_group_segment_fixed_size 0
		.amdhsa_private_segment_fixed_size 0
		.amdhsa_kernarg_size 112
		.amdhsa_user_sgpr_count 2
		.amdhsa_user_sgpr_dispatch_ptr 0
		.amdhsa_user_sgpr_queue_ptr 0
		.amdhsa_user_sgpr_kernarg_segment_ptr 1
		.amdhsa_user_sgpr_dispatch_id 0
		.amdhsa_user_sgpr_kernarg_preload_length 0
		.amdhsa_user_sgpr_kernarg_preload_offset 0
		.amdhsa_user_sgpr_private_segment_size 0
		.amdhsa_uses_dynamic_stack 0
		.amdhsa_enable_private_segment 0
		.amdhsa_system_sgpr_workgroup_id_x 1
		.amdhsa_system_sgpr_workgroup_id_y 0
		.amdhsa_system_sgpr_workgroup_id_z 0
		.amdhsa_system_sgpr_workgroup_info 0
		.amdhsa_system_vgpr_workitem_id 0
		.amdhsa_next_free_vgpr 1
		.amdhsa_next_free_sgpr 0
		.amdhsa_accum_offset 4
		.amdhsa_reserve_vcc 0
		.amdhsa_float_round_mode_32 0
		.amdhsa_float_round_mode_16_64 0
		.amdhsa_float_denorm_mode_32 3
		.amdhsa_float_denorm_mode_16_64 3
		.amdhsa_dx10_clamp 1
		.amdhsa_ieee_mode 1
		.amdhsa_fp16_overflow 0
		.amdhsa_tg_split 0
		.amdhsa_exception_fp_ieee_invalid_op 0
		.amdhsa_exception_fp_denorm_src 0
		.amdhsa_exception_fp_ieee_div_zero 0
		.amdhsa_exception_fp_ieee_overflow 0
		.amdhsa_exception_fp_ieee_underflow 0
		.amdhsa_exception_fp_ieee_inexact 0
		.amdhsa_exception_int_div_zero 0
	.end_amdhsa_kernel
	.section	.text._ZN7rocprim17ROCPRIM_400000_NS6detail17trampoline_kernelINS0_14default_configENS1_25partition_config_selectorILNS1_17partition_subalgoE8EdNS0_10empty_typeEbEEZZNS1_14partition_implILS5_8ELb0ES3_jPKdPS6_PKS6_NS0_5tupleIJPdS6_EEENSE_IJSB_SB_EEENS0_18inequality_wrapperIN6hipcub16HIPCUB_304000_NS8EqualityEEEPlJS6_EEE10hipError_tPvRmT3_T4_T5_T6_T7_T9_mT8_P12ihipStream_tbDpT10_ENKUlT_T0_E_clISt17integral_constantIbLb0EES17_EEDaS12_S13_EUlS12_E_NS1_11comp_targetILNS1_3genE2ELNS1_11target_archE906ELNS1_3gpuE6ELNS1_3repE0EEENS1_30default_config_static_selectorELNS0_4arch9wavefront6targetE1EEEvT1_,"axG",@progbits,_ZN7rocprim17ROCPRIM_400000_NS6detail17trampoline_kernelINS0_14default_configENS1_25partition_config_selectorILNS1_17partition_subalgoE8EdNS0_10empty_typeEbEEZZNS1_14partition_implILS5_8ELb0ES3_jPKdPS6_PKS6_NS0_5tupleIJPdS6_EEENSE_IJSB_SB_EEENS0_18inequality_wrapperIN6hipcub16HIPCUB_304000_NS8EqualityEEEPlJS6_EEE10hipError_tPvRmT3_T4_T5_T6_T7_T9_mT8_P12ihipStream_tbDpT10_ENKUlT_T0_E_clISt17integral_constantIbLb0EES17_EEDaS12_S13_EUlS12_E_NS1_11comp_targetILNS1_3genE2ELNS1_11target_archE906ELNS1_3gpuE6ELNS1_3repE0EEENS1_30default_config_static_selectorELNS0_4arch9wavefront6targetE1EEEvT1_,comdat
.Lfunc_end276:
	.size	_ZN7rocprim17ROCPRIM_400000_NS6detail17trampoline_kernelINS0_14default_configENS1_25partition_config_selectorILNS1_17partition_subalgoE8EdNS0_10empty_typeEbEEZZNS1_14partition_implILS5_8ELb0ES3_jPKdPS6_PKS6_NS0_5tupleIJPdS6_EEENSE_IJSB_SB_EEENS0_18inequality_wrapperIN6hipcub16HIPCUB_304000_NS8EqualityEEEPlJS6_EEE10hipError_tPvRmT3_T4_T5_T6_T7_T9_mT8_P12ihipStream_tbDpT10_ENKUlT_T0_E_clISt17integral_constantIbLb0EES17_EEDaS12_S13_EUlS12_E_NS1_11comp_targetILNS1_3genE2ELNS1_11target_archE906ELNS1_3gpuE6ELNS1_3repE0EEENS1_30default_config_static_selectorELNS0_4arch9wavefront6targetE1EEEvT1_, .Lfunc_end276-_ZN7rocprim17ROCPRIM_400000_NS6detail17trampoline_kernelINS0_14default_configENS1_25partition_config_selectorILNS1_17partition_subalgoE8EdNS0_10empty_typeEbEEZZNS1_14partition_implILS5_8ELb0ES3_jPKdPS6_PKS6_NS0_5tupleIJPdS6_EEENSE_IJSB_SB_EEENS0_18inequality_wrapperIN6hipcub16HIPCUB_304000_NS8EqualityEEEPlJS6_EEE10hipError_tPvRmT3_T4_T5_T6_T7_T9_mT8_P12ihipStream_tbDpT10_ENKUlT_T0_E_clISt17integral_constantIbLb0EES17_EEDaS12_S13_EUlS12_E_NS1_11comp_targetILNS1_3genE2ELNS1_11target_archE906ELNS1_3gpuE6ELNS1_3repE0EEENS1_30default_config_static_selectorELNS0_4arch9wavefront6targetE1EEEvT1_
                                        ; -- End function
	.section	.AMDGPU.csdata,"",@progbits
; Kernel info:
; codeLenInByte = 0
; NumSgprs: 6
; NumVgprs: 0
; NumAgprs: 0
; TotalNumVgprs: 0
; ScratchSize: 0
; MemoryBound: 0
; FloatMode: 240
; IeeeMode: 1
; LDSByteSize: 0 bytes/workgroup (compile time only)
; SGPRBlocks: 0
; VGPRBlocks: 0
; NumSGPRsForWavesPerEU: 6
; NumVGPRsForWavesPerEU: 1
; AccumOffset: 4
; Occupancy: 8
; WaveLimiterHint : 0
; COMPUTE_PGM_RSRC2:SCRATCH_EN: 0
; COMPUTE_PGM_RSRC2:USER_SGPR: 2
; COMPUTE_PGM_RSRC2:TRAP_HANDLER: 0
; COMPUTE_PGM_RSRC2:TGID_X_EN: 1
; COMPUTE_PGM_RSRC2:TGID_Y_EN: 0
; COMPUTE_PGM_RSRC2:TGID_Z_EN: 0
; COMPUTE_PGM_RSRC2:TIDIG_COMP_CNT: 0
; COMPUTE_PGM_RSRC3_GFX90A:ACCUM_OFFSET: 0
; COMPUTE_PGM_RSRC3_GFX90A:TG_SPLIT: 0
	.section	.text._ZN7rocprim17ROCPRIM_400000_NS6detail17trampoline_kernelINS0_14default_configENS1_25partition_config_selectorILNS1_17partition_subalgoE8EdNS0_10empty_typeEbEEZZNS1_14partition_implILS5_8ELb0ES3_jPKdPS6_PKS6_NS0_5tupleIJPdS6_EEENSE_IJSB_SB_EEENS0_18inequality_wrapperIN6hipcub16HIPCUB_304000_NS8EqualityEEEPlJS6_EEE10hipError_tPvRmT3_T4_T5_T6_T7_T9_mT8_P12ihipStream_tbDpT10_ENKUlT_T0_E_clISt17integral_constantIbLb0EES17_EEDaS12_S13_EUlS12_E_NS1_11comp_targetILNS1_3genE10ELNS1_11target_archE1200ELNS1_3gpuE4ELNS1_3repE0EEENS1_30default_config_static_selectorELNS0_4arch9wavefront6targetE1EEEvT1_,"axG",@progbits,_ZN7rocprim17ROCPRIM_400000_NS6detail17trampoline_kernelINS0_14default_configENS1_25partition_config_selectorILNS1_17partition_subalgoE8EdNS0_10empty_typeEbEEZZNS1_14partition_implILS5_8ELb0ES3_jPKdPS6_PKS6_NS0_5tupleIJPdS6_EEENSE_IJSB_SB_EEENS0_18inequality_wrapperIN6hipcub16HIPCUB_304000_NS8EqualityEEEPlJS6_EEE10hipError_tPvRmT3_T4_T5_T6_T7_T9_mT8_P12ihipStream_tbDpT10_ENKUlT_T0_E_clISt17integral_constantIbLb0EES17_EEDaS12_S13_EUlS12_E_NS1_11comp_targetILNS1_3genE10ELNS1_11target_archE1200ELNS1_3gpuE4ELNS1_3repE0EEENS1_30default_config_static_selectorELNS0_4arch9wavefront6targetE1EEEvT1_,comdat
	.protected	_ZN7rocprim17ROCPRIM_400000_NS6detail17trampoline_kernelINS0_14default_configENS1_25partition_config_selectorILNS1_17partition_subalgoE8EdNS0_10empty_typeEbEEZZNS1_14partition_implILS5_8ELb0ES3_jPKdPS6_PKS6_NS0_5tupleIJPdS6_EEENSE_IJSB_SB_EEENS0_18inequality_wrapperIN6hipcub16HIPCUB_304000_NS8EqualityEEEPlJS6_EEE10hipError_tPvRmT3_T4_T5_T6_T7_T9_mT8_P12ihipStream_tbDpT10_ENKUlT_T0_E_clISt17integral_constantIbLb0EES17_EEDaS12_S13_EUlS12_E_NS1_11comp_targetILNS1_3genE10ELNS1_11target_archE1200ELNS1_3gpuE4ELNS1_3repE0EEENS1_30default_config_static_selectorELNS0_4arch9wavefront6targetE1EEEvT1_ ; -- Begin function _ZN7rocprim17ROCPRIM_400000_NS6detail17trampoline_kernelINS0_14default_configENS1_25partition_config_selectorILNS1_17partition_subalgoE8EdNS0_10empty_typeEbEEZZNS1_14partition_implILS5_8ELb0ES3_jPKdPS6_PKS6_NS0_5tupleIJPdS6_EEENSE_IJSB_SB_EEENS0_18inequality_wrapperIN6hipcub16HIPCUB_304000_NS8EqualityEEEPlJS6_EEE10hipError_tPvRmT3_T4_T5_T6_T7_T9_mT8_P12ihipStream_tbDpT10_ENKUlT_T0_E_clISt17integral_constantIbLb0EES17_EEDaS12_S13_EUlS12_E_NS1_11comp_targetILNS1_3genE10ELNS1_11target_archE1200ELNS1_3gpuE4ELNS1_3repE0EEENS1_30default_config_static_selectorELNS0_4arch9wavefront6targetE1EEEvT1_
	.globl	_ZN7rocprim17ROCPRIM_400000_NS6detail17trampoline_kernelINS0_14default_configENS1_25partition_config_selectorILNS1_17partition_subalgoE8EdNS0_10empty_typeEbEEZZNS1_14partition_implILS5_8ELb0ES3_jPKdPS6_PKS6_NS0_5tupleIJPdS6_EEENSE_IJSB_SB_EEENS0_18inequality_wrapperIN6hipcub16HIPCUB_304000_NS8EqualityEEEPlJS6_EEE10hipError_tPvRmT3_T4_T5_T6_T7_T9_mT8_P12ihipStream_tbDpT10_ENKUlT_T0_E_clISt17integral_constantIbLb0EES17_EEDaS12_S13_EUlS12_E_NS1_11comp_targetILNS1_3genE10ELNS1_11target_archE1200ELNS1_3gpuE4ELNS1_3repE0EEENS1_30default_config_static_selectorELNS0_4arch9wavefront6targetE1EEEvT1_
	.p2align	8
	.type	_ZN7rocprim17ROCPRIM_400000_NS6detail17trampoline_kernelINS0_14default_configENS1_25partition_config_selectorILNS1_17partition_subalgoE8EdNS0_10empty_typeEbEEZZNS1_14partition_implILS5_8ELb0ES3_jPKdPS6_PKS6_NS0_5tupleIJPdS6_EEENSE_IJSB_SB_EEENS0_18inequality_wrapperIN6hipcub16HIPCUB_304000_NS8EqualityEEEPlJS6_EEE10hipError_tPvRmT3_T4_T5_T6_T7_T9_mT8_P12ihipStream_tbDpT10_ENKUlT_T0_E_clISt17integral_constantIbLb0EES17_EEDaS12_S13_EUlS12_E_NS1_11comp_targetILNS1_3genE10ELNS1_11target_archE1200ELNS1_3gpuE4ELNS1_3repE0EEENS1_30default_config_static_selectorELNS0_4arch9wavefront6targetE1EEEvT1_,@function
_ZN7rocprim17ROCPRIM_400000_NS6detail17trampoline_kernelINS0_14default_configENS1_25partition_config_selectorILNS1_17partition_subalgoE8EdNS0_10empty_typeEbEEZZNS1_14partition_implILS5_8ELb0ES3_jPKdPS6_PKS6_NS0_5tupleIJPdS6_EEENSE_IJSB_SB_EEENS0_18inequality_wrapperIN6hipcub16HIPCUB_304000_NS8EqualityEEEPlJS6_EEE10hipError_tPvRmT3_T4_T5_T6_T7_T9_mT8_P12ihipStream_tbDpT10_ENKUlT_T0_E_clISt17integral_constantIbLb0EES17_EEDaS12_S13_EUlS12_E_NS1_11comp_targetILNS1_3genE10ELNS1_11target_archE1200ELNS1_3gpuE4ELNS1_3repE0EEENS1_30default_config_static_selectorELNS0_4arch9wavefront6targetE1EEEvT1_: ; @_ZN7rocprim17ROCPRIM_400000_NS6detail17trampoline_kernelINS0_14default_configENS1_25partition_config_selectorILNS1_17partition_subalgoE8EdNS0_10empty_typeEbEEZZNS1_14partition_implILS5_8ELb0ES3_jPKdPS6_PKS6_NS0_5tupleIJPdS6_EEENSE_IJSB_SB_EEENS0_18inequality_wrapperIN6hipcub16HIPCUB_304000_NS8EqualityEEEPlJS6_EEE10hipError_tPvRmT3_T4_T5_T6_T7_T9_mT8_P12ihipStream_tbDpT10_ENKUlT_T0_E_clISt17integral_constantIbLb0EES17_EEDaS12_S13_EUlS12_E_NS1_11comp_targetILNS1_3genE10ELNS1_11target_archE1200ELNS1_3gpuE4ELNS1_3repE0EEENS1_30default_config_static_selectorELNS0_4arch9wavefront6targetE1EEEvT1_
; %bb.0:
	.section	.rodata,"a",@progbits
	.p2align	6, 0x0
	.amdhsa_kernel _ZN7rocprim17ROCPRIM_400000_NS6detail17trampoline_kernelINS0_14default_configENS1_25partition_config_selectorILNS1_17partition_subalgoE8EdNS0_10empty_typeEbEEZZNS1_14partition_implILS5_8ELb0ES3_jPKdPS6_PKS6_NS0_5tupleIJPdS6_EEENSE_IJSB_SB_EEENS0_18inequality_wrapperIN6hipcub16HIPCUB_304000_NS8EqualityEEEPlJS6_EEE10hipError_tPvRmT3_T4_T5_T6_T7_T9_mT8_P12ihipStream_tbDpT10_ENKUlT_T0_E_clISt17integral_constantIbLb0EES17_EEDaS12_S13_EUlS12_E_NS1_11comp_targetILNS1_3genE10ELNS1_11target_archE1200ELNS1_3gpuE4ELNS1_3repE0EEENS1_30default_config_static_selectorELNS0_4arch9wavefront6targetE1EEEvT1_
		.amdhsa_group_segment_fixed_size 0
		.amdhsa_private_segment_fixed_size 0
		.amdhsa_kernarg_size 112
		.amdhsa_user_sgpr_count 2
		.amdhsa_user_sgpr_dispatch_ptr 0
		.amdhsa_user_sgpr_queue_ptr 0
		.amdhsa_user_sgpr_kernarg_segment_ptr 1
		.amdhsa_user_sgpr_dispatch_id 0
		.amdhsa_user_sgpr_kernarg_preload_length 0
		.amdhsa_user_sgpr_kernarg_preload_offset 0
		.amdhsa_user_sgpr_private_segment_size 0
		.amdhsa_uses_dynamic_stack 0
		.amdhsa_enable_private_segment 0
		.amdhsa_system_sgpr_workgroup_id_x 1
		.amdhsa_system_sgpr_workgroup_id_y 0
		.amdhsa_system_sgpr_workgroup_id_z 0
		.amdhsa_system_sgpr_workgroup_info 0
		.amdhsa_system_vgpr_workitem_id 0
		.amdhsa_next_free_vgpr 1
		.amdhsa_next_free_sgpr 0
		.amdhsa_accum_offset 4
		.amdhsa_reserve_vcc 0
		.amdhsa_float_round_mode_32 0
		.amdhsa_float_round_mode_16_64 0
		.amdhsa_float_denorm_mode_32 3
		.amdhsa_float_denorm_mode_16_64 3
		.amdhsa_dx10_clamp 1
		.amdhsa_ieee_mode 1
		.amdhsa_fp16_overflow 0
		.amdhsa_tg_split 0
		.amdhsa_exception_fp_ieee_invalid_op 0
		.amdhsa_exception_fp_denorm_src 0
		.amdhsa_exception_fp_ieee_div_zero 0
		.amdhsa_exception_fp_ieee_overflow 0
		.amdhsa_exception_fp_ieee_underflow 0
		.amdhsa_exception_fp_ieee_inexact 0
		.amdhsa_exception_int_div_zero 0
	.end_amdhsa_kernel
	.section	.text._ZN7rocprim17ROCPRIM_400000_NS6detail17trampoline_kernelINS0_14default_configENS1_25partition_config_selectorILNS1_17partition_subalgoE8EdNS0_10empty_typeEbEEZZNS1_14partition_implILS5_8ELb0ES3_jPKdPS6_PKS6_NS0_5tupleIJPdS6_EEENSE_IJSB_SB_EEENS0_18inequality_wrapperIN6hipcub16HIPCUB_304000_NS8EqualityEEEPlJS6_EEE10hipError_tPvRmT3_T4_T5_T6_T7_T9_mT8_P12ihipStream_tbDpT10_ENKUlT_T0_E_clISt17integral_constantIbLb0EES17_EEDaS12_S13_EUlS12_E_NS1_11comp_targetILNS1_3genE10ELNS1_11target_archE1200ELNS1_3gpuE4ELNS1_3repE0EEENS1_30default_config_static_selectorELNS0_4arch9wavefront6targetE1EEEvT1_,"axG",@progbits,_ZN7rocprim17ROCPRIM_400000_NS6detail17trampoline_kernelINS0_14default_configENS1_25partition_config_selectorILNS1_17partition_subalgoE8EdNS0_10empty_typeEbEEZZNS1_14partition_implILS5_8ELb0ES3_jPKdPS6_PKS6_NS0_5tupleIJPdS6_EEENSE_IJSB_SB_EEENS0_18inequality_wrapperIN6hipcub16HIPCUB_304000_NS8EqualityEEEPlJS6_EEE10hipError_tPvRmT3_T4_T5_T6_T7_T9_mT8_P12ihipStream_tbDpT10_ENKUlT_T0_E_clISt17integral_constantIbLb0EES17_EEDaS12_S13_EUlS12_E_NS1_11comp_targetILNS1_3genE10ELNS1_11target_archE1200ELNS1_3gpuE4ELNS1_3repE0EEENS1_30default_config_static_selectorELNS0_4arch9wavefront6targetE1EEEvT1_,comdat
.Lfunc_end277:
	.size	_ZN7rocprim17ROCPRIM_400000_NS6detail17trampoline_kernelINS0_14default_configENS1_25partition_config_selectorILNS1_17partition_subalgoE8EdNS0_10empty_typeEbEEZZNS1_14partition_implILS5_8ELb0ES3_jPKdPS6_PKS6_NS0_5tupleIJPdS6_EEENSE_IJSB_SB_EEENS0_18inequality_wrapperIN6hipcub16HIPCUB_304000_NS8EqualityEEEPlJS6_EEE10hipError_tPvRmT3_T4_T5_T6_T7_T9_mT8_P12ihipStream_tbDpT10_ENKUlT_T0_E_clISt17integral_constantIbLb0EES17_EEDaS12_S13_EUlS12_E_NS1_11comp_targetILNS1_3genE10ELNS1_11target_archE1200ELNS1_3gpuE4ELNS1_3repE0EEENS1_30default_config_static_selectorELNS0_4arch9wavefront6targetE1EEEvT1_, .Lfunc_end277-_ZN7rocprim17ROCPRIM_400000_NS6detail17trampoline_kernelINS0_14default_configENS1_25partition_config_selectorILNS1_17partition_subalgoE8EdNS0_10empty_typeEbEEZZNS1_14partition_implILS5_8ELb0ES3_jPKdPS6_PKS6_NS0_5tupleIJPdS6_EEENSE_IJSB_SB_EEENS0_18inequality_wrapperIN6hipcub16HIPCUB_304000_NS8EqualityEEEPlJS6_EEE10hipError_tPvRmT3_T4_T5_T6_T7_T9_mT8_P12ihipStream_tbDpT10_ENKUlT_T0_E_clISt17integral_constantIbLb0EES17_EEDaS12_S13_EUlS12_E_NS1_11comp_targetILNS1_3genE10ELNS1_11target_archE1200ELNS1_3gpuE4ELNS1_3repE0EEENS1_30default_config_static_selectorELNS0_4arch9wavefront6targetE1EEEvT1_
                                        ; -- End function
	.section	.AMDGPU.csdata,"",@progbits
; Kernel info:
; codeLenInByte = 0
; NumSgprs: 6
; NumVgprs: 0
; NumAgprs: 0
; TotalNumVgprs: 0
; ScratchSize: 0
; MemoryBound: 0
; FloatMode: 240
; IeeeMode: 1
; LDSByteSize: 0 bytes/workgroup (compile time only)
; SGPRBlocks: 0
; VGPRBlocks: 0
; NumSGPRsForWavesPerEU: 6
; NumVGPRsForWavesPerEU: 1
; AccumOffset: 4
; Occupancy: 8
; WaveLimiterHint : 0
; COMPUTE_PGM_RSRC2:SCRATCH_EN: 0
; COMPUTE_PGM_RSRC2:USER_SGPR: 2
; COMPUTE_PGM_RSRC2:TRAP_HANDLER: 0
; COMPUTE_PGM_RSRC2:TGID_X_EN: 1
; COMPUTE_PGM_RSRC2:TGID_Y_EN: 0
; COMPUTE_PGM_RSRC2:TGID_Z_EN: 0
; COMPUTE_PGM_RSRC2:TIDIG_COMP_CNT: 0
; COMPUTE_PGM_RSRC3_GFX90A:ACCUM_OFFSET: 0
; COMPUTE_PGM_RSRC3_GFX90A:TG_SPLIT: 0
	.section	.text._ZN7rocprim17ROCPRIM_400000_NS6detail17trampoline_kernelINS0_14default_configENS1_25partition_config_selectorILNS1_17partition_subalgoE8EdNS0_10empty_typeEbEEZZNS1_14partition_implILS5_8ELb0ES3_jPKdPS6_PKS6_NS0_5tupleIJPdS6_EEENSE_IJSB_SB_EEENS0_18inequality_wrapperIN6hipcub16HIPCUB_304000_NS8EqualityEEEPlJS6_EEE10hipError_tPvRmT3_T4_T5_T6_T7_T9_mT8_P12ihipStream_tbDpT10_ENKUlT_T0_E_clISt17integral_constantIbLb0EES17_EEDaS12_S13_EUlS12_E_NS1_11comp_targetILNS1_3genE9ELNS1_11target_archE1100ELNS1_3gpuE3ELNS1_3repE0EEENS1_30default_config_static_selectorELNS0_4arch9wavefront6targetE1EEEvT1_,"axG",@progbits,_ZN7rocprim17ROCPRIM_400000_NS6detail17trampoline_kernelINS0_14default_configENS1_25partition_config_selectorILNS1_17partition_subalgoE8EdNS0_10empty_typeEbEEZZNS1_14partition_implILS5_8ELb0ES3_jPKdPS6_PKS6_NS0_5tupleIJPdS6_EEENSE_IJSB_SB_EEENS0_18inequality_wrapperIN6hipcub16HIPCUB_304000_NS8EqualityEEEPlJS6_EEE10hipError_tPvRmT3_T4_T5_T6_T7_T9_mT8_P12ihipStream_tbDpT10_ENKUlT_T0_E_clISt17integral_constantIbLb0EES17_EEDaS12_S13_EUlS12_E_NS1_11comp_targetILNS1_3genE9ELNS1_11target_archE1100ELNS1_3gpuE3ELNS1_3repE0EEENS1_30default_config_static_selectorELNS0_4arch9wavefront6targetE1EEEvT1_,comdat
	.protected	_ZN7rocprim17ROCPRIM_400000_NS6detail17trampoline_kernelINS0_14default_configENS1_25partition_config_selectorILNS1_17partition_subalgoE8EdNS0_10empty_typeEbEEZZNS1_14partition_implILS5_8ELb0ES3_jPKdPS6_PKS6_NS0_5tupleIJPdS6_EEENSE_IJSB_SB_EEENS0_18inequality_wrapperIN6hipcub16HIPCUB_304000_NS8EqualityEEEPlJS6_EEE10hipError_tPvRmT3_T4_T5_T6_T7_T9_mT8_P12ihipStream_tbDpT10_ENKUlT_T0_E_clISt17integral_constantIbLb0EES17_EEDaS12_S13_EUlS12_E_NS1_11comp_targetILNS1_3genE9ELNS1_11target_archE1100ELNS1_3gpuE3ELNS1_3repE0EEENS1_30default_config_static_selectorELNS0_4arch9wavefront6targetE1EEEvT1_ ; -- Begin function _ZN7rocprim17ROCPRIM_400000_NS6detail17trampoline_kernelINS0_14default_configENS1_25partition_config_selectorILNS1_17partition_subalgoE8EdNS0_10empty_typeEbEEZZNS1_14partition_implILS5_8ELb0ES3_jPKdPS6_PKS6_NS0_5tupleIJPdS6_EEENSE_IJSB_SB_EEENS0_18inequality_wrapperIN6hipcub16HIPCUB_304000_NS8EqualityEEEPlJS6_EEE10hipError_tPvRmT3_T4_T5_T6_T7_T9_mT8_P12ihipStream_tbDpT10_ENKUlT_T0_E_clISt17integral_constantIbLb0EES17_EEDaS12_S13_EUlS12_E_NS1_11comp_targetILNS1_3genE9ELNS1_11target_archE1100ELNS1_3gpuE3ELNS1_3repE0EEENS1_30default_config_static_selectorELNS0_4arch9wavefront6targetE1EEEvT1_
	.globl	_ZN7rocprim17ROCPRIM_400000_NS6detail17trampoline_kernelINS0_14default_configENS1_25partition_config_selectorILNS1_17partition_subalgoE8EdNS0_10empty_typeEbEEZZNS1_14partition_implILS5_8ELb0ES3_jPKdPS6_PKS6_NS0_5tupleIJPdS6_EEENSE_IJSB_SB_EEENS0_18inequality_wrapperIN6hipcub16HIPCUB_304000_NS8EqualityEEEPlJS6_EEE10hipError_tPvRmT3_T4_T5_T6_T7_T9_mT8_P12ihipStream_tbDpT10_ENKUlT_T0_E_clISt17integral_constantIbLb0EES17_EEDaS12_S13_EUlS12_E_NS1_11comp_targetILNS1_3genE9ELNS1_11target_archE1100ELNS1_3gpuE3ELNS1_3repE0EEENS1_30default_config_static_selectorELNS0_4arch9wavefront6targetE1EEEvT1_
	.p2align	8
	.type	_ZN7rocprim17ROCPRIM_400000_NS6detail17trampoline_kernelINS0_14default_configENS1_25partition_config_selectorILNS1_17partition_subalgoE8EdNS0_10empty_typeEbEEZZNS1_14partition_implILS5_8ELb0ES3_jPKdPS6_PKS6_NS0_5tupleIJPdS6_EEENSE_IJSB_SB_EEENS0_18inequality_wrapperIN6hipcub16HIPCUB_304000_NS8EqualityEEEPlJS6_EEE10hipError_tPvRmT3_T4_T5_T6_T7_T9_mT8_P12ihipStream_tbDpT10_ENKUlT_T0_E_clISt17integral_constantIbLb0EES17_EEDaS12_S13_EUlS12_E_NS1_11comp_targetILNS1_3genE9ELNS1_11target_archE1100ELNS1_3gpuE3ELNS1_3repE0EEENS1_30default_config_static_selectorELNS0_4arch9wavefront6targetE1EEEvT1_,@function
_ZN7rocprim17ROCPRIM_400000_NS6detail17trampoline_kernelINS0_14default_configENS1_25partition_config_selectorILNS1_17partition_subalgoE8EdNS0_10empty_typeEbEEZZNS1_14partition_implILS5_8ELb0ES3_jPKdPS6_PKS6_NS0_5tupleIJPdS6_EEENSE_IJSB_SB_EEENS0_18inequality_wrapperIN6hipcub16HIPCUB_304000_NS8EqualityEEEPlJS6_EEE10hipError_tPvRmT3_T4_T5_T6_T7_T9_mT8_P12ihipStream_tbDpT10_ENKUlT_T0_E_clISt17integral_constantIbLb0EES17_EEDaS12_S13_EUlS12_E_NS1_11comp_targetILNS1_3genE9ELNS1_11target_archE1100ELNS1_3gpuE3ELNS1_3repE0EEENS1_30default_config_static_selectorELNS0_4arch9wavefront6targetE1EEEvT1_: ; @_ZN7rocprim17ROCPRIM_400000_NS6detail17trampoline_kernelINS0_14default_configENS1_25partition_config_selectorILNS1_17partition_subalgoE8EdNS0_10empty_typeEbEEZZNS1_14partition_implILS5_8ELb0ES3_jPKdPS6_PKS6_NS0_5tupleIJPdS6_EEENSE_IJSB_SB_EEENS0_18inequality_wrapperIN6hipcub16HIPCUB_304000_NS8EqualityEEEPlJS6_EEE10hipError_tPvRmT3_T4_T5_T6_T7_T9_mT8_P12ihipStream_tbDpT10_ENKUlT_T0_E_clISt17integral_constantIbLb0EES17_EEDaS12_S13_EUlS12_E_NS1_11comp_targetILNS1_3genE9ELNS1_11target_archE1100ELNS1_3gpuE3ELNS1_3repE0EEENS1_30default_config_static_selectorELNS0_4arch9wavefront6targetE1EEEvT1_
; %bb.0:
	.section	.rodata,"a",@progbits
	.p2align	6, 0x0
	.amdhsa_kernel _ZN7rocprim17ROCPRIM_400000_NS6detail17trampoline_kernelINS0_14default_configENS1_25partition_config_selectorILNS1_17partition_subalgoE8EdNS0_10empty_typeEbEEZZNS1_14partition_implILS5_8ELb0ES3_jPKdPS6_PKS6_NS0_5tupleIJPdS6_EEENSE_IJSB_SB_EEENS0_18inequality_wrapperIN6hipcub16HIPCUB_304000_NS8EqualityEEEPlJS6_EEE10hipError_tPvRmT3_T4_T5_T6_T7_T9_mT8_P12ihipStream_tbDpT10_ENKUlT_T0_E_clISt17integral_constantIbLb0EES17_EEDaS12_S13_EUlS12_E_NS1_11comp_targetILNS1_3genE9ELNS1_11target_archE1100ELNS1_3gpuE3ELNS1_3repE0EEENS1_30default_config_static_selectorELNS0_4arch9wavefront6targetE1EEEvT1_
		.amdhsa_group_segment_fixed_size 0
		.amdhsa_private_segment_fixed_size 0
		.amdhsa_kernarg_size 112
		.amdhsa_user_sgpr_count 2
		.amdhsa_user_sgpr_dispatch_ptr 0
		.amdhsa_user_sgpr_queue_ptr 0
		.amdhsa_user_sgpr_kernarg_segment_ptr 1
		.amdhsa_user_sgpr_dispatch_id 0
		.amdhsa_user_sgpr_kernarg_preload_length 0
		.amdhsa_user_sgpr_kernarg_preload_offset 0
		.amdhsa_user_sgpr_private_segment_size 0
		.amdhsa_uses_dynamic_stack 0
		.amdhsa_enable_private_segment 0
		.amdhsa_system_sgpr_workgroup_id_x 1
		.amdhsa_system_sgpr_workgroup_id_y 0
		.amdhsa_system_sgpr_workgroup_id_z 0
		.amdhsa_system_sgpr_workgroup_info 0
		.amdhsa_system_vgpr_workitem_id 0
		.amdhsa_next_free_vgpr 1
		.amdhsa_next_free_sgpr 0
		.amdhsa_accum_offset 4
		.amdhsa_reserve_vcc 0
		.amdhsa_float_round_mode_32 0
		.amdhsa_float_round_mode_16_64 0
		.amdhsa_float_denorm_mode_32 3
		.amdhsa_float_denorm_mode_16_64 3
		.amdhsa_dx10_clamp 1
		.amdhsa_ieee_mode 1
		.amdhsa_fp16_overflow 0
		.amdhsa_tg_split 0
		.amdhsa_exception_fp_ieee_invalid_op 0
		.amdhsa_exception_fp_denorm_src 0
		.amdhsa_exception_fp_ieee_div_zero 0
		.amdhsa_exception_fp_ieee_overflow 0
		.amdhsa_exception_fp_ieee_underflow 0
		.amdhsa_exception_fp_ieee_inexact 0
		.amdhsa_exception_int_div_zero 0
	.end_amdhsa_kernel
	.section	.text._ZN7rocprim17ROCPRIM_400000_NS6detail17trampoline_kernelINS0_14default_configENS1_25partition_config_selectorILNS1_17partition_subalgoE8EdNS0_10empty_typeEbEEZZNS1_14partition_implILS5_8ELb0ES3_jPKdPS6_PKS6_NS0_5tupleIJPdS6_EEENSE_IJSB_SB_EEENS0_18inequality_wrapperIN6hipcub16HIPCUB_304000_NS8EqualityEEEPlJS6_EEE10hipError_tPvRmT3_T4_T5_T6_T7_T9_mT8_P12ihipStream_tbDpT10_ENKUlT_T0_E_clISt17integral_constantIbLb0EES17_EEDaS12_S13_EUlS12_E_NS1_11comp_targetILNS1_3genE9ELNS1_11target_archE1100ELNS1_3gpuE3ELNS1_3repE0EEENS1_30default_config_static_selectorELNS0_4arch9wavefront6targetE1EEEvT1_,"axG",@progbits,_ZN7rocprim17ROCPRIM_400000_NS6detail17trampoline_kernelINS0_14default_configENS1_25partition_config_selectorILNS1_17partition_subalgoE8EdNS0_10empty_typeEbEEZZNS1_14partition_implILS5_8ELb0ES3_jPKdPS6_PKS6_NS0_5tupleIJPdS6_EEENSE_IJSB_SB_EEENS0_18inequality_wrapperIN6hipcub16HIPCUB_304000_NS8EqualityEEEPlJS6_EEE10hipError_tPvRmT3_T4_T5_T6_T7_T9_mT8_P12ihipStream_tbDpT10_ENKUlT_T0_E_clISt17integral_constantIbLb0EES17_EEDaS12_S13_EUlS12_E_NS1_11comp_targetILNS1_3genE9ELNS1_11target_archE1100ELNS1_3gpuE3ELNS1_3repE0EEENS1_30default_config_static_selectorELNS0_4arch9wavefront6targetE1EEEvT1_,comdat
.Lfunc_end278:
	.size	_ZN7rocprim17ROCPRIM_400000_NS6detail17trampoline_kernelINS0_14default_configENS1_25partition_config_selectorILNS1_17partition_subalgoE8EdNS0_10empty_typeEbEEZZNS1_14partition_implILS5_8ELb0ES3_jPKdPS6_PKS6_NS0_5tupleIJPdS6_EEENSE_IJSB_SB_EEENS0_18inequality_wrapperIN6hipcub16HIPCUB_304000_NS8EqualityEEEPlJS6_EEE10hipError_tPvRmT3_T4_T5_T6_T7_T9_mT8_P12ihipStream_tbDpT10_ENKUlT_T0_E_clISt17integral_constantIbLb0EES17_EEDaS12_S13_EUlS12_E_NS1_11comp_targetILNS1_3genE9ELNS1_11target_archE1100ELNS1_3gpuE3ELNS1_3repE0EEENS1_30default_config_static_selectorELNS0_4arch9wavefront6targetE1EEEvT1_, .Lfunc_end278-_ZN7rocprim17ROCPRIM_400000_NS6detail17trampoline_kernelINS0_14default_configENS1_25partition_config_selectorILNS1_17partition_subalgoE8EdNS0_10empty_typeEbEEZZNS1_14partition_implILS5_8ELb0ES3_jPKdPS6_PKS6_NS0_5tupleIJPdS6_EEENSE_IJSB_SB_EEENS0_18inequality_wrapperIN6hipcub16HIPCUB_304000_NS8EqualityEEEPlJS6_EEE10hipError_tPvRmT3_T4_T5_T6_T7_T9_mT8_P12ihipStream_tbDpT10_ENKUlT_T0_E_clISt17integral_constantIbLb0EES17_EEDaS12_S13_EUlS12_E_NS1_11comp_targetILNS1_3genE9ELNS1_11target_archE1100ELNS1_3gpuE3ELNS1_3repE0EEENS1_30default_config_static_selectorELNS0_4arch9wavefront6targetE1EEEvT1_
                                        ; -- End function
	.section	.AMDGPU.csdata,"",@progbits
; Kernel info:
; codeLenInByte = 0
; NumSgprs: 6
; NumVgprs: 0
; NumAgprs: 0
; TotalNumVgprs: 0
; ScratchSize: 0
; MemoryBound: 0
; FloatMode: 240
; IeeeMode: 1
; LDSByteSize: 0 bytes/workgroup (compile time only)
; SGPRBlocks: 0
; VGPRBlocks: 0
; NumSGPRsForWavesPerEU: 6
; NumVGPRsForWavesPerEU: 1
; AccumOffset: 4
; Occupancy: 8
; WaveLimiterHint : 0
; COMPUTE_PGM_RSRC2:SCRATCH_EN: 0
; COMPUTE_PGM_RSRC2:USER_SGPR: 2
; COMPUTE_PGM_RSRC2:TRAP_HANDLER: 0
; COMPUTE_PGM_RSRC2:TGID_X_EN: 1
; COMPUTE_PGM_RSRC2:TGID_Y_EN: 0
; COMPUTE_PGM_RSRC2:TGID_Z_EN: 0
; COMPUTE_PGM_RSRC2:TIDIG_COMP_CNT: 0
; COMPUTE_PGM_RSRC3_GFX90A:ACCUM_OFFSET: 0
; COMPUTE_PGM_RSRC3_GFX90A:TG_SPLIT: 0
	.section	.text._ZN7rocprim17ROCPRIM_400000_NS6detail17trampoline_kernelINS0_14default_configENS1_25partition_config_selectorILNS1_17partition_subalgoE8EdNS0_10empty_typeEbEEZZNS1_14partition_implILS5_8ELb0ES3_jPKdPS6_PKS6_NS0_5tupleIJPdS6_EEENSE_IJSB_SB_EEENS0_18inequality_wrapperIN6hipcub16HIPCUB_304000_NS8EqualityEEEPlJS6_EEE10hipError_tPvRmT3_T4_T5_T6_T7_T9_mT8_P12ihipStream_tbDpT10_ENKUlT_T0_E_clISt17integral_constantIbLb0EES17_EEDaS12_S13_EUlS12_E_NS1_11comp_targetILNS1_3genE8ELNS1_11target_archE1030ELNS1_3gpuE2ELNS1_3repE0EEENS1_30default_config_static_selectorELNS0_4arch9wavefront6targetE1EEEvT1_,"axG",@progbits,_ZN7rocprim17ROCPRIM_400000_NS6detail17trampoline_kernelINS0_14default_configENS1_25partition_config_selectorILNS1_17partition_subalgoE8EdNS0_10empty_typeEbEEZZNS1_14partition_implILS5_8ELb0ES3_jPKdPS6_PKS6_NS0_5tupleIJPdS6_EEENSE_IJSB_SB_EEENS0_18inequality_wrapperIN6hipcub16HIPCUB_304000_NS8EqualityEEEPlJS6_EEE10hipError_tPvRmT3_T4_T5_T6_T7_T9_mT8_P12ihipStream_tbDpT10_ENKUlT_T0_E_clISt17integral_constantIbLb0EES17_EEDaS12_S13_EUlS12_E_NS1_11comp_targetILNS1_3genE8ELNS1_11target_archE1030ELNS1_3gpuE2ELNS1_3repE0EEENS1_30default_config_static_selectorELNS0_4arch9wavefront6targetE1EEEvT1_,comdat
	.protected	_ZN7rocprim17ROCPRIM_400000_NS6detail17trampoline_kernelINS0_14default_configENS1_25partition_config_selectorILNS1_17partition_subalgoE8EdNS0_10empty_typeEbEEZZNS1_14partition_implILS5_8ELb0ES3_jPKdPS6_PKS6_NS0_5tupleIJPdS6_EEENSE_IJSB_SB_EEENS0_18inequality_wrapperIN6hipcub16HIPCUB_304000_NS8EqualityEEEPlJS6_EEE10hipError_tPvRmT3_T4_T5_T6_T7_T9_mT8_P12ihipStream_tbDpT10_ENKUlT_T0_E_clISt17integral_constantIbLb0EES17_EEDaS12_S13_EUlS12_E_NS1_11comp_targetILNS1_3genE8ELNS1_11target_archE1030ELNS1_3gpuE2ELNS1_3repE0EEENS1_30default_config_static_selectorELNS0_4arch9wavefront6targetE1EEEvT1_ ; -- Begin function _ZN7rocprim17ROCPRIM_400000_NS6detail17trampoline_kernelINS0_14default_configENS1_25partition_config_selectorILNS1_17partition_subalgoE8EdNS0_10empty_typeEbEEZZNS1_14partition_implILS5_8ELb0ES3_jPKdPS6_PKS6_NS0_5tupleIJPdS6_EEENSE_IJSB_SB_EEENS0_18inequality_wrapperIN6hipcub16HIPCUB_304000_NS8EqualityEEEPlJS6_EEE10hipError_tPvRmT3_T4_T5_T6_T7_T9_mT8_P12ihipStream_tbDpT10_ENKUlT_T0_E_clISt17integral_constantIbLb0EES17_EEDaS12_S13_EUlS12_E_NS1_11comp_targetILNS1_3genE8ELNS1_11target_archE1030ELNS1_3gpuE2ELNS1_3repE0EEENS1_30default_config_static_selectorELNS0_4arch9wavefront6targetE1EEEvT1_
	.globl	_ZN7rocprim17ROCPRIM_400000_NS6detail17trampoline_kernelINS0_14default_configENS1_25partition_config_selectorILNS1_17partition_subalgoE8EdNS0_10empty_typeEbEEZZNS1_14partition_implILS5_8ELb0ES3_jPKdPS6_PKS6_NS0_5tupleIJPdS6_EEENSE_IJSB_SB_EEENS0_18inequality_wrapperIN6hipcub16HIPCUB_304000_NS8EqualityEEEPlJS6_EEE10hipError_tPvRmT3_T4_T5_T6_T7_T9_mT8_P12ihipStream_tbDpT10_ENKUlT_T0_E_clISt17integral_constantIbLb0EES17_EEDaS12_S13_EUlS12_E_NS1_11comp_targetILNS1_3genE8ELNS1_11target_archE1030ELNS1_3gpuE2ELNS1_3repE0EEENS1_30default_config_static_selectorELNS0_4arch9wavefront6targetE1EEEvT1_
	.p2align	8
	.type	_ZN7rocprim17ROCPRIM_400000_NS6detail17trampoline_kernelINS0_14default_configENS1_25partition_config_selectorILNS1_17partition_subalgoE8EdNS0_10empty_typeEbEEZZNS1_14partition_implILS5_8ELb0ES3_jPKdPS6_PKS6_NS0_5tupleIJPdS6_EEENSE_IJSB_SB_EEENS0_18inequality_wrapperIN6hipcub16HIPCUB_304000_NS8EqualityEEEPlJS6_EEE10hipError_tPvRmT3_T4_T5_T6_T7_T9_mT8_P12ihipStream_tbDpT10_ENKUlT_T0_E_clISt17integral_constantIbLb0EES17_EEDaS12_S13_EUlS12_E_NS1_11comp_targetILNS1_3genE8ELNS1_11target_archE1030ELNS1_3gpuE2ELNS1_3repE0EEENS1_30default_config_static_selectorELNS0_4arch9wavefront6targetE1EEEvT1_,@function
_ZN7rocprim17ROCPRIM_400000_NS6detail17trampoline_kernelINS0_14default_configENS1_25partition_config_selectorILNS1_17partition_subalgoE8EdNS0_10empty_typeEbEEZZNS1_14partition_implILS5_8ELb0ES3_jPKdPS6_PKS6_NS0_5tupleIJPdS6_EEENSE_IJSB_SB_EEENS0_18inequality_wrapperIN6hipcub16HIPCUB_304000_NS8EqualityEEEPlJS6_EEE10hipError_tPvRmT3_T4_T5_T6_T7_T9_mT8_P12ihipStream_tbDpT10_ENKUlT_T0_E_clISt17integral_constantIbLb0EES17_EEDaS12_S13_EUlS12_E_NS1_11comp_targetILNS1_3genE8ELNS1_11target_archE1030ELNS1_3gpuE2ELNS1_3repE0EEENS1_30default_config_static_selectorELNS0_4arch9wavefront6targetE1EEEvT1_: ; @_ZN7rocprim17ROCPRIM_400000_NS6detail17trampoline_kernelINS0_14default_configENS1_25partition_config_selectorILNS1_17partition_subalgoE8EdNS0_10empty_typeEbEEZZNS1_14partition_implILS5_8ELb0ES3_jPKdPS6_PKS6_NS0_5tupleIJPdS6_EEENSE_IJSB_SB_EEENS0_18inequality_wrapperIN6hipcub16HIPCUB_304000_NS8EqualityEEEPlJS6_EEE10hipError_tPvRmT3_T4_T5_T6_T7_T9_mT8_P12ihipStream_tbDpT10_ENKUlT_T0_E_clISt17integral_constantIbLb0EES17_EEDaS12_S13_EUlS12_E_NS1_11comp_targetILNS1_3genE8ELNS1_11target_archE1030ELNS1_3gpuE2ELNS1_3repE0EEENS1_30default_config_static_selectorELNS0_4arch9wavefront6targetE1EEEvT1_
; %bb.0:
	.section	.rodata,"a",@progbits
	.p2align	6, 0x0
	.amdhsa_kernel _ZN7rocprim17ROCPRIM_400000_NS6detail17trampoline_kernelINS0_14default_configENS1_25partition_config_selectorILNS1_17partition_subalgoE8EdNS0_10empty_typeEbEEZZNS1_14partition_implILS5_8ELb0ES3_jPKdPS6_PKS6_NS0_5tupleIJPdS6_EEENSE_IJSB_SB_EEENS0_18inequality_wrapperIN6hipcub16HIPCUB_304000_NS8EqualityEEEPlJS6_EEE10hipError_tPvRmT3_T4_T5_T6_T7_T9_mT8_P12ihipStream_tbDpT10_ENKUlT_T0_E_clISt17integral_constantIbLb0EES17_EEDaS12_S13_EUlS12_E_NS1_11comp_targetILNS1_3genE8ELNS1_11target_archE1030ELNS1_3gpuE2ELNS1_3repE0EEENS1_30default_config_static_selectorELNS0_4arch9wavefront6targetE1EEEvT1_
		.amdhsa_group_segment_fixed_size 0
		.amdhsa_private_segment_fixed_size 0
		.amdhsa_kernarg_size 112
		.amdhsa_user_sgpr_count 2
		.amdhsa_user_sgpr_dispatch_ptr 0
		.amdhsa_user_sgpr_queue_ptr 0
		.amdhsa_user_sgpr_kernarg_segment_ptr 1
		.amdhsa_user_sgpr_dispatch_id 0
		.amdhsa_user_sgpr_kernarg_preload_length 0
		.amdhsa_user_sgpr_kernarg_preload_offset 0
		.amdhsa_user_sgpr_private_segment_size 0
		.amdhsa_uses_dynamic_stack 0
		.amdhsa_enable_private_segment 0
		.amdhsa_system_sgpr_workgroup_id_x 1
		.amdhsa_system_sgpr_workgroup_id_y 0
		.amdhsa_system_sgpr_workgroup_id_z 0
		.amdhsa_system_sgpr_workgroup_info 0
		.amdhsa_system_vgpr_workitem_id 0
		.amdhsa_next_free_vgpr 1
		.amdhsa_next_free_sgpr 0
		.amdhsa_accum_offset 4
		.amdhsa_reserve_vcc 0
		.amdhsa_float_round_mode_32 0
		.amdhsa_float_round_mode_16_64 0
		.amdhsa_float_denorm_mode_32 3
		.amdhsa_float_denorm_mode_16_64 3
		.amdhsa_dx10_clamp 1
		.amdhsa_ieee_mode 1
		.amdhsa_fp16_overflow 0
		.amdhsa_tg_split 0
		.amdhsa_exception_fp_ieee_invalid_op 0
		.amdhsa_exception_fp_denorm_src 0
		.amdhsa_exception_fp_ieee_div_zero 0
		.amdhsa_exception_fp_ieee_overflow 0
		.amdhsa_exception_fp_ieee_underflow 0
		.amdhsa_exception_fp_ieee_inexact 0
		.amdhsa_exception_int_div_zero 0
	.end_amdhsa_kernel
	.section	.text._ZN7rocprim17ROCPRIM_400000_NS6detail17trampoline_kernelINS0_14default_configENS1_25partition_config_selectorILNS1_17partition_subalgoE8EdNS0_10empty_typeEbEEZZNS1_14partition_implILS5_8ELb0ES3_jPKdPS6_PKS6_NS0_5tupleIJPdS6_EEENSE_IJSB_SB_EEENS0_18inequality_wrapperIN6hipcub16HIPCUB_304000_NS8EqualityEEEPlJS6_EEE10hipError_tPvRmT3_T4_T5_T6_T7_T9_mT8_P12ihipStream_tbDpT10_ENKUlT_T0_E_clISt17integral_constantIbLb0EES17_EEDaS12_S13_EUlS12_E_NS1_11comp_targetILNS1_3genE8ELNS1_11target_archE1030ELNS1_3gpuE2ELNS1_3repE0EEENS1_30default_config_static_selectorELNS0_4arch9wavefront6targetE1EEEvT1_,"axG",@progbits,_ZN7rocprim17ROCPRIM_400000_NS6detail17trampoline_kernelINS0_14default_configENS1_25partition_config_selectorILNS1_17partition_subalgoE8EdNS0_10empty_typeEbEEZZNS1_14partition_implILS5_8ELb0ES3_jPKdPS6_PKS6_NS0_5tupleIJPdS6_EEENSE_IJSB_SB_EEENS0_18inequality_wrapperIN6hipcub16HIPCUB_304000_NS8EqualityEEEPlJS6_EEE10hipError_tPvRmT3_T4_T5_T6_T7_T9_mT8_P12ihipStream_tbDpT10_ENKUlT_T0_E_clISt17integral_constantIbLb0EES17_EEDaS12_S13_EUlS12_E_NS1_11comp_targetILNS1_3genE8ELNS1_11target_archE1030ELNS1_3gpuE2ELNS1_3repE0EEENS1_30default_config_static_selectorELNS0_4arch9wavefront6targetE1EEEvT1_,comdat
.Lfunc_end279:
	.size	_ZN7rocprim17ROCPRIM_400000_NS6detail17trampoline_kernelINS0_14default_configENS1_25partition_config_selectorILNS1_17partition_subalgoE8EdNS0_10empty_typeEbEEZZNS1_14partition_implILS5_8ELb0ES3_jPKdPS6_PKS6_NS0_5tupleIJPdS6_EEENSE_IJSB_SB_EEENS0_18inequality_wrapperIN6hipcub16HIPCUB_304000_NS8EqualityEEEPlJS6_EEE10hipError_tPvRmT3_T4_T5_T6_T7_T9_mT8_P12ihipStream_tbDpT10_ENKUlT_T0_E_clISt17integral_constantIbLb0EES17_EEDaS12_S13_EUlS12_E_NS1_11comp_targetILNS1_3genE8ELNS1_11target_archE1030ELNS1_3gpuE2ELNS1_3repE0EEENS1_30default_config_static_selectorELNS0_4arch9wavefront6targetE1EEEvT1_, .Lfunc_end279-_ZN7rocprim17ROCPRIM_400000_NS6detail17trampoline_kernelINS0_14default_configENS1_25partition_config_selectorILNS1_17partition_subalgoE8EdNS0_10empty_typeEbEEZZNS1_14partition_implILS5_8ELb0ES3_jPKdPS6_PKS6_NS0_5tupleIJPdS6_EEENSE_IJSB_SB_EEENS0_18inequality_wrapperIN6hipcub16HIPCUB_304000_NS8EqualityEEEPlJS6_EEE10hipError_tPvRmT3_T4_T5_T6_T7_T9_mT8_P12ihipStream_tbDpT10_ENKUlT_T0_E_clISt17integral_constantIbLb0EES17_EEDaS12_S13_EUlS12_E_NS1_11comp_targetILNS1_3genE8ELNS1_11target_archE1030ELNS1_3gpuE2ELNS1_3repE0EEENS1_30default_config_static_selectorELNS0_4arch9wavefront6targetE1EEEvT1_
                                        ; -- End function
	.section	.AMDGPU.csdata,"",@progbits
; Kernel info:
; codeLenInByte = 0
; NumSgprs: 6
; NumVgprs: 0
; NumAgprs: 0
; TotalNumVgprs: 0
; ScratchSize: 0
; MemoryBound: 0
; FloatMode: 240
; IeeeMode: 1
; LDSByteSize: 0 bytes/workgroup (compile time only)
; SGPRBlocks: 0
; VGPRBlocks: 0
; NumSGPRsForWavesPerEU: 6
; NumVGPRsForWavesPerEU: 1
; AccumOffset: 4
; Occupancy: 8
; WaveLimiterHint : 0
; COMPUTE_PGM_RSRC2:SCRATCH_EN: 0
; COMPUTE_PGM_RSRC2:USER_SGPR: 2
; COMPUTE_PGM_RSRC2:TRAP_HANDLER: 0
; COMPUTE_PGM_RSRC2:TGID_X_EN: 1
; COMPUTE_PGM_RSRC2:TGID_Y_EN: 0
; COMPUTE_PGM_RSRC2:TGID_Z_EN: 0
; COMPUTE_PGM_RSRC2:TIDIG_COMP_CNT: 0
; COMPUTE_PGM_RSRC3_GFX90A:ACCUM_OFFSET: 0
; COMPUTE_PGM_RSRC3_GFX90A:TG_SPLIT: 0
	.section	.text._ZN7rocprim17ROCPRIM_400000_NS6detail17trampoline_kernelINS0_14default_configENS1_25partition_config_selectorILNS1_17partition_subalgoE8EdNS0_10empty_typeEbEEZZNS1_14partition_implILS5_8ELb0ES3_jPKdPS6_PKS6_NS0_5tupleIJPdS6_EEENSE_IJSB_SB_EEENS0_18inequality_wrapperIN6hipcub16HIPCUB_304000_NS8EqualityEEEPlJS6_EEE10hipError_tPvRmT3_T4_T5_T6_T7_T9_mT8_P12ihipStream_tbDpT10_ENKUlT_T0_E_clISt17integral_constantIbLb1EES17_EEDaS12_S13_EUlS12_E_NS1_11comp_targetILNS1_3genE0ELNS1_11target_archE4294967295ELNS1_3gpuE0ELNS1_3repE0EEENS1_30default_config_static_selectorELNS0_4arch9wavefront6targetE1EEEvT1_,"axG",@progbits,_ZN7rocprim17ROCPRIM_400000_NS6detail17trampoline_kernelINS0_14default_configENS1_25partition_config_selectorILNS1_17partition_subalgoE8EdNS0_10empty_typeEbEEZZNS1_14partition_implILS5_8ELb0ES3_jPKdPS6_PKS6_NS0_5tupleIJPdS6_EEENSE_IJSB_SB_EEENS0_18inequality_wrapperIN6hipcub16HIPCUB_304000_NS8EqualityEEEPlJS6_EEE10hipError_tPvRmT3_T4_T5_T6_T7_T9_mT8_P12ihipStream_tbDpT10_ENKUlT_T0_E_clISt17integral_constantIbLb1EES17_EEDaS12_S13_EUlS12_E_NS1_11comp_targetILNS1_3genE0ELNS1_11target_archE4294967295ELNS1_3gpuE0ELNS1_3repE0EEENS1_30default_config_static_selectorELNS0_4arch9wavefront6targetE1EEEvT1_,comdat
	.protected	_ZN7rocprim17ROCPRIM_400000_NS6detail17trampoline_kernelINS0_14default_configENS1_25partition_config_selectorILNS1_17partition_subalgoE8EdNS0_10empty_typeEbEEZZNS1_14partition_implILS5_8ELb0ES3_jPKdPS6_PKS6_NS0_5tupleIJPdS6_EEENSE_IJSB_SB_EEENS0_18inequality_wrapperIN6hipcub16HIPCUB_304000_NS8EqualityEEEPlJS6_EEE10hipError_tPvRmT3_T4_T5_T6_T7_T9_mT8_P12ihipStream_tbDpT10_ENKUlT_T0_E_clISt17integral_constantIbLb1EES17_EEDaS12_S13_EUlS12_E_NS1_11comp_targetILNS1_3genE0ELNS1_11target_archE4294967295ELNS1_3gpuE0ELNS1_3repE0EEENS1_30default_config_static_selectorELNS0_4arch9wavefront6targetE1EEEvT1_ ; -- Begin function _ZN7rocprim17ROCPRIM_400000_NS6detail17trampoline_kernelINS0_14default_configENS1_25partition_config_selectorILNS1_17partition_subalgoE8EdNS0_10empty_typeEbEEZZNS1_14partition_implILS5_8ELb0ES3_jPKdPS6_PKS6_NS0_5tupleIJPdS6_EEENSE_IJSB_SB_EEENS0_18inequality_wrapperIN6hipcub16HIPCUB_304000_NS8EqualityEEEPlJS6_EEE10hipError_tPvRmT3_T4_T5_T6_T7_T9_mT8_P12ihipStream_tbDpT10_ENKUlT_T0_E_clISt17integral_constantIbLb1EES17_EEDaS12_S13_EUlS12_E_NS1_11comp_targetILNS1_3genE0ELNS1_11target_archE4294967295ELNS1_3gpuE0ELNS1_3repE0EEENS1_30default_config_static_selectorELNS0_4arch9wavefront6targetE1EEEvT1_
	.globl	_ZN7rocprim17ROCPRIM_400000_NS6detail17trampoline_kernelINS0_14default_configENS1_25partition_config_selectorILNS1_17partition_subalgoE8EdNS0_10empty_typeEbEEZZNS1_14partition_implILS5_8ELb0ES3_jPKdPS6_PKS6_NS0_5tupleIJPdS6_EEENSE_IJSB_SB_EEENS0_18inequality_wrapperIN6hipcub16HIPCUB_304000_NS8EqualityEEEPlJS6_EEE10hipError_tPvRmT3_T4_T5_T6_T7_T9_mT8_P12ihipStream_tbDpT10_ENKUlT_T0_E_clISt17integral_constantIbLb1EES17_EEDaS12_S13_EUlS12_E_NS1_11comp_targetILNS1_3genE0ELNS1_11target_archE4294967295ELNS1_3gpuE0ELNS1_3repE0EEENS1_30default_config_static_selectorELNS0_4arch9wavefront6targetE1EEEvT1_
	.p2align	8
	.type	_ZN7rocprim17ROCPRIM_400000_NS6detail17trampoline_kernelINS0_14default_configENS1_25partition_config_selectorILNS1_17partition_subalgoE8EdNS0_10empty_typeEbEEZZNS1_14partition_implILS5_8ELb0ES3_jPKdPS6_PKS6_NS0_5tupleIJPdS6_EEENSE_IJSB_SB_EEENS0_18inequality_wrapperIN6hipcub16HIPCUB_304000_NS8EqualityEEEPlJS6_EEE10hipError_tPvRmT3_T4_T5_T6_T7_T9_mT8_P12ihipStream_tbDpT10_ENKUlT_T0_E_clISt17integral_constantIbLb1EES17_EEDaS12_S13_EUlS12_E_NS1_11comp_targetILNS1_3genE0ELNS1_11target_archE4294967295ELNS1_3gpuE0ELNS1_3repE0EEENS1_30default_config_static_selectorELNS0_4arch9wavefront6targetE1EEEvT1_,@function
_ZN7rocprim17ROCPRIM_400000_NS6detail17trampoline_kernelINS0_14default_configENS1_25partition_config_selectorILNS1_17partition_subalgoE8EdNS0_10empty_typeEbEEZZNS1_14partition_implILS5_8ELb0ES3_jPKdPS6_PKS6_NS0_5tupleIJPdS6_EEENSE_IJSB_SB_EEENS0_18inequality_wrapperIN6hipcub16HIPCUB_304000_NS8EqualityEEEPlJS6_EEE10hipError_tPvRmT3_T4_T5_T6_T7_T9_mT8_P12ihipStream_tbDpT10_ENKUlT_T0_E_clISt17integral_constantIbLb1EES17_EEDaS12_S13_EUlS12_E_NS1_11comp_targetILNS1_3genE0ELNS1_11target_archE4294967295ELNS1_3gpuE0ELNS1_3repE0EEENS1_30default_config_static_selectorELNS0_4arch9wavefront6targetE1EEEvT1_: ; @_ZN7rocprim17ROCPRIM_400000_NS6detail17trampoline_kernelINS0_14default_configENS1_25partition_config_selectorILNS1_17partition_subalgoE8EdNS0_10empty_typeEbEEZZNS1_14partition_implILS5_8ELb0ES3_jPKdPS6_PKS6_NS0_5tupleIJPdS6_EEENSE_IJSB_SB_EEENS0_18inequality_wrapperIN6hipcub16HIPCUB_304000_NS8EqualityEEEPlJS6_EEE10hipError_tPvRmT3_T4_T5_T6_T7_T9_mT8_P12ihipStream_tbDpT10_ENKUlT_T0_E_clISt17integral_constantIbLb1EES17_EEDaS12_S13_EUlS12_E_NS1_11comp_targetILNS1_3genE0ELNS1_11target_archE4294967295ELNS1_3gpuE0ELNS1_3repE0EEENS1_30default_config_static_selectorELNS0_4arch9wavefront6targetE1EEEvT1_
; %bb.0:
	.section	.rodata,"a",@progbits
	.p2align	6, 0x0
	.amdhsa_kernel _ZN7rocprim17ROCPRIM_400000_NS6detail17trampoline_kernelINS0_14default_configENS1_25partition_config_selectorILNS1_17partition_subalgoE8EdNS0_10empty_typeEbEEZZNS1_14partition_implILS5_8ELb0ES3_jPKdPS6_PKS6_NS0_5tupleIJPdS6_EEENSE_IJSB_SB_EEENS0_18inequality_wrapperIN6hipcub16HIPCUB_304000_NS8EqualityEEEPlJS6_EEE10hipError_tPvRmT3_T4_T5_T6_T7_T9_mT8_P12ihipStream_tbDpT10_ENKUlT_T0_E_clISt17integral_constantIbLb1EES17_EEDaS12_S13_EUlS12_E_NS1_11comp_targetILNS1_3genE0ELNS1_11target_archE4294967295ELNS1_3gpuE0ELNS1_3repE0EEENS1_30default_config_static_selectorELNS0_4arch9wavefront6targetE1EEEvT1_
		.amdhsa_group_segment_fixed_size 0
		.amdhsa_private_segment_fixed_size 0
		.amdhsa_kernarg_size 128
		.amdhsa_user_sgpr_count 2
		.amdhsa_user_sgpr_dispatch_ptr 0
		.amdhsa_user_sgpr_queue_ptr 0
		.amdhsa_user_sgpr_kernarg_segment_ptr 1
		.amdhsa_user_sgpr_dispatch_id 0
		.amdhsa_user_sgpr_kernarg_preload_length 0
		.amdhsa_user_sgpr_kernarg_preload_offset 0
		.amdhsa_user_sgpr_private_segment_size 0
		.amdhsa_uses_dynamic_stack 0
		.amdhsa_enable_private_segment 0
		.amdhsa_system_sgpr_workgroup_id_x 1
		.amdhsa_system_sgpr_workgroup_id_y 0
		.amdhsa_system_sgpr_workgroup_id_z 0
		.amdhsa_system_sgpr_workgroup_info 0
		.amdhsa_system_vgpr_workitem_id 0
		.amdhsa_next_free_vgpr 1
		.amdhsa_next_free_sgpr 0
		.amdhsa_accum_offset 4
		.amdhsa_reserve_vcc 0
		.amdhsa_float_round_mode_32 0
		.amdhsa_float_round_mode_16_64 0
		.amdhsa_float_denorm_mode_32 3
		.amdhsa_float_denorm_mode_16_64 3
		.amdhsa_dx10_clamp 1
		.amdhsa_ieee_mode 1
		.amdhsa_fp16_overflow 0
		.amdhsa_tg_split 0
		.amdhsa_exception_fp_ieee_invalid_op 0
		.amdhsa_exception_fp_denorm_src 0
		.amdhsa_exception_fp_ieee_div_zero 0
		.amdhsa_exception_fp_ieee_overflow 0
		.amdhsa_exception_fp_ieee_underflow 0
		.amdhsa_exception_fp_ieee_inexact 0
		.amdhsa_exception_int_div_zero 0
	.end_amdhsa_kernel
	.section	.text._ZN7rocprim17ROCPRIM_400000_NS6detail17trampoline_kernelINS0_14default_configENS1_25partition_config_selectorILNS1_17partition_subalgoE8EdNS0_10empty_typeEbEEZZNS1_14partition_implILS5_8ELb0ES3_jPKdPS6_PKS6_NS0_5tupleIJPdS6_EEENSE_IJSB_SB_EEENS0_18inequality_wrapperIN6hipcub16HIPCUB_304000_NS8EqualityEEEPlJS6_EEE10hipError_tPvRmT3_T4_T5_T6_T7_T9_mT8_P12ihipStream_tbDpT10_ENKUlT_T0_E_clISt17integral_constantIbLb1EES17_EEDaS12_S13_EUlS12_E_NS1_11comp_targetILNS1_3genE0ELNS1_11target_archE4294967295ELNS1_3gpuE0ELNS1_3repE0EEENS1_30default_config_static_selectorELNS0_4arch9wavefront6targetE1EEEvT1_,"axG",@progbits,_ZN7rocprim17ROCPRIM_400000_NS6detail17trampoline_kernelINS0_14default_configENS1_25partition_config_selectorILNS1_17partition_subalgoE8EdNS0_10empty_typeEbEEZZNS1_14partition_implILS5_8ELb0ES3_jPKdPS6_PKS6_NS0_5tupleIJPdS6_EEENSE_IJSB_SB_EEENS0_18inequality_wrapperIN6hipcub16HIPCUB_304000_NS8EqualityEEEPlJS6_EEE10hipError_tPvRmT3_T4_T5_T6_T7_T9_mT8_P12ihipStream_tbDpT10_ENKUlT_T0_E_clISt17integral_constantIbLb1EES17_EEDaS12_S13_EUlS12_E_NS1_11comp_targetILNS1_3genE0ELNS1_11target_archE4294967295ELNS1_3gpuE0ELNS1_3repE0EEENS1_30default_config_static_selectorELNS0_4arch9wavefront6targetE1EEEvT1_,comdat
.Lfunc_end280:
	.size	_ZN7rocprim17ROCPRIM_400000_NS6detail17trampoline_kernelINS0_14default_configENS1_25partition_config_selectorILNS1_17partition_subalgoE8EdNS0_10empty_typeEbEEZZNS1_14partition_implILS5_8ELb0ES3_jPKdPS6_PKS6_NS0_5tupleIJPdS6_EEENSE_IJSB_SB_EEENS0_18inequality_wrapperIN6hipcub16HIPCUB_304000_NS8EqualityEEEPlJS6_EEE10hipError_tPvRmT3_T4_T5_T6_T7_T9_mT8_P12ihipStream_tbDpT10_ENKUlT_T0_E_clISt17integral_constantIbLb1EES17_EEDaS12_S13_EUlS12_E_NS1_11comp_targetILNS1_3genE0ELNS1_11target_archE4294967295ELNS1_3gpuE0ELNS1_3repE0EEENS1_30default_config_static_selectorELNS0_4arch9wavefront6targetE1EEEvT1_, .Lfunc_end280-_ZN7rocprim17ROCPRIM_400000_NS6detail17trampoline_kernelINS0_14default_configENS1_25partition_config_selectorILNS1_17partition_subalgoE8EdNS0_10empty_typeEbEEZZNS1_14partition_implILS5_8ELb0ES3_jPKdPS6_PKS6_NS0_5tupleIJPdS6_EEENSE_IJSB_SB_EEENS0_18inequality_wrapperIN6hipcub16HIPCUB_304000_NS8EqualityEEEPlJS6_EEE10hipError_tPvRmT3_T4_T5_T6_T7_T9_mT8_P12ihipStream_tbDpT10_ENKUlT_T0_E_clISt17integral_constantIbLb1EES17_EEDaS12_S13_EUlS12_E_NS1_11comp_targetILNS1_3genE0ELNS1_11target_archE4294967295ELNS1_3gpuE0ELNS1_3repE0EEENS1_30default_config_static_selectorELNS0_4arch9wavefront6targetE1EEEvT1_
                                        ; -- End function
	.section	.AMDGPU.csdata,"",@progbits
; Kernel info:
; codeLenInByte = 0
; NumSgprs: 6
; NumVgprs: 0
; NumAgprs: 0
; TotalNumVgprs: 0
; ScratchSize: 0
; MemoryBound: 0
; FloatMode: 240
; IeeeMode: 1
; LDSByteSize: 0 bytes/workgroup (compile time only)
; SGPRBlocks: 0
; VGPRBlocks: 0
; NumSGPRsForWavesPerEU: 6
; NumVGPRsForWavesPerEU: 1
; AccumOffset: 4
; Occupancy: 8
; WaveLimiterHint : 0
; COMPUTE_PGM_RSRC2:SCRATCH_EN: 0
; COMPUTE_PGM_RSRC2:USER_SGPR: 2
; COMPUTE_PGM_RSRC2:TRAP_HANDLER: 0
; COMPUTE_PGM_RSRC2:TGID_X_EN: 1
; COMPUTE_PGM_RSRC2:TGID_Y_EN: 0
; COMPUTE_PGM_RSRC2:TGID_Z_EN: 0
; COMPUTE_PGM_RSRC2:TIDIG_COMP_CNT: 0
; COMPUTE_PGM_RSRC3_GFX90A:ACCUM_OFFSET: 0
; COMPUTE_PGM_RSRC3_GFX90A:TG_SPLIT: 0
	.section	.text._ZN7rocprim17ROCPRIM_400000_NS6detail17trampoline_kernelINS0_14default_configENS1_25partition_config_selectorILNS1_17partition_subalgoE8EdNS0_10empty_typeEbEEZZNS1_14partition_implILS5_8ELb0ES3_jPKdPS6_PKS6_NS0_5tupleIJPdS6_EEENSE_IJSB_SB_EEENS0_18inequality_wrapperIN6hipcub16HIPCUB_304000_NS8EqualityEEEPlJS6_EEE10hipError_tPvRmT3_T4_T5_T6_T7_T9_mT8_P12ihipStream_tbDpT10_ENKUlT_T0_E_clISt17integral_constantIbLb1EES17_EEDaS12_S13_EUlS12_E_NS1_11comp_targetILNS1_3genE5ELNS1_11target_archE942ELNS1_3gpuE9ELNS1_3repE0EEENS1_30default_config_static_selectorELNS0_4arch9wavefront6targetE1EEEvT1_,"axG",@progbits,_ZN7rocprim17ROCPRIM_400000_NS6detail17trampoline_kernelINS0_14default_configENS1_25partition_config_selectorILNS1_17partition_subalgoE8EdNS0_10empty_typeEbEEZZNS1_14partition_implILS5_8ELb0ES3_jPKdPS6_PKS6_NS0_5tupleIJPdS6_EEENSE_IJSB_SB_EEENS0_18inequality_wrapperIN6hipcub16HIPCUB_304000_NS8EqualityEEEPlJS6_EEE10hipError_tPvRmT3_T4_T5_T6_T7_T9_mT8_P12ihipStream_tbDpT10_ENKUlT_T0_E_clISt17integral_constantIbLb1EES17_EEDaS12_S13_EUlS12_E_NS1_11comp_targetILNS1_3genE5ELNS1_11target_archE942ELNS1_3gpuE9ELNS1_3repE0EEENS1_30default_config_static_selectorELNS0_4arch9wavefront6targetE1EEEvT1_,comdat
	.protected	_ZN7rocprim17ROCPRIM_400000_NS6detail17trampoline_kernelINS0_14default_configENS1_25partition_config_selectorILNS1_17partition_subalgoE8EdNS0_10empty_typeEbEEZZNS1_14partition_implILS5_8ELb0ES3_jPKdPS6_PKS6_NS0_5tupleIJPdS6_EEENSE_IJSB_SB_EEENS0_18inequality_wrapperIN6hipcub16HIPCUB_304000_NS8EqualityEEEPlJS6_EEE10hipError_tPvRmT3_T4_T5_T6_T7_T9_mT8_P12ihipStream_tbDpT10_ENKUlT_T0_E_clISt17integral_constantIbLb1EES17_EEDaS12_S13_EUlS12_E_NS1_11comp_targetILNS1_3genE5ELNS1_11target_archE942ELNS1_3gpuE9ELNS1_3repE0EEENS1_30default_config_static_selectorELNS0_4arch9wavefront6targetE1EEEvT1_ ; -- Begin function _ZN7rocprim17ROCPRIM_400000_NS6detail17trampoline_kernelINS0_14default_configENS1_25partition_config_selectorILNS1_17partition_subalgoE8EdNS0_10empty_typeEbEEZZNS1_14partition_implILS5_8ELb0ES3_jPKdPS6_PKS6_NS0_5tupleIJPdS6_EEENSE_IJSB_SB_EEENS0_18inequality_wrapperIN6hipcub16HIPCUB_304000_NS8EqualityEEEPlJS6_EEE10hipError_tPvRmT3_T4_T5_T6_T7_T9_mT8_P12ihipStream_tbDpT10_ENKUlT_T0_E_clISt17integral_constantIbLb1EES17_EEDaS12_S13_EUlS12_E_NS1_11comp_targetILNS1_3genE5ELNS1_11target_archE942ELNS1_3gpuE9ELNS1_3repE0EEENS1_30default_config_static_selectorELNS0_4arch9wavefront6targetE1EEEvT1_
	.globl	_ZN7rocprim17ROCPRIM_400000_NS6detail17trampoline_kernelINS0_14default_configENS1_25partition_config_selectorILNS1_17partition_subalgoE8EdNS0_10empty_typeEbEEZZNS1_14partition_implILS5_8ELb0ES3_jPKdPS6_PKS6_NS0_5tupleIJPdS6_EEENSE_IJSB_SB_EEENS0_18inequality_wrapperIN6hipcub16HIPCUB_304000_NS8EqualityEEEPlJS6_EEE10hipError_tPvRmT3_T4_T5_T6_T7_T9_mT8_P12ihipStream_tbDpT10_ENKUlT_T0_E_clISt17integral_constantIbLb1EES17_EEDaS12_S13_EUlS12_E_NS1_11comp_targetILNS1_3genE5ELNS1_11target_archE942ELNS1_3gpuE9ELNS1_3repE0EEENS1_30default_config_static_selectorELNS0_4arch9wavefront6targetE1EEEvT1_
	.p2align	8
	.type	_ZN7rocprim17ROCPRIM_400000_NS6detail17trampoline_kernelINS0_14default_configENS1_25partition_config_selectorILNS1_17partition_subalgoE8EdNS0_10empty_typeEbEEZZNS1_14partition_implILS5_8ELb0ES3_jPKdPS6_PKS6_NS0_5tupleIJPdS6_EEENSE_IJSB_SB_EEENS0_18inequality_wrapperIN6hipcub16HIPCUB_304000_NS8EqualityEEEPlJS6_EEE10hipError_tPvRmT3_T4_T5_T6_T7_T9_mT8_P12ihipStream_tbDpT10_ENKUlT_T0_E_clISt17integral_constantIbLb1EES17_EEDaS12_S13_EUlS12_E_NS1_11comp_targetILNS1_3genE5ELNS1_11target_archE942ELNS1_3gpuE9ELNS1_3repE0EEENS1_30default_config_static_selectorELNS0_4arch9wavefront6targetE1EEEvT1_,@function
_ZN7rocprim17ROCPRIM_400000_NS6detail17trampoline_kernelINS0_14default_configENS1_25partition_config_selectorILNS1_17partition_subalgoE8EdNS0_10empty_typeEbEEZZNS1_14partition_implILS5_8ELb0ES3_jPKdPS6_PKS6_NS0_5tupleIJPdS6_EEENSE_IJSB_SB_EEENS0_18inequality_wrapperIN6hipcub16HIPCUB_304000_NS8EqualityEEEPlJS6_EEE10hipError_tPvRmT3_T4_T5_T6_T7_T9_mT8_P12ihipStream_tbDpT10_ENKUlT_T0_E_clISt17integral_constantIbLb1EES17_EEDaS12_S13_EUlS12_E_NS1_11comp_targetILNS1_3genE5ELNS1_11target_archE942ELNS1_3gpuE9ELNS1_3repE0EEENS1_30default_config_static_selectorELNS0_4arch9wavefront6targetE1EEEvT1_: ; @_ZN7rocprim17ROCPRIM_400000_NS6detail17trampoline_kernelINS0_14default_configENS1_25partition_config_selectorILNS1_17partition_subalgoE8EdNS0_10empty_typeEbEEZZNS1_14partition_implILS5_8ELb0ES3_jPKdPS6_PKS6_NS0_5tupleIJPdS6_EEENSE_IJSB_SB_EEENS0_18inequality_wrapperIN6hipcub16HIPCUB_304000_NS8EqualityEEEPlJS6_EEE10hipError_tPvRmT3_T4_T5_T6_T7_T9_mT8_P12ihipStream_tbDpT10_ENKUlT_T0_E_clISt17integral_constantIbLb1EES17_EEDaS12_S13_EUlS12_E_NS1_11comp_targetILNS1_3genE5ELNS1_11target_archE942ELNS1_3gpuE9ELNS1_3repE0EEENS1_30default_config_static_selectorELNS0_4arch9wavefront6targetE1EEEvT1_
; %bb.0:
	s_load_dwordx4 s[20:23], s[0:1], 0x40
	s_load_dwordx2 s[8:9], s[0:1], 0x50
	s_load_dwordx2 s[28:29], s[0:1], 0x60
	v_cmp_ne_u32_e64 s[2:3], 0, v0
	v_cmp_eq_u32_e64 s[18:19], 0, v0
	s_and_saveexec_b64 s[4:5], s[18:19]
	s_cbranch_execz .LBB281_4
; %bb.1:
	s_mov_b64 s[10:11], exec
	v_mbcnt_lo_u32_b32 v1, s10, 0
	v_mbcnt_hi_u32_b32 v1, s11, v1
	v_cmp_eq_u32_e32 vcc, 0, v1
                                        ; implicit-def: $vgpr2
	s_and_saveexec_b64 s[6:7], vcc
	s_cbranch_execz .LBB281_3
; %bb.2:
	s_load_dwordx2 s[12:13], s[0:1], 0x70
	s_bcnt1_i32_b64 s10, s[10:11]
	v_mov_b32_e32 v2, 0
	v_mov_b32_e32 v3, s10
	s_waitcnt lgkmcnt(0)
	global_atomic_add v2, v2, v3, s[12:13] sc0
.LBB281_3:
	s_or_b64 exec, exec, s[6:7]
	s_waitcnt vmcnt(0)
	v_readfirstlane_b32 s6, v2
	v_mov_b32_e32 v2, 0
	s_nop 0
	v_add_u32_e32 v1, s6, v1
	ds_write_b32 v2, v1
.LBB281_4:
	s_or_b64 exec, exec, s[4:5]
	v_mov_b32_e32 v3, 0
	s_load_dwordx4 s[4:7], s[0:1], 0x8
	s_load_dwordx2 s[24:25], s[0:1], 0x28
	s_load_dword s10, s[0:1], 0x68
	s_waitcnt lgkmcnt(0)
	s_barrier
	ds_read_b32 v1, v3
	s_waitcnt lgkmcnt(0)
	s_barrier
	global_load_dwordx2 v[18:19], v3, s[22:23]
	s_lshl_b64 s[0:1], s[6:7], 3
	s_add_u32 s4, s4, s0
	s_movk_i32 s0, 0xe00
	v_mul_lo_u32 v2, v1, s0
	s_mul_i32 s0, s10, 0xe00
	s_addc_u32 s5, s5, s1
	s_add_i32 s1, s0, s6
	v_mov_b32_e32 v5, s9
	s_add_i32 s9, s10, -1
	s_sub_i32 s34, s8, s1
	s_add_u32 s0, s6, s0
	v_readfirstlane_b32 s33, v1
	s_addc_u32 s1, s7, 0
	v_mov_b32_e32 v4, s8
	s_cmp_eq_u32 s33, s9
	v_cmp_ge_u64_e32 vcc, s[0:1], v[4:5]
	s_cselect_b64 s[22:23], -1, 0
	s_and_b64 s[14:15], vcc, s[22:23]
	s_xor_b64 s[26:27], s[14:15], -1
	v_lshlrev_b64 v[4:5], 3, v[2:3]
	s_mov_b64 s[0:1], -1
	v_lshl_add_u64 v[20:21], s[4:5], 0, v[4:5]
	s_and_b64 vcc, exec, s[26:27]
	s_cbranch_vccz .LBB281_6
; %bb.5:
	v_lshlrev_b32_e32 v2, 3, v0
	v_lshl_add_u64 v[4:5], v[20:21], 0, v[2:3]
	v_add_co_u32_e32 v8, vcc, 0x1000, v4
	v_readfirstlane_b32 s0, v20
	s_nop 0
	v_addc_co_u32_e32 v9, vcc, 0, v5, vcc
	v_add_co_u32_e32 v10, vcc, 0x2000, v4
	v_readfirstlane_b32 s1, v21
	s_nop 0
	v_addc_co_u32_e32 v11, vcc, 0, v5, vcc
	v_add_co_u32_e32 v12, vcc, 0x3000, v4
	s_nop 1
	v_addc_co_u32_e32 v13, vcc, 0, v5, vcc
	v_add_co_u32_e32 v14, vcc, 0x4000, v4
	global_load_dwordx2 v[6:7], v2, s[0:1]
	s_nop 0
	v_addc_co_u32_e32 v15, vcc, 0, v5, vcc
	global_load_dwordx2 v[16:17], v[8:9], off
	global_load_dwordx2 v[22:23], v[10:11], off
	;; [unrolled: 1-line block ×4, first 2 shown]
	v_add_co_u32_e32 v8, vcc, 0x5000, v4
	s_mov_b64 s[0:1], 0
	s_nop 0
	v_addc_co_u32_e32 v9, vcc, 0, v5, vcc
	v_add_co_u32_e32 v4, vcc, 0x6000, v4
	global_load_dwordx2 v[8:9], v[8:9], off
	s_nop 0
	v_addc_co_u32_e32 v5, vcc, 0, v5, vcc
	global_load_dwordx2 v[4:5], v[4:5], off
	s_waitcnt vmcnt(5)
	ds_write2st64_b64 v2, v[6:7], v[16:17] offset1:8
	s_waitcnt vmcnt(3)
	ds_write2st64_b64 v2, v[22:23], v[24:25] offset0:16 offset1:24
	s_waitcnt vmcnt(1)
	ds_write2st64_b64 v2, v[26:27], v[8:9] offset0:32 offset1:40
	s_waitcnt vmcnt(0)
	ds_write_b64 v2, v[4:5] offset:24576
	s_waitcnt lgkmcnt(0)
	s_barrier
.LBB281_6:
	s_andn2_b64 vcc, exec, s[0:1]
	s_addk_i32 s34, 0xe00
	s_cbranch_vccnz .LBB281_22
; %bb.7:
	v_cmp_gt_u32_e32 vcc, s34, v0
                                        ; implicit-def: $vgpr2_vgpr3_vgpr4_vgpr5_vgpr6_vgpr7_vgpr8_vgpr9_vgpr10_vgpr11_vgpr12_vgpr13_vgpr14_vgpr15_vgpr16_vgpr17
	s_and_saveexec_b64 s[0:1], vcc
	s_cbranch_execz .LBB281_9
; %bb.8:
	v_lshlrev_b32_e32 v1, 3, v0
	v_readfirstlane_b32 s4, v20
	v_readfirstlane_b32 s5, v21
	s_nop 4
	global_load_dwordx2 v[2:3], v1, s[4:5]
.LBB281_9:
	s_or_b64 exec, exec, s[0:1]
	v_or_b32_e32 v1, 0x200, v0
	v_cmp_gt_u32_e32 vcc, s34, v1
	s_and_saveexec_b64 s[0:1], vcc
	s_cbranch_execz .LBB281_11
; %bb.10:
	v_lshlrev_b32_e32 v1, 3, v1
	v_readfirstlane_b32 s4, v20
	v_readfirstlane_b32 s5, v21
	s_nop 4
	global_load_dwordx2 v[4:5], v1, s[4:5]
.LBB281_11:
	s_or_b64 exec, exec, s[0:1]
	v_or_b32_e32 v1, 0x400, v0
	v_cmp_gt_u32_e32 vcc, s34, v1
	;; [unrolled: 12-line block ×6, first 2 shown]
	s_and_saveexec_b64 s[0:1], vcc
	s_cbranch_execz .LBB281_21
; %bb.20:
	v_lshlrev_b32_e32 v1, 3, v1
	v_readfirstlane_b32 s4, v20
	v_readfirstlane_b32 s5, v21
	s_nop 4
	global_load_dwordx2 v[14:15], v1, s[4:5]
.LBB281_21:
	s_or_b64 exec, exec, s[0:1]
	v_lshlrev_b32_e32 v1, 3, v0
	s_waitcnt vmcnt(0)
	ds_write2st64_b64 v1, v[2:3], v[4:5] offset1:8
	ds_write2st64_b64 v1, v[6:7], v[8:9] offset0:16 offset1:24
	ds_write2st64_b64 v1, v[10:11], v[12:13] offset0:32 offset1:40
	ds_write_b64 v1, v[14:15] offset:24576
	s_waitcnt lgkmcnt(0)
	s_barrier
.LBB281_22:
	v_mul_u32_u24_e32 v22, 7, v0
	v_lshlrev_b32_e32 v1, 3, v22
	ds_read2_b64 v[10:13], v1 offset1:1
	ds_read2_b64 v[6:9], v1 offset0:2 offset1:3
	ds_read2_b64 v[2:5], v1 offset0:4 offset1:5
	ds_read_b64 v[14:15], v1 offset:48
	s_cmp_lg_u32 s33, 0
	s_cselect_b64 s[16:17], -1, 0
	s_cmp_lg_u64 s[6:7], 0
	s_cselect_b64 s[0:1], -1, 0
	s_or_b64 s[0:1], s[0:1], s[16:17]
	v_mad_u32_u24 v24, v0, 7, 1
	v_mad_u32_u24 v23, v0, 7, 2
	;; [unrolled: 1-line block ×6, first 2 shown]
	s_mov_b64 s[30:31], 0
	s_and_b64 vcc, exec, s[0:1]
	s_waitcnt lgkmcnt(0)
	s_barrier
	s_cbranch_vccz .LBB281_27
; %bb.23:
	global_load_dwordx2 v[16:17], v[20:21], off offset:-8
	v_lshlrev_b32_e32 v32, 3, v0
	s_and_b64 vcc, exec, s[26:27]
	ds_write_b64 v32, v[14:15]
	s_cbranch_vccz .LBB281_29
; %bb.24:
	s_waitcnt vmcnt(0)
	v_mov_b64_e32 v[20:21], v[16:17]
	s_waitcnt lgkmcnt(0)
	s_barrier
	s_and_saveexec_b64 s[0:1], s[2:3]
	s_cbranch_execz .LBB281_26
; %bb.25:
	v_add_u32_e32 v20, -8, v32
	ds_read_b64 v[20:21], v20
.LBB281_26:
	s_or_b64 exec, exec, s[0:1]
	v_cmp_neq_f64_e32 vcc, v[4:5], v[14:15]
	s_waitcnt lgkmcnt(0)
	v_cmp_neq_f64_e64 s[0:1], v[20:21], v[10:11]
	v_cndmask_b32_e64 v31, 0, 1, vcc
	v_cmp_neq_f64_e32 vcc, v[2:3], v[4:5]
	s_nop 1
	v_cndmask_b32_e64 v29, 0, 1, vcc
	v_cmp_neq_f64_e32 vcc, v[8:9], v[2:3]
	s_nop 1
	;; [unrolled: 3-line block ×3, first 2 shown]
	v_cndmask_b32_e64 v33, 0, 1, vcc
	v_cmp_neq_f64_e32 vcc, v[12:13], v[6:7]
	v_lshlrev_b16_e32 v20, 8, v33
	s_nop 0
	v_cndmask_b32_e64 v34, 0, 1, vcc
	v_cmp_neq_f64_e32 vcc, v[10:11], v[12:13]
	v_or_b32_sdwa v20, v34, v20 dst_sel:WORD_1 dst_unused:UNUSED_PAD src0_sel:DWORD src1_sel:DWORD
	s_nop 0
	v_cndmask_b32_e64 v35, 0, 1, vcc
	v_lshlrev_b16_e32 v21, 8, v35
	v_or_b32_e32 v20, v21, v20
	s_branch .LBB281_33
.LBB281_27:
                                        ; implicit-def: $sgpr0_sgpr1
                                        ; implicit-def: $vgpr31
                                        ; implicit-def: $vgpr29
                                        ; implicit-def: $vgpr30
                                        ; implicit-def: $vgpr20
	s_branch .LBB281_34
.LBB281_28:
                                        ; implicit-def: $vgpr16_vgpr17
	s_and_saveexec_b64 s[2:3], s[30:31]
	s_cbranch_execnz .LBB281_42
	s_branch .LBB281_43
.LBB281_29:
                                        ; implicit-def: $sgpr0_sgpr1
                                        ; implicit-def: $vgpr31
                                        ; implicit-def: $vgpr29
                                        ; implicit-def: $vgpr30
                                        ; implicit-def: $vgpr20
	s_cbranch_execz .LBB281_33
; %bb.30:
	s_waitcnt lgkmcnt(0)
	s_barrier
	s_and_saveexec_b64 s[0:1], s[2:3]
	s_cbranch_execz .LBB281_32
; %bb.31:
	s_waitcnt vmcnt(0)
	v_add_u32_e32 v16, -8, v32
	ds_read_b64 v[16:17], v16
.LBB281_32:
	s_or_b64 exec, exec, s[0:1]
	v_cmp_gt_u32_e32 vcc, s34, v26
	v_cmp_neq_f64_e64 s[0:1], v[4:5], v[14:15]
	s_and_b64 s[0:1], vcc, s[0:1]
	v_cmp_gt_u32_e32 vcc, s34, v28
	v_cndmask_b32_e64 v31, 0, 1, s[0:1]
	v_cmp_neq_f64_e64 s[0:1], v[2:3], v[4:5]
	s_and_b64 s[0:1], vcc, s[0:1]
	v_cmp_gt_u32_e32 vcc, s34, v25
	v_cndmask_b32_e64 v29, 0, 1, s[0:1]
	;; [unrolled: 4-line block ×6, first 2 shown]
	s_waitcnt vmcnt(0) lgkmcnt(0)
	v_cmp_neq_f64_e64 s[0:1], v[16:17], v[10:11]
	v_lshlrev_b16_e32 v16, 8, v20
	v_or_b32_sdwa v16, v21, v16 dst_sel:WORD_1 dst_unused:UNUSED_PAD src0_sel:DWORD src1_sel:DWORD
	v_lshlrev_b16_e32 v17, 8, v32
	s_and_b64 s[0:1], vcc, s[0:1]
	v_or_b32_e32 v20, v17, v16
.LBB281_33:
	s_mov_b64 s[30:31], -1
	s_cbranch_execnz .LBB281_28
.LBB281_34:
	s_movk_i32 s0, 0xffd0
	v_mad_i32_i24 v21, v0, s0, v1
	s_and_b64 vcc, exec, s[26:27]
	v_cmp_neq_f64_e64 s[0:1], v[4:5], v[14:15]
	v_cmp_neq_f64_e64 s[4:5], v[2:3], v[4:5]
	;; [unrolled: 1-line block ×6, first 2 shown]
	ds_write_b64 v21, v[14:15]
	s_cbranch_vccz .LBB281_38
; %bb.35:
	v_cndmask_b32_e64 v29, 0, 1, s[4:5]
	s_waitcnt vmcnt(0)
	v_cndmask_b32_e64 v16, 0, 1, s[8:9]
	v_cndmask_b32_e64 v30, 0, 1, s[6:7]
	;; [unrolled: 1-line block ×4, first 2 shown]
	v_lshlrev_b16_e32 v17, 8, v29
	v_lshlrev_b16_e32 v16, 8, v16
	v_or_b32_e32 v17, v30, v17
	v_or_b32_sdwa v16, v20, v16 dst_sel:WORD_1 dst_unused:UNUSED_PAD src0_sel:DWORD src1_sel:DWORD
	v_lshlrev_b16_e32 v20, 8, v32
	v_and_b32_e32 v17, 0xffff, v17
	v_cndmask_b32_e64 v31, 0, 1, s[0:1]
	v_or_b32_e32 v20, 1, v20
	v_lshl_or_b32 v17, v31, 16, v17
	v_or_b32_sdwa v16, v20, v16 dst_sel:DWORD dst_unused:UNUSED_PAD src0_sel:WORD_0 src1_sel:DWORD
	s_waitcnt lgkmcnt(0)
	s_barrier
	s_waitcnt lgkmcnt(0)
                                        ; implicit-def: $sgpr0_sgpr1
                                        ; implicit-def: $vgpr20
	s_and_saveexec_b64 s[4:5], s[2:3]
	s_xor_b64 s[4:5], exec, s[4:5]
	s_cbranch_execz .LBB281_37
; %bb.36:
	v_add_u32_e32 v17, -8, v21
	ds_read_b64 v[32:33], v17
	s_mov_b32 s0, 0x3020104
	v_perm_b32 v20, v16, v16, s0
	s_or_b64 s[30:31], s[30:31], exec
                                        ; implicit-def: $vgpr16_vgpr17
	s_waitcnt lgkmcnt(0)
	v_cmp_neq_f64_e32 vcc, v[32:33], v[10:11]
	s_and_b64 s[0:1], vcc, exec
.LBB281_37:
	s_or_b64 exec, exec, s[4:5]
	s_branch .LBB281_41
.LBB281_38:
                                        ; implicit-def: $sgpr0_sgpr1
                                        ; implicit-def: $vgpr31
                                        ; implicit-def: $vgpr29
                                        ; implicit-def: $vgpr30
                                        ; implicit-def: $vgpr20
                                        ; implicit-def: $vgpr16_vgpr17
	s_cbranch_execz .LBB281_41
; %bb.39:
	v_cmp_gt_u32_e64 s[4:5], s34, v28
	v_cmp_neq_f64_e64 s[6:7], v[2:3], v[4:5]
	s_and_b64 s[4:5], s[4:5], s[6:7]
	v_cndmask_b32_e64 v29, 0, 1, s[4:5]
	v_cmp_gt_u32_e64 s[4:5], s34, v25
	v_cmp_neq_f64_e64 s[6:7], v[8:9], v[2:3]
	s_and_b64 s[4:5], s[4:5], s[6:7]
	v_cndmask_b32_e64 v30, 0, 1, s[4:5]
	v_cmp_gt_u32_e64 s[4:5], s34, v27
	v_cmp_neq_f64_e64 s[6:7], v[6:7], v[8:9]
	s_and_b64 s[4:5], s[4:5], s[6:7]
	s_waitcnt vmcnt(0)
	v_cndmask_b32_e64 v16, 0, 1, s[4:5]
	v_cmp_gt_u32_e64 s[4:5], s34, v23
	v_cmp_neq_f64_e64 s[6:7], v[12:13], v[6:7]
	s_and_b64 s[4:5], s[4:5], s[6:7]
	v_cndmask_b32_e64 v20, 0, 1, s[4:5]
	v_cmp_gt_u32_e64 s[4:5], s34, v24
	v_cmp_neq_f64_e64 s[6:7], v[10:11], v[12:13]
	s_and_b64 s[4:5], s[4:5], s[6:7]
	v_cmp_gt_u32_e32 vcc, s34, v26
	v_cmp_neq_f64_e64 s[0:1], v[4:5], v[14:15]
	v_cndmask_b32_e64 v32, 0, 1, s[4:5]
	v_lshlrev_b16_e32 v17, 8, v29
	v_lshlrev_b16_e32 v16, 8, v16
	v_or_b32_e32 v17, v30, v17
	s_and_b64 s[0:1], vcc, s[0:1]
	v_or_b32_sdwa v16, v20, v16 dst_sel:WORD_1 dst_unused:UNUSED_PAD src0_sel:DWORD src1_sel:DWORD
	v_lshlrev_b16_e32 v20, 8, v32
	v_and_b32_e32 v17, 0xffff, v17
	v_cndmask_b32_e64 v31, 0, 1, s[0:1]
	v_or_b32_e32 v20, 1, v20
	v_lshl_or_b32 v17, v31, 16, v17
	v_or_b32_sdwa v16, v20, v16 dst_sel:DWORD dst_unused:UNUSED_PAD src0_sel:WORD_0 src1_sel:DWORD
	s_waitcnt lgkmcnt(0)
	s_barrier
	s_waitcnt lgkmcnt(0)
                                        ; implicit-def: $sgpr0_sgpr1
                                        ; implicit-def: $vgpr20
	s_and_saveexec_b64 s[4:5], s[2:3]
	s_cbranch_execz .LBB281_131
; %bb.40:
	v_add_u32_e32 v17, -8, v21
	ds_read_b64 v[32:33], v17
	s_mov_b32 s0, 0x3020104
	v_cmp_gt_u32_e32 vcc, s34, v22
	v_perm_b32 v20, v16, v16, s0
	s_or_b64 s[30:31], s[30:31], exec
	s_waitcnt lgkmcnt(0)
	v_cmp_neq_f64_e64 s[0:1], v[32:33], v[10:11]
	s_and_b64 s[0:1], vcc, s[0:1]
	s_and_b64 s[0:1], s[0:1], exec
                                        ; implicit-def: $vgpr16_vgpr17
	s_or_b64 exec, exec, s[4:5]
.LBB281_41:
	s_and_saveexec_b64 s[2:3], s[30:31]
	s_cbranch_execz .LBB281_43
.LBB281_42:
	s_waitcnt vmcnt(0)
	v_lshlrev_b16_e32 v17, 8, v29
	v_and_b32_e32 v21, 0xff, v31
	v_or_b32_sdwa v17, v30, v17 dst_sel:DWORD dst_unused:UNUSED_PAD src0_sel:BYTE_0 src1_sel:DWORD
	v_lshlrev_b32_e32 v21, 16, v21
	v_cndmask_b32_e64 v16, 0, 1, s[0:1]
	s_movk_i32 s0, 0xff
	v_or_b32_sdwa v17, v17, v21 dst_sel:DWORD dst_unused:UNUSED_PAD src0_sel:WORD_0 src1_sel:DWORD
	v_lshrrev_b32_e32 v21, 24, v20
	v_lshlrev_b16_e32 v21, 8, v21
	v_and_b32_sdwa v29, v20, s0 dst_sel:DWORD dst_unused:UNUSED_PAD src0_sel:WORD_1 src1_sel:DWORD
	v_or_b32_sdwa v21, v29, v21 dst_sel:WORD_1 dst_unused:UNUSED_PAD src0_sel:DWORD src1_sel:DWORD
	v_mov_b32_e32 v29, 8
	v_lshrrev_b32_sdwa v20, v29, v20 dst_sel:BYTE_1 dst_unused:UNUSED_PAD src0_sel:DWORD src1_sel:DWORD
	s_nop 0
	v_or_b32_e32 v16, v16, v20
	v_or_b32_sdwa v16, v16, v21 dst_sel:DWORD dst_unused:UNUSED_PAD src0_sel:WORD_0 src1_sel:DWORD
.LBB281_43:
	s_or_b64 exec, exec, s[2:3]
	s_andn2_b64 vcc, exec, s[14:15]
	s_cbranch_vccnz .LBB281_45
; %bb.44:
	s_waitcnt vmcnt(0)
	v_and_b32_e32 v20, 0xffff0000, v16
	v_cmp_gt_u32_e32 vcc, s34, v22
	s_mov_b32 s0, 0x40c0100
	s_nop 0
	v_cndmask_b32_e32 v20, v20, v16, vcc
	v_and_b32_e32 v20, 0xffff00ff, v20
	v_cmp_gt_u32_e32 vcc, s34, v24
	s_nop 1
	v_cndmask_b32_e32 v20, v20, v16, vcc
	v_lshrrev_b32_e32 v21, 24, v20
	v_perm_b32 v20, v21, v20, s0
	v_cmp_gt_u32_e32 vcc, s34, v23
	v_and_b32_e32 v21, 0xffffff00, v17
	s_nop 0
	v_cndmask_b32_e32 v20, v20, v16, vcc
	v_and_b32_e32 v20, 0xffffff, v20
	v_cmp_gt_u32_e32 vcc, s34, v27
	s_nop 1
	v_cndmask_b32_e32 v20, v20, v16, vcc
	v_cmp_gt_u32_e32 vcc, s34, v25
	s_nop 1
	v_cndmask_b32_e32 v21, v21, v17, vcc
	v_and_b32_e32 v21, 0xffff00ff, v21
	v_cndmask_b32_e32 v20, v20, v16, vcc
	v_cmp_gt_u32_e32 vcc, s34, v28
	s_nop 1
	v_cndmask_b32_e32 v21, v21, v17, vcc
	v_lshrrev_b32_e32 v22, 24, v21
	v_cndmask_b32_e32 v20, v20, v16, vcc
	v_perm_b32 v21, v22, v21, s0
	v_cmp_gt_u32_e32 vcc, s34, v26
	s_mov_b32 s0, 0x3020104
	s_nop 0
	v_cndmask_b32_e32 v16, v20, v16, vcc
	v_cndmask_b32_e32 v17, v21, v17, vcc
	v_mov_b32_e32 v20, 8
	v_lshrrev_b32_sdwa v20, v20, v17 dst_sel:BYTE_1 dst_unused:UNUSED_PAD src0_sel:DWORD src1_sel:DWORD
	v_perm_b32 v16, v16, v16, s0
	v_or_b32_sdwa v20, v17, v20 dst_sel:DWORD dst_unused:UNUSED_PAD src0_sel:BYTE_0 src1_sel:DWORD
	v_and_b32_e32 v20, 0xffff, v20
	v_bfe_u32 v17, v17, 16, 8
	v_lshl_or_b32 v17, v17, 16, v20
.LBB281_45:
	s_waitcnt vmcnt(0)
	v_and_b32_e32 v31, 0xff, v16
	v_bfe_u32 v33, v16, 8, 8
	v_bfe_u32 v35, v16, 16, 8
	v_alignbit_b32 v20, v17, v16, 24
	v_and_b32_e32 v37, 0xff, v20
	v_and_b32_e32 v38, 0xff, v17
	v_add3_u32 v21, v33, v31, v35
	v_bfe_u32 v39, v17, 8, 8
	v_bfe_u32 v20, v17, 16, 8
	v_add3_u32 v21, v21, v37, v38
	v_add3_u32 v42, v21, v39, v20
	v_mbcnt_lo_u32_b32 v20, -1, 0
	v_mbcnt_hi_u32_b32 v40, -1, v20
	v_and_b32_e32 v20, 15, v40
	v_cmp_eq_u32_e64 s[14:15], 0, v20
	v_cmp_lt_u32_e64 s[12:13], 1, v20
	v_cmp_lt_u32_e64 s[10:11], 3, v20
	;; [unrolled: 1-line block ×3, first 2 shown]
	v_and_b32_e32 v20, 16, v40
	v_cmp_eq_u32_e64 s[6:7], 0, v20
	v_or_b32_e32 v20, 63, v0
	v_cmp_lt_u32_e64 s[2:3], 31, v40
	v_lshrrev_b32_e32 v41, 6, v0
	v_cmp_eq_u32_e64 s[4:5], v20, v0
	s_and_b64 vcc, exec, s[16:17]
	s_waitcnt lgkmcnt(0)
	s_barrier
	s_cbranch_vccz .LBB281_76
; %bb.46:
	v_mov_b32_dpp v20, v42 row_shr:1 row_mask:0xf bank_mask:0xf
	v_cndmask_b32_e64 v20, v20, 0, s[14:15]
	v_add_u32_e32 v20, v20, v42
	s_nop 1
	v_mov_b32_dpp v21, v20 row_shr:2 row_mask:0xf bank_mask:0xf
	v_cndmask_b32_e64 v21, 0, v21, s[12:13]
	v_add_u32_e32 v20, v20, v21
	s_nop 1
	v_mov_b32_dpp v21, v20 row_shr:4 row_mask:0xf bank_mask:0xf
	v_cndmask_b32_e64 v21, 0, v21, s[10:11]
	v_add_u32_e32 v20, v20, v21
	s_nop 1
	v_mov_b32_dpp v21, v20 row_shr:8 row_mask:0xf bank_mask:0xf
	v_cndmask_b32_e64 v21, 0, v21, s[8:9]
	v_add_u32_e32 v20, v20, v21
	s_nop 1
	v_mov_b32_dpp v21, v20 row_bcast:15 row_mask:0xf bank_mask:0xf
	v_cndmask_b32_e64 v21, v21, 0, s[6:7]
	v_add_u32_e32 v20, v20, v21
	s_nop 1
	v_mov_b32_dpp v21, v20 row_bcast:31 row_mask:0xf bank_mask:0xf
	v_cndmask_b32_e64 v21, 0, v21, s[2:3]
	v_add_u32_e32 v20, v20, v21
	s_and_saveexec_b64 s[0:1], s[4:5]
	s_cbranch_execz .LBB281_48
; %bb.47:
	v_lshlrev_b32_e32 v21, 2, v41
	ds_write_b32 v21, v20
.LBB281_48:
	s_or_b64 exec, exec, s[0:1]
	v_cmp_gt_u32_e32 vcc, 8, v0
	s_waitcnt lgkmcnt(0)
	s_barrier
	s_and_saveexec_b64 s[0:1], vcc
	s_cbranch_execz .LBB281_50
; %bb.49:
	v_lshlrev_b32_e32 v21, 2, v0
	ds_read_b32 v22, v21
	v_and_b32_e32 v23, 7, v40
	v_cmp_ne_u32_e32 vcc, 0, v23
	s_waitcnt lgkmcnt(0)
	v_mov_b32_dpp v24, v22 row_shr:1 row_mask:0xf bank_mask:0xf
	v_cndmask_b32_e32 v24, 0, v24, vcc
	v_add_u32_e32 v22, v24, v22
	v_cmp_lt_u32_e32 vcc, 1, v23
	s_nop 0
	v_mov_b32_dpp v24, v22 row_shr:2 row_mask:0xf bank_mask:0xf
	v_cndmask_b32_e32 v24, 0, v24, vcc
	v_add_u32_e32 v22, v22, v24
	v_cmp_lt_u32_e32 vcc, 3, v23
	s_nop 0
	v_mov_b32_dpp v24, v22 row_shr:4 row_mask:0xf bank_mask:0xf
	v_cndmask_b32_e32 v23, 0, v24, vcc
	v_add_u32_e32 v22, v22, v23
	ds_write_b32 v21, v22
.LBB281_50:
	s_or_b64 exec, exec, s[0:1]
	v_cmp_gt_u32_e32 vcc, 64, v0
	v_cmp_lt_u32_e64 s[0:1], 63, v0
	s_waitcnt lgkmcnt(0)
	s_barrier
	s_waitcnt lgkmcnt(0)
                                        ; implicit-def: $vgpr30
	s_and_saveexec_b64 s[16:17], s[0:1]
	s_cbranch_execz .LBB281_52
; %bb.51:
	v_lshl_add_u32 v21, v41, 2, -4
	ds_read_b32 v30, v21
	s_waitcnt lgkmcnt(0)
	v_add_u32_e32 v20, v30, v20
.LBB281_52:
	s_or_b64 exec, exec, s[16:17]
	v_add_u32_e32 v21, -1, v40
	v_and_b32_e32 v22, 64, v40
	v_cmp_lt_i32_e64 s[0:1], v21, v22
	v_cmp_eq_u32_e64 s[16:17], 0, v40
	s_nop 0
	v_cndmask_b32_e64 v21, v21, v40, s[0:1]
	v_lshlrev_b32_e32 v21, 2, v21
	ds_bpermute_b32 v32, v21, v20
	s_and_saveexec_b64 s[0:1], vcc
	s_cbranch_execz .LBB281_75
; %bb.53:
	v_mov_b32_e32 v29, 0
	ds_read_b32 v20, v29 offset:28
	s_and_saveexec_b64 s[30:31], s[16:17]
	s_cbranch_execz .LBB281_55
; %bb.54:
	s_add_i32 s34, s33, 64
	s_mov_b32 s35, 0
	s_lshl_b64 s[34:35], s[34:35], 3
	s_add_u32 s34, s28, s34
	v_mov_b32_e32 v21, 1
	s_addc_u32 s35, s29, s35
	s_waitcnt lgkmcnt(0)
	global_store_dwordx2 v29, v[20:21], s[34:35] sc1
.LBB281_55:
	s_or_b64 exec, exec, s[30:31]
	v_xad_u32 v22, v40, -1, s33
	v_add_u32_e32 v28, 64, v22
	v_lshl_add_u64 v[24:25], v[28:29], 3, s[28:29]
	global_load_dwordx2 v[26:27], v[24:25], off sc1
	s_waitcnt vmcnt(0)
	v_cmp_eq_u16_sdwa s[34:35], v27, v29 src0_sel:BYTE_0 src1_sel:DWORD
	s_and_saveexec_b64 s[30:31], s[34:35]
	s_cbranch_execz .LBB281_61
; %bb.56:
	s_mov_b32 s36, 1
	s_mov_b64 s[34:35], 0
	v_mov_b32_e32 v21, 0
.LBB281_57:                             ; =>This Loop Header: Depth=1
                                        ;     Child Loop BB281_58 Depth 2
	s_max_u32 s37, s36, 1
.LBB281_58:                             ;   Parent Loop BB281_57 Depth=1
                                        ; =>  This Inner Loop Header: Depth=2
	s_add_i32 s37, s37, -1
	s_cmp_eq_u32 s37, 0
	s_sleep 1
	s_cbranch_scc0 .LBB281_58
; %bb.59:                               ;   in Loop: Header=BB281_57 Depth=1
	global_load_dwordx2 v[26:27], v[24:25], off sc1
	s_cmp_lt_u32 s36, 32
	s_cselect_b64 s[38:39], -1, 0
	s_cmp_lg_u64 s[38:39], 0
	s_addc_u32 s36, s36, 0
	s_waitcnt vmcnt(0)
	v_cmp_ne_u16_sdwa s[38:39], v27, v21 src0_sel:BYTE_0 src1_sel:DWORD
	s_or_b64 s[34:35], s[38:39], s[34:35]
	s_andn2_b64 exec, exec, s[34:35]
	s_cbranch_execnz .LBB281_57
; %bb.60:
	s_or_b64 exec, exec, s[34:35]
.LBB281_61:
	s_or_b64 exec, exec, s[30:31]
	v_and_b32_e32 v36, 63, v40
	v_mov_b32_e32 v34, 2
	v_cmp_ne_u32_e32 vcc, 63, v36
	v_cmp_eq_u16_sdwa s[30:31], v27, v34 src0_sel:BYTE_0 src1_sel:DWORD
	v_lshlrev_b64 v[24:25], v40, -1
	v_addc_co_u32_e32 v28, vcc, 0, v40, vcc
	v_and_b32_e32 v21, s31, v25
	v_lshlrev_b32_e32 v43, 2, v28
	v_or_b32_e32 v21, 0x80000000, v21
	ds_bpermute_b32 v28, v43, v26
	v_and_b32_e32 v23, s30, v24
	v_ffbl_b32_e32 v21, v21
	v_add_u32_e32 v21, 32, v21
	v_ffbl_b32_e32 v23, v23
	v_min_u32_e32 v21, v23, v21
	v_cmp_lt_u32_e32 vcc, v36, v21
	v_add_u32_e32 v45, 2, v36
	v_add_u32_e32 v47, 4, v36
	s_waitcnt lgkmcnt(0)
	v_cndmask_b32_e32 v23, 0, v28, vcc
	v_cmp_gt_u32_e32 vcc, 62, v36
	v_add_u32_e32 v23, v23, v26
	v_add_u32_e32 v49, 8, v36
	v_cndmask_b32_e64 v26, 0, 1, vcc
	v_lshlrev_b32_e32 v26, 1, v26
	v_add_lshl_u32 v44, v26, v40, 2
	ds_bpermute_b32 v26, v44, v23
	v_cmp_le_u32_e32 vcc, v45, v21
	v_add_u32_e32 v51, 16, v36
	v_add_u32_e32 v53, 32, v36
	s_waitcnt lgkmcnt(0)
	v_cndmask_b32_e32 v26, 0, v26, vcc
	v_cmp_gt_u32_e32 vcc, 60, v36
	v_add_u32_e32 v23, v23, v26
	s_nop 0
	v_cndmask_b32_e64 v26, 0, 1, vcc
	v_lshlrev_b32_e32 v26, 2, v26
	v_add_lshl_u32 v46, v26, v40, 2
	ds_bpermute_b32 v26, v46, v23
	v_cmp_le_u32_e32 vcc, v47, v21
	s_waitcnt lgkmcnt(0)
	s_nop 0
	v_cndmask_b32_e32 v26, 0, v26, vcc
	v_cmp_gt_u32_e32 vcc, 56, v36
	v_add_u32_e32 v23, v23, v26
	s_nop 0
	v_cndmask_b32_e64 v26, 0, 1, vcc
	v_lshlrev_b32_e32 v26, 3, v26
	v_add_lshl_u32 v48, v26, v40, 2
	ds_bpermute_b32 v26, v48, v23
	v_cmp_le_u32_e32 vcc, v49, v21
	s_waitcnt lgkmcnt(0)
	s_nop 0
	;; [unrolled: 11-line block ×4, first 2 shown]
	v_cndmask_b32_e32 v21, 0, v26, vcc
	v_add_u32_e32 v26, v23, v21
	v_mov_b32_e32 v23, 0
	s_branch .LBB281_63
.LBB281_62:                             ;   in Loop: Header=BB281_63 Depth=1
	s_or_b64 exec, exec, s[30:31]
	v_cmp_eq_u16_sdwa s[30:31], v27, v34 src0_sel:BYTE_0 src1_sel:DWORD
	ds_bpermute_b32 v54, v43, v26
	v_subrev_u32_e32 v22, 64, v22
	v_and_b32_e32 v28, s31, v25
	v_or_b32_e32 v28, 0x80000000, v28
	v_and_b32_e32 v29, s30, v24
	v_ffbl_b32_e32 v28, v28
	v_add_u32_e32 v28, 32, v28
	v_ffbl_b32_e32 v29, v29
	v_min_u32_e32 v28, v29, v28
	v_cmp_lt_u32_e32 vcc, v36, v28
	s_waitcnt lgkmcnt(0)
	s_nop 0
	v_cndmask_b32_e32 v29, 0, v54, vcc
	v_add_u32_e32 v26, v29, v26
	ds_bpermute_b32 v29, v44, v26
	v_cmp_le_u32_e32 vcc, v45, v28
	s_waitcnt lgkmcnt(0)
	s_nop 0
	v_cndmask_b32_e32 v29, 0, v29, vcc
	v_add_u32_e32 v26, v26, v29
	ds_bpermute_b32 v29, v46, v26
	v_cmp_le_u32_e32 vcc, v47, v28
	;; [unrolled: 6-line block ×5, first 2 shown]
	s_waitcnt lgkmcnt(0)
	s_nop 0
	v_cndmask_b32_e32 v28, 0, v29, vcc
	v_add3_u32 v26, v28, v21, v26
.LBB281_63:                             ; =>This Loop Header: Depth=1
                                        ;     Child Loop BB281_66 Depth 2
                                        ;       Child Loop BB281_67 Depth 3
	v_cmp_ne_u16_sdwa s[30:31], v27, v34 src0_sel:BYTE_0 src1_sel:DWORD
	s_nop 1
	v_cndmask_b32_e64 v21, 0, 1, s[30:31]
	;;#ASMSTART
	;;#ASMEND
	s_nop 0
	v_cmp_ne_u32_e32 vcc, 0, v21
	s_cmp_lg_u64 vcc, exec
	v_mov_b32_e32 v21, v26
	s_cbranch_scc1 .LBB281_70
; %bb.64:                               ;   in Loop: Header=BB281_63 Depth=1
	v_lshl_add_u64 v[28:29], v[22:23], 3, s[28:29]
	global_load_dwordx2 v[26:27], v[28:29], off sc1
	s_waitcnt vmcnt(0)
	v_cmp_eq_u16_sdwa s[34:35], v27, v23 src0_sel:BYTE_0 src1_sel:DWORD
	s_and_saveexec_b64 s[30:31], s[34:35]
	s_cbranch_execz .LBB281_62
; %bb.65:                               ;   in Loop: Header=BB281_63 Depth=1
	s_mov_b32 s36, 1
	s_mov_b64 s[34:35], 0
.LBB281_66:                             ;   Parent Loop BB281_63 Depth=1
                                        ; =>  This Loop Header: Depth=2
                                        ;       Child Loop BB281_67 Depth 3
	s_max_u32 s37, s36, 1
.LBB281_67:                             ;   Parent Loop BB281_63 Depth=1
                                        ;     Parent Loop BB281_66 Depth=2
                                        ; =>    This Inner Loop Header: Depth=3
	s_add_i32 s37, s37, -1
	s_cmp_eq_u32 s37, 0
	s_sleep 1
	s_cbranch_scc0 .LBB281_67
; %bb.68:                               ;   in Loop: Header=BB281_66 Depth=2
	global_load_dwordx2 v[26:27], v[28:29], off sc1
	s_cmp_lt_u32 s36, 32
	s_cselect_b64 s[38:39], -1, 0
	s_cmp_lg_u64 s[38:39], 0
	s_addc_u32 s36, s36, 0
	s_waitcnt vmcnt(0)
	v_cmp_ne_u16_sdwa s[38:39], v27, v23 src0_sel:BYTE_0 src1_sel:DWORD
	s_or_b64 s[34:35], s[38:39], s[34:35]
	s_andn2_b64 exec, exec, s[34:35]
	s_cbranch_execnz .LBB281_66
; %bb.69:                               ;   in Loop: Header=BB281_63 Depth=1
	s_or_b64 exec, exec, s[34:35]
	s_branch .LBB281_62
.LBB281_70:                             ;   in Loop: Header=BB281_63 Depth=1
                                        ; implicit-def: $vgpr26
                                        ; implicit-def: $vgpr27
	s_cbranch_execz .LBB281_63
; %bb.71:
	s_and_saveexec_b64 s[30:31], s[16:17]
	s_cbranch_execz .LBB281_73
; %bb.72:
	s_add_i32 s34, s33, 64
	s_mov_b32 s35, 0
	s_lshl_b64 s[34:35], s[34:35], 3
	s_add_u32 s34, s28, s34
	v_add_u32_e32 v22, v21, v20
	v_mov_b32_e32 v23, 2
	s_addc_u32 s35, s29, s35
	v_mov_b32_e32 v24, 0
	global_store_dwordx2 v24, v[22:23], s[34:35] sc1
	ds_write_b64 v24, v[20:21] offset:28672
.LBB281_73:
	s_or_b64 exec, exec, s[30:31]
	s_and_b64 exec, exec, s[18:19]
	s_cbranch_execz .LBB281_75
; %bb.74:
	v_mov_b32_e32 v20, 0
	ds_write_b32 v20, v21 offset:28
.LBB281_75:
	s_or_b64 exec, exec, s[0:1]
	v_mov_b32_e32 v20, 0
	s_waitcnt lgkmcnt(0)
	s_barrier
	ds_read_b32 v21, v20 offset:28
	v_cndmask_b32_e64 v22, v32, v30, s[16:17]
	v_cndmask_b32_e64 v22, v22, 0, s[18:19]
	s_waitcnt lgkmcnt(0)
	s_barrier
	v_add_u32_e32 v36, v21, v22
	v_add_u32_e32 v34, v36, v31
	;; [unrolled: 1-line block ×3, first 2 shown]
	ds_read_b64 v[20:21], v20 offset:28672
	v_add_u32_e32 v30, v32, v35
	v_add_u32_e32 v28, v30, v37
	v_add_u32_e32 v26, v28, v38
	v_add_u32_e32 v24, v26, v39
	v_lshrrev_b64 v[22:23], 24, v[16:17]
	s_branch .LBB281_86
.LBB281_76:
                                        ; implicit-def: $vgpr21
                                        ; implicit-def: $vgpr24
                                        ; implicit-def: $vgpr26
                                        ; implicit-def: $vgpr28
                                        ; implicit-def: $vgpr30
                                        ; implicit-def: $vgpr32
                                        ; implicit-def: $vgpr34
                                        ; implicit-def: $vgpr36
	v_lshrrev_b64 v[22:23], 24, v[16:17]
	s_cbranch_execz .LBB281_86
; %bb.77:
	s_waitcnt lgkmcnt(0)
	v_mov_b32_dpp v20, v42 row_shr:1 row_mask:0xf bank_mask:0xf
	v_cndmask_b32_e64 v20, v20, 0, s[14:15]
	v_add_u32_e32 v20, v20, v42
	s_nop 1
	v_mov_b32_dpp v21, v20 row_shr:2 row_mask:0xf bank_mask:0xf
	v_cndmask_b32_e64 v21, 0, v21, s[12:13]
	v_add_u32_e32 v20, v20, v21
	s_nop 1
	;; [unrolled: 4-line block ×4, first 2 shown]
	v_mov_b32_dpp v21, v20 row_bcast:15 row_mask:0xf bank_mask:0xf
	v_cndmask_b32_e64 v21, v21, 0, s[6:7]
	v_add_u32_e32 v20, v20, v21
	s_nop 1
	v_mov_b32_dpp v21, v20 row_bcast:31 row_mask:0xf bank_mask:0xf
	v_cndmask_b32_e64 v21, 0, v21, s[2:3]
	v_add_u32_e32 v20, v20, v21
	s_and_saveexec_b64 s[0:1], s[4:5]
	s_cbranch_execz .LBB281_79
; %bb.78:
	v_lshlrev_b32_e32 v21, 2, v41
	ds_write_b32 v21, v20
.LBB281_79:
	s_or_b64 exec, exec, s[0:1]
	v_cmp_gt_u32_e32 vcc, 8, v0
	s_waitcnt lgkmcnt(0)
	s_barrier
	s_and_saveexec_b64 s[0:1], vcc
	s_cbranch_execz .LBB281_81
; %bb.80:
	s_movk_i32 s2, 0xffcc
	v_mad_i32_i24 v1, v0, s2, v1
	ds_read_b32 v21, v1
	v_and_b32_e32 v23, 7, v40
	v_cmp_ne_u32_e32 vcc, 0, v23
	s_waitcnt lgkmcnt(0)
	v_mov_b32_dpp v24, v21 row_shr:1 row_mask:0xf bank_mask:0xf
	v_cndmask_b32_e32 v24, 0, v24, vcc
	v_add_u32_e32 v21, v24, v21
	v_cmp_lt_u32_e32 vcc, 1, v23
	s_nop 0
	v_mov_b32_dpp v24, v21 row_shr:2 row_mask:0xf bank_mask:0xf
	v_cndmask_b32_e32 v24, 0, v24, vcc
	v_add_u32_e32 v21, v21, v24
	v_cmp_lt_u32_e32 vcc, 3, v23
	s_nop 0
	v_mov_b32_dpp v24, v21 row_shr:4 row_mask:0xf bank_mask:0xf
	v_cndmask_b32_e32 v23, 0, v24, vcc
	v_add_u32_e32 v21, v21, v23
	ds_write_b32 v1, v21
.LBB281_81:
	s_or_b64 exec, exec, s[0:1]
	v_cmp_lt_u32_e32 vcc, 63, v0
	v_mov_b32_e32 v21, 0
	v_mov_b32_e32 v1, 0
	s_waitcnt lgkmcnt(0)
	s_barrier
	s_and_saveexec_b64 s[0:1], vcc
	s_cbranch_execz .LBB281_83
; %bb.82:
	v_lshl_add_u32 v1, v41, 2, -4
	ds_read_b32 v1, v1
.LBB281_83:
	s_or_b64 exec, exec, s[0:1]
	v_add_u32_e32 v23, -1, v40
	v_and_b32_e32 v24, 64, v40
	v_cmp_lt_i32_e32 vcc, v23, v24
	s_waitcnt lgkmcnt(0)
	v_add_u32_e32 v20, v1, v20
	v_cndmask_b32_e32 v23, v23, v40, vcc
	v_lshlrev_b32_e32 v23, 2, v23
	ds_bpermute_b32 v23, v23, v20
	ds_read_b32 v20, v21 offset:28
	s_and_saveexec_b64 s[0:1], s[18:19]
	s_cbranch_execz .LBB281_85
; %bb.84:
	v_mov_b32_e32 v24, 0
	v_mov_b32_e32 v21, 2
	s_waitcnt lgkmcnt(0)
	global_store_dwordx2 v24, v[20:21], s[28:29] offset:512 sc1
.LBB281_85:
	s_or_b64 exec, exec, s[0:1]
	v_cmp_eq_u32_e32 vcc, 0, v40
	v_mov_b32_e32 v21, 0
	s_waitcnt lgkmcnt(0)
	v_cndmask_b32_e32 v1, v23, v1, vcc
	v_cndmask_b32_e64 v36, v1, 0, s[18:19]
	v_add_u32_e32 v34, v36, v31
	v_add_u32_e32 v32, v34, v33
	;; [unrolled: 1-line block ×6, first 2 shown]
	s_barrier
.LBB281_86:
	s_movk_i32 s0, 0x201
	s_waitcnt lgkmcnt(0)
	v_cmp_gt_u32_e32 vcc, s0, v20
	v_lshrrev_b32_e32 v23, 8, v16
	v_lshrrev_b32_e32 v1, 8, v17
	s_mov_b64 s[0:1], -1
	s_cbranch_vccnz .LBB281_90
; %bb.87:
	s_and_b64 vcc, exec, s[0:1]
	s_cbranch_vccnz .LBB281_112
.LBB281_88:
	s_and_b64 s[0:1], s[18:19], s[22:23]
	s_and_saveexec_b64 s[2:3], s[0:1]
	s_cbranch_execnz .LBB281_130
.LBB281_89:
	s_endpgm
.LBB281_90:
	v_add_u32_e32 v25, v21, v20
	v_lshlrev_b64 v[38:39], 3, v[18:19]
	v_cmp_lt_u32_e32 vcc, v36, v25
	v_lshl_add_u64 v[38:39], s[24:25], 0, v[38:39]
	s_or_b64 s[2:3], s[26:27], vcc
	s_and_saveexec_b64 s[0:1], s[2:3]
	s_cbranch_execz .LBB281_93
; %bb.91:
	v_and_b32_e32 v27, 1, v16
	v_cmp_eq_u32_e32 vcc, 1, v27
	s_and_b64 exec, exec, vcc
	s_cbranch_execz .LBB281_93
; %bb.92:
	v_mov_b32_e32 v37, 0
	v_lshl_add_u64 v[40:41], v[36:37], 3, v[38:39]
	global_store_dwordx2 v[40:41], v[10:11], off
.LBB281_93:
	s_or_b64 exec, exec, s[0:1]
	v_cmp_lt_u32_e32 vcc, v34, v25
	s_or_b64 s[2:3], s[26:27], vcc
	s_and_saveexec_b64 s[0:1], s[2:3]
	s_cbranch_execz .LBB281_96
; %bb.94:
	v_and_b32_e32 v27, 1, v23
	v_cmp_eq_u32_e32 vcc, 1, v27
	s_and_b64 exec, exec, vcc
	s_cbranch_execz .LBB281_96
; %bb.95:
	v_mov_b32_e32 v35, 0
	v_lshl_add_u64 v[40:41], v[34:35], 3, v[38:39]
	global_store_dwordx2 v[40:41], v[12:13], off
.LBB281_96:
	s_or_b64 exec, exec, s[0:1]
	v_cmp_lt_u32_e32 vcc, v32, v25
	s_or_b64 s[2:3], s[26:27], vcc
	s_and_saveexec_b64 s[0:1], s[2:3]
	s_cbranch_execz .LBB281_99
; %bb.97:
	v_mov_b32_e32 v27, 1
	v_and_b32_sdwa v27, v27, v16 dst_sel:DWORD dst_unused:UNUSED_PAD src0_sel:DWORD src1_sel:WORD_1
	v_cmp_eq_u32_e32 vcc, 1, v27
	s_and_b64 exec, exec, vcc
	s_cbranch_execz .LBB281_99
; %bb.98:
	v_mov_b32_e32 v33, 0
	v_lshl_add_u64 v[40:41], v[32:33], 3, v[38:39]
	global_store_dwordx2 v[40:41], v[6:7], off
.LBB281_99:
	s_or_b64 exec, exec, s[0:1]
	v_cmp_lt_u32_e32 vcc, v30, v25
	s_or_b64 s[2:3], s[26:27], vcc
	s_and_saveexec_b64 s[0:1], s[2:3]
	s_cbranch_execz .LBB281_102
; %bb.100:
	v_and_b32_e32 v27, 1, v22
	v_cmp_eq_u32_e32 vcc, 1, v27
	s_and_b64 exec, exec, vcc
	s_cbranch_execz .LBB281_102
; %bb.101:
	v_mov_b32_e32 v31, 0
	v_lshl_add_u64 v[40:41], v[30:31], 3, v[38:39]
	global_store_dwordx2 v[40:41], v[8:9], off
.LBB281_102:
	s_or_b64 exec, exec, s[0:1]
	v_cmp_lt_u32_e32 vcc, v28, v25
	s_or_b64 s[2:3], s[26:27], vcc
	s_and_saveexec_b64 s[0:1], s[2:3]
	s_cbranch_execz .LBB281_105
; %bb.103:
	v_and_b32_e32 v27, 1, v17
	v_cmp_eq_u32_e32 vcc, 1, v27
	s_and_b64 exec, exec, vcc
	s_cbranch_execz .LBB281_105
; %bb.104:
	v_mov_b32_e32 v29, 0
	v_lshl_add_u64 v[40:41], v[28:29], 3, v[38:39]
	global_store_dwordx2 v[40:41], v[2:3], off
.LBB281_105:
	;; [unrolled: 15-line block ×3, first 2 shown]
	s_or_b64 exec, exec, s[0:1]
	v_cmp_lt_u32_e32 vcc, v24, v25
	s_or_b64 s[2:3], s[26:27], vcc
	s_and_saveexec_b64 s[0:1], s[2:3]
	s_cbranch_execz .LBB281_111
; %bb.109:
	v_mov_b32_e32 v25, 1
	v_and_b32_sdwa v25, v25, v17 dst_sel:DWORD dst_unused:UNUSED_PAD src0_sel:DWORD src1_sel:WORD_1
	v_cmp_eq_u32_e32 vcc, 1, v25
	s_and_b64 exec, exec, vcc
	s_cbranch_execz .LBB281_111
; %bb.110:
	v_mov_b32_e32 v25, 0
	v_lshl_add_u64 v[38:39], v[24:25], 3, v[38:39]
	global_store_dwordx2 v[38:39], v[14:15], off
.LBB281_111:
	s_or_b64 exec, exec, s[0:1]
	s_branch .LBB281_88
.LBB281_112:
	v_and_b32_e32 v25, 1, v16
	v_cmp_eq_u32_e32 vcc, 1, v25
	s_and_saveexec_b64 s[0:1], vcc
	s_cbranch_execz .LBB281_114
; %bb.113:
	v_sub_u32_e32 v25, v36, v21
	v_lshlrev_b32_e32 v25, 3, v25
	ds_write_b64 v25, v[10:11]
.LBB281_114:
	s_or_b64 exec, exec, s[0:1]
	v_and_b32_e32 v10, 1, v23
	v_cmp_eq_u32_e32 vcc, 1, v10
	s_and_saveexec_b64 s[0:1], vcc
	s_cbranch_execz .LBB281_116
; %bb.115:
	v_sub_u32_e32 v10, v34, v21
	v_lshlrev_b32_e32 v10, 3, v10
	ds_write_b64 v10, v[12:13]
.LBB281_116:
	s_or_b64 exec, exec, s[0:1]
	v_mov_b32_e32 v10, 1
	v_and_b32_sdwa v10, v10, v16 dst_sel:DWORD dst_unused:UNUSED_PAD src0_sel:DWORD src1_sel:WORD_1
	v_cmp_eq_u32_e32 vcc, 1, v10
	s_and_saveexec_b64 s[0:1], vcc
	s_cbranch_execz .LBB281_118
; %bb.117:
	v_sub_u32_e32 v10, v32, v21
	v_lshlrev_b32_e32 v10, 3, v10
	ds_write_b64 v10, v[6:7]
.LBB281_118:
	s_or_b64 exec, exec, s[0:1]
	v_and_b32_e32 v6, 1, v22
	v_cmp_eq_u32_e32 vcc, 1, v6
	s_and_saveexec_b64 s[0:1], vcc
	s_cbranch_execz .LBB281_120
; %bb.119:
	v_sub_u32_e32 v6, v30, v21
	v_lshlrev_b32_e32 v6, 3, v6
	ds_write_b64 v6, v[8:9]
.LBB281_120:
	s_or_b64 exec, exec, s[0:1]
	v_and_b32_e32 v6, 1, v17
	;; [unrolled: 10-line block ×3, first 2 shown]
	v_cmp_eq_u32_e32 vcc, 1, v1
	s_and_saveexec_b64 s[0:1], vcc
	s_cbranch_execz .LBB281_124
; %bb.123:
	v_sub_u32_e32 v1, v26, v21
	v_lshlrev_b32_e32 v1, 3, v1
	ds_write_b64 v1, v[4:5]
.LBB281_124:
	s_or_b64 exec, exec, s[0:1]
	v_mov_b32_e32 v1, 1
	v_and_b32_sdwa v1, v1, v17 dst_sel:DWORD dst_unused:UNUSED_PAD src0_sel:DWORD src1_sel:WORD_1
	v_cmp_eq_u32_e32 vcc, 1, v1
	s_and_saveexec_b64 s[0:1], vcc
	s_cbranch_execz .LBB281_126
; %bb.125:
	v_sub_u32_e32 v1, v24, v21
	v_lshlrev_b32_e32 v1, 3, v1
	ds_write_b64 v1, v[14:15]
.LBB281_126:
	s_or_b64 exec, exec, s[0:1]
	v_cmp_lt_u32_e32 vcc, v0, v20
	s_waitcnt lgkmcnt(0)
	s_barrier
	s_and_saveexec_b64 s[0:1], vcc
	s_cbranch_execz .LBB281_129
; %bb.127:
	v_mov_b32_e32 v5, 0
	v_mov_b32_e32 v4, v21
	v_lshlrev_b64 v[6:7], 3, v[18:19]
	v_lshlrev_b64 v[8:9], 3, v[4:5]
	v_lshl_add_u64 v[6:7], v[6:7], 0, v[8:9]
	v_lshlrev_b32_e32 v2, 3, v0
	v_mov_b32_e32 v3, v5
	v_lshl_add_u64 v[4:5], s[24:25], 0, v[6:7]
	v_lshl_add_u64 v[4:5], v[4:5], 0, v[2:3]
	s_mov_b64 s[2:3], 0
	s_mov_b64 s[4:5], 0x1000
.LBB281_128:                            ; =>This Inner Loop Header: Depth=1
	ds_read_b64 v[6:7], v2
	v_add_u32_e32 v0, 0x200, v0
	v_cmp_ge_u32_e32 vcc, v0, v20
	v_add_u32_e32 v2, 0x1000, v2
	s_or_b64 s[2:3], vcc, s[2:3]
	s_waitcnt lgkmcnt(0)
	global_store_dwordx2 v[4:5], v[6:7], off
	v_lshl_add_u64 v[4:5], v[4:5], 0, s[4:5]
	s_andn2_b64 exec, exec, s[2:3]
	s_cbranch_execnz .LBB281_128
.LBB281_129:
	s_or_b64 exec, exec, s[0:1]
	s_and_b64 s[0:1], s[18:19], s[22:23]
	s_and_saveexec_b64 s[2:3], s[0:1]
	s_cbranch_execz .LBB281_89
.LBB281_130:
	v_mov_b32_e32 v1, 0
	v_mov_b32_e32 v0, v20
	v_lshl_add_u64 v[2:3], v[18:19], 0, v[0:1]
	v_mov_b32_e32 v0, v21
	v_lshl_add_u64 v[2:3], v[2:3], 0, v[0:1]
	global_store_dwordx2 v1, v[2:3], s[20:21]
	s_endpgm
.LBB281_131:
	s_or_b64 exec, exec, s[4:5]
	s_and_saveexec_b64 s[2:3], s[30:31]
	s_cbranch_execnz .LBB281_42
	s_branch .LBB281_43
	.section	.rodata,"a",@progbits
	.p2align	6, 0x0
	.amdhsa_kernel _ZN7rocprim17ROCPRIM_400000_NS6detail17trampoline_kernelINS0_14default_configENS1_25partition_config_selectorILNS1_17partition_subalgoE8EdNS0_10empty_typeEbEEZZNS1_14partition_implILS5_8ELb0ES3_jPKdPS6_PKS6_NS0_5tupleIJPdS6_EEENSE_IJSB_SB_EEENS0_18inequality_wrapperIN6hipcub16HIPCUB_304000_NS8EqualityEEEPlJS6_EEE10hipError_tPvRmT3_T4_T5_T6_T7_T9_mT8_P12ihipStream_tbDpT10_ENKUlT_T0_E_clISt17integral_constantIbLb1EES17_EEDaS12_S13_EUlS12_E_NS1_11comp_targetILNS1_3genE5ELNS1_11target_archE942ELNS1_3gpuE9ELNS1_3repE0EEENS1_30default_config_static_selectorELNS0_4arch9wavefront6targetE1EEEvT1_
		.amdhsa_group_segment_fixed_size 28680
		.amdhsa_private_segment_fixed_size 0
		.amdhsa_kernarg_size 128
		.amdhsa_user_sgpr_count 2
		.amdhsa_user_sgpr_dispatch_ptr 0
		.amdhsa_user_sgpr_queue_ptr 0
		.amdhsa_user_sgpr_kernarg_segment_ptr 1
		.amdhsa_user_sgpr_dispatch_id 0
		.amdhsa_user_sgpr_kernarg_preload_length 0
		.amdhsa_user_sgpr_kernarg_preload_offset 0
		.amdhsa_user_sgpr_private_segment_size 0
		.amdhsa_uses_dynamic_stack 0
		.amdhsa_enable_private_segment 0
		.amdhsa_system_sgpr_workgroup_id_x 1
		.amdhsa_system_sgpr_workgroup_id_y 0
		.amdhsa_system_sgpr_workgroup_id_z 0
		.amdhsa_system_sgpr_workgroup_info 0
		.amdhsa_system_vgpr_workitem_id 0
		.amdhsa_next_free_vgpr 55
		.amdhsa_next_free_sgpr 40
		.amdhsa_accum_offset 56
		.amdhsa_reserve_vcc 1
		.amdhsa_float_round_mode_32 0
		.amdhsa_float_round_mode_16_64 0
		.amdhsa_float_denorm_mode_32 3
		.amdhsa_float_denorm_mode_16_64 3
		.amdhsa_dx10_clamp 1
		.amdhsa_ieee_mode 1
		.amdhsa_fp16_overflow 0
		.amdhsa_tg_split 0
		.amdhsa_exception_fp_ieee_invalid_op 0
		.amdhsa_exception_fp_denorm_src 0
		.amdhsa_exception_fp_ieee_div_zero 0
		.amdhsa_exception_fp_ieee_overflow 0
		.amdhsa_exception_fp_ieee_underflow 0
		.amdhsa_exception_fp_ieee_inexact 0
		.amdhsa_exception_int_div_zero 0
	.end_amdhsa_kernel
	.section	.text._ZN7rocprim17ROCPRIM_400000_NS6detail17trampoline_kernelINS0_14default_configENS1_25partition_config_selectorILNS1_17partition_subalgoE8EdNS0_10empty_typeEbEEZZNS1_14partition_implILS5_8ELb0ES3_jPKdPS6_PKS6_NS0_5tupleIJPdS6_EEENSE_IJSB_SB_EEENS0_18inequality_wrapperIN6hipcub16HIPCUB_304000_NS8EqualityEEEPlJS6_EEE10hipError_tPvRmT3_T4_T5_T6_T7_T9_mT8_P12ihipStream_tbDpT10_ENKUlT_T0_E_clISt17integral_constantIbLb1EES17_EEDaS12_S13_EUlS12_E_NS1_11comp_targetILNS1_3genE5ELNS1_11target_archE942ELNS1_3gpuE9ELNS1_3repE0EEENS1_30default_config_static_selectorELNS0_4arch9wavefront6targetE1EEEvT1_,"axG",@progbits,_ZN7rocprim17ROCPRIM_400000_NS6detail17trampoline_kernelINS0_14default_configENS1_25partition_config_selectorILNS1_17partition_subalgoE8EdNS0_10empty_typeEbEEZZNS1_14partition_implILS5_8ELb0ES3_jPKdPS6_PKS6_NS0_5tupleIJPdS6_EEENSE_IJSB_SB_EEENS0_18inequality_wrapperIN6hipcub16HIPCUB_304000_NS8EqualityEEEPlJS6_EEE10hipError_tPvRmT3_T4_T5_T6_T7_T9_mT8_P12ihipStream_tbDpT10_ENKUlT_T0_E_clISt17integral_constantIbLb1EES17_EEDaS12_S13_EUlS12_E_NS1_11comp_targetILNS1_3genE5ELNS1_11target_archE942ELNS1_3gpuE9ELNS1_3repE0EEENS1_30default_config_static_selectorELNS0_4arch9wavefront6targetE1EEEvT1_,comdat
.Lfunc_end281:
	.size	_ZN7rocprim17ROCPRIM_400000_NS6detail17trampoline_kernelINS0_14default_configENS1_25partition_config_selectorILNS1_17partition_subalgoE8EdNS0_10empty_typeEbEEZZNS1_14partition_implILS5_8ELb0ES3_jPKdPS6_PKS6_NS0_5tupleIJPdS6_EEENSE_IJSB_SB_EEENS0_18inequality_wrapperIN6hipcub16HIPCUB_304000_NS8EqualityEEEPlJS6_EEE10hipError_tPvRmT3_T4_T5_T6_T7_T9_mT8_P12ihipStream_tbDpT10_ENKUlT_T0_E_clISt17integral_constantIbLb1EES17_EEDaS12_S13_EUlS12_E_NS1_11comp_targetILNS1_3genE5ELNS1_11target_archE942ELNS1_3gpuE9ELNS1_3repE0EEENS1_30default_config_static_selectorELNS0_4arch9wavefront6targetE1EEEvT1_, .Lfunc_end281-_ZN7rocprim17ROCPRIM_400000_NS6detail17trampoline_kernelINS0_14default_configENS1_25partition_config_selectorILNS1_17partition_subalgoE8EdNS0_10empty_typeEbEEZZNS1_14partition_implILS5_8ELb0ES3_jPKdPS6_PKS6_NS0_5tupleIJPdS6_EEENSE_IJSB_SB_EEENS0_18inequality_wrapperIN6hipcub16HIPCUB_304000_NS8EqualityEEEPlJS6_EEE10hipError_tPvRmT3_T4_T5_T6_T7_T9_mT8_P12ihipStream_tbDpT10_ENKUlT_T0_E_clISt17integral_constantIbLb1EES17_EEDaS12_S13_EUlS12_E_NS1_11comp_targetILNS1_3genE5ELNS1_11target_archE942ELNS1_3gpuE9ELNS1_3repE0EEENS1_30default_config_static_selectorELNS0_4arch9wavefront6targetE1EEEvT1_
                                        ; -- End function
	.section	.AMDGPU.csdata,"",@progbits
; Kernel info:
; codeLenInByte = 5624
; NumSgprs: 46
; NumVgprs: 55
; NumAgprs: 0
; TotalNumVgprs: 55
; ScratchSize: 0
; MemoryBound: 0
; FloatMode: 240
; IeeeMode: 1
; LDSByteSize: 28680 bytes/workgroup (compile time only)
; SGPRBlocks: 5
; VGPRBlocks: 6
; NumSGPRsForWavesPerEU: 46
; NumVGPRsForWavesPerEU: 55
; AccumOffset: 56
; Occupancy: 4
; WaveLimiterHint : 1
; COMPUTE_PGM_RSRC2:SCRATCH_EN: 0
; COMPUTE_PGM_RSRC2:USER_SGPR: 2
; COMPUTE_PGM_RSRC2:TRAP_HANDLER: 0
; COMPUTE_PGM_RSRC2:TGID_X_EN: 1
; COMPUTE_PGM_RSRC2:TGID_Y_EN: 0
; COMPUTE_PGM_RSRC2:TGID_Z_EN: 0
; COMPUTE_PGM_RSRC2:TIDIG_COMP_CNT: 0
; COMPUTE_PGM_RSRC3_GFX90A:ACCUM_OFFSET: 13
; COMPUTE_PGM_RSRC3_GFX90A:TG_SPLIT: 0
	.section	.text._ZN7rocprim17ROCPRIM_400000_NS6detail17trampoline_kernelINS0_14default_configENS1_25partition_config_selectorILNS1_17partition_subalgoE8EdNS0_10empty_typeEbEEZZNS1_14partition_implILS5_8ELb0ES3_jPKdPS6_PKS6_NS0_5tupleIJPdS6_EEENSE_IJSB_SB_EEENS0_18inequality_wrapperIN6hipcub16HIPCUB_304000_NS8EqualityEEEPlJS6_EEE10hipError_tPvRmT3_T4_T5_T6_T7_T9_mT8_P12ihipStream_tbDpT10_ENKUlT_T0_E_clISt17integral_constantIbLb1EES17_EEDaS12_S13_EUlS12_E_NS1_11comp_targetILNS1_3genE4ELNS1_11target_archE910ELNS1_3gpuE8ELNS1_3repE0EEENS1_30default_config_static_selectorELNS0_4arch9wavefront6targetE1EEEvT1_,"axG",@progbits,_ZN7rocprim17ROCPRIM_400000_NS6detail17trampoline_kernelINS0_14default_configENS1_25partition_config_selectorILNS1_17partition_subalgoE8EdNS0_10empty_typeEbEEZZNS1_14partition_implILS5_8ELb0ES3_jPKdPS6_PKS6_NS0_5tupleIJPdS6_EEENSE_IJSB_SB_EEENS0_18inequality_wrapperIN6hipcub16HIPCUB_304000_NS8EqualityEEEPlJS6_EEE10hipError_tPvRmT3_T4_T5_T6_T7_T9_mT8_P12ihipStream_tbDpT10_ENKUlT_T0_E_clISt17integral_constantIbLb1EES17_EEDaS12_S13_EUlS12_E_NS1_11comp_targetILNS1_3genE4ELNS1_11target_archE910ELNS1_3gpuE8ELNS1_3repE0EEENS1_30default_config_static_selectorELNS0_4arch9wavefront6targetE1EEEvT1_,comdat
	.protected	_ZN7rocprim17ROCPRIM_400000_NS6detail17trampoline_kernelINS0_14default_configENS1_25partition_config_selectorILNS1_17partition_subalgoE8EdNS0_10empty_typeEbEEZZNS1_14partition_implILS5_8ELb0ES3_jPKdPS6_PKS6_NS0_5tupleIJPdS6_EEENSE_IJSB_SB_EEENS0_18inequality_wrapperIN6hipcub16HIPCUB_304000_NS8EqualityEEEPlJS6_EEE10hipError_tPvRmT3_T4_T5_T6_T7_T9_mT8_P12ihipStream_tbDpT10_ENKUlT_T0_E_clISt17integral_constantIbLb1EES17_EEDaS12_S13_EUlS12_E_NS1_11comp_targetILNS1_3genE4ELNS1_11target_archE910ELNS1_3gpuE8ELNS1_3repE0EEENS1_30default_config_static_selectorELNS0_4arch9wavefront6targetE1EEEvT1_ ; -- Begin function _ZN7rocprim17ROCPRIM_400000_NS6detail17trampoline_kernelINS0_14default_configENS1_25partition_config_selectorILNS1_17partition_subalgoE8EdNS0_10empty_typeEbEEZZNS1_14partition_implILS5_8ELb0ES3_jPKdPS6_PKS6_NS0_5tupleIJPdS6_EEENSE_IJSB_SB_EEENS0_18inequality_wrapperIN6hipcub16HIPCUB_304000_NS8EqualityEEEPlJS6_EEE10hipError_tPvRmT3_T4_T5_T6_T7_T9_mT8_P12ihipStream_tbDpT10_ENKUlT_T0_E_clISt17integral_constantIbLb1EES17_EEDaS12_S13_EUlS12_E_NS1_11comp_targetILNS1_3genE4ELNS1_11target_archE910ELNS1_3gpuE8ELNS1_3repE0EEENS1_30default_config_static_selectorELNS0_4arch9wavefront6targetE1EEEvT1_
	.globl	_ZN7rocprim17ROCPRIM_400000_NS6detail17trampoline_kernelINS0_14default_configENS1_25partition_config_selectorILNS1_17partition_subalgoE8EdNS0_10empty_typeEbEEZZNS1_14partition_implILS5_8ELb0ES3_jPKdPS6_PKS6_NS0_5tupleIJPdS6_EEENSE_IJSB_SB_EEENS0_18inequality_wrapperIN6hipcub16HIPCUB_304000_NS8EqualityEEEPlJS6_EEE10hipError_tPvRmT3_T4_T5_T6_T7_T9_mT8_P12ihipStream_tbDpT10_ENKUlT_T0_E_clISt17integral_constantIbLb1EES17_EEDaS12_S13_EUlS12_E_NS1_11comp_targetILNS1_3genE4ELNS1_11target_archE910ELNS1_3gpuE8ELNS1_3repE0EEENS1_30default_config_static_selectorELNS0_4arch9wavefront6targetE1EEEvT1_
	.p2align	8
	.type	_ZN7rocprim17ROCPRIM_400000_NS6detail17trampoline_kernelINS0_14default_configENS1_25partition_config_selectorILNS1_17partition_subalgoE8EdNS0_10empty_typeEbEEZZNS1_14partition_implILS5_8ELb0ES3_jPKdPS6_PKS6_NS0_5tupleIJPdS6_EEENSE_IJSB_SB_EEENS0_18inequality_wrapperIN6hipcub16HIPCUB_304000_NS8EqualityEEEPlJS6_EEE10hipError_tPvRmT3_T4_T5_T6_T7_T9_mT8_P12ihipStream_tbDpT10_ENKUlT_T0_E_clISt17integral_constantIbLb1EES17_EEDaS12_S13_EUlS12_E_NS1_11comp_targetILNS1_3genE4ELNS1_11target_archE910ELNS1_3gpuE8ELNS1_3repE0EEENS1_30default_config_static_selectorELNS0_4arch9wavefront6targetE1EEEvT1_,@function
_ZN7rocprim17ROCPRIM_400000_NS6detail17trampoline_kernelINS0_14default_configENS1_25partition_config_selectorILNS1_17partition_subalgoE8EdNS0_10empty_typeEbEEZZNS1_14partition_implILS5_8ELb0ES3_jPKdPS6_PKS6_NS0_5tupleIJPdS6_EEENSE_IJSB_SB_EEENS0_18inequality_wrapperIN6hipcub16HIPCUB_304000_NS8EqualityEEEPlJS6_EEE10hipError_tPvRmT3_T4_T5_T6_T7_T9_mT8_P12ihipStream_tbDpT10_ENKUlT_T0_E_clISt17integral_constantIbLb1EES17_EEDaS12_S13_EUlS12_E_NS1_11comp_targetILNS1_3genE4ELNS1_11target_archE910ELNS1_3gpuE8ELNS1_3repE0EEENS1_30default_config_static_selectorELNS0_4arch9wavefront6targetE1EEEvT1_: ; @_ZN7rocprim17ROCPRIM_400000_NS6detail17trampoline_kernelINS0_14default_configENS1_25partition_config_selectorILNS1_17partition_subalgoE8EdNS0_10empty_typeEbEEZZNS1_14partition_implILS5_8ELb0ES3_jPKdPS6_PKS6_NS0_5tupleIJPdS6_EEENSE_IJSB_SB_EEENS0_18inequality_wrapperIN6hipcub16HIPCUB_304000_NS8EqualityEEEPlJS6_EEE10hipError_tPvRmT3_T4_T5_T6_T7_T9_mT8_P12ihipStream_tbDpT10_ENKUlT_T0_E_clISt17integral_constantIbLb1EES17_EEDaS12_S13_EUlS12_E_NS1_11comp_targetILNS1_3genE4ELNS1_11target_archE910ELNS1_3gpuE8ELNS1_3repE0EEENS1_30default_config_static_selectorELNS0_4arch9wavefront6targetE1EEEvT1_
; %bb.0:
	.section	.rodata,"a",@progbits
	.p2align	6, 0x0
	.amdhsa_kernel _ZN7rocprim17ROCPRIM_400000_NS6detail17trampoline_kernelINS0_14default_configENS1_25partition_config_selectorILNS1_17partition_subalgoE8EdNS0_10empty_typeEbEEZZNS1_14partition_implILS5_8ELb0ES3_jPKdPS6_PKS6_NS0_5tupleIJPdS6_EEENSE_IJSB_SB_EEENS0_18inequality_wrapperIN6hipcub16HIPCUB_304000_NS8EqualityEEEPlJS6_EEE10hipError_tPvRmT3_T4_T5_T6_T7_T9_mT8_P12ihipStream_tbDpT10_ENKUlT_T0_E_clISt17integral_constantIbLb1EES17_EEDaS12_S13_EUlS12_E_NS1_11comp_targetILNS1_3genE4ELNS1_11target_archE910ELNS1_3gpuE8ELNS1_3repE0EEENS1_30default_config_static_selectorELNS0_4arch9wavefront6targetE1EEEvT1_
		.amdhsa_group_segment_fixed_size 0
		.amdhsa_private_segment_fixed_size 0
		.amdhsa_kernarg_size 128
		.amdhsa_user_sgpr_count 2
		.amdhsa_user_sgpr_dispatch_ptr 0
		.amdhsa_user_sgpr_queue_ptr 0
		.amdhsa_user_sgpr_kernarg_segment_ptr 1
		.amdhsa_user_sgpr_dispatch_id 0
		.amdhsa_user_sgpr_kernarg_preload_length 0
		.amdhsa_user_sgpr_kernarg_preload_offset 0
		.amdhsa_user_sgpr_private_segment_size 0
		.amdhsa_uses_dynamic_stack 0
		.amdhsa_enable_private_segment 0
		.amdhsa_system_sgpr_workgroup_id_x 1
		.amdhsa_system_sgpr_workgroup_id_y 0
		.amdhsa_system_sgpr_workgroup_id_z 0
		.amdhsa_system_sgpr_workgroup_info 0
		.amdhsa_system_vgpr_workitem_id 0
		.amdhsa_next_free_vgpr 1
		.amdhsa_next_free_sgpr 0
		.amdhsa_accum_offset 4
		.amdhsa_reserve_vcc 0
		.amdhsa_float_round_mode_32 0
		.amdhsa_float_round_mode_16_64 0
		.amdhsa_float_denorm_mode_32 3
		.amdhsa_float_denorm_mode_16_64 3
		.amdhsa_dx10_clamp 1
		.amdhsa_ieee_mode 1
		.amdhsa_fp16_overflow 0
		.amdhsa_tg_split 0
		.amdhsa_exception_fp_ieee_invalid_op 0
		.amdhsa_exception_fp_denorm_src 0
		.amdhsa_exception_fp_ieee_div_zero 0
		.amdhsa_exception_fp_ieee_overflow 0
		.amdhsa_exception_fp_ieee_underflow 0
		.amdhsa_exception_fp_ieee_inexact 0
		.amdhsa_exception_int_div_zero 0
	.end_amdhsa_kernel
	.section	.text._ZN7rocprim17ROCPRIM_400000_NS6detail17trampoline_kernelINS0_14default_configENS1_25partition_config_selectorILNS1_17partition_subalgoE8EdNS0_10empty_typeEbEEZZNS1_14partition_implILS5_8ELb0ES3_jPKdPS6_PKS6_NS0_5tupleIJPdS6_EEENSE_IJSB_SB_EEENS0_18inequality_wrapperIN6hipcub16HIPCUB_304000_NS8EqualityEEEPlJS6_EEE10hipError_tPvRmT3_T4_T5_T6_T7_T9_mT8_P12ihipStream_tbDpT10_ENKUlT_T0_E_clISt17integral_constantIbLb1EES17_EEDaS12_S13_EUlS12_E_NS1_11comp_targetILNS1_3genE4ELNS1_11target_archE910ELNS1_3gpuE8ELNS1_3repE0EEENS1_30default_config_static_selectorELNS0_4arch9wavefront6targetE1EEEvT1_,"axG",@progbits,_ZN7rocprim17ROCPRIM_400000_NS6detail17trampoline_kernelINS0_14default_configENS1_25partition_config_selectorILNS1_17partition_subalgoE8EdNS0_10empty_typeEbEEZZNS1_14partition_implILS5_8ELb0ES3_jPKdPS6_PKS6_NS0_5tupleIJPdS6_EEENSE_IJSB_SB_EEENS0_18inequality_wrapperIN6hipcub16HIPCUB_304000_NS8EqualityEEEPlJS6_EEE10hipError_tPvRmT3_T4_T5_T6_T7_T9_mT8_P12ihipStream_tbDpT10_ENKUlT_T0_E_clISt17integral_constantIbLb1EES17_EEDaS12_S13_EUlS12_E_NS1_11comp_targetILNS1_3genE4ELNS1_11target_archE910ELNS1_3gpuE8ELNS1_3repE0EEENS1_30default_config_static_selectorELNS0_4arch9wavefront6targetE1EEEvT1_,comdat
.Lfunc_end282:
	.size	_ZN7rocprim17ROCPRIM_400000_NS6detail17trampoline_kernelINS0_14default_configENS1_25partition_config_selectorILNS1_17partition_subalgoE8EdNS0_10empty_typeEbEEZZNS1_14partition_implILS5_8ELb0ES3_jPKdPS6_PKS6_NS0_5tupleIJPdS6_EEENSE_IJSB_SB_EEENS0_18inequality_wrapperIN6hipcub16HIPCUB_304000_NS8EqualityEEEPlJS6_EEE10hipError_tPvRmT3_T4_T5_T6_T7_T9_mT8_P12ihipStream_tbDpT10_ENKUlT_T0_E_clISt17integral_constantIbLb1EES17_EEDaS12_S13_EUlS12_E_NS1_11comp_targetILNS1_3genE4ELNS1_11target_archE910ELNS1_3gpuE8ELNS1_3repE0EEENS1_30default_config_static_selectorELNS0_4arch9wavefront6targetE1EEEvT1_, .Lfunc_end282-_ZN7rocprim17ROCPRIM_400000_NS6detail17trampoline_kernelINS0_14default_configENS1_25partition_config_selectorILNS1_17partition_subalgoE8EdNS0_10empty_typeEbEEZZNS1_14partition_implILS5_8ELb0ES3_jPKdPS6_PKS6_NS0_5tupleIJPdS6_EEENSE_IJSB_SB_EEENS0_18inequality_wrapperIN6hipcub16HIPCUB_304000_NS8EqualityEEEPlJS6_EEE10hipError_tPvRmT3_T4_T5_T6_T7_T9_mT8_P12ihipStream_tbDpT10_ENKUlT_T0_E_clISt17integral_constantIbLb1EES17_EEDaS12_S13_EUlS12_E_NS1_11comp_targetILNS1_3genE4ELNS1_11target_archE910ELNS1_3gpuE8ELNS1_3repE0EEENS1_30default_config_static_selectorELNS0_4arch9wavefront6targetE1EEEvT1_
                                        ; -- End function
	.section	.AMDGPU.csdata,"",@progbits
; Kernel info:
; codeLenInByte = 0
; NumSgprs: 6
; NumVgprs: 0
; NumAgprs: 0
; TotalNumVgprs: 0
; ScratchSize: 0
; MemoryBound: 0
; FloatMode: 240
; IeeeMode: 1
; LDSByteSize: 0 bytes/workgroup (compile time only)
; SGPRBlocks: 0
; VGPRBlocks: 0
; NumSGPRsForWavesPerEU: 6
; NumVGPRsForWavesPerEU: 1
; AccumOffset: 4
; Occupancy: 8
; WaveLimiterHint : 0
; COMPUTE_PGM_RSRC2:SCRATCH_EN: 0
; COMPUTE_PGM_RSRC2:USER_SGPR: 2
; COMPUTE_PGM_RSRC2:TRAP_HANDLER: 0
; COMPUTE_PGM_RSRC2:TGID_X_EN: 1
; COMPUTE_PGM_RSRC2:TGID_Y_EN: 0
; COMPUTE_PGM_RSRC2:TGID_Z_EN: 0
; COMPUTE_PGM_RSRC2:TIDIG_COMP_CNT: 0
; COMPUTE_PGM_RSRC3_GFX90A:ACCUM_OFFSET: 0
; COMPUTE_PGM_RSRC3_GFX90A:TG_SPLIT: 0
	.section	.text._ZN7rocprim17ROCPRIM_400000_NS6detail17trampoline_kernelINS0_14default_configENS1_25partition_config_selectorILNS1_17partition_subalgoE8EdNS0_10empty_typeEbEEZZNS1_14partition_implILS5_8ELb0ES3_jPKdPS6_PKS6_NS0_5tupleIJPdS6_EEENSE_IJSB_SB_EEENS0_18inequality_wrapperIN6hipcub16HIPCUB_304000_NS8EqualityEEEPlJS6_EEE10hipError_tPvRmT3_T4_T5_T6_T7_T9_mT8_P12ihipStream_tbDpT10_ENKUlT_T0_E_clISt17integral_constantIbLb1EES17_EEDaS12_S13_EUlS12_E_NS1_11comp_targetILNS1_3genE3ELNS1_11target_archE908ELNS1_3gpuE7ELNS1_3repE0EEENS1_30default_config_static_selectorELNS0_4arch9wavefront6targetE1EEEvT1_,"axG",@progbits,_ZN7rocprim17ROCPRIM_400000_NS6detail17trampoline_kernelINS0_14default_configENS1_25partition_config_selectorILNS1_17partition_subalgoE8EdNS0_10empty_typeEbEEZZNS1_14partition_implILS5_8ELb0ES3_jPKdPS6_PKS6_NS0_5tupleIJPdS6_EEENSE_IJSB_SB_EEENS0_18inequality_wrapperIN6hipcub16HIPCUB_304000_NS8EqualityEEEPlJS6_EEE10hipError_tPvRmT3_T4_T5_T6_T7_T9_mT8_P12ihipStream_tbDpT10_ENKUlT_T0_E_clISt17integral_constantIbLb1EES17_EEDaS12_S13_EUlS12_E_NS1_11comp_targetILNS1_3genE3ELNS1_11target_archE908ELNS1_3gpuE7ELNS1_3repE0EEENS1_30default_config_static_selectorELNS0_4arch9wavefront6targetE1EEEvT1_,comdat
	.protected	_ZN7rocprim17ROCPRIM_400000_NS6detail17trampoline_kernelINS0_14default_configENS1_25partition_config_selectorILNS1_17partition_subalgoE8EdNS0_10empty_typeEbEEZZNS1_14partition_implILS5_8ELb0ES3_jPKdPS6_PKS6_NS0_5tupleIJPdS6_EEENSE_IJSB_SB_EEENS0_18inequality_wrapperIN6hipcub16HIPCUB_304000_NS8EqualityEEEPlJS6_EEE10hipError_tPvRmT3_T4_T5_T6_T7_T9_mT8_P12ihipStream_tbDpT10_ENKUlT_T0_E_clISt17integral_constantIbLb1EES17_EEDaS12_S13_EUlS12_E_NS1_11comp_targetILNS1_3genE3ELNS1_11target_archE908ELNS1_3gpuE7ELNS1_3repE0EEENS1_30default_config_static_selectorELNS0_4arch9wavefront6targetE1EEEvT1_ ; -- Begin function _ZN7rocprim17ROCPRIM_400000_NS6detail17trampoline_kernelINS0_14default_configENS1_25partition_config_selectorILNS1_17partition_subalgoE8EdNS0_10empty_typeEbEEZZNS1_14partition_implILS5_8ELb0ES3_jPKdPS6_PKS6_NS0_5tupleIJPdS6_EEENSE_IJSB_SB_EEENS0_18inequality_wrapperIN6hipcub16HIPCUB_304000_NS8EqualityEEEPlJS6_EEE10hipError_tPvRmT3_T4_T5_T6_T7_T9_mT8_P12ihipStream_tbDpT10_ENKUlT_T0_E_clISt17integral_constantIbLb1EES17_EEDaS12_S13_EUlS12_E_NS1_11comp_targetILNS1_3genE3ELNS1_11target_archE908ELNS1_3gpuE7ELNS1_3repE0EEENS1_30default_config_static_selectorELNS0_4arch9wavefront6targetE1EEEvT1_
	.globl	_ZN7rocprim17ROCPRIM_400000_NS6detail17trampoline_kernelINS0_14default_configENS1_25partition_config_selectorILNS1_17partition_subalgoE8EdNS0_10empty_typeEbEEZZNS1_14partition_implILS5_8ELb0ES3_jPKdPS6_PKS6_NS0_5tupleIJPdS6_EEENSE_IJSB_SB_EEENS0_18inequality_wrapperIN6hipcub16HIPCUB_304000_NS8EqualityEEEPlJS6_EEE10hipError_tPvRmT3_T4_T5_T6_T7_T9_mT8_P12ihipStream_tbDpT10_ENKUlT_T0_E_clISt17integral_constantIbLb1EES17_EEDaS12_S13_EUlS12_E_NS1_11comp_targetILNS1_3genE3ELNS1_11target_archE908ELNS1_3gpuE7ELNS1_3repE0EEENS1_30default_config_static_selectorELNS0_4arch9wavefront6targetE1EEEvT1_
	.p2align	8
	.type	_ZN7rocprim17ROCPRIM_400000_NS6detail17trampoline_kernelINS0_14default_configENS1_25partition_config_selectorILNS1_17partition_subalgoE8EdNS0_10empty_typeEbEEZZNS1_14partition_implILS5_8ELb0ES3_jPKdPS6_PKS6_NS0_5tupleIJPdS6_EEENSE_IJSB_SB_EEENS0_18inequality_wrapperIN6hipcub16HIPCUB_304000_NS8EqualityEEEPlJS6_EEE10hipError_tPvRmT3_T4_T5_T6_T7_T9_mT8_P12ihipStream_tbDpT10_ENKUlT_T0_E_clISt17integral_constantIbLb1EES17_EEDaS12_S13_EUlS12_E_NS1_11comp_targetILNS1_3genE3ELNS1_11target_archE908ELNS1_3gpuE7ELNS1_3repE0EEENS1_30default_config_static_selectorELNS0_4arch9wavefront6targetE1EEEvT1_,@function
_ZN7rocprim17ROCPRIM_400000_NS6detail17trampoline_kernelINS0_14default_configENS1_25partition_config_selectorILNS1_17partition_subalgoE8EdNS0_10empty_typeEbEEZZNS1_14partition_implILS5_8ELb0ES3_jPKdPS6_PKS6_NS0_5tupleIJPdS6_EEENSE_IJSB_SB_EEENS0_18inequality_wrapperIN6hipcub16HIPCUB_304000_NS8EqualityEEEPlJS6_EEE10hipError_tPvRmT3_T4_T5_T6_T7_T9_mT8_P12ihipStream_tbDpT10_ENKUlT_T0_E_clISt17integral_constantIbLb1EES17_EEDaS12_S13_EUlS12_E_NS1_11comp_targetILNS1_3genE3ELNS1_11target_archE908ELNS1_3gpuE7ELNS1_3repE0EEENS1_30default_config_static_selectorELNS0_4arch9wavefront6targetE1EEEvT1_: ; @_ZN7rocprim17ROCPRIM_400000_NS6detail17trampoline_kernelINS0_14default_configENS1_25partition_config_selectorILNS1_17partition_subalgoE8EdNS0_10empty_typeEbEEZZNS1_14partition_implILS5_8ELb0ES3_jPKdPS6_PKS6_NS0_5tupleIJPdS6_EEENSE_IJSB_SB_EEENS0_18inequality_wrapperIN6hipcub16HIPCUB_304000_NS8EqualityEEEPlJS6_EEE10hipError_tPvRmT3_T4_T5_T6_T7_T9_mT8_P12ihipStream_tbDpT10_ENKUlT_T0_E_clISt17integral_constantIbLb1EES17_EEDaS12_S13_EUlS12_E_NS1_11comp_targetILNS1_3genE3ELNS1_11target_archE908ELNS1_3gpuE7ELNS1_3repE0EEENS1_30default_config_static_selectorELNS0_4arch9wavefront6targetE1EEEvT1_
; %bb.0:
	.section	.rodata,"a",@progbits
	.p2align	6, 0x0
	.amdhsa_kernel _ZN7rocprim17ROCPRIM_400000_NS6detail17trampoline_kernelINS0_14default_configENS1_25partition_config_selectorILNS1_17partition_subalgoE8EdNS0_10empty_typeEbEEZZNS1_14partition_implILS5_8ELb0ES3_jPKdPS6_PKS6_NS0_5tupleIJPdS6_EEENSE_IJSB_SB_EEENS0_18inequality_wrapperIN6hipcub16HIPCUB_304000_NS8EqualityEEEPlJS6_EEE10hipError_tPvRmT3_T4_T5_T6_T7_T9_mT8_P12ihipStream_tbDpT10_ENKUlT_T0_E_clISt17integral_constantIbLb1EES17_EEDaS12_S13_EUlS12_E_NS1_11comp_targetILNS1_3genE3ELNS1_11target_archE908ELNS1_3gpuE7ELNS1_3repE0EEENS1_30default_config_static_selectorELNS0_4arch9wavefront6targetE1EEEvT1_
		.amdhsa_group_segment_fixed_size 0
		.amdhsa_private_segment_fixed_size 0
		.amdhsa_kernarg_size 128
		.amdhsa_user_sgpr_count 2
		.amdhsa_user_sgpr_dispatch_ptr 0
		.amdhsa_user_sgpr_queue_ptr 0
		.amdhsa_user_sgpr_kernarg_segment_ptr 1
		.amdhsa_user_sgpr_dispatch_id 0
		.amdhsa_user_sgpr_kernarg_preload_length 0
		.amdhsa_user_sgpr_kernarg_preload_offset 0
		.amdhsa_user_sgpr_private_segment_size 0
		.amdhsa_uses_dynamic_stack 0
		.amdhsa_enable_private_segment 0
		.amdhsa_system_sgpr_workgroup_id_x 1
		.amdhsa_system_sgpr_workgroup_id_y 0
		.amdhsa_system_sgpr_workgroup_id_z 0
		.amdhsa_system_sgpr_workgroup_info 0
		.amdhsa_system_vgpr_workitem_id 0
		.amdhsa_next_free_vgpr 1
		.amdhsa_next_free_sgpr 0
		.amdhsa_accum_offset 4
		.amdhsa_reserve_vcc 0
		.amdhsa_float_round_mode_32 0
		.amdhsa_float_round_mode_16_64 0
		.amdhsa_float_denorm_mode_32 3
		.amdhsa_float_denorm_mode_16_64 3
		.amdhsa_dx10_clamp 1
		.amdhsa_ieee_mode 1
		.amdhsa_fp16_overflow 0
		.amdhsa_tg_split 0
		.amdhsa_exception_fp_ieee_invalid_op 0
		.amdhsa_exception_fp_denorm_src 0
		.amdhsa_exception_fp_ieee_div_zero 0
		.amdhsa_exception_fp_ieee_overflow 0
		.amdhsa_exception_fp_ieee_underflow 0
		.amdhsa_exception_fp_ieee_inexact 0
		.amdhsa_exception_int_div_zero 0
	.end_amdhsa_kernel
	.section	.text._ZN7rocprim17ROCPRIM_400000_NS6detail17trampoline_kernelINS0_14default_configENS1_25partition_config_selectorILNS1_17partition_subalgoE8EdNS0_10empty_typeEbEEZZNS1_14partition_implILS5_8ELb0ES3_jPKdPS6_PKS6_NS0_5tupleIJPdS6_EEENSE_IJSB_SB_EEENS0_18inequality_wrapperIN6hipcub16HIPCUB_304000_NS8EqualityEEEPlJS6_EEE10hipError_tPvRmT3_T4_T5_T6_T7_T9_mT8_P12ihipStream_tbDpT10_ENKUlT_T0_E_clISt17integral_constantIbLb1EES17_EEDaS12_S13_EUlS12_E_NS1_11comp_targetILNS1_3genE3ELNS1_11target_archE908ELNS1_3gpuE7ELNS1_3repE0EEENS1_30default_config_static_selectorELNS0_4arch9wavefront6targetE1EEEvT1_,"axG",@progbits,_ZN7rocprim17ROCPRIM_400000_NS6detail17trampoline_kernelINS0_14default_configENS1_25partition_config_selectorILNS1_17partition_subalgoE8EdNS0_10empty_typeEbEEZZNS1_14partition_implILS5_8ELb0ES3_jPKdPS6_PKS6_NS0_5tupleIJPdS6_EEENSE_IJSB_SB_EEENS0_18inequality_wrapperIN6hipcub16HIPCUB_304000_NS8EqualityEEEPlJS6_EEE10hipError_tPvRmT3_T4_T5_T6_T7_T9_mT8_P12ihipStream_tbDpT10_ENKUlT_T0_E_clISt17integral_constantIbLb1EES17_EEDaS12_S13_EUlS12_E_NS1_11comp_targetILNS1_3genE3ELNS1_11target_archE908ELNS1_3gpuE7ELNS1_3repE0EEENS1_30default_config_static_selectorELNS0_4arch9wavefront6targetE1EEEvT1_,comdat
.Lfunc_end283:
	.size	_ZN7rocprim17ROCPRIM_400000_NS6detail17trampoline_kernelINS0_14default_configENS1_25partition_config_selectorILNS1_17partition_subalgoE8EdNS0_10empty_typeEbEEZZNS1_14partition_implILS5_8ELb0ES3_jPKdPS6_PKS6_NS0_5tupleIJPdS6_EEENSE_IJSB_SB_EEENS0_18inequality_wrapperIN6hipcub16HIPCUB_304000_NS8EqualityEEEPlJS6_EEE10hipError_tPvRmT3_T4_T5_T6_T7_T9_mT8_P12ihipStream_tbDpT10_ENKUlT_T0_E_clISt17integral_constantIbLb1EES17_EEDaS12_S13_EUlS12_E_NS1_11comp_targetILNS1_3genE3ELNS1_11target_archE908ELNS1_3gpuE7ELNS1_3repE0EEENS1_30default_config_static_selectorELNS0_4arch9wavefront6targetE1EEEvT1_, .Lfunc_end283-_ZN7rocprim17ROCPRIM_400000_NS6detail17trampoline_kernelINS0_14default_configENS1_25partition_config_selectorILNS1_17partition_subalgoE8EdNS0_10empty_typeEbEEZZNS1_14partition_implILS5_8ELb0ES3_jPKdPS6_PKS6_NS0_5tupleIJPdS6_EEENSE_IJSB_SB_EEENS0_18inequality_wrapperIN6hipcub16HIPCUB_304000_NS8EqualityEEEPlJS6_EEE10hipError_tPvRmT3_T4_T5_T6_T7_T9_mT8_P12ihipStream_tbDpT10_ENKUlT_T0_E_clISt17integral_constantIbLb1EES17_EEDaS12_S13_EUlS12_E_NS1_11comp_targetILNS1_3genE3ELNS1_11target_archE908ELNS1_3gpuE7ELNS1_3repE0EEENS1_30default_config_static_selectorELNS0_4arch9wavefront6targetE1EEEvT1_
                                        ; -- End function
	.section	.AMDGPU.csdata,"",@progbits
; Kernel info:
; codeLenInByte = 0
; NumSgprs: 6
; NumVgprs: 0
; NumAgprs: 0
; TotalNumVgprs: 0
; ScratchSize: 0
; MemoryBound: 0
; FloatMode: 240
; IeeeMode: 1
; LDSByteSize: 0 bytes/workgroup (compile time only)
; SGPRBlocks: 0
; VGPRBlocks: 0
; NumSGPRsForWavesPerEU: 6
; NumVGPRsForWavesPerEU: 1
; AccumOffset: 4
; Occupancy: 8
; WaveLimiterHint : 0
; COMPUTE_PGM_RSRC2:SCRATCH_EN: 0
; COMPUTE_PGM_RSRC2:USER_SGPR: 2
; COMPUTE_PGM_RSRC2:TRAP_HANDLER: 0
; COMPUTE_PGM_RSRC2:TGID_X_EN: 1
; COMPUTE_PGM_RSRC2:TGID_Y_EN: 0
; COMPUTE_PGM_RSRC2:TGID_Z_EN: 0
; COMPUTE_PGM_RSRC2:TIDIG_COMP_CNT: 0
; COMPUTE_PGM_RSRC3_GFX90A:ACCUM_OFFSET: 0
; COMPUTE_PGM_RSRC3_GFX90A:TG_SPLIT: 0
	.section	.text._ZN7rocprim17ROCPRIM_400000_NS6detail17trampoline_kernelINS0_14default_configENS1_25partition_config_selectorILNS1_17partition_subalgoE8EdNS0_10empty_typeEbEEZZNS1_14partition_implILS5_8ELb0ES3_jPKdPS6_PKS6_NS0_5tupleIJPdS6_EEENSE_IJSB_SB_EEENS0_18inequality_wrapperIN6hipcub16HIPCUB_304000_NS8EqualityEEEPlJS6_EEE10hipError_tPvRmT3_T4_T5_T6_T7_T9_mT8_P12ihipStream_tbDpT10_ENKUlT_T0_E_clISt17integral_constantIbLb1EES17_EEDaS12_S13_EUlS12_E_NS1_11comp_targetILNS1_3genE2ELNS1_11target_archE906ELNS1_3gpuE6ELNS1_3repE0EEENS1_30default_config_static_selectorELNS0_4arch9wavefront6targetE1EEEvT1_,"axG",@progbits,_ZN7rocprim17ROCPRIM_400000_NS6detail17trampoline_kernelINS0_14default_configENS1_25partition_config_selectorILNS1_17partition_subalgoE8EdNS0_10empty_typeEbEEZZNS1_14partition_implILS5_8ELb0ES3_jPKdPS6_PKS6_NS0_5tupleIJPdS6_EEENSE_IJSB_SB_EEENS0_18inequality_wrapperIN6hipcub16HIPCUB_304000_NS8EqualityEEEPlJS6_EEE10hipError_tPvRmT3_T4_T5_T6_T7_T9_mT8_P12ihipStream_tbDpT10_ENKUlT_T0_E_clISt17integral_constantIbLb1EES17_EEDaS12_S13_EUlS12_E_NS1_11comp_targetILNS1_3genE2ELNS1_11target_archE906ELNS1_3gpuE6ELNS1_3repE0EEENS1_30default_config_static_selectorELNS0_4arch9wavefront6targetE1EEEvT1_,comdat
	.protected	_ZN7rocprim17ROCPRIM_400000_NS6detail17trampoline_kernelINS0_14default_configENS1_25partition_config_selectorILNS1_17partition_subalgoE8EdNS0_10empty_typeEbEEZZNS1_14partition_implILS5_8ELb0ES3_jPKdPS6_PKS6_NS0_5tupleIJPdS6_EEENSE_IJSB_SB_EEENS0_18inequality_wrapperIN6hipcub16HIPCUB_304000_NS8EqualityEEEPlJS6_EEE10hipError_tPvRmT3_T4_T5_T6_T7_T9_mT8_P12ihipStream_tbDpT10_ENKUlT_T0_E_clISt17integral_constantIbLb1EES17_EEDaS12_S13_EUlS12_E_NS1_11comp_targetILNS1_3genE2ELNS1_11target_archE906ELNS1_3gpuE6ELNS1_3repE0EEENS1_30default_config_static_selectorELNS0_4arch9wavefront6targetE1EEEvT1_ ; -- Begin function _ZN7rocprim17ROCPRIM_400000_NS6detail17trampoline_kernelINS0_14default_configENS1_25partition_config_selectorILNS1_17partition_subalgoE8EdNS0_10empty_typeEbEEZZNS1_14partition_implILS5_8ELb0ES3_jPKdPS6_PKS6_NS0_5tupleIJPdS6_EEENSE_IJSB_SB_EEENS0_18inequality_wrapperIN6hipcub16HIPCUB_304000_NS8EqualityEEEPlJS6_EEE10hipError_tPvRmT3_T4_T5_T6_T7_T9_mT8_P12ihipStream_tbDpT10_ENKUlT_T0_E_clISt17integral_constantIbLb1EES17_EEDaS12_S13_EUlS12_E_NS1_11comp_targetILNS1_3genE2ELNS1_11target_archE906ELNS1_3gpuE6ELNS1_3repE0EEENS1_30default_config_static_selectorELNS0_4arch9wavefront6targetE1EEEvT1_
	.globl	_ZN7rocprim17ROCPRIM_400000_NS6detail17trampoline_kernelINS0_14default_configENS1_25partition_config_selectorILNS1_17partition_subalgoE8EdNS0_10empty_typeEbEEZZNS1_14partition_implILS5_8ELb0ES3_jPKdPS6_PKS6_NS0_5tupleIJPdS6_EEENSE_IJSB_SB_EEENS0_18inequality_wrapperIN6hipcub16HIPCUB_304000_NS8EqualityEEEPlJS6_EEE10hipError_tPvRmT3_T4_T5_T6_T7_T9_mT8_P12ihipStream_tbDpT10_ENKUlT_T0_E_clISt17integral_constantIbLb1EES17_EEDaS12_S13_EUlS12_E_NS1_11comp_targetILNS1_3genE2ELNS1_11target_archE906ELNS1_3gpuE6ELNS1_3repE0EEENS1_30default_config_static_selectorELNS0_4arch9wavefront6targetE1EEEvT1_
	.p2align	8
	.type	_ZN7rocprim17ROCPRIM_400000_NS6detail17trampoline_kernelINS0_14default_configENS1_25partition_config_selectorILNS1_17partition_subalgoE8EdNS0_10empty_typeEbEEZZNS1_14partition_implILS5_8ELb0ES3_jPKdPS6_PKS6_NS0_5tupleIJPdS6_EEENSE_IJSB_SB_EEENS0_18inequality_wrapperIN6hipcub16HIPCUB_304000_NS8EqualityEEEPlJS6_EEE10hipError_tPvRmT3_T4_T5_T6_T7_T9_mT8_P12ihipStream_tbDpT10_ENKUlT_T0_E_clISt17integral_constantIbLb1EES17_EEDaS12_S13_EUlS12_E_NS1_11comp_targetILNS1_3genE2ELNS1_11target_archE906ELNS1_3gpuE6ELNS1_3repE0EEENS1_30default_config_static_selectorELNS0_4arch9wavefront6targetE1EEEvT1_,@function
_ZN7rocprim17ROCPRIM_400000_NS6detail17trampoline_kernelINS0_14default_configENS1_25partition_config_selectorILNS1_17partition_subalgoE8EdNS0_10empty_typeEbEEZZNS1_14partition_implILS5_8ELb0ES3_jPKdPS6_PKS6_NS0_5tupleIJPdS6_EEENSE_IJSB_SB_EEENS0_18inequality_wrapperIN6hipcub16HIPCUB_304000_NS8EqualityEEEPlJS6_EEE10hipError_tPvRmT3_T4_T5_T6_T7_T9_mT8_P12ihipStream_tbDpT10_ENKUlT_T0_E_clISt17integral_constantIbLb1EES17_EEDaS12_S13_EUlS12_E_NS1_11comp_targetILNS1_3genE2ELNS1_11target_archE906ELNS1_3gpuE6ELNS1_3repE0EEENS1_30default_config_static_selectorELNS0_4arch9wavefront6targetE1EEEvT1_: ; @_ZN7rocprim17ROCPRIM_400000_NS6detail17trampoline_kernelINS0_14default_configENS1_25partition_config_selectorILNS1_17partition_subalgoE8EdNS0_10empty_typeEbEEZZNS1_14partition_implILS5_8ELb0ES3_jPKdPS6_PKS6_NS0_5tupleIJPdS6_EEENSE_IJSB_SB_EEENS0_18inequality_wrapperIN6hipcub16HIPCUB_304000_NS8EqualityEEEPlJS6_EEE10hipError_tPvRmT3_T4_T5_T6_T7_T9_mT8_P12ihipStream_tbDpT10_ENKUlT_T0_E_clISt17integral_constantIbLb1EES17_EEDaS12_S13_EUlS12_E_NS1_11comp_targetILNS1_3genE2ELNS1_11target_archE906ELNS1_3gpuE6ELNS1_3repE0EEENS1_30default_config_static_selectorELNS0_4arch9wavefront6targetE1EEEvT1_
; %bb.0:
	.section	.rodata,"a",@progbits
	.p2align	6, 0x0
	.amdhsa_kernel _ZN7rocprim17ROCPRIM_400000_NS6detail17trampoline_kernelINS0_14default_configENS1_25partition_config_selectorILNS1_17partition_subalgoE8EdNS0_10empty_typeEbEEZZNS1_14partition_implILS5_8ELb0ES3_jPKdPS6_PKS6_NS0_5tupleIJPdS6_EEENSE_IJSB_SB_EEENS0_18inequality_wrapperIN6hipcub16HIPCUB_304000_NS8EqualityEEEPlJS6_EEE10hipError_tPvRmT3_T4_T5_T6_T7_T9_mT8_P12ihipStream_tbDpT10_ENKUlT_T0_E_clISt17integral_constantIbLb1EES17_EEDaS12_S13_EUlS12_E_NS1_11comp_targetILNS1_3genE2ELNS1_11target_archE906ELNS1_3gpuE6ELNS1_3repE0EEENS1_30default_config_static_selectorELNS0_4arch9wavefront6targetE1EEEvT1_
		.amdhsa_group_segment_fixed_size 0
		.amdhsa_private_segment_fixed_size 0
		.amdhsa_kernarg_size 128
		.amdhsa_user_sgpr_count 2
		.amdhsa_user_sgpr_dispatch_ptr 0
		.amdhsa_user_sgpr_queue_ptr 0
		.amdhsa_user_sgpr_kernarg_segment_ptr 1
		.amdhsa_user_sgpr_dispatch_id 0
		.amdhsa_user_sgpr_kernarg_preload_length 0
		.amdhsa_user_sgpr_kernarg_preload_offset 0
		.amdhsa_user_sgpr_private_segment_size 0
		.amdhsa_uses_dynamic_stack 0
		.amdhsa_enable_private_segment 0
		.amdhsa_system_sgpr_workgroup_id_x 1
		.amdhsa_system_sgpr_workgroup_id_y 0
		.amdhsa_system_sgpr_workgroup_id_z 0
		.amdhsa_system_sgpr_workgroup_info 0
		.amdhsa_system_vgpr_workitem_id 0
		.amdhsa_next_free_vgpr 1
		.amdhsa_next_free_sgpr 0
		.amdhsa_accum_offset 4
		.amdhsa_reserve_vcc 0
		.amdhsa_float_round_mode_32 0
		.amdhsa_float_round_mode_16_64 0
		.amdhsa_float_denorm_mode_32 3
		.amdhsa_float_denorm_mode_16_64 3
		.amdhsa_dx10_clamp 1
		.amdhsa_ieee_mode 1
		.amdhsa_fp16_overflow 0
		.amdhsa_tg_split 0
		.amdhsa_exception_fp_ieee_invalid_op 0
		.amdhsa_exception_fp_denorm_src 0
		.amdhsa_exception_fp_ieee_div_zero 0
		.amdhsa_exception_fp_ieee_overflow 0
		.amdhsa_exception_fp_ieee_underflow 0
		.amdhsa_exception_fp_ieee_inexact 0
		.amdhsa_exception_int_div_zero 0
	.end_amdhsa_kernel
	.section	.text._ZN7rocprim17ROCPRIM_400000_NS6detail17trampoline_kernelINS0_14default_configENS1_25partition_config_selectorILNS1_17partition_subalgoE8EdNS0_10empty_typeEbEEZZNS1_14partition_implILS5_8ELb0ES3_jPKdPS6_PKS6_NS0_5tupleIJPdS6_EEENSE_IJSB_SB_EEENS0_18inequality_wrapperIN6hipcub16HIPCUB_304000_NS8EqualityEEEPlJS6_EEE10hipError_tPvRmT3_T4_T5_T6_T7_T9_mT8_P12ihipStream_tbDpT10_ENKUlT_T0_E_clISt17integral_constantIbLb1EES17_EEDaS12_S13_EUlS12_E_NS1_11comp_targetILNS1_3genE2ELNS1_11target_archE906ELNS1_3gpuE6ELNS1_3repE0EEENS1_30default_config_static_selectorELNS0_4arch9wavefront6targetE1EEEvT1_,"axG",@progbits,_ZN7rocprim17ROCPRIM_400000_NS6detail17trampoline_kernelINS0_14default_configENS1_25partition_config_selectorILNS1_17partition_subalgoE8EdNS0_10empty_typeEbEEZZNS1_14partition_implILS5_8ELb0ES3_jPKdPS6_PKS6_NS0_5tupleIJPdS6_EEENSE_IJSB_SB_EEENS0_18inequality_wrapperIN6hipcub16HIPCUB_304000_NS8EqualityEEEPlJS6_EEE10hipError_tPvRmT3_T4_T5_T6_T7_T9_mT8_P12ihipStream_tbDpT10_ENKUlT_T0_E_clISt17integral_constantIbLb1EES17_EEDaS12_S13_EUlS12_E_NS1_11comp_targetILNS1_3genE2ELNS1_11target_archE906ELNS1_3gpuE6ELNS1_3repE0EEENS1_30default_config_static_selectorELNS0_4arch9wavefront6targetE1EEEvT1_,comdat
.Lfunc_end284:
	.size	_ZN7rocprim17ROCPRIM_400000_NS6detail17trampoline_kernelINS0_14default_configENS1_25partition_config_selectorILNS1_17partition_subalgoE8EdNS0_10empty_typeEbEEZZNS1_14partition_implILS5_8ELb0ES3_jPKdPS6_PKS6_NS0_5tupleIJPdS6_EEENSE_IJSB_SB_EEENS0_18inequality_wrapperIN6hipcub16HIPCUB_304000_NS8EqualityEEEPlJS6_EEE10hipError_tPvRmT3_T4_T5_T6_T7_T9_mT8_P12ihipStream_tbDpT10_ENKUlT_T0_E_clISt17integral_constantIbLb1EES17_EEDaS12_S13_EUlS12_E_NS1_11comp_targetILNS1_3genE2ELNS1_11target_archE906ELNS1_3gpuE6ELNS1_3repE0EEENS1_30default_config_static_selectorELNS0_4arch9wavefront6targetE1EEEvT1_, .Lfunc_end284-_ZN7rocprim17ROCPRIM_400000_NS6detail17trampoline_kernelINS0_14default_configENS1_25partition_config_selectorILNS1_17partition_subalgoE8EdNS0_10empty_typeEbEEZZNS1_14partition_implILS5_8ELb0ES3_jPKdPS6_PKS6_NS0_5tupleIJPdS6_EEENSE_IJSB_SB_EEENS0_18inequality_wrapperIN6hipcub16HIPCUB_304000_NS8EqualityEEEPlJS6_EEE10hipError_tPvRmT3_T4_T5_T6_T7_T9_mT8_P12ihipStream_tbDpT10_ENKUlT_T0_E_clISt17integral_constantIbLb1EES17_EEDaS12_S13_EUlS12_E_NS1_11comp_targetILNS1_3genE2ELNS1_11target_archE906ELNS1_3gpuE6ELNS1_3repE0EEENS1_30default_config_static_selectorELNS0_4arch9wavefront6targetE1EEEvT1_
                                        ; -- End function
	.section	.AMDGPU.csdata,"",@progbits
; Kernel info:
; codeLenInByte = 0
; NumSgprs: 6
; NumVgprs: 0
; NumAgprs: 0
; TotalNumVgprs: 0
; ScratchSize: 0
; MemoryBound: 0
; FloatMode: 240
; IeeeMode: 1
; LDSByteSize: 0 bytes/workgroup (compile time only)
; SGPRBlocks: 0
; VGPRBlocks: 0
; NumSGPRsForWavesPerEU: 6
; NumVGPRsForWavesPerEU: 1
; AccumOffset: 4
; Occupancy: 8
; WaveLimiterHint : 0
; COMPUTE_PGM_RSRC2:SCRATCH_EN: 0
; COMPUTE_PGM_RSRC2:USER_SGPR: 2
; COMPUTE_PGM_RSRC2:TRAP_HANDLER: 0
; COMPUTE_PGM_RSRC2:TGID_X_EN: 1
; COMPUTE_PGM_RSRC2:TGID_Y_EN: 0
; COMPUTE_PGM_RSRC2:TGID_Z_EN: 0
; COMPUTE_PGM_RSRC2:TIDIG_COMP_CNT: 0
; COMPUTE_PGM_RSRC3_GFX90A:ACCUM_OFFSET: 0
; COMPUTE_PGM_RSRC3_GFX90A:TG_SPLIT: 0
	.section	.text._ZN7rocprim17ROCPRIM_400000_NS6detail17trampoline_kernelINS0_14default_configENS1_25partition_config_selectorILNS1_17partition_subalgoE8EdNS0_10empty_typeEbEEZZNS1_14partition_implILS5_8ELb0ES3_jPKdPS6_PKS6_NS0_5tupleIJPdS6_EEENSE_IJSB_SB_EEENS0_18inequality_wrapperIN6hipcub16HIPCUB_304000_NS8EqualityEEEPlJS6_EEE10hipError_tPvRmT3_T4_T5_T6_T7_T9_mT8_P12ihipStream_tbDpT10_ENKUlT_T0_E_clISt17integral_constantIbLb1EES17_EEDaS12_S13_EUlS12_E_NS1_11comp_targetILNS1_3genE10ELNS1_11target_archE1200ELNS1_3gpuE4ELNS1_3repE0EEENS1_30default_config_static_selectorELNS0_4arch9wavefront6targetE1EEEvT1_,"axG",@progbits,_ZN7rocprim17ROCPRIM_400000_NS6detail17trampoline_kernelINS0_14default_configENS1_25partition_config_selectorILNS1_17partition_subalgoE8EdNS0_10empty_typeEbEEZZNS1_14partition_implILS5_8ELb0ES3_jPKdPS6_PKS6_NS0_5tupleIJPdS6_EEENSE_IJSB_SB_EEENS0_18inequality_wrapperIN6hipcub16HIPCUB_304000_NS8EqualityEEEPlJS6_EEE10hipError_tPvRmT3_T4_T5_T6_T7_T9_mT8_P12ihipStream_tbDpT10_ENKUlT_T0_E_clISt17integral_constantIbLb1EES17_EEDaS12_S13_EUlS12_E_NS1_11comp_targetILNS1_3genE10ELNS1_11target_archE1200ELNS1_3gpuE4ELNS1_3repE0EEENS1_30default_config_static_selectorELNS0_4arch9wavefront6targetE1EEEvT1_,comdat
	.protected	_ZN7rocprim17ROCPRIM_400000_NS6detail17trampoline_kernelINS0_14default_configENS1_25partition_config_selectorILNS1_17partition_subalgoE8EdNS0_10empty_typeEbEEZZNS1_14partition_implILS5_8ELb0ES3_jPKdPS6_PKS6_NS0_5tupleIJPdS6_EEENSE_IJSB_SB_EEENS0_18inequality_wrapperIN6hipcub16HIPCUB_304000_NS8EqualityEEEPlJS6_EEE10hipError_tPvRmT3_T4_T5_T6_T7_T9_mT8_P12ihipStream_tbDpT10_ENKUlT_T0_E_clISt17integral_constantIbLb1EES17_EEDaS12_S13_EUlS12_E_NS1_11comp_targetILNS1_3genE10ELNS1_11target_archE1200ELNS1_3gpuE4ELNS1_3repE0EEENS1_30default_config_static_selectorELNS0_4arch9wavefront6targetE1EEEvT1_ ; -- Begin function _ZN7rocprim17ROCPRIM_400000_NS6detail17trampoline_kernelINS0_14default_configENS1_25partition_config_selectorILNS1_17partition_subalgoE8EdNS0_10empty_typeEbEEZZNS1_14partition_implILS5_8ELb0ES3_jPKdPS6_PKS6_NS0_5tupleIJPdS6_EEENSE_IJSB_SB_EEENS0_18inequality_wrapperIN6hipcub16HIPCUB_304000_NS8EqualityEEEPlJS6_EEE10hipError_tPvRmT3_T4_T5_T6_T7_T9_mT8_P12ihipStream_tbDpT10_ENKUlT_T0_E_clISt17integral_constantIbLb1EES17_EEDaS12_S13_EUlS12_E_NS1_11comp_targetILNS1_3genE10ELNS1_11target_archE1200ELNS1_3gpuE4ELNS1_3repE0EEENS1_30default_config_static_selectorELNS0_4arch9wavefront6targetE1EEEvT1_
	.globl	_ZN7rocprim17ROCPRIM_400000_NS6detail17trampoline_kernelINS0_14default_configENS1_25partition_config_selectorILNS1_17partition_subalgoE8EdNS0_10empty_typeEbEEZZNS1_14partition_implILS5_8ELb0ES3_jPKdPS6_PKS6_NS0_5tupleIJPdS6_EEENSE_IJSB_SB_EEENS0_18inequality_wrapperIN6hipcub16HIPCUB_304000_NS8EqualityEEEPlJS6_EEE10hipError_tPvRmT3_T4_T5_T6_T7_T9_mT8_P12ihipStream_tbDpT10_ENKUlT_T0_E_clISt17integral_constantIbLb1EES17_EEDaS12_S13_EUlS12_E_NS1_11comp_targetILNS1_3genE10ELNS1_11target_archE1200ELNS1_3gpuE4ELNS1_3repE0EEENS1_30default_config_static_selectorELNS0_4arch9wavefront6targetE1EEEvT1_
	.p2align	8
	.type	_ZN7rocprim17ROCPRIM_400000_NS6detail17trampoline_kernelINS0_14default_configENS1_25partition_config_selectorILNS1_17partition_subalgoE8EdNS0_10empty_typeEbEEZZNS1_14partition_implILS5_8ELb0ES3_jPKdPS6_PKS6_NS0_5tupleIJPdS6_EEENSE_IJSB_SB_EEENS0_18inequality_wrapperIN6hipcub16HIPCUB_304000_NS8EqualityEEEPlJS6_EEE10hipError_tPvRmT3_T4_T5_T6_T7_T9_mT8_P12ihipStream_tbDpT10_ENKUlT_T0_E_clISt17integral_constantIbLb1EES17_EEDaS12_S13_EUlS12_E_NS1_11comp_targetILNS1_3genE10ELNS1_11target_archE1200ELNS1_3gpuE4ELNS1_3repE0EEENS1_30default_config_static_selectorELNS0_4arch9wavefront6targetE1EEEvT1_,@function
_ZN7rocprim17ROCPRIM_400000_NS6detail17trampoline_kernelINS0_14default_configENS1_25partition_config_selectorILNS1_17partition_subalgoE8EdNS0_10empty_typeEbEEZZNS1_14partition_implILS5_8ELb0ES3_jPKdPS6_PKS6_NS0_5tupleIJPdS6_EEENSE_IJSB_SB_EEENS0_18inequality_wrapperIN6hipcub16HIPCUB_304000_NS8EqualityEEEPlJS6_EEE10hipError_tPvRmT3_T4_T5_T6_T7_T9_mT8_P12ihipStream_tbDpT10_ENKUlT_T0_E_clISt17integral_constantIbLb1EES17_EEDaS12_S13_EUlS12_E_NS1_11comp_targetILNS1_3genE10ELNS1_11target_archE1200ELNS1_3gpuE4ELNS1_3repE0EEENS1_30default_config_static_selectorELNS0_4arch9wavefront6targetE1EEEvT1_: ; @_ZN7rocprim17ROCPRIM_400000_NS6detail17trampoline_kernelINS0_14default_configENS1_25partition_config_selectorILNS1_17partition_subalgoE8EdNS0_10empty_typeEbEEZZNS1_14partition_implILS5_8ELb0ES3_jPKdPS6_PKS6_NS0_5tupleIJPdS6_EEENSE_IJSB_SB_EEENS0_18inequality_wrapperIN6hipcub16HIPCUB_304000_NS8EqualityEEEPlJS6_EEE10hipError_tPvRmT3_T4_T5_T6_T7_T9_mT8_P12ihipStream_tbDpT10_ENKUlT_T0_E_clISt17integral_constantIbLb1EES17_EEDaS12_S13_EUlS12_E_NS1_11comp_targetILNS1_3genE10ELNS1_11target_archE1200ELNS1_3gpuE4ELNS1_3repE0EEENS1_30default_config_static_selectorELNS0_4arch9wavefront6targetE1EEEvT1_
; %bb.0:
	.section	.rodata,"a",@progbits
	.p2align	6, 0x0
	.amdhsa_kernel _ZN7rocprim17ROCPRIM_400000_NS6detail17trampoline_kernelINS0_14default_configENS1_25partition_config_selectorILNS1_17partition_subalgoE8EdNS0_10empty_typeEbEEZZNS1_14partition_implILS5_8ELb0ES3_jPKdPS6_PKS6_NS0_5tupleIJPdS6_EEENSE_IJSB_SB_EEENS0_18inequality_wrapperIN6hipcub16HIPCUB_304000_NS8EqualityEEEPlJS6_EEE10hipError_tPvRmT3_T4_T5_T6_T7_T9_mT8_P12ihipStream_tbDpT10_ENKUlT_T0_E_clISt17integral_constantIbLb1EES17_EEDaS12_S13_EUlS12_E_NS1_11comp_targetILNS1_3genE10ELNS1_11target_archE1200ELNS1_3gpuE4ELNS1_3repE0EEENS1_30default_config_static_selectorELNS0_4arch9wavefront6targetE1EEEvT1_
		.amdhsa_group_segment_fixed_size 0
		.amdhsa_private_segment_fixed_size 0
		.amdhsa_kernarg_size 128
		.amdhsa_user_sgpr_count 2
		.amdhsa_user_sgpr_dispatch_ptr 0
		.amdhsa_user_sgpr_queue_ptr 0
		.amdhsa_user_sgpr_kernarg_segment_ptr 1
		.amdhsa_user_sgpr_dispatch_id 0
		.amdhsa_user_sgpr_kernarg_preload_length 0
		.amdhsa_user_sgpr_kernarg_preload_offset 0
		.amdhsa_user_sgpr_private_segment_size 0
		.amdhsa_uses_dynamic_stack 0
		.amdhsa_enable_private_segment 0
		.amdhsa_system_sgpr_workgroup_id_x 1
		.amdhsa_system_sgpr_workgroup_id_y 0
		.amdhsa_system_sgpr_workgroup_id_z 0
		.amdhsa_system_sgpr_workgroup_info 0
		.amdhsa_system_vgpr_workitem_id 0
		.amdhsa_next_free_vgpr 1
		.amdhsa_next_free_sgpr 0
		.amdhsa_accum_offset 4
		.amdhsa_reserve_vcc 0
		.amdhsa_float_round_mode_32 0
		.amdhsa_float_round_mode_16_64 0
		.amdhsa_float_denorm_mode_32 3
		.amdhsa_float_denorm_mode_16_64 3
		.amdhsa_dx10_clamp 1
		.amdhsa_ieee_mode 1
		.amdhsa_fp16_overflow 0
		.amdhsa_tg_split 0
		.amdhsa_exception_fp_ieee_invalid_op 0
		.amdhsa_exception_fp_denorm_src 0
		.amdhsa_exception_fp_ieee_div_zero 0
		.amdhsa_exception_fp_ieee_overflow 0
		.amdhsa_exception_fp_ieee_underflow 0
		.amdhsa_exception_fp_ieee_inexact 0
		.amdhsa_exception_int_div_zero 0
	.end_amdhsa_kernel
	.section	.text._ZN7rocprim17ROCPRIM_400000_NS6detail17trampoline_kernelINS0_14default_configENS1_25partition_config_selectorILNS1_17partition_subalgoE8EdNS0_10empty_typeEbEEZZNS1_14partition_implILS5_8ELb0ES3_jPKdPS6_PKS6_NS0_5tupleIJPdS6_EEENSE_IJSB_SB_EEENS0_18inequality_wrapperIN6hipcub16HIPCUB_304000_NS8EqualityEEEPlJS6_EEE10hipError_tPvRmT3_T4_T5_T6_T7_T9_mT8_P12ihipStream_tbDpT10_ENKUlT_T0_E_clISt17integral_constantIbLb1EES17_EEDaS12_S13_EUlS12_E_NS1_11comp_targetILNS1_3genE10ELNS1_11target_archE1200ELNS1_3gpuE4ELNS1_3repE0EEENS1_30default_config_static_selectorELNS0_4arch9wavefront6targetE1EEEvT1_,"axG",@progbits,_ZN7rocprim17ROCPRIM_400000_NS6detail17trampoline_kernelINS0_14default_configENS1_25partition_config_selectorILNS1_17partition_subalgoE8EdNS0_10empty_typeEbEEZZNS1_14partition_implILS5_8ELb0ES3_jPKdPS6_PKS6_NS0_5tupleIJPdS6_EEENSE_IJSB_SB_EEENS0_18inequality_wrapperIN6hipcub16HIPCUB_304000_NS8EqualityEEEPlJS6_EEE10hipError_tPvRmT3_T4_T5_T6_T7_T9_mT8_P12ihipStream_tbDpT10_ENKUlT_T0_E_clISt17integral_constantIbLb1EES17_EEDaS12_S13_EUlS12_E_NS1_11comp_targetILNS1_3genE10ELNS1_11target_archE1200ELNS1_3gpuE4ELNS1_3repE0EEENS1_30default_config_static_selectorELNS0_4arch9wavefront6targetE1EEEvT1_,comdat
.Lfunc_end285:
	.size	_ZN7rocprim17ROCPRIM_400000_NS6detail17trampoline_kernelINS0_14default_configENS1_25partition_config_selectorILNS1_17partition_subalgoE8EdNS0_10empty_typeEbEEZZNS1_14partition_implILS5_8ELb0ES3_jPKdPS6_PKS6_NS0_5tupleIJPdS6_EEENSE_IJSB_SB_EEENS0_18inequality_wrapperIN6hipcub16HIPCUB_304000_NS8EqualityEEEPlJS6_EEE10hipError_tPvRmT3_T4_T5_T6_T7_T9_mT8_P12ihipStream_tbDpT10_ENKUlT_T0_E_clISt17integral_constantIbLb1EES17_EEDaS12_S13_EUlS12_E_NS1_11comp_targetILNS1_3genE10ELNS1_11target_archE1200ELNS1_3gpuE4ELNS1_3repE0EEENS1_30default_config_static_selectorELNS0_4arch9wavefront6targetE1EEEvT1_, .Lfunc_end285-_ZN7rocprim17ROCPRIM_400000_NS6detail17trampoline_kernelINS0_14default_configENS1_25partition_config_selectorILNS1_17partition_subalgoE8EdNS0_10empty_typeEbEEZZNS1_14partition_implILS5_8ELb0ES3_jPKdPS6_PKS6_NS0_5tupleIJPdS6_EEENSE_IJSB_SB_EEENS0_18inequality_wrapperIN6hipcub16HIPCUB_304000_NS8EqualityEEEPlJS6_EEE10hipError_tPvRmT3_T4_T5_T6_T7_T9_mT8_P12ihipStream_tbDpT10_ENKUlT_T0_E_clISt17integral_constantIbLb1EES17_EEDaS12_S13_EUlS12_E_NS1_11comp_targetILNS1_3genE10ELNS1_11target_archE1200ELNS1_3gpuE4ELNS1_3repE0EEENS1_30default_config_static_selectorELNS0_4arch9wavefront6targetE1EEEvT1_
                                        ; -- End function
	.section	.AMDGPU.csdata,"",@progbits
; Kernel info:
; codeLenInByte = 0
; NumSgprs: 6
; NumVgprs: 0
; NumAgprs: 0
; TotalNumVgprs: 0
; ScratchSize: 0
; MemoryBound: 0
; FloatMode: 240
; IeeeMode: 1
; LDSByteSize: 0 bytes/workgroup (compile time only)
; SGPRBlocks: 0
; VGPRBlocks: 0
; NumSGPRsForWavesPerEU: 6
; NumVGPRsForWavesPerEU: 1
; AccumOffset: 4
; Occupancy: 8
; WaveLimiterHint : 0
; COMPUTE_PGM_RSRC2:SCRATCH_EN: 0
; COMPUTE_PGM_RSRC2:USER_SGPR: 2
; COMPUTE_PGM_RSRC2:TRAP_HANDLER: 0
; COMPUTE_PGM_RSRC2:TGID_X_EN: 1
; COMPUTE_PGM_RSRC2:TGID_Y_EN: 0
; COMPUTE_PGM_RSRC2:TGID_Z_EN: 0
; COMPUTE_PGM_RSRC2:TIDIG_COMP_CNT: 0
; COMPUTE_PGM_RSRC3_GFX90A:ACCUM_OFFSET: 0
; COMPUTE_PGM_RSRC3_GFX90A:TG_SPLIT: 0
	.section	.text._ZN7rocprim17ROCPRIM_400000_NS6detail17trampoline_kernelINS0_14default_configENS1_25partition_config_selectorILNS1_17partition_subalgoE8EdNS0_10empty_typeEbEEZZNS1_14partition_implILS5_8ELb0ES3_jPKdPS6_PKS6_NS0_5tupleIJPdS6_EEENSE_IJSB_SB_EEENS0_18inequality_wrapperIN6hipcub16HIPCUB_304000_NS8EqualityEEEPlJS6_EEE10hipError_tPvRmT3_T4_T5_T6_T7_T9_mT8_P12ihipStream_tbDpT10_ENKUlT_T0_E_clISt17integral_constantIbLb1EES17_EEDaS12_S13_EUlS12_E_NS1_11comp_targetILNS1_3genE9ELNS1_11target_archE1100ELNS1_3gpuE3ELNS1_3repE0EEENS1_30default_config_static_selectorELNS0_4arch9wavefront6targetE1EEEvT1_,"axG",@progbits,_ZN7rocprim17ROCPRIM_400000_NS6detail17trampoline_kernelINS0_14default_configENS1_25partition_config_selectorILNS1_17partition_subalgoE8EdNS0_10empty_typeEbEEZZNS1_14partition_implILS5_8ELb0ES3_jPKdPS6_PKS6_NS0_5tupleIJPdS6_EEENSE_IJSB_SB_EEENS0_18inequality_wrapperIN6hipcub16HIPCUB_304000_NS8EqualityEEEPlJS6_EEE10hipError_tPvRmT3_T4_T5_T6_T7_T9_mT8_P12ihipStream_tbDpT10_ENKUlT_T0_E_clISt17integral_constantIbLb1EES17_EEDaS12_S13_EUlS12_E_NS1_11comp_targetILNS1_3genE9ELNS1_11target_archE1100ELNS1_3gpuE3ELNS1_3repE0EEENS1_30default_config_static_selectorELNS0_4arch9wavefront6targetE1EEEvT1_,comdat
	.protected	_ZN7rocprim17ROCPRIM_400000_NS6detail17trampoline_kernelINS0_14default_configENS1_25partition_config_selectorILNS1_17partition_subalgoE8EdNS0_10empty_typeEbEEZZNS1_14partition_implILS5_8ELb0ES3_jPKdPS6_PKS6_NS0_5tupleIJPdS6_EEENSE_IJSB_SB_EEENS0_18inequality_wrapperIN6hipcub16HIPCUB_304000_NS8EqualityEEEPlJS6_EEE10hipError_tPvRmT3_T4_T5_T6_T7_T9_mT8_P12ihipStream_tbDpT10_ENKUlT_T0_E_clISt17integral_constantIbLb1EES17_EEDaS12_S13_EUlS12_E_NS1_11comp_targetILNS1_3genE9ELNS1_11target_archE1100ELNS1_3gpuE3ELNS1_3repE0EEENS1_30default_config_static_selectorELNS0_4arch9wavefront6targetE1EEEvT1_ ; -- Begin function _ZN7rocprim17ROCPRIM_400000_NS6detail17trampoline_kernelINS0_14default_configENS1_25partition_config_selectorILNS1_17partition_subalgoE8EdNS0_10empty_typeEbEEZZNS1_14partition_implILS5_8ELb0ES3_jPKdPS6_PKS6_NS0_5tupleIJPdS6_EEENSE_IJSB_SB_EEENS0_18inequality_wrapperIN6hipcub16HIPCUB_304000_NS8EqualityEEEPlJS6_EEE10hipError_tPvRmT3_T4_T5_T6_T7_T9_mT8_P12ihipStream_tbDpT10_ENKUlT_T0_E_clISt17integral_constantIbLb1EES17_EEDaS12_S13_EUlS12_E_NS1_11comp_targetILNS1_3genE9ELNS1_11target_archE1100ELNS1_3gpuE3ELNS1_3repE0EEENS1_30default_config_static_selectorELNS0_4arch9wavefront6targetE1EEEvT1_
	.globl	_ZN7rocprim17ROCPRIM_400000_NS6detail17trampoline_kernelINS0_14default_configENS1_25partition_config_selectorILNS1_17partition_subalgoE8EdNS0_10empty_typeEbEEZZNS1_14partition_implILS5_8ELb0ES3_jPKdPS6_PKS6_NS0_5tupleIJPdS6_EEENSE_IJSB_SB_EEENS0_18inequality_wrapperIN6hipcub16HIPCUB_304000_NS8EqualityEEEPlJS6_EEE10hipError_tPvRmT3_T4_T5_T6_T7_T9_mT8_P12ihipStream_tbDpT10_ENKUlT_T0_E_clISt17integral_constantIbLb1EES17_EEDaS12_S13_EUlS12_E_NS1_11comp_targetILNS1_3genE9ELNS1_11target_archE1100ELNS1_3gpuE3ELNS1_3repE0EEENS1_30default_config_static_selectorELNS0_4arch9wavefront6targetE1EEEvT1_
	.p2align	8
	.type	_ZN7rocprim17ROCPRIM_400000_NS6detail17trampoline_kernelINS0_14default_configENS1_25partition_config_selectorILNS1_17partition_subalgoE8EdNS0_10empty_typeEbEEZZNS1_14partition_implILS5_8ELb0ES3_jPKdPS6_PKS6_NS0_5tupleIJPdS6_EEENSE_IJSB_SB_EEENS0_18inequality_wrapperIN6hipcub16HIPCUB_304000_NS8EqualityEEEPlJS6_EEE10hipError_tPvRmT3_T4_T5_T6_T7_T9_mT8_P12ihipStream_tbDpT10_ENKUlT_T0_E_clISt17integral_constantIbLb1EES17_EEDaS12_S13_EUlS12_E_NS1_11comp_targetILNS1_3genE9ELNS1_11target_archE1100ELNS1_3gpuE3ELNS1_3repE0EEENS1_30default_config_static_selectorELNS0_4arch9wavefront6targetE1EEEvT1_,@function
_ZN7rocprim17ROCPRIM_400000_NS6detail17trampoline_kernelINS0_14default_configENS1_25partition_config_selectorILNS1_17partition_subalgoE8EdNS0_10empty_typeEbEEZZNS1_14partition_implILS5_8ELb0ES3_jPKdPS6_PKS6_NS0_5tupleIJPdS6_EEENSE_IJSB_SB_EEENS0_18inequality_wrapperIN6hipcub16HIPCUB_304000_NS8EqualityEEEPlJS6_EEE10hipError_tPvRmT3_T4_T5_T6_T7_T9_mT8_P12ihipStream_tbDpT10_ENKUlT_T0_E_clISt17integral_constantIbLb1EES17_EEDaS12_S13_EUlS12_E_NS1_11comp_targetILNS1_3genE9ELNS1_11target_archE1100ELNS1_3gpuE3ELNS1_3repE0EEENS1_30default_config_static_selectorELNS0_4arch9wavefront6targetE1EEEvT1_: ; @_ZN7rocprim17ROCPRIM_400000_NS6detail17trampoline_kernelINS0_14default_configENS1_25partition_config_selectorILNS1_17partition_subalgoE8EdNS0_10empty_typeEbEEZZNS1_14partition_implILS5_8ELb0ES3_jPKdPS6_PKS6_NS0_5tupleIJPdS6_EEENSE_IJSB_SB_EEENS0_18inequality_wrapperIN6hipcub16HIPCUB_304000_NS8EqualityEEEPlJS6_EEE10hipError_tPvRmT3_T4_T5_T6_T7_T9_mT8_P12ihipStream_tbDpT10_ENKUlT_T0_E_clISt17integral_constantIbLb1EES17_EEDaS12_S13_EUlS12_E_NS1_11comp_targetILNS1_3genE9ELNS1_11target_archE1100ELNS1_3gpuE3ELNS1_3repE0EEENS1_30default_config_static_selectorELNS0_4arch9wavefront6targetE1EEEvT1_
; %bb.0:
	.section	.rodata,"a",@progbits
	.p2align	6, 0x0
	.amdhsa_kernel _ZN7rocprim17ROCPRIM_400000_NS6detail17trampoline_kernelINS0_14default_configENS1_25partition_config_selectorILNS1_17partition_subalgoE8EdNS0_10empty_typeEbEEZZNS1_14partition_implILS5_8ELb0ES3_jPKdPS6_PKS6_NS0_5tupleIJPdS6_EEENSE_IJSB_SB_EEENS0_18inequality_wrapperIN6hipcub16HIPCUB_304000_NS8EqualityEEEPlJS6_EEE10hipError_tPvRmT3_T4_T5_T6_T7_T9_mT8_P12ihipStream_tbDpT10_ENKUlT_T0_E_clISt17integral_constantIbLb1EES17_EEDaS12_S13_EUlS12_E_NS1_11comp_targetILNS1_3genE9ELNS1_11target_archE1100ELNS1_3gpuE3ELNS1_3repE0EEENS1_30default_config_static_selectorELNS0_4arch9wavefront6targetE1EEEvT1_
		.amdhsa_group_segment_fixed_size 0
		.amdhsa_private_segment_fixed_size 0
		.amdhsa_kernarg_size 128
		.amdhsa_user_sgpr_count 2
		.amdhsa_user_sgpr_dispatch_ptr 0
		.amdhsa_user_sgpr_queue_ptr 0
		.amdhsa_user_sgpr_kernarg_segment_ptr 1
		.amdhsa_user_sgpr_dispatch_id 0
		.amdhsa_user_sgpr_kernarg_preload_length 0
		.amdhsa_user_sgpr_kernarg_preload_offset 0
		.amdhsa_user_sgpr_private_segment_size 0
		.amdhsa_uses_dynamic_stack 0
		.amdhsa_enable_private_segment 0
		.amdhsa_system_sgpr_workgroup_id_x 1
		.amdhsa_system_sgpr_workgroup_id_y 0
		.amdhsa_system_sgpr_workgroup_id_z 0
		.amdhsa_system_sgpr_workgroup_info 0
		.amdhsa_system_vgpr_workitem_id 0
		.amdhsa_next_free_vgpr 1
		.amdhsa_next_free_sgpr 0
		.amdhsa_accum_offset 4
		.amdhsa_reserve_vcc 0
		.amdhsa_float_round_mode_32 0
		.amdhsa_float_round_mode_16_64 0
		.amdhsa_float_denorm_mode_32 3
		.amdhsa_float_denorm_mode_16_64 3
		.amdhsa_dx10_clamp 1
		.amdhsa_ieee_mode 1
		.amdhsa_fp16_overflow 0
		.amdhsa_tg_split 0
		.amdhsa_exception_fp_ieee_invalid_op 0
		.amdhsa_exception_fp_denorm_src 0
		.amdhsa_exception_fp_ieee_div_zero 0
		.amdhsa_exception_fp_ieee_overflow 0
		.amdhsa_exception_fp_ieee_underflow 0
		.amdhsa_exception_fp_ieee_inexact 0
		.amdhsa_exception_int_div_zero 0
	.end_amdhsa_kernel
	.section	.text._ZN7rocprim17ROCPRIM_400000_NS6detail17trampoline_kernelINS0_14default_configENS1_25partition_config_selectorILNS1_17partition_subalgoE8EdNS0_10empty_typeEbEEZZNS1_14partition_implILS5_8ELb0ES3_jPKdPS6_PKS6_NS0_5tupleIJPdS6_EEENSE_IJSB_SB_EEENS0_18inequality_wrapperIN6hipcub16HIPCUB_304000_NS8EqualityEEEPlJS6_EEE10hipError_tPvRmT3_T4_T5_T6_T7_T9_mT8_P12ihipStream_tbDpT10_ENKUlT_T0_E_clISt17integral_constantIbLb1EES17_EEDaS12_S13_EUlS12_E_NS1_11comp_targetILNS1_3genE9ELNS1_11target_archE1100ELNS1_3gpuE3ELNS1_3repE0EEENS1_30default_config_static_selectorELNS0_4arch9wavefront6targetE1EEEvT1_,"axG",@progbits,_ZN7rocprim17ROCPRIM_400000_NS6detail17trampoline_kernelINS0_14default_configENS1_25partition_config_selectorILNS1_17partition_subalgoE8EdNS0_10empty_typeEbEEZZNS1_14partition_implILS5_8ELb0ES3_jPKdPS6_PKS6_NS0_5tupleIJPdS6_EEENSE_IJSB_SB_EEENS0_18inequality_wrapperIN6hipcub16HIPCUB_304000_NS8EqualityEEEPlJS6_EEE10hipError_tPvRmT3_T4_T5_T6_T7_T9_mT8_P12ihipStream_tbDpT10_ENKUlT_T0_E_clISt17integral_constantIbLb1EES17_EEDaS12_S13_EUlS12_E_NS1_11comp_targetILNS1_3genE9ELNS1_11target_archE1100ELNS1_3gpuE3ELNS1_3repE0EEENS1_30default_config_static_selectorELNS0_4arch9wavefront6targetE1EEEvT1_,comdat
.Lfunc_end286:
	.size	_ZN7rocprim17ROCPRIM_400000_NS6detail17trampoline_kernelINS0_14default_configENS1_25partition_config_selectorILNS1_17partition_subalgoE8EdNS0_10empty_typeEbEEZZNS1_14partition_implILS5_8ELb0ES3_jPKdPS6_PKS6_NS0_5tupleIJPdS6_EEENSE_IJSB_SB_EEENS0_18inequality_wrapperIN6hipcub16HIPCUB_304000_NS8EqualityEEEPlJS6_EEE10hipError_tPvRmT3_T4_T5_T6_T7_T9_mT8_P12ihipStream_tbDpT10_ENKUlT_T0_E_clISt17integral_constantIbLb1EES17_EEDaS12_S13_EUlS12_E_NS1_11comp_targetILNS1_3genE9ELNS1_11target_archE1100ELNS1_3gpuE3ELNS1_3repE0EEENS1_30default_config_static_selectorELNS0_4arch9wavefront6targetE1EEEvT1_, .Lfunc_end286-_ZN7rocprim17ROCPRIM_400000_NS6detail17trampoline_kernelINS0_14default_configENS1_25partition_config_selectorILNS1_17partition_subalgoE8EdNS0_10empty_typeEbEEZZNS1_14partition_implILS5_8ELb0ES3_jPKdPS6_PKS6_NS0_5tupleIJPdS6_EEENSE_IJSB_SB_EEENS0_18inequality_wrapperIN6hipcub16HIPCUB_304000_NS8EqualityEEEPlJS6_EEE10hipError_tPvRmT3_T4_T5_T6_T7_T9_mT8_P12ihipStream_tbDpT10_ENKUlT_T0_E_clISt17integral_constantIbLb1EES17_EEDaS12_S13_EUlS12_E_NS1_11comp_targetILNS1_3genE9ELNS1_11target_archE1100ELNS1_3gpuE3ELNS1_3repE0EEENS1_30default_config_static_selectorELNS0_4arch9wavefront6targetE1EEEvT1_
                                        ; -- End function
	.section	.AMDGPU.csdata,"",@progbits
; Kernel info:
; codeLenInByte = 0
; NumSgprs: 6
; NumVgprs: 0
; NumAgprs: 0
; TotalNumVgprs: 0
; ScratchSize: 0
; MemoryBound: 0
; FloatMode: 240
; IeeeMode: 1
; LDSByteSize: 0 bytes/workgroup (compile time only)
; SGPRBlocks: 0
; VGPRBlocks: 0
; NumSGPRsForWavesPerEU: 6
; NumVGPRsForWavesPerEU: 1
; AccumOffset: 4
; Occupancy: 8
; WaveLimiterHint : 0
; COMPUTE_PGM_RSRC2:SCRATCH_EN: 0
; COMPUTE_PGM_RSRC2:USER_SGPR: 2
; COMPUTE_PGM_RSRC2:TRAP_HANDLER: 0
; COMPUTE_PGM_RSRC2:TGID_X_EN: 1
; COMPUTE_PGM_RSRC2:TGID_Y_EN: 0
; COMPUTE_PGM_RSRC2:TGID_Z_EN: 0
; COMPUTE_PGM_RSRC2:TIDIG_COMP_CNT: 0
; COMPUTE_PGM_RSRC3_GFX90A:ACCUM_OFFSET: 0
; COMPUTE_PGM_RSRC3_GFX90A:TG_SPLIT: 0
	.section	.text._ZN7rocprim17ROCPRIM_400000_NS6detail17trampoline_kernelINS0_14default_configENS1_25partition_config_selectorILNS1_17partition_subalgoE8EdNS0_10empty_typeEbEEZZNS1_14partition_implILS5_8ELb0ES3_jPKdPS6_PKS6_NS0_5tupleIJPdS6_EEENSE_IJSB_SB_EEENS0_18inequality_wrapperIN6hipcub16HIPCUB_304000_NS8EqualityEEEPlJS6_EEE10hipError_tPvRmT3_T4_T5_T6_T7_T9_mT8_P12ihipStream_tbDpT10_ENKUlT_T0_E_clISt17integral_constantIbLb1EES17_EEDaS12_S13_EUlS12_E_NS1_11comp_targetILNS1_3genE8ELNS1_11target_archE1030ELNS1_3gpuE2ELNS1_3repE0EEENS1_30default_config_static_selectorELNS0_4arch9wavefront6targetE1EEEvT1_,"axG",@progbits,_ZN7rocprim17ROCPRIM_400000_NS6detail17trampoline_kernelINS0_14default_configENS1_25partition_config_selectorILNS1_17partition_subalgoE8EdNS0_10empty_typeEbEEZZNS1_14partition_implILS5_8ELb0ES3_jPKdPS6_PKS6_NS0_5tupleIJPdS6_EEENSE_IJSB_SB_EEENS0_18inequality_wrapperIN6hipcub16HIPCUB_304000_NS8EqualityEEEPlJS6_EEE10hipError_tPvRmT3_T4_T5_T6_T7_T9_mT8_P12ihipStream_tbDpT10_ENKUlT_T0_E_clISt17integral_constantIbLb1EES17_EEDaS12_S13_EUlS12_E_NS1_11comp_targetILNS1_3genE8ELNS1_11target_archE1030ELNS1_3gpuE2ELNS1_3repE0EEENS1_30default_config_static_selectorELNS0_4arch9wavefront6targetE1EEEvT1_,comdat
	.protected	_ZN7rocprim17ROCPRIM_400000_NS6detail17trampoline_kernelINS0_14default_configENS1_25partition_config_selectorILNS1_17partition_subalgoE8EdNS0_10empty_typeEbEEZZNS1_14partition_implILS5_8ELb0ES3_jPKdPS6_PKS6_NS0_5tupleIJPdS6_EEENSE_IJSB_SB_EEENS0_18inequality_wrapperIN6hipcub16HIPCUB_304000_NS8EqualityEEEPlJS6_EEE10hipError_tPvRmT3_T4_T5_T6_T7_T9_mT8_P12ihipStream_tbDpT10_ENKUlT_T0_E_clISt17integral_constantIbLb1EES17_EEDaS12_S13_EUlS12_E_NS1_11comp_targetILNS1_3genE8ELNS1_11target_archE1030ELNS1_3gpuE2ELNS1_3repE0EEENS1_30default_config_static_selectorELNS0_4arch9wavefront6targetE1EEEvT1_ ; -- Begin function _ZN7rocprim17ROCPRIM_400000_NS6detail17trampoline_kernelINS0_14default_configENS1_25partition_config_selectorILNS1_17partition_subalgoE8EdNS0_10empty_typeEbEEZZNS1_14partition_implILS5_8ELb0ES3_jPKdPS6_PKS6_NS0_5tupleIJPdS6_EEENSE_IJSB_SB_EEENS0_18inequality_wrapperIN6hipcub16HIPCUB_304000_NS8EqualityEEEPlJS6_EEE10hipError_tPvRmT3_T4_T5_T6_T7_T9_mT8_P12ihipStream_tbDpT10_ENKUlT_T0_E_clISt17integral_constantIbLb1EES17_EEDaS12_S13_EUlS12_E_NS1_11comp_targetILNS1_3genE8ELNS1_11target_archE1030ELNS1_3gpuE2ELNS1_3repE0EEENS1_30default_config_static_selectorELNS0_4arch9wavefront6targetE1EEEvT1_
	.globl	_ZN7rocprim17ROCPRIM_400000_NS6detail17trampoline_kernelINS0_14default_configENS1_25partition_config_selectorILNS1_17partition_subalgoE8EdNS0_10empty_typeEbEEZZNS1_14partition_implILS5_8ELb0ES3_jPKdPS6_PKS6_NS0_5tupleIJPdS6_EEENSE_IJSB_SB_EEENS0_18inequality_wrapperIN6hipcub16HIPCUB_304000_NS8EqualityEEEPlJS6_EEE10hipError_tPvRmT3_T4_T5_T6_T7_T9_mT8_P12ihipStream_tbDpT10_ENKUlT_T0_E_clISt17integral_constantIbLb1EES17_EEDaS12_S13_EUlS12_E_NS1_11comp_targetILNS1_3genE8ELNS1_11target_archE1030ELNS1_3gpuE2ELNS1_3repE0EEENS1_30default_config_static_selectorELNS0_4arch9wavefront6targetE1EEEvT1_
	.p2align	8
	.type	_ZN7rocprim17ROCPRIM_400000_NS6detail17trampoline_kernelINS0_14default_configENS1_25partition_config_selectorILNS1_17partition_subalgoE8EdNS0_10empty_typeEbEEZZNS1_14partition_implILS5_8ELb0ES3_jPKdPS6_PKS6_NS0_5tupleIJPdS6_EEENSE_IJSB_SB_EEENS0_18inequality_wrapperIN6hipcub16HIPCUB_304000_NS8EqualityEEEPlJS6_EEE10hipError_tPvRmT3_T4_T5_T6_T7_T9_mT8_P12ihipStream_tbDpT10_ENKUlT_T0_E_clISt17integral_constantIbLb1EES17_EEDaS12_S13_EUlS12_E_NS1_11comp_targetILNS1_3genE8ELNS1_11target_archE1030ELNS1_3gpuE2ELNS1_3repE0EEENS1_30default_config_static_selectorELNS0_4arch9wavefront6targetE1EEEvT1_,@function
_ZN7rocprim17ROCPRIM_400000_NS6detail17trampoline_kernelINS0_14default_configENS1_25partition_config_selectorILNS1_17partition_subalgoE8EdNS0_10empty_typeEbEEZZNS1_14partition_implILS5_8ELb0ES3_jPKdPS6_PKS6_NS0_5tupleIJPdS6_EEENSE_IJSB_SB_EEENS0_18inequality_wrapperIN6hipcub16HIPCUB_304000_NS8EqualityEEEPlJS6_EEE10hipError_tPvRmT3_T4_T5_T6_T7_T9_mT8_P12ihipStream_tbDpT10_ENKUlT_T0_E_clISt17integral_constantIbLb1EES17_EEDaS12_S13_EUlS12_E_NS1_11comp_targetILNS1_3genE8ELNS1_11target_archE1030ELNS1_3gpuE2ELNS1_3repE0EEENS1_30default_config_static_selectorELNS0_4arch9wavefront6targetE1EEEvT1_: ; @_ZN7rocprim17ROCPRIM_400000_NS6detail17trampoline_kernelINS0_14default_configENS1_25partition_config_selectorILNS1_17partition_subalgoE8EdNS0_10empty_typeEbEEZZNS1_14partition_implILS5_8ELb0ES3_jPKdPS6_PKS6_NS0_5tupleIJPdS6_EEENSE_IJSB_SB_EEENS0_18inequality_wrapperIN6hipcub16HIPCUB_304000_NS8EqualityEEEPlJS6_EEE10hipError_tPvRmT3_T4_T5_T6_T7_T9_mT8_P12ihipStream_tbDpT10_ENKUlT_T0_E_clISt17integral_constantIbLb1EES17_EEDaS12_S13_EUlS12_E_NS1_11comp_targetILNS1_3genE8ELNS1_11target_archE1030ELNS1_3gpuE2ELNS1_3repE0EEENS1_30default_config_static_selectorELNS0_4arch9wavefront6targetE1EEEvT1_
; %bb.0:
	.section	.rodata,"a",@progbits
	.p2align	6, 0x0
	.amdhsa_kernel _ZN7rocprim17ROCPRIM_400000_NS6detail17trampoline_kernelINS0_14default_configENS1_25partition_config_selectorILNS1_17partition_subalgoE8EdNS0_10empty_typeEbEEZZNS1_14partition_implILS5_8ELb0ES3_jPKdPS6_PKS6_NS0_5tupleIJPdS6_EEENSE_IJSB_SB_EEENS0_18inequality_wrapperIN6hipcub16HIPCUB_304000_NS8EqualityEEEPlJS6_EEE10hipError_tPvRmT3_T4_T5_T6_T7_T9_mT8_P12ihipStream_tbDpT10_ENKUlT_T0_E_clISt17integral_constantIbLb1EES17_EEDaS12_S13_EUlS12_E_NS1_11comp_targetILNS1_3genE8ELNS1_11target_archE1030ELNS1_3gpuE2ELNS1_3repE0EEENS1_30default_config_static_selectorELNS0_4arch9wavefront6targetE1EEEvT1_
		.amdhsa_group_segment_fixed_size 0
		.amdhsa_private_segment_fixed_size 0
		.amdhsa_kernarg_size 128
		.amdhsa_user_sgpr_count 2
		.amdhsa_user_sgpr_dispatch_ptr 0
		.amdhsa_user_sgpr_queue_ptr 0
		.amdhsa_user_sgpr_kernarg_segment_ptr 1
		.amdhsa_user_sgpr_dispatch_id 0
		.amdhsa_user_sgpr_kernarg_preload_length 0
		.amdhsa_user_sgpr_kernarg_preload_offset 0
		.amdhsa_user_sgpr_private_segment_size 0
		.amdhsa_uses_dynamic_stack 0
		.amdhsa_enable_private_segment 0
		.amdhsa_system_sgpr_workgroup_id_x 1
		.amdhsa_system_sgpr_workgroup_id_y 0
		.amdhsa_system_sgpr_workgroup_id_z 0
		.amdhsa_system_sgpr_workgroup_info 0
		.amdhsa_system_vgpr_workitem_id 0
		.amdhsa_next_free_vgpr 1
		.amdhsa_next_free_sgpr 0
		.amdhsa_accum_offset 4
		.amdhsa_reserve_vcc 0
		.amdhsa_float_round_mode_32 0
		.amdhsa_float_round_mode_16_64 0
		.amdhsa_float_denorm_mode_32 3
		.amdhsa_float_denorm_mode_16_64 3
		.amdhsa_dx10_clamp 1
		.amdhsa_ieee_mode 1
		.amdhsa_fp16_overflow 0
		.amdhsa_tg_split 0
		.amdhsa_exception_fp_ieee_invalid_op 0
		.amdhsa_exception_fp_denorm_src 0
		.amdhsa_exception_fp_ieee_div_zero 0
		.amdhsa_exception_fp_ieee_overflow 0
		.amdhsa_exception_fp_ieee_underflow 0
		.amdhsa_exception_fp_ieee_inexact 0
		.amdhsa_exception_int_div_zero 0
	.end_amdhsa_kernel
	.section	.text._ZN7rocprim17ROCPRIM_400000_NS6detail17trampoline_kernelINS0_14default_configENS1_25partition_config_selectorILNS1_17partition_subalgoE8EdNS0_10empty_typeEbEEZZNS1_14partition_implILS5_8ELb0ES3_jPKdPS6_PKS6_NS0_5tupleIJPdS6_EEENSE_IJSB_SB_EEENS0_18inequality_wrapperIN6hipcub16HIPCUB_304000_NS8EqualityEEEPlJS6_EEE10hipError_tPvRmT3_T4_T5_T6_T7_T9_mT8_P12ihipStream_tbDpT10_ENKUlT_T0_E_clISt17integral_constantIbLb1EES17_EEDaS12_S13_EUlS12_E_NS1_11comp_targetILNS1_3genE8ELNS1_11target_archE1030ELNS1_3gpuE2ELNS1_3repE0EEENS1_30default_config_static_selectorELNS0_4arch9wavefront6targetE1EEEvT1_,"axG",@progbits,_ZN7rocprim17ROCPRIM_400000_NS6detail17trampoline_kernelINS0_14default_configENS1_25partition_config_selectorILNS1_17partition_subalgoE8EdNS0_10empty_typeEbEEZZNS1_14partition_implILS5_8ELb0ES3_jPKdPS6_PKS6_NS0_5tupleIJPdS6_EEENSE_IJSB_SB_EEENS0_18inequality_wrapperIN6hipcub16HIPCUB_304000_NS8EqualityEEEPlJS6_EEE10hipError_tPvRmT3_T4_T5_T6_T7_T9_mT8_P12ihipStream_tbDpT10_ENKUlT_T0_E_clISt17integral_constantIbLb1EES17_EEDaS12_S13_EUlS12_E_NS1_11comp_targetILNS1_3genE8ELNS1_11target_archE1030ELNS1_3gpuE2ELNS1_3repE0EEENS1_30default_config_static_selectorELNS0_4arch9wavefront6targetE1EEEvT1_,comdat
.Lfunc_end287:
	.size	_ZN7rocprim17ROCPRIM_400000_NS6detail17trampoline_kernelINS0_14default_configENS1_25partition_config_selectorILNS1_17partition_subalgoE8EdNS0_10empty_typeEbEEZZNS1_14partition_implILS5_8ELb0ES3_jPKdPS6_PKS6_NS0_5tupleIJPdS6_EEENSE_IJSB_SB_EEENS0_18inequality_wrapperIN6hipcub16HIPCUB_304000_NS8EqualityEEEPlJS6_EEE10hipError_tPvRmT3_T4_T5_T6_T7_T9_mT8_P12ihipStream_tbDpT10_ENKUlT_T0_E_clISt17integral_constantIbLb1EES17_EEDaS12_S13_EUlS12_E_NS1_11comp_targetILNS1_3genE8ELNS1_11target_archE1030ELNS1_3gpuE2ELNS1_3repE0EEENS1_30default_config_static_selectorELNS0_4arch9wavefront6targetE1EEEvT1_, .Lfunc_end287-_ZN7rocprim17ROCPRIM_400000_NS6detail17trampoline_kernelINS0_14default_configENS1_25partition_config_selectorILNS1_17partition_subalgoE8EdNS0_10empty_typeEbEEZZNS1_14partition_implILS5_8ELb0ES3_jPKdPS6_PKS6_NS0_5tupleIJPdS6_EEENSE_IJSB_SB_EEENS0_18inequality_wrapperIN6hipcub16HIPCUB_304000_NS8EqualityEEEPlJS6_EEE10hipError_tPvRmT3_T4_T5_T6_T7_T9_mT8_P12ihipStream_tbDpT10_ENKUlT_T0_E_clISt17integral_constantIbLb1EES17_EEDaS12_S13_EUlS12_E_NS1_11comp_targetILNS1_3genE8ELNS1_11target_archE1030ELNS1_3gpuE2ELNS1_3repE0EEENS1_30default_config_static_selectorELNS0_4arch9wavefront6targetE1EEEvT1_
                                        ; -- End function
	.section	.AMDGPU.csdata,"",@progbits
; Kernel info:
; codeLenInByte = 0
; NumSgprs: 6
; NumVgprs: 0
; NumAgprs: 0
; TotalNumVgprs: 0
; ScratchSize: 0
; MemoryBound: 0
; FloatMode: 240
; IeeeMode: 1
; LDSByteSize: 0 bytes/workgroup (compile time only)
; SGPRBlocks: 0
; VGPRBlocks: 0
; NumSGPRsForWavesPerEU: 6
; NumVGPRsForWavesPerEU: 1
; AccumOffset: 4
; Occupancy: 8
; WaveLimiterHint : 0
; COMPUTE_PGM_RSRC2:SCRATCH_EN: 0
; COMPUTE_PGM_RSRC2:USER_SGPR: 2
; COMPUTE_PGM_RSRC2:TRAP_HANDLER: 0
; COMPUTE_PGM_RSRC2:TGID_X_EN: 1
; COMPUTE_PGM_RSRC2:TGID_Y_EN: 0
; COMPUTE_PGM_RSRC2:TGID_Z_EN: 0
; COMPUTE_PGM_RSRC2:TIDIG_COMP_CNT: 0
; COMPUTE_PGM_RSRC3_GFX90A:ACCUM_OFFSET: 0
; COMPUTE_PGM_RSRC3_GFX90A:TG_SPLIT: 0
	.section	.text._ZN7rocprim17ROCPRIM_400000_NS6detail17trampoline_kernelINS0_14default_configENS1_25partition_config_selectorILNS1_17partition_subalgoE8EdNS0_10empty_typeEbEEZZNS1_14partition_implILS5_8ELb0ES3_jPKdPS6_PKS6_NS0_5tupleIJPdS6_EEENSE_IJSB_SB_EEENS0_18inequality_wrapperIN6hipcub16HIPCUB_304000_NS8EqualityEEEPlJS6_EEE10hipError_tPvRmT3_T4_T5_T6_T7_T9_mT8_P12ihipStream_tbDpT10_ENKUlT_T0_E_clISt17integral_constantIbLb1EES16_IbLb0EEEEDaS12_S13_EUlS12_E_NS1_11comp_targetILNS1_3genE0ELNS1_11target_archE4294967295ELNS1_3gpuE0ELNS1_3repE0EEENS1_30default_config_static_selectorELNS0_4arch9wavefront6targetE1EEEvT1_,"axG",@progbits,_ZN7rocprim17ROCPRIM_400000_NS6detail17trampoline_kernelINS0_14default_configENS1_25partition_config_selectorILNS1_17partition_subalgoE8EdNS0_10empty_typeEbEEZZNS1_14partition_implILS5_8ELb0ES3_jPKdPS6_PKS6_NS0_5tupleIJPdS6_EEENSE_IJSB_SB_EEENS0_18inequality_wrapperIN6hipcub16HIPCUB_304000_NS8EqualityEEEPlJS6_EEE10hipError_tPvRmT3_T4_T5_T6_T7_T9_mT8_P12ihipStream_tbDpT10_ENKUlT_T0_E_clISt17integral_constantIbLb1EES16_IbLb0EEEEDaS12_S13_EUlS12_E_NS1_11comp_targetILNS1_3genE0ELNS1_11target_archE4294967295ELNS1_3gpuE0ELNS1_3repE0EEENS1_30default_config_static_selectorELNS0_4arch9wavefront6targetE1EEEvT1_,comdat
	.protected	_ZN7rocprim17ROCPRIM_400000_NS6detail17trampoline_kernelINS0_14default_configENS1_25partition_config_selectorILNS1_17partition_subalgoE8EdNS0_10empty_typeEbEEZZNS1_14partition_implILS5_8ELb0ES3_jPKdPS6_PKS6_NS0_5tupleIJPdS6_EEENSE_IJSB_SB_EEENS0_18inequality_wrapperIN6hipcub16HIPCUB_304000_NS8EqualityEEEPlJS6_EEE10hipError_tPvRmT3_T4_T5_T6_T7_T9_mT8_P12ihipStream_tbDpT10_ENKUlT_T0_E_clISt17integral_constantIbLb1EES16_IbLb0EEEEDaS12_S13_EUlS12_E_NS1_11comp_targetILNS1_3genE0ELNS1_11target_archE4294967295ELNS1_3gpuE0ELNS1_3repE0EEENS1_30default_config_static_selectorELNS0_4arch9wavefront6targetE1EEEvT1_ ; -- Begin function _ZN7rocprim17ROCPRIM_400000_NS6detail17trampoline_kernelINS0_14default_configENS1_25partition_config_selectorILNS1_17partition_subalgoE8EdNS0_10empty_typeEbEEZZNS1_14partition_implILS5_8ELb0ES3_jPKdPS6_PKS6_NS0_5tupleIJPdS6_EEENSE_IJSB_SB_EEENS0_18inequality_wrapperIN6hipcub16HIPCUB_304000_NS8EqualityEEEPlJS6_EEE10hipError_tPvRmT3_T4_T5_T6_T7_T9_mT8_P12ihipStream_tbDpT10_ENKUlT_T0_E_clISt17integral_constantIbLb1EES16_IbLb0EEEEDaS12_S13_EUlS12_E_NS1_11comp_targetILNS1_3genE0ELNS1_11target_archE4294967295ELNS1_3gpuE0ELNS1_3repE0EEENS1_30default_config_static_selectorELNS0_4arch9wavefront6targetE1EEEvT1_
	.globl	_ZN7rocprim17ROCPRIM_400000_NS6detail17trampoline_kernelINS0_14default_configENS1_25partition_config_selectorILNS1_17partition_subalgoE8EdNS0_10empty_typeEbEEZZNS1_14partition_implILS5_8ELb0ES3_jPKdPS6_PKS6_NS0_5tupleIJPdS6_EEENSE_IJSB_SB_EEENS0_18inequality_wrapperIN6hipcub16HIPCUB_304000_NS8EqualityEEEPlJS6_EEE10hipError_tPvRmT3_T4_T5_T6_T7_T9_mT8_P12ihipStream_tbDpT10_ENKUlT_T0_E_clISt17integral_constantIbLb1EES16_IbLb0EEEEDaS12_S13_EUlS12_E_NS1_11comp_targetILNS1_3genE0ELNS1_11target_archE4294967295ELNS1_3gpuE0ELNS1_3repE0EEENS1_30default_config_static_selectorELNS0_4arch9wavefront6targetE1EEEvT1_
	.p2align	8
	.type	_ZN7rocprim17ROCPRIM_400000_NS6detail17trampoline_kernelINS0_14default_configENS1_25partition_config_selectorILNS1_17partition_subalgoE8EdNS0_10empty_typeEbEEZZNS1_14partition_implILS5_8ELb0ES3_jPKdPS6_PKS6_NS0_5tupleIJPdS6_EEENSE_IJSB_SB_EEENS0_18inequality_wrapperIN6hipcub16HIPCUB_304000_NS8EqualityEEEPlJS6_EEE10hipError_tPvRmT3_T4_T5_T6_T7_T9_mT8_P12ihipStream_tbDpT10_ENKUlT_T0_E_clISt17integral_constantIbLb1EES16_IbLb0EEEEDaS12_S13_EUlS12_E_NS1_11comp_targetILNS1_3genE0ELNS1_11target_archE4294967295ELNS1_3gpuE0ELNS1_3repE0EEENS1_30default_config_static_selectorELNS0_4arch9wavefront6targetE1EEEvT1_,@function
_ZN7rocprim17ROCPRIM_400000_NS6detail17trampoline_kernelINS0_14default_configENS1_25partition_config_selectorILNS1_17partition_subalgoE8EdNS0_10empty_typeEbEEZZNS1_14partition_implILS5_8ELb0ES3_jPKdPS6_PKS6_NS0_5tupleIJPdS6_EEENSE_IJSB_SB_EEENS0_18inequality_wrapperIN6hipcub16HIPCUB_304000_NS8EqualityEEEPlJS6_EEE10hipError_tPvRmT3_T4_T5_T6_T7_T9_mT8_P12ihipStream_tbDpT10_ENKUlT_T0_E_clISt17integral_constantIbLb1EES16_IbLb0EEEEDaS12_S13_EUlS12_E_NS1_11comp_targetILNS1_3genE0ELNS1_11target_archE4294967295ELNS1_3gpuE0ELNS1_3repE0EEENS1_30default_config_static_selectorELNS0_4arch9wavefront6targetE1EEEvT1_: ; @_ZN7rocprim17ROCPRIM_400000_NS6detail17trampoline_kernelINS0_14default_configENS1_25partition_config_selectorILNS1_17partition_subalgoE8EdNS0_10empty_typeEbEEZZNS1_14partition_implILS5_8ELb0ES3_jPKdPS6_PKS6_NS0_5tupleIJPdS6_EEENSE_IJSB_SB_EEENS0_18inequality_wrapperIN6hipcub16HIPCUB_304000_NS8EqualityEEEPlJS6_EEE10hipError_tPvRmT3_T4_T5_T6_T7_T9_mT8_P12ihipStream_tbDpT10_ENKUlT_T0_E_clISt17integral_constantIbLb1EES16_IbLb0EEEEDaS12_S13_EUlS12_E_NS1_11comp_targetILNS1_3genE0ELNS1_11target_archE4294967295ELNS1_3gpuE0ELNS1_3repE0EEENS1_30default_config_static_selectorELNS0_4arch9wavefront6targetE1EEEvT1_
; %bb.0:
	.section	.rodata,"a",@progbits
	.p2align	6, 0x0
	.amdhsa_kernel _ZN7rocprim17ROCPRIM_400000_NS6detail17trampoline_kernelINS0_14default_configENS1_25partition_config_selectorILNS1_17partition_subalgoE8EdNS0_10empty_typeEbEEZZNS1_14partition_implILS5_8ELb0ES3_jPKdPS6_PKS6_NS0_5tupleIJPdS6_EEENSE_IJSB_SB_EEENS0_18inequality_wrapperIN6hipcub16HIPCUB_304000_NS8EqualityEEEPlJS6_EEE10hipError_tPvRmT3_T4_T5_T6_T7_T9_mT8_P12ihipStream_tbDpT10_ENKUlT_T0_E_clISt17integral_constantIbLb1EES16_IbLb0EEEEDaS12_S13_EUlS12_E_NS1_11comp_targetILNS1_3genE0ELNS1_11target_archE4294967295ELNS1_3gpuE0ELNS1_3repE0EEENS1_30default_config_static_selectorELNS0_4arch9wavefront6targetE1EEEvT1_
		.amdhsa_group_segment_fixed_size 0
		.amdhsa_private_segment_fixed_size 0
		.amdhsa_kernarg_size 112
		.amdhsa_user_sgpr_count 2
		.amdhsa_user_sgpr_dispatch_ptr 0
		.amdhsa_user_sgpr_queue_ptr 0
		.amdhsa_user_sgpr_kernarg_segment_ptr 1
		.amdhsa_user_sgpr_dispatch_id 0
		.amdhsa_user_sgpr_kernarg_preload_length 0
		.amdhsa_user_sgpr_kernarg_preload_offset 0
		.amdhsa_user_sgpr_private_segment_size 0
		.amdhsa_uses_dynamic_stack 0
		.amdhsa_enable_private_segment 0
		.amdhsa_system_sgpr_workgroup_id_x 1
		.amdhsa_system_sgpr_workgroup_id_y 0
		.amdhsa_system_sgpr_workgroup_id_z 0
		.amdhsa_system_sgpr_workgroup_info 0
		.amdhsa_system_vgpr_workitem_id 0
		.amdhsa_next_free_vgpr 1
		.amdhsa_next_free_sgpr 0
		.amdhsa_accum_offset 4
		.amdhsa_reserve_vcc 0
		.amdhsa_float_round_mode_32 0
		.amdhsa_float_round_mode_16_64 0
		.amdhsa_float_denorm_mode_32 3
		.amdhsa_float_denorm_mode_16_64 3
		.amdhsa_dx10_clamp 1
		.amdhsa_ieee_mode 1
		.amdhsa_fp16_overflow 0
		.amdhsa_tg_split 0
		.amdhsa_exception_fp_ieee_invalid_op 0
		.amdhsa_exception_fp_denorm_src 0
		.amdhsa_exception_fp_ieee_div_zero 0
		.amdhsa_exception_fp_ieee_overflow 0
		.amdhsa_exception_fp_ieee_underflow 0
		.amdhsa_exception_fp_ieee_inexact 0
		.amdhsa_exception_int_div_zero 0
	.end_amdhsa_kernel
	.section	.text._ZN7rocprim17ROCPRIM_400000_NS6detail17trampoline_kernelINS0_14default_configENS1_25partition_config_selectorILNS1_17partition_subalgoE8EdNS0_10empty_typeEbEEZZNS1_14partition_implILS5_8ELb0ES3_jPKdPS6_PKS6_NS0_5tupleIJPdS6_EEENSE_IJSB_SB_EEENS0_18inequality_wrapperIN6hipcub16HIPCUB_304000_NS8EqualityEEEPlJS6_EEE10hipError_tPvRmT3_T4_T5_T6_T7_T9_mT8_P12ihipStream_tbDpT10_ENKUlT_T0_E_clISt17integral_constantIbLb1EES16_IbLb0EEEEDaS12_S13_EUlS12_E_NS1_11comp_targetILNS1_3genE0ELNS1_11target_archE4294967295ELNS1_3gpuE0ELNS1_3repE0EEENS1_30default_config_static_selectorELNS0_4arch9wavefront6targetE1EEEvT1_,"axG",@progbits,_ZN7rocprim17ROCPRIM_400000_NS6detail17trampoline_kernelINS0_14default_configENS1_25partition_config_selectorILNS1_17partition_subalgoE8EdNS0_10empty_typeEbEEZZNS1_14partition_implILS5_8ELb0ES3_jPKdPS6_PKS6_NS0_5tupleIJPdS6_EEENSE_IJSB_SB_EEENS0_18inequality_wrapperIN6hipcub16HIPCUB_304000_NS8EqualityEEEPlJS6_EEE10hipError_tPvRmT3_T4_T5_T6_T7_T9_mT8_P12ihipStream_tbDpT10_ENKUlT_T0_E_clISt17integral_constantIbLb1EES16_IbLb0EEEEDaS12_S13_EUlS12_E_NS1_11comp_targetILNS1_3genE0ELNS1_11target_archE4294967295ELNS1_3gpuE0ELNS1_3repE0EEENS1_30default_config_static_selectorELNS0_4arch9wavefront6targetE1EEEvT1_,comdat
.Lfunc_end288:
	.size	_ZN7rocprim17ROCPRIM_400000_NS6detail17trampoline_kernelINS0_14default_configENS1_25partition_config_selectorILNS1_17partition_subalgoE8EdNS0_10empty_typeEbEEZZNS1_14partition_implILS5_8ELb0ES3_jPKdPS6_PKS6_NS0_5tupleIJPdS6_EEENSE_IJSB_SB_EEENS0_18inequality_wrapperIN6hipcub16HIPCUB_304000_NS8EqualityEEEPlJS6_EEE10hipError_tPvRmT3_T4_T5_T6_T7_T9_mT8_P12ihipStream_tbDpT10_ENKUlT_T0_E_clISt17integral_constantIbLb1EES16_IbLb0EEEEDaS12_S13_EUlS12_E_NS1_11comp_targetILNS1_3genE0ELNS1_11target_archE4294967295ELNS1_3gpuE0ELNS1_3repE0EEENS1_30default_config_static_selectorELNS0_4arch9wavefront6targetE1EEEvT1_, .Lfunc_end288-_ZN7rocprim17ROCPRIM_400000_NS6detail17trampoline_kernelINS0_14default_configENS1_25partition_config_selectorILNS1_17partition_subalgoE8EdNS0_10empty_typeEbEEZZNS1_14partition_implILS5_8ELb0ES3_jPKdPS6_PKS6_NS0_5tupleIJPdS6_EEENSE_IJSB_SB_EEENS0_18inequality_wrapperIN6hipcub16HIPCUB_304000_NS8EqualityEEEPlJS6_EEE10hipError_tPvRmT3_T4_T5_T6_T7_T9_mT8_P12ihipStream_tbDpT10_ENKUlT_T0_E_clISt17integral_constantIbLb1EES16_IbLb0EEEEDaS12_S13_EUlS12_E_NS1_11comp_targetILNS1_3genE0ELNS1_11target_archE4294967295ELNS1_3gpuE0ELNS1_3repE0EEENS1_30default_config_static_selectorELNS0_4arch9wavefront6targetE1EEEvT1_
                                        ; -- End function
	.section	.AMDGPU.csdata,"",@progbits
; Kernel info:
; codeLenInByte = 0
; NumSgprs: 6
; NumVgprs: 0
; NumAgprs: 0
; TotalNumVgprs: 0
; ScratchSize: 0
; MemoryBound: 0
; FloatMode: 240
; IeeeMode: 1
; LDSByteSize: 0 bytes/workgroup (compile time only)
; SGPRBlocks: 0
; VGPRBlocks: 0
; NumSGPRsForWavesPerEU: 6
; NumVGPRsForWavesPerEU: 1
; AccumOffset: 4
; Occupancy: 8
; WaveLimiterHint : 0
; COMPUTE_PGM_RSRC2:SCRATCH_EN: 0
; COMPUTE_PGM_RSRC2:USER_SGPR: 2
; COMPUTE_PGM_RSRC2:TRAP_HANDLER: 0
; COMPUTE_PGM_RSRC2:TGID_X_EN: 1
; COMPUTE_PGM_RSRC2:TGID_Y_EN: 0
; COMPUTE_PGM_RSRC2:TGID_Z_EN: 0
; COMPUTE_PGM_RSRC2:TIDIG_COMP_CNT: 0
; COMPUTE_PGM_RSRC3_GFX90A:ACCUM_OFFSET: 0
; COMPUTE_PGM_RSRC3_GFX90A:TG_SPLIT: 0
	.section	.text._ZN7rocprim17ROCPRIM_400000_NS6detail17trampoline_kernelINS0_14default_configENS1_25partition_config_selectorILNS1_17partition_subalgoE8EdNS0_10empty_typeEbEEZZNS1_14partition_implILS5_8ELb0ES3_jPKdPS6_PKS6_NS0_5tupleIJPdS6_EEENSE_IJSB_SB_EEENS0_18inequality_wrapperIN6hipcub16HIPCUB_304000_NS8EqualityEEEPlJS6_EEE10hipError_tPvRmT3_T4_T5_T6_T7_T9_mT8_P12ihipStream_tbDpT10_ENKUlT_T0_E_clISt17integral_constantIbLb1EES16_IbLb0EEEEDaS12_S13_EUlS12_E_NS1_11comp_targetILNS1_3genE5ELNS1_11target_archE942ELNS1_3gpuE9ELNS1_3repE0EEENS1_30default_config_static_selectorELNS0_4arch9wavefront6targetE1EEEvT1_,"axG",@progbits,_ZN7rocprim17ROCPRIM_400000_NS6detail17trampoline_kernelINS0_14default_configENS1_25partition_config_selectorILNS1_17partition_subalgoE8EdNS0_10empty_typeEbEEZZNS1_14partition_implILS5_8ELb0ES3_jPKdPS6_PKS6_NS0_5tupleIJPdS6_EEENSE_IJSB_SB_EEENS0_18inequality_wrapperIN6hipcub16HIPCUB_304000_NS8EqualityEEEPlJS6_EEE10hipError_tPvRmT3_T4_T5_T6_T7_T9_mT8_P12ihipStream_tbDpT10_ENKUlT_T0_E_clISt17integral_constantIbLb1EES16_IbLb0EEEEDaS12_S13_EUlS12_E_NS1_11comp_targetILNS1_3genE5ELNS1_11target_archE942ELNS1_3gpuE9ELNS1_3repE0EEENS1_30default_config_static_selectorELNS0_4arch9wavefront6targetE1EEEvT1_,comdat
	.protected	_ZN7rocprim17ROCPRIM_400000_NS6detail17trampoline_kernelINS0_14default_configENS1_25partition_config_selectorILNS1_17partition_subalgoE8EdNS0_10empty_typeEbEEZZNS1_14partition_implILS5_8ELb0ES3_jPKdPS6_PKS6_NS0_5tupleIJPdS6_EEENSE_IJSB_SB_EEENS0_18inequality_wrapperIN6hipcub16HIPCUB_304000_NS8EqualityEEEPlJS6_EEE10hipError_tPvRmT3_T4_T5_T6_T7_T9_mT8_P12ihipStream_tbDpT10_ENKUlT_T0_E_clISt17integral_constantIbLb1EES16_IbLb0EEEEDaS12_S13_EUlS12_E_NS1_11comp_targetILNS1_3genE5ELNS1_11target_archE942ELNS1_3gpuE9ELNS1_3repE0EEENS1_30default_config_static_selectorELNS0_4arch9wavefront6targetE1EEEvT1_ ; -- Begin function _ZN7rocprim17ROCPRIM_400000_NS6detail17trampoline_kernelINS0_14default_configENS1_25partition_config_selectorILNS1_17partition_subalgoE8EdNS0_10empty_typeEbEEZZNS1_14partition_implILS5_8ELb0ES3_jPKdPS6_PKS6_NS0_5tupleIJPdS6_EEENSE_IJSB_SB_EEENS0_18inequality_wrapperIN6hipcub16HIPCUB_304000_NS8EqualityEEEPlJS6_EEE10hipError_tPvRmT3_T4_T5_T6_T7_T9_mT8_P12ihipStream_tbDpT10_ENKUlT_T0_E_clISt17integral_constantIbLb1EES16_IbLb0EEEEDaS12_S13_EUlS12_E_NS1_11comp_targetILNS1_3genE5ELNS1_11target_archE942ELNS1_3gpuE9ELNS1_3repE0EEENS1_30default_config_static_selectorELNS0_4arch9wavefront6targetE1EEEvT1_
	.globl	_ZN7rocprim17ROCPRIM_400000_NS6detail17trampoline_kernelINS0_14default_configENS1_25partition_config_selectorILNS1_17partition_subalgoE8EdNS0_10empty_typeEbEEZZNS1_14partition_implILS5_8ELb0ES3_jPKdPS6_PKS6_NS0_5tupleIJPdS6_EEENSE_IJSB_SB_EEENS0_18inequality_wrapperIN6hipcub16HIPCUB_304000_NS8EqualityEEEPlJS6_EEE10hipError_tPvRmT3_T4_T5_T6_T7_T9_mT8_P12ihipStream_tbDpT10_ENKUlT_T0_E_clISt17integral_constantIbLb1EES16_IbLb0EEEEDaS12_S13_EUlS12_E_NS1_11comp_targetILNS1_3genE5ELNS1_11target_archE942ELNS1_3gpuE9ELNS1_3repE0EEENS1_30default_config_static_selectorELNS0_4arch9wavefront6targetE1EEEvT1_
	.p2align	8
	.type	_ZN7rocprim17ROCPRIM_400000_NS6detail17trampoline_kernelINS0_14default_configENS1_25partition_config_selectorILNS1_17partition_subalgoE8EdNS0_10empty_typeEbEEZZNS1_14partition_implILS5_8ELb0ES3_jPKdPS6_PKS6_NS0_5tupleIJPdS6_EEENSE_IJSB_SB_EEENS0_18inequality_wrapperIN6hipcub16HIPCUB_304000_NS8EqualityEEEPlJS6_EEE10hipError_tPvRmT3_T4_T5_T6_T7_T9_mT8_P12ihipStream_tbDpT10_ENKUlT_T0_E_clISt17integral_constantIbLb1EES16_IbLb0EEEEDaS12_S13_EUlS12_E_NS1_11comp_targetILNS1_3genE5ELNS1_11target_archE942ELNS1_3gpuE9ELNS1_3repE0EEENS1_30default_config_static_selectorELNS0_4arch9wavefront6targetE1EEEvT1_,@function
_ZN7rocprim17ROCPRIM_400000_NS6detail17trampoline_kernelINS0_14default_configENS1_25partition_config_selectorILNS1_17partition_subalgoE8EdNS0_10empty_typeEbEEZZNS1_14partition_implILS5_8ELb0ES3_jPKdPS6_PKS6_NS0_5tupleIJPdS6_EEENSE_IJSB_SB_EEENS0_18inequality_wrapperIN6hipcub16HIPCUB_304000_NS8EqualityEEEPlJS6_EEE10hipError_tPvRmT3_T4_T5_T6_T7_T9_mT8_P12ihipStream_tbDpT10_ENKUlT_T0_E_clISt17integral_constantIbLb1EES16_IbLb0EEEEDaS12_S13_EUlS12_E_NS1_11comp_targetILNS1_3genE5ELNS1_11target_archE942ELNS1_3gpuE9ELNS1_3repE0EEENS1_30default_config_static_selectorELNS0_4arch9wavefront6targetE1EEEvT1_: ; @_ZN7rocprim17ROCPRIM_400000_NS6detail17trampoline_kernelINS0_14default_configENS1_25partition_config_selectorILNS1_17partition_subalgoE8EdNS0_10empty_typeEbEEZZNS1_14partition_implILS5_8ELb0ES3_jPKdPS6_PKS6_NS0_5tupleIJPdS6_EEENSE_IJSB_SB_EEENS0_18inequality_wrapperIN6hipcub16HIPCUB_304000_NS8EqualityEEEPlJS6_EEE10hipError_tPvRmT3_T4_T5_T6_T7_T9_mT8_P12ihipStream_tbDpT10_ENKUlT_T0_E_clISt17integral_constantIbLb1EES16_IbLb0EEEEDaS12_S13_EUlS12_E_NS1_11comp_targetILNS1_3genE5ELNS1_11target_archE942ELNS1_3gpuE9ELNS1_3repE0EEENS1_30default_config_static_selectorELNS0_4arch9wavefront6targetE1EEEvT1_
; %bb.0:
	s_load_dwordx2 s[8:9], s[0:1], 0x50
	s_load_dwordx4 s[4:7], s[0:1], 0x8
	s_load_dwordx4 s[20:23], s[0:1], 0x40
	s_load_dword s3, s[0:1], 0x68
	s_waitcnt lgkmcnt(0)
	v_mov_b32_e32 v3, s9
	s_lshl_b64 s[10:11], s[6:7], 3
	s_add_u32 s10, s4, s10
	s_mul_i32 s9, s3, 0xe00
	s_addc_u32 s11, s5, s11
	s_add_i32 s12, s3, -1
	s_add_i32 s3, s9, s6
	s_sub_i32 s3, s8, s3
	v_mov_b32_e32 v2, s8
	s_add_u32 s8, s6, s9
	s_addc_u32 s9, s7, 0
	s_cmp_eq_u32 s2, s12
	s_load_dwordx2 s[22:23], s[22:23], 0x0
	v_cmp_ge_u64_e32 vcc, s[8:9], v[2:3]
	s_cselect_b64 s[24:25], -1, 0
	s_mul_i32 s4, s2, 0xe00
	s_mov_b32 s5, 0
	s_and_b64 s[16:17], s[24:25], vcc
	s_xor_b64 s[26:27], s[16:17], -1
	s_lshl_b64 s[4:5], s[4:5], 3
	s_add_u32 s4, s10, s4
	s_mov_b64 s[8:9], -1
	s_addc_u32 s5, s11, s5
	s_and_b64 vcc, exec, s[26:27]
	s_cbranch_vccz .LBB289_2
; %bb.1:
	v_lshlrev_b32_e32 v2, 3, v0
	v_mov_b32_e32 v3, 0
	v_lshl_add_u64 v[4:5], s[4:5], 0, v[2:3]
	v_add_co_u32_e32 v8, vcc, 0x1000, v4
	global_load_dwordx2 v[6:7], v2, s[4:5]
	s_nop 0
	v_addc_co_u32_e32 v9, vcc, 0, v5, vcc
	v_add_co_u32_e32 v10, vcc, 0x2000, v4
	s_mov_b64 s[8:9], 0
	s_nop 0
	v_addc_co_u32_e32 v11, vcc, 0, v5, vcc
	v_add_co_u32_e32 v12, vcc, 0x3000, v4
	s_nop 1
	v_addc_co_u32_e32 v13, vcc, 0, v5, vcc
	v_add_co_u32_e32 v14, vcc, 0x4000, v4
	s_nop 1
	v_addc_co_u32_e32 v15, vcc, 0, v5, vcc
	global_load_dwordx2 v[16:17], v[8:9], off
	global_load_dwordx2 v[18:19], v[10:11], off
	;; [unrolled: 1-line block ×4, first 2 shown]
	v_add_co_u32_e32 v8, vcc, 0x5000, v4
	s_nop 1
	v_addc_co_u32_e32 v9, vcc, 0, v5, vcc
	v_add_co_u32_e32 v4, vcc, 0x6000, v4
	global_load_dwordx2 v[8:9], v[8:9], off
	s_nop 0
	v_addc_co_u32_e32 v5, vcc, 0, v5, vcc
	global_load_dwordx2 v[4:5], v[4:5], off
	s_waitcnt vmcnt(5)
	ds_write2st64_b64 v2, v[6:7], v[16:17] offset1:8
	s_waitcnt vmcnt(3)
	ds_write2st64_b64 v2, v[18:19], v[20:21] offset0:16 offset1:24
	s_waitcnt vmcnt(1)
	ds_write2st64_b64 v2, v[22:23], v[8:9] offset0:32 offset1:40
	s_waitcnt vmcnt(0)
	ds_write_b64 v2, v[4:5] offset:24576
	s_waitcnt lgkmcnt(0)
	s_barrier
.LBB289_2:
	s_andn2_b64 vcc, exec, s[8:9]
	s_addk_i32 s3, 0xe00
	s_cbranch_vccnz .LBB289_18
; %bb.3:
	v_cmp_gt_u32_e32 vcc, s3, v0
                                        ; implicit-def: $vgpr2_vgpr3_vgpr4_vgpr5_vgpr6_vgpr7_vgpr8_vgpr9_vgpr10_vgpr11_vgpr12_vgpr13_vgpr14_vgpr15_vgpr16_vgpr17
	s_and_saveexec_b64 s[8:9], vcc
	s_cbranch_execz .LBB289_5
; %bb.4:
	v_lshlrev_b32_e32 v1, 3, v0
	global_load_dwordx2 v[2:3], v1, s[4:5]
.LBB289_5:
	s_or_b64 exec, exec, s[8:9]
	v_or_b32_e32 v1, 0x200, v0
	v_cmp_gt_u32_e32 vcc, s3, v1
	s_and_saveexec_b64 s[8:9], vcc
	s_cbranch_execz .LBB289_7
; %bb.6:
	v_lshlrev_b32_e32 v1, 3, v1
	global_load_dwordx2 v[4:5], v1, s[4:5]
.LBB289_7:
	s_or_b64 exec, exec, s[8:9]
	v_or_b32_e32 v1, 0x400, v0
	v_cmp_gt_u32_e32 vcc, s3, v1
	;; [unrolled: 9-line block ×6, first 2 shown]
	s_and_saveexec_b64 s[8:9], vcc
	s_cbranch_execz .LBB289_17
; %bb.16:
	v_lshlrev_b32_e32 v1, 3, v1
	global_load_dwordx2 v[14:15], v1, s[4:5]
.LBB289_17:
	s_or_b64 exec, exec, s[8:9]
	v_lshlrev_b32_e32 v1, 3, v0
	s_waitcnt vmcnt(0)
	ds_write2st64_b64 v1, v[2:3], v[4:5] offset1:8
	ds_write2st64_b64 v1, v[6:7], v[8:9] offset0:16 offset1:24
	ds_write2st64_b64 v1, v[10:11], v[12:13] offset0:32 offset1:40
	ds_write_b64 v1, v[14:15] offset:24576
	s_waitcnt lgkmcnt(0)
	s_barrier
.LBB289_18:
	v_mul_u32_u24_e32 v18, 7, v0
	v_lshlrev_b32_e32 v1, 3, v18
	s_waitcnt lgkmcnt(0)
	ds_read2_b64 v[10:13], v1 offset1:1
	ds_read2_b64 v[6:9], v1 offset0:2 offset1:3
	ds_read2_b64 v[2:5], v1 offset0:4 offset1:5
	ds_read_b64 v[14:15], v1 offset:48
	s_cmp_lg_u32 s2, 0
	s_cselect_b64 s[30:31], -1, 0
	s_cmp_lg_u64 s[6:7], 0
	s_cselect_b64 s[6:7], -1, 0
	s_or_b64 s[6:7], s[30:31], s[6:7]
	v_mad_u32_u24 v20, v0, 7, 1
	v_mad_u32_u24 v19, v0, 7, 2
	v_mad_u32_u24 v23, v0, 7, 3
	v_mad_u32_u24 v21, v0, 7, 4
	v_mad_u32_u24 v24, v0, 7, 5
	v_mad_u32_u24 v22, v0, 7, 6
	s_mov_b64 s[18:19], 0
	s_and_b64 vcc, exec, s[6:7]
	s_waitcnt lgkmcnt(0)
	s_barrier
	s_cbranch_vccz .LBB289_23
; %bb.19:
	s_add_u32 s4, s4, -8
	s_addc_u32 s5, s5, -1
	s_load_dwordx2 s[6:7], s[4:5], 0x0
	v_lshlrev_b32_e32 v29, 3, v0
	s_and_b64 vcc, exec, s[26:27]
	ds_write_b64 v29, v[14:15]
	s_cbranch_vccz .LBB289_25
; %bb.20:
	v_cmp_ne_u32_e32 vcc, 0, v0
	s_waitcnt lgkmcnt(0)
	v_mov_b64_e32 v[16:17], s[6:7]
	s_barrier
	s_and_saveexec_b64 s[4:5], vcc
	s_cbranch_execz .LBB289_22
; %bb.21:
	v_add_u32_e32 v16, -8, v29
	ds_read_b64 v[16:17], v16
.LBB289_22:
	s_or_b64 exec, exec, s[4:5]
	v_cmp_neq_f64_e32 vcc, v[4:5], v[14:15]
	s_waitcnt lgkmcnt(0)
	v_cmp_neq_f64_e64 s[4:5], v[16:17], v[10:11]
	v_cndmask_b32_e64 v27, 0, 1, vcc
	v_cmp_neq_f64_e32 vcc, v[2:3], v[4:5]
	s_nop 1
	v_cndmask_b32_e64 v25, 0, 1, vcc
	v_cmp_neq_f64_e32 vcc, v[8:9], v[2:3]
	s_nop 1
	;; [unrolled: 3-line block ×3, first 2 shown]
	v_cndmask_b32_e64 v28, 0, 1, vcc
	v_cmp_neq_f64_e32 vcc, v[12:13], v[6:7]
	v_lshlrev_b16_e32 v16, 8, v28
	s_nop 0
	v_cndmask_b32_e64 v30, 0, 1, vcc
	v_cmp_neq_f64_e32 vcc, v[10:11], v[12:13]
	v_or_b32_sdwa v16, v30, v16 dst_sel:WORD_1 dst_unused:UNUSED_PAD src0_sel:DWORD src1_sel:DWORD
	s_nop 0
	v_cndmask_b32_e64 v31, 0, 1, vcc
	v_lshlrev_b16_e32 v17, 8, v31
	v_or_b32_e32 v28, v17, v16
	s_branch .LBB289_29
.LBB289_23:
                                        ; implicit-def: $sgpr4_sgpr5
                                        ; implicit-def: $vgpr27
                                        ; implicit-def: $vgpr25
                                        ; implicit-def: $vgpr26
                                        ; implicit-def: $vgpr28
	s_branch .LBB289_30
.LBB289_24:
                                        ; implicit-def: $vgpr16_vgpr17
	s_and_saveexec_b64 s[6:7], s[18:19]
	s_cbranch_execnz .LBB289_38
	s_branch .LBB289_39
.LBB289_25:
                                        ; implicit-def: $sgpr4_sgpr5
                                        ; implicit-def: $vgpr27
                                        ; implicit-def: $vgpr25
                                        ; implicit-def: $vgpr26
                                        ; implicit-def: $vgpr28
	s_cbranch_execz .LBB289_29
; %bb.26:
	v_cmp_ne_u32_e32 vcc, 0, v0
	s_waitcnt lgkmcnt(0)
	v_mov_b64_e32 v[16:17], s[6:7]
	s_barrier
	s_and_saveexec_b64 s[4:5], vcc
	s_cbranch_execz .LBB289_28
; %bb.27:
	v_add_u32_e32 v16, -8, v29
	ds_read_b64 v[16:17], v16
.LBB289_28:
	s_or_b64 exec, exec, s[4:5]
	v_cmp_gt_u32_e32 vcc, s3, v22
	v_cmp_neq_f64_e64 s[4:5], v[4:5], v[14:15]
	s_and_b64 s[4:5], vcc, s[4:5]
	v_cmp_gt_u32_e32 vcc, s3, v24
	v_cndmask_b32_e64 v27, 0, 1, s[4:5]
	v_cmp_neq_f64_e64 s[4:5], v[2:3], v[4:5]
	s_and_b64 s[4:5], vcc, s[4:5]
	v_cmp_gt_u32_e32 vcc, s3, v21
	v_cndmask_b32_e64 v25, 0, 1, s[4:5]
	;; [unrolled: 4-line block ×6, first 2 shown]
	s_waitcnt lgkmcnt(0)
	v_cmp_neq_f64_e64 s[4:5], v[16:17], v[10:11]
	v_lshlrev_b16_e32 v16, 8, v28
	v_or_b32_sdwa v16, v29, v16 dst_sel:WORD_1 dst_unused:UNUSED_PAD src0_sel:DWORD src1_sel:DWORD
	v_lshlrev_b16_e32 v17, 8, v30
	s_and_b64 s[4:5], vcc, s[4:5]
	v_or_b32_e32 v28, v17, v16
.LBB289_29:
	s_waitcnt lgkmcnt(0)
	s_mov_b64 s[18:19], -1
	s_cbranch_execnz .LBB289_24
.LBB289_30:
	s_movk_i32 s4, 0xffd0
	v_mad_i32_i24 v29, v0, s4, v1
	s_and_b64 vcc, exec, s[26:27]
	v_cmp_neq_f64_e64 s[14:15], v[4:5], v[14:15]
	v_cmp_neq_f64_e64 s[4:5], v[2:3], v[4:5]
	v_cmp_neq_f64_e64 s[6:7], v[8:9], v[2:3]
	v_cmp_neq_f64_e64 s[8:9], v[6:7], v[8:9]
	v_cmp_neq_f64_e64 s[10:11], v[12:13], v[6:7]
	v_cmp_neq_f64_e64 s[12:13], v[10:11], v[12:13]
	ds_write_b64 v29, v[14:15]
	s_cbranch_vccz .LBB289_34
; %bb.31:
	v_cndmask_b32_e64 v25, 0, 1, s[4:5]
	v_cndmask_b32_e64 v16, 0, 1, s[8:9]
	;; [unrolled: 1-line block ×5, first 2 shown]
	v_lshlrev_b16_e32 v17, 8, v25
	v_lshlrev_b16_e32 v16, 8, v16
	v_or_b32_e32 v17, v26, v17
	v_or_b32_sdwa v16, v28, v16 dst_sel:WORD_1 dst_unused:UNUSED_PAD src0_sel:DWORD src1_sel:DWORD
	v_lshlrev_b16_e32 v28, 8, v30
	v_and_b32_e32 v17, 0xffff, v17
	v_cndmask_b32_e64 v27, 0, 1, s[14:15]
	v_or_b32_e32 v28, 1, v28
	v_lshl_or_b32 v17, v27, 16, v17
	v_or_b32_sdwa v16, v28, v16 dst_sel:DWORD dst_unused:UNUSED_PAD src0_sel:WORD_0 src1_sel:DWORD
	v_cmp_ne_u32_e32 vcc, 0, v0
	s_waitcnt lgkmcnt(0)
	s_barrier
	s_waitcnt lgkmcnt(0)
                                        ; implicit-def: $sgpr4_sgpr5
                                        ; implicit-def: $vgpr28
	s_and_saveexec_b64 s[6:7], vcc
	s_xor_b64 s[6:7], exec, s[6:7]
	s_cbranch_execz .LBB289_33
; %bb.32:
	v_add_u32_e32 v17, -8, v29
	ds_read_b64 v[30:31], v17
	s_mov_b32 s4, 0x3020104
	v_perm_b32 v28, v16, v16, s4
	s_or_b64 s[18:19], s[18:19], exec
                                        ; implicit-def: $vgpr16_vgpr17
	s_waitcnt lgkmcnt(0)
	v_cmp_neq_f64_e32 vcc, v[30:31], v[10:11]
	s_and_b64 s[4:5], vcc, exec
.LBB289_33:
	s_or_b64 exec, exec, s[6:7]
	s_branch .LBB289_37
.LBB289_34:
                                        ; implicit-def: $sgpr4_sgpr5
                                        ; implicit-def: $vgpr27
                                        ; implicit-def: $vgpr25
                                        ; implicit-def: $vgpr26
                                        ; implicit-def: $vgpr28
                                        ; implicit-def: $vgpr16_vgpr17
	s_cbranch_execz .LBB289_37
; %bb.35:
	v_cmp_gt_u32_e64 s[6:7], s3, v24
	v_cmp_neq_f64_e64 s[8:9], v[2:3], v[4:5]
	s_and_b64 s[6:7], s[6:7], s[8:9]
	v_cndmask_b32_e64 v25, 0, 1, s[6:7]
	v_cmp_gt_u32_e64 s[6:7], s3, v21
	v_cmp_neq_f64_e64 s[8:9], v[8:9], v[2:3]
	s_and_b64 s[6:7], s[6:7], s[8:9]
	v_cndmask_b32_e64 v26, 0, 1, s[6:7]
	;; [unrolled: 4-line block ×4, first 2 shown]
	v_cmp_gt_u32_e64 s[6:7], s3, v20
	v_cmp_neq_f64_e64 s[8:9], v[10:11], v[12:13]
	s_and_b64 s[6:7], s[6:7], s[8:9]
	v_cmp_gt_u32_e32 vcc, s3, v22
	v_cmp_neq_f64_e64 s[4:5], v[4:5], v[14:15]
	v_cndmask_b32_e64 v30, 0, 1, s[6:7]
	v_lshlrev_b16_e32 v17, 8, v25
	v_lshlrev_b16_e32 v16, 8, v16
	v_or_b32_e32 v17, v26, v17
	s_and_b64 s[4:5], vcc, s[4:5]
	v_or_b32_sdwa v16, v28, v16 dst_sel:WORD_1 dst_unused:UNUSED_PAD src0_sel:DWORD src1_sel:DWORD
	v_lshlrev_b16_e32 v28, 8, v30
	v_and_b32_e32 v17, 0xffff, v17
	v_cndmask_b32_e64 v27, 0, 1, s[4:5]
	v_or_b32_e32 v28, 1, v28
	v_lshl_or_b32 v17, v27, 16, v17
	v_or_b32_sdwa v16, v28, v16 dst_sel:DWORD dst_unused:UNUSED_PAD src0_sel:WORD_0 src1_sel:DWORD
	v_cmp_ne_u32_e32 vcc, 0, v0
	s_waitcnt lgkmcnt(0)
	s_barrier
	s_waitcnt lgkmcnt(0)
                                        ; implicit-def: $sgpr4_sgpr5
                                        ; implicit-def: $vgpr28
	s_and_saveexec_b64 s[6:7], vcc
	s_cbranch_execz .LBB289_127
; %bb.36:
	v_add_u32_e32 v17, -8, v29
	ds_read_b64 v[30:31], v17
	s_mov_b32 s4, 0x3020104
	v_cmp_gt_u32_e32 vcc, s3, v18
	v_perm_b32 v28, v16, v16, s4
	s_or_b64 s[18:19], s[18:19], exec
	s_waitcnt lgkmcnt(0)
	v_cmp_neq_f64_e64 s[4:5], v[30:31], v[10:11]
	s_and_b64 s[4:5], vcc, s[4:5]
	s_and_b64 s[4:5], s[4:5], exec
                                        ; implicit-def: $vgpr16_vgpr17
	s_or_b64 exec, exec, s[6:7]
.LBB289_37:
	s_and_saveexec_b64 s[6:7], s[18:19]
	s_cbranch_execz .LBB289_39
.LBB289_38:
	v_lshlrev_b16_e32 v17, 8, v25
	v_and_b32_e32 v25, 0xff, v27
	v_or_b32_sdwa v17, v26, v17 dst_sel:DWORD dst_unused:UNUSED_PAD src0_sel:BYTE_0 src1_sel:DWORD
	v_lshlrev_b32_e32 v25, 16, v25
	v_cndmask_b32_e64 v16, 0, 1, s[4:5]
	s_movk_i32 s4, 0xff
	v_or_b32_sdwa v17, v17, v25 dst_sel:DWORD dst_unused:UNUSED_PAD src0_sel:WORD_0 src1_sel:DWORD
	v_lshrrev_b32_e32 v25, 24, v28
	v_lshlrev_b16_e32 v25, 8, v25
	v_and_b32_sdwa v26, v28, s4 dst_sel:DWORD dst_unused:UNUSED_PAD src0_sel:WORD_1 src1_sel:DWORD
	v_or_b32_sdwa v25, v26, v25 dst_sel:WORD_1 dst_unused:UNUSED_PAD src0_sel:DWORD src1_sel:DWORD
	v_mov_b32_e32 v26, 8
	v_lshrrev_b32_sdwa v26, v26, v28 dst_sel:BYTE_1 dst_unused:UNUSED_PAD src0_sel:DWORD src1_sel:DWORD
	s_nop 0
	v_or_b32_e32 v16, v16, v26
	v_or_b32_sdwa v16, v16, v25 dst_sel:DWORD dst_unused:UNUSED_PAD src0_sel:WORD_0 src1_sel:DWORD
.LBB289_39:
	s_or_b64 exec, exec, s[6:7]
	s_load_dwordx2 s[28:29], s[0:1], 0x60
	s_andn2_b64 vcc, exec, s[16:17]
	s_cbranch_vccnz .LBB289_41
; %bb.40:
	v_and_b32_e32 v25, 0xffff0000, v16
	v_cmp_gt_u32_e32 vcc, s3, v18
	s_mov_b32 s4, 0x40c0100
	s_nop 0
	v_cndmask_b32_e32 v18, v25, v16, vcc
	v_and_b32_e32 v18, 0xffff00ff, v18
	v_cmp_gt_u32_e32 vcc, s3, v20
	s_nop 1
	v_cndmask_b32_e32 v18, v18, v16, vcc
	v_lshrrev_b32_e32 v20, 24, v18
	v_perm_b32 v18, v20, v18, s4
	v_cmp_gt_u32_e32 vcc, s3, v19
	v_and_b32_e32 v19, 0xffffff00, v17
	s_nop 0
	v_cndmask_b32_e32 v18, v18, v16, vcc
	v_and_b32_e32 v18, 0xffffff, v18
	v_cmp_gt_u32_e32 vcc, s3, v23
	s_nop 1
	v_cndmask_b32_e32 v18, v18, v16, vcc
	v_cmp_gt_u32_e32 vcc, s3, v21
	s_nop 1
	v_cndmask_b32_e32 v19, v19, v17, vcc
	v_and_b32_e32 v19, 0xffff00ff, v19
	v_cndmask_b32_e32 v18, v18, v16, vcc
	v_cmp_gt_u32_e32 vcc, s3, v24
	s_nop 1
	v_cndmask_b32_e32 v19, v19, v17, vcc
	v_lshrrev_b32_e32 v20, 24, v19
	v_cndmask_b32_e32 v18, v18, v16, vcc
	v_perm_b32 v19, v20, v19, s4
	v_cmp_gt_u32_e32 vcc, s3, v22
	s_mov_b32 s3, 0x3020104
	s_nop 0
	v_cndmask_b32_e32 v16, v18, v16, vcc
	v_cndmask_b32_e32 v17, v19, v17, vcc
	v_mov_b32_e32 v18, 8
	v_lshrrev_b32_sdwa v18, v18, v17 dst_sel:BYTE_1 dst_unused:UNUSED_PAD src0_sel:DWORD src1_sel:DWORD
	v_perm_b32 v16, v16, v16, s3
	v_or_b32_sdwa v18, v17, v18 dst_sel:DWORD dst_unused:UNUSED_PAD src0_sel:BYTE_0 src1_sel:DWORD
	v_and_b32_e32 v18, 0xffff, v18
	v_bfe_u32 v17, v17, 16, 8
	v_lshl_or_b32 v17, v17, 16, v18
.LBB289_41:
	v_and_b32_e32 v29, 0xff, v16
	v_bfe_u32 v31, v16, 8, 8
	v_bfe_u32 v33, v16, 16, 8
	v_alignbit_b32 v18, v17, v16, 24
	v_and_b32_e32 v35, 0xff, v18
	v_and_b32_e32 v36, 0xff, v17
	v_add3_u32 v19, v31, v29, v33
	v_bfe_u32 v37, v17, 8, 8
	v_bfe_u32 v18, v17, 16, 8
	v_add3_u32 v19, v19, v35, v36
	v_add3_u32 v40, v19, v37, v18
	v_mbcnt_lo_u32_b32 v18, -1, 0
	v_mbcnt_hi_u32_b32 v38, -1, v18
	v_and_b32_e32 v18, 15, v38
	v_cmp_eq_u32_e64 s[14:15], 0, v18
	v_cmp_lt_u32_e64 s[12:13], 1, v18
	v_cmp_lt_u32_e64 s[10:11], 3, v18
	;; [unrolled: 1-line block ×3, first 2 shown]
	v_and_b32_e32 v18, 16, v38
	v_cmp_eq_u32_e64 s[6:7], 0, v18
	v_or_b32_e32 v18, 63, v0
	v_cmp_lt_u32_e64 s[18:19], 31, v38
	v_lshrrev_b32_e32 v39, 6, v0
	v_cmp_eq_u32_e64 s[4:5], v18, v0
	s_and_b64 vcc, exec, s[30:31]
	s_waitcnt lgkmcnt(0)
	s_barrier
	s_cbranch_vccz .LBB289_72
; %bb.42:
	v_mov_b32_dpp v18, v40 row_shr:1 row_mask:0xf bank_mask:0xf
	v_cndmask_b32_e64 v18, v18, 0, s[14:15]
	v_add_u32_e32 v18, v18, v40
	s_nop 1
	v_mov_b32_dpp v19, v18 row_shr:2 row_mask:0xf bank_mask:0xf
	v_cndmask_b32_e64 v19, 0, v19, s[12:13]
	v_add_u32_e32 v18, v18, v19
	s_nop 1
	;; [unrolled: 4-line block ×4, first 2 shown]
	v_mov_b32_dpp v19, v18 row_bcast:15 row_mask:0xf bank_mask:0xf
	v_cndmask_b32_e64 v19, v19, 0, s[6:7]
	v_add_u32_e32 v18, v18, v19
	s_nop 1
	v_mov_b32_dpp v19, v18 row_bcast:31 row_mask:0xf bank_mask:0xf
	v_cndmask_b32_e64 v19, 0, v19, s[18:19]
	v_add_u32_e32 v18, v18, v19
	s_and_saveexec_b64 s[16:17], s[4:5]
	s_cbranch_execz .LBB289_44
; %bb.43:
	v_lshlrev_b32_e32 v19, 2, v39
	ds_write_b32 v19, v18
.LBB289_44:
	s_or_b64 exec, exec, s[16:17]
	v_cmp_gt_u32_e32 vcc, 8, v0
	s_waitcnt lgkmcnt(0)
	s_barrier
	s_and_saveexec_b64 s[16:17], vcc
	s_cbranch_execz .LBB289_46
; %bb.45:
	v_lshlrev_b32_e32 v19, 2, v0
	ds_read_b32 v20, v19
	v_and_b32_e32 v21, 7, v38
	v_cmp_ne_u32_e32 vcc, 0, v21
	s_waitcnt lgkmcnt(0)
	v_mov_b32_dpp v22, v20 row_shr:1 row_mask:0xf bank_mask:0xf
	v_cndmask_b32_e32 v22, 0, v22, vcc
	v_add_u32_e32 v20, v22, v20
	v_cmp_lt_u32_e32 vcc, 1, v21
	s_nop 0
	v_mov_b32_dpp v22, v20 row_shr:2 row_mask:0xf bank_mask:0xf
	v_cndmask_b32_e32 v22, 0, v22, vcc
	v_add_u32_e32 v20, v20, v22
	v_cmp_lt_u32_e32 vcc, 3, v21
	s_nop 0
	v_mov_b32_dpp v22, v20 row_shr:4 row_mask:0xf bank_mask:0xf
	v_cndmask_b32_e32 v21, 0, v22, vcc
	v_add_u32_e32 v20, v20, v21
	ds_write_b32 v19, v20
.LBB289_46:
	s_or_b64 exec, exec, s[16:17]
	v_cmp_gt_u32_e32 vcc, 64, v0
	v_cmp_lt_u32_e64 s[16:17], 63, v0
	s_waitcnt lgkmcnt(0)
	s_barrier
	s_waitcnt lgkmcnt(0)
                                        ; implicit-def: $vgpr28
	s_and_saveexec_b64 s[30:31], s[16:17]
	s_cbranch_execz .LBB289_48
; %bb.47:
	v_lshl_add_u32 v19, v39, 2, -4
	ds_read_b32 v28, v19
	s_waitcnt lgkmcnt(0)
	v_add_u32_e32 v18, v28, v18
.LBB289_48:
	s_or_b64 exec, exec, s[30:31]
	v_add_u32_e32 v19, -1, v38
	v_and_b32_e32 v20, 64, v38
	v_cmp_lt_i32_e64 s[16:17], v19, v20
	s_nop 1
	v_cndmask_b32_e64 v19, v19, v38, s[16:17]
	v_lshlrev_b32_e32 v19, 2, v19
	ds_bpermute_b32 v30, v19, v18
	v_cmp_eq_u32_e64 s[16:17], 0, v38
	s_and_saveexec_b64 s[30:31], vcc
	s_cbranch_execz .LBB289_71
; %bb.49:
	v_mov_b32_e32 v27, 0
	ds_read_b32 v18, v27 offset:28
	s_and_saveexec_b64 s[34:35], s[16:17]
	s_cbranch_execz .LBB289_51
; %bb.50:
	s_add_i32 s36, s2, 64
	s_mov_b32 s37, 0
	s_lshl_b64 s[36:37], s[36:37], 3
	s_add_u32 s36, s28, s36
	v_mov_b32_e32 v19, 1
	s_addc_u32 s37, s29, s37
	s_waitcnt lgkmcnt(0)
	global_store_dwordx2 v27, v[18:19], s[36:37] sc1
.LBB289_51:
	s_or_b64 exec, exec, s[34:35]
	v_xad_u32 v20, v38, -1, s2
	v_add_u32_e32 v26, 64, v20
	v_lshl_add_u64 v[22:23], v[26:27], 3, s[28:29]
	global_load_dwordx2 v[24:25], v[22:23], off sc1
	s_waitcnt vmcnt(0)
	v_cmp_eq_u16_sdwa s[36:37], v25, v27 src0_sel:BYTE_0 src1_sel:DWORD
	s_and_saveexec_b64 s[34:35], s[36:37]
	s_cbranch_execz .LBB289_57
; %bb.52:
	s_mov_b32 s3, 1
	s_mov_b64 s[36:37], 0
	v_mov_b32_e32 v19, 0
.LBB289_53:                             ; =>This Loop Header: Depth=1
                                        ;     Child Loop BB289_54 Depth 2
	s_max_u32 s33, s3, 1
.LBB289_54:                             ;   Parent Loop BB289_53 Depth=1
                                        ; =>  This Inner Loop Header: Depth=2
	s_add_i32 s33, s33, -1
	s_cmp_eq_u32 s33, 0
	s_sleep 1
	s_cbranch_scc0 .LBB289_54
; %bb.55:                               ;   in Loop: Header=BB289_53 Depth=1
	global_load_dwordx2 v[24:25], v[22:23], off sc1
	s_cmp_lt_u32 s3, 32
	s_cselect_b64 s[38:39], -1, 0
	s_cmp_lg_u64 s[38:39], 0
	s_addc_u32 s3, s3, 0
	s_waitcnt vmcnt(0)
	v_cmp_ne_u16_sdwa s[38:39], v25, v19 src0_sel:BYTE_0 src1_sel:DWORD
	s_or_b64 s[36:37], s[38:39], s[36:37]
	s_andn2_b64 exec, exec, s[36:37]
	s_cbranch_execnz .LBB289_53
; %bb.56:
	s_or_b64 exec, exec, s[36:37]
.LBB289_57:
	s_or_b64 exec, exec, s[34:35]
	v_and_b32_e32 v34, 63, v38
	v_mov_b32_e32 v32, 2
	v_cmp_ne_u32_e32 vcc, 63, v34
	v_cmp_eq_u16_sdwa s[34:35], v25, v32 src0_sel:BYTE_0 src1_sel:DWORD
	v_lshlrev_b64 v[22:23], v38, -1
	v_addc_co_u32_e32 v26, vcc, 0, v38, vcc
	v_and_b32_e32 v19, s35, v23
	v_lshlrev_b32_e32 v41, 2, v26
	v_or_b32_e32 v19, 0x80000000, v19
	ds_bpermute_b32 v26, v41, v24
	v_and_b32_e32 v21, s34, v22
	v_ffbl_b32_e32 v19, v19
	v_add_u32_e32 v19, 32, v19
	v_ffbl_b32_e32 v21, v21
	v_min_u32_e32 v19, v21, v19
	v_cmp_lt_u32_e32 vcc, v34, v19
	v_add_u32_e32 v43, 2, v34
	v_add_u32_e32 v45, 4, v34
	s_waitcnt lgkmcnt(0)
	v_cndmask_b32_e32 v21, 0, v26, vcc
	v_cmp_gt_u32_e32 vcc, 62, v34
	v_add_u32_e32 v21, v21, v24
	v_add_u32_e32 v47, 8, v34
	v_cndmask_b32_e64 v24, 0, 1, vcc
	v_lshlrev_b32_e32 v24, 1, v24
	v_add_lshl_u32 v42, v24, v38, 2
	ds_bpermute_b32 v24, v42, v21
	v_cmp_le_u32_e32 vcc, v43, v19
	v_add_u32_e32 v49, 16, v34
	v_add_u32_e32 v51, 32, v34
	s_waitcnt lgkmcnt(0)
	v_cndmask_b32_e32 v24, 0, v24, vcc
	v_cmp_gt_u32_e32 vcc, 60, v34
	v_add_u32_e32 v21, v21, v24
	s_nop 0
	v_cndmask_b32_e64 v24, 0, 1, vcc
	v_lshlrev_b32_e32 v24, 2, v24
	v_add_lshl_u32 v44, v24, v38, 2
	ds_bpermute_b32 v24, v44, v21
	v_cmp_le_u32_e32 vcc, v45, v19
	s_waitcnt lgkmcnt(0)
	s_nop 0
	v_cndmask_b32_e32 v24, 0, v24, vcc
	v_cmp_gt_u32_e32 vcc, 56, v34
	v_add_u32_e32 v21, v21, v24
	s_nop 0
	v_cndmask_b32_e64 v24, 0, 1, vcc
	v_lshlrev_b32_e32 v24, 3, v24
	v_add_lshl_u32 v46, v24, v38, 2
	ds_bpermute_b32 v24, v46, v21
	v_cmp_le_u32_e32 vcc, v47, v19
	s_waitcnt lgkmcnt(0)
	s_nop 0
	;; [unrolled: 11-line block ×4, first 2 shown]
	v_cndmask_b32_e32 v19, 0, v24, vcc
	v_add_u32_e32 v24, v21, v19
	v_mov_b32_e32 v21, 0
	s_branch .LBB289_59
.LBB289_58:                             ;   in Loop: Header=BB289_59 Depth=1
	s_or_b64 exec, exec, s[34:35]
	v_cmp_eq_u16_sdwa s[34:35], v25, v32 src0_sel:BYTE_0 src1_sel:DWORD
	ds_bpermute_b32 v52, v41, v24
	v_subrev_u32_e32 v20, 64, v20
	v_and_b32_e32 v26, s35, v23
	v_or_b32_e32 v26, 0x80000000, v26
	v_and_b32_e32 v27, s34, v22
	v_ffbl_b32_e32 v26, v26
	v_add_u32_e32 v26, 32, v26
	v_ffbl_b32_e32 v27, v27
	v_min_u32_e32 v26, v27, v26
	v_cmp_lt_u32_e32 vcc, v34, v26
	s_waitcnt lgkmcnt(0)
	s_nop 0
	v_cndmask_b32_e32 v27, 0, v52, vcc
	v_add_u32_e32 v24, v27, v24
	ds_bpermute_b32 v27, v42, v24
	v_cmp_le_u32_e32 vcc, v43, v26
	s_waitcnt lgkmcnt(0)
	s_nop 0
	v_cndmask_b32_e32 v27, 0, v27, vcc
	v_add_u32_e32 v24, v24, v27
	ds_bpermute_b32 v27, v44, v24
	v_cmp_le_u32_e32 vcc, v45, v26
	;; [unrolled: 6-line block ×5, first 2 shown]
	s_waitcnt lgkmcnt(0)
	s_nop 0
	v_cndmask_b32_e32 v26, 0, v27, vcc
	v_add3_u32 v24, v26, v19, v24
.LBB289_59:                             ; =>This Loop Header: Depth=1
                                        ;     Child Loop BB289_62 Depth 2
                                        ;       Child Loop BB289_63 Depth 3
	v_cmp_ne_u16_sdwa s[34:35], v25, v32 src0_sel:BYTE_0 src1_sel:DWORD
	s_nop 1
	v_cndmask_b32_e64 v19, 0, 1, s[34:35]
	;;#ASMSTART
	;;#ASMEND
	s_nop 0
	v_cmp_ne_u32_e32 vcc, 0, v19
	s_cmp_lg_u64 vcc, exec
	v_mov_b32_e32 v19, v24
	s_cbranch_scc1 .LBB289_66
; %bb.60:                               ;   in Loop: Header=BB289_59 Depth=1
	v_lshl_add_u64 v[26:27], v[20:21], 3, s[28:29]
	global_load_dwordx2 v[24:25], v[26:27], off sc1
	s_waitcnt vmcnt(0)
	v_cmp_eq_u16_sdwa s[36:37], v25, v21 src0_sel:BYTE_0 src1_sel:DWORD
	s_and_saveexec_b64 s[34:35], s[36:37]
	s_cbranch_execz .LBB289_58
; %bb.61:                               ;   in Loop: Header=BB289_59 Depth=1
	s_mov_b32 s3, 1
	s_mov_b64 s[36:37], 0
.LBB289_62:                             ;   Parent Loop BB289_59 Depth=1
                                        ; =>  This Loop Header: Depth=2
                                        ;       Child Loop BB289_63 Depth 3
	s_max_u32 s33, s3, 1
.LBB289_63:                             ;   Parent Loop BB289_59 Depth=1
                                        ;     Parent Loop BB289_62 Depth=2
                                        ; =>    This Inner Loop Header: Depth=3
	s_add_i32 s33, s33, -1
	s_cmp_eq_u32 s33, 0
	s_sleep 1
	s_cbranch_scc0 .LBB289_63
; %bb.64:                               ;   in Loop: Header=BB289_62 Depth=2
	global_load_dwordx2 v[24:25], v[26:27], off sc1
	s_cmp_lt_u32 s3, 32
	s_cselect_b64 s[38:39], -1, 0
	s_cmp_lg_u64 s[38:39], 0
	s_addc_u32 s3, s3, 0
	s_waitcnt vmcnt(0)
	v_cmp_ne_u16_sdwa s[38:39], v25, v21 src0_sel:BYTE_0 src1_sel:DWORD
	s_or_b64 s[36:37], s[38:39], s[36:37]
	s_andn2_b64 exec, exec, s[36:37]
	s_cbranch_execnz .LBB289_62
; %bb.65:                               ;   in Loop: Header=BB289_59 Depth=1
	s_or_b64 exec, exec, s[36:37]
	s_branch .LBB289_58
.LBB289_66:                             ;   in Loop: Header=BB289_59 Depth=1
                                        ; implicit-def: $vgpr24
                                        ; implicit-def: $vgpr25
	s_cbranch_execz .LBB289_59
; %bb.67:
	s_and_saveexec_b64 s[34:35], s[16:17]
	s_cbranch_execz .LBB289_69
; %bb.68:
	s_add_i32 s2, s2, 64
	s_mov_b32 s3, 0
	s_lshl_b64 s[2:3], s[2:3], 3
	s_add_u32 s2, s28, s2
	v_add_u32_e32 v20, v19, v18
	v_mov_b32_e32 v21, 2
	s_addc_u32 s3, s29, s3
	v_mov_b32_e32 v22, 0
	global_store_dwordx2 v22, v[20:21], s[2:3] sc1
	ds_write_b64 v22, v[18:19] offset:28672
.LBB289_69:
	s_or_b64 exec, exec, s[34:35]
	v_cmp_eq_u32_e32 vcc, 0, v0
	s_and_b64 exec, exec, vcc
	s_cbranch_execz .LBB289_71
; %bb.70:
	v_mov_b32_e32 v18, 0
	ds_write_b32 v18, v19 offset:28
.LBB289_71:
	s_or_b64 exec, exec, s[30:31]
	v_mov_b32_e32 v18, 0
	s_waitcnt lgkmcnt(0)
	s_barrier
	ds_read_b32 v19, v18 offset:28
	v_cndmask_b32_e64 v20, v30, v28, s[16:17]
	v_cmp_ne_u32_e32 vcc, 0, v0
	s_waitcnt lgkmcnt(0)
	s_barrier
	v_cndmask_b32_e32 v20, 0, v20, vcc
	v_add_u32_e32 v34, v19, v20
	v_add_u32_e32 v32, v34, v29
	;; [unrolled: 1-line block ×3, first 2 shown]
	ds_read_b64 v[18:19], v18 offset:28672
	v_add_u32_e32 v28, v30, v33
	v_add_u32_e32 v26, v28, v35
	;; [unrolled: 1-line block ×4, first 2 shown]
	s_load_dwordx2 s[2:3], s[0:1], 0x28
	v_lshrrev_b64 v[20:21], 24, v[16:17]
	s_branch .LBB289_82
.LBB289_72:
                                        ; implicit-def: $vgpr19
                                        ; implicit-def: $vgpr22
                                        ; implicit-def: $vgpr24
                                        ; implicit-def: $vgpr26
                                        ; implicit-def: $vgpr28
                                        ; implicit-def: $vgpr30
                                        ; implicit-def: $vgpr32
                                        ; implicit-def: $vgpr34
	s_load_dwordx2 s[2:3], s[0:1], 0x28
	v_lshrrev_b64 v[20:21], 24, v[16:17]
	s_cbranch_execz .LBB289_82
; %bb.73:
	s_waitcnt lgkmcnt(0)
	v_mov_b32_dpp v18, v40 row_shr:1 row_mask:0xf bank_mask:0xf
	v_cndmask_b32_e64 v18, v18, 0, s[14:15]
	v_add_u32_e32 v18, v18, v40
	s_nop 1
	v_mov_b32_dpp v19, v18 row_shr:2 row_mask:0xf bank_mask:0xf
	v_cndmask_b32_e64 v19, 0, v19, s[12:13]
	v_add_u32_e32 v18, v18, v19
	s_nop 1
	v_mov_b32_dpp v19, v18 row_shr:4 row_mask:0xf bank_mask:0xf
	v_cndmask_b32_e64 v19, 0, v19, s[10:11]
	v_add_u32_e32 v18, v18, v19
	s_nop 1
	v_mov_b32_dpp v19, v18 row_shr:8 row_mask:0xf bank_mask:0xf
	v_cndmask_b32_e64 v19, 0, v19, s[8:9]
	v_add_u32_e32 v18, v18, v19
	s_nop 1
	v_mov_b32_dpp v19, v18 row_bcast:15 row_mask:0xf bank_mask:0xf
	v_cndmask_b32_e64 v19, v19, 0, s[6:7]
	v_add_u32_e32 v18, v18, v19
	s_nop 1
	v_mov_b32_dpp v19, v18 row_bcast:31 row_mask:0xf bank_mask:0xf
	v_cndmask_b32_e64 v19, 0, v19, s[18:19]
	v_add_u32_e32 v18, v18, v19
	s_and_saveexec_b64 s[0:1], s[4:5]
	s_cbranch_execz .LBB289_75
; %bb.74:
	v_lshlrev_b32_e32 v19, 2, v39
	ds_write_b32 v19, v18
.LBB289_75:
	s_or_b64 exec, exec, s[0:1]
	v_cmp_gt_u32_e32 vcc, 8, v0
	s_waitcnt lgkmcnt(0)
	s_barrier
	s_and_saveexec_b64 s[0:1], vcc
	s_cbranch_execz .LBB289_77
; %bb.76:
	s_movk_i32 s4, 0xffcc
	v_mad_i32_i24 v1, v0, s4, v1
	ds_read_b32 v19, v1
	v_and_b32_e32 v21, 7, v38
	v_cmp_ne_u32_e32 vcc, 0, v21
	s_waitcnt lgkmcnt(0)
	v_mov_b32_dpp v22, v19 row_shr:1 row_mask:0xf bank_mask:0xf
	v_cndmask_b32_e32 v22, 0, v22, vcc
	v_add_u32_e32 v19, v22, v19
	v_cmp_lt_u32_e32 vcc, 1, v21
	s_nop 0
	v_mov_b32_dpp v22, v19 row_shr:2 row_mask:0xf bank_mask:0xf
	v_cndmask_b32_e32 v22, 0, v22, vcc
	v_add_u32_e32 v19, v19, v22
	v_cmp_lt_u32_e32 vcc, 3, v21
	s_nop 0
	v_mov_b32_dpp v22, v19 row_shr:4 row_mask:0xf bank_mask:0xf
	v_cndmask_b32_e32 v21, 0, v22, vcc
	v_add_u32_e32 v19, v19, v21
	ds_write_b32 v1, v19
.LBB289_77:
	s_or_b64 exec, exec, s[0:1]
	v_cmp_lt_u32_e32 vcc, 63, v0
	v_mov_b32_e32 v19, 0
	v_mov_b32_e32 v1, 0
	s_waitcnt lgkmcnt(0)
	s_barrier
	s_and_saveexec_b64 s[0:1], vcc
	s_cbranch_execz .LBB289_79
; %bb.78:
	v_lshl_add_u32 v1, v39, 2, -4
	ds_read_b32 v1, v1
.LBB289_79:
	s_or_b64 exec, exec, s[0:1]
	v_add_u32_e32 v21, -1, v38
	v_and_b32_e32 v22, 64, v38
	v_cmp_lt_i32_e32 vcc, v21, v22
	s_waitcnt lgkmcnt(0)
	v_add_u32_e32 v18, v1, v18
	v_cndmask_b32_e32 v21, v21, v38, vcc
	v_lshlrev_b32_e32 v21, 2, v21
	ds_bpermute_b32 v21, v21, v18
	ds_read_b32 v18, v19 offset:28
	v_cmp_eq_u32_e32 vcc, 0, v0
	s_and_saveexec_b64 s[0:1], vcc
	s_cbranch_execz .LBB289_81
; %bb.80:
	v_mov_b32_e32 v22, 0
	v_mov_b32_e32 v19, 2
	s_waitcnt lgkmcnt(0)
	global_store_dwordx2 v22, v[18:19], s[28:29] offset:512 sc1
.LBB289_81:
	s_or_b64 exec, exec, s[0:1]
	v_cmp_eq_u32_e64 s[0:1], 0, v38
	v_mov_b32_e32 v19, 0
	s_waitcnt lgkmcnt(0)
	v_cndmask_b32_e64 v1, v21, v1, s[0:1]
	v_cndmask_b32_e64 v34, v1, 0, vcc
	v_add_u32_e32 v32, v34, v29
	v_add_u32_e32 v30, v32, v31
	;; [unrolled: 1-line block ×6, first 2 shown]
	s_barrier
.LBB289_82:
	s_movk_i32 s0, 0x201
	s_waitcnt lgkmcnt(0)
	v_cmp_gt_u32_e32 vcc, s0, v18
	v_lshrrev_b32_e32 v21, 8, v16
	v_lshrrev_b32_e32 v1, 8, v17
	s_mov_b64 s[0:1], -1
	s_cbranch_vccnz .LBB289_86
; %bb.83:
	s_and_b64 vcc, exec, s[0:1]
	s_cbranch_vccnz .LBB289_108
.LBB289_84:
	v_cmp_eq_u32_e32 vcc, 0, v0
	s_and_b64 s[0:1], vcc, s[24:25]
	s_and_saveexec_b64 s[2:3], s[0:1]
	s_cbranch_execnz .LBB289_126
.LBB289_85:
	s_endpgm
.LBB289_86:
	v_add_u32_e32 v23, v19, v18
	s_lshl_b64 s[0:1], s[22:23], 3
	s_add_u32 s0, s2, s0
	v_cmp_lt_u32_e32 vcc, v34, v23
	s_addc_u32 s1, s3, s1
	s_or_b64 s[6:7], s[26:27], vcc
	s_and_saveexec_b64 s[4:5], s[6:7]
	s_cbranch_execz .LBB289_89
; %bb.87:
	v_and_b32_e32 v25, 1, v16
	v_cmp_eq_u32_e32 vcc, 1, v25
	s_and_b64 exec, exec, vcc
	s_cbranch_execz .LBB289_89
; %bb.88:
	v_mov_b32_e32 v35, 0
	v_lshl_add_u64 v[36:37], v[34:35], 3, s[0:1]
	global_store_dwordx2 v[36:37], v[10:11], off
.LBB289_89:
	s_or_b64 exec, exec, s[4:5]
	v_cmp_lt_u32_e32 vcc, v32, v23
	s_or_b64 s[6:7], s[26:27], vcc
	s_and_saveexec_b64 s[4:5], s[6:7]
	s_cbranch_execz .LBB289_92
; %bb.90:
	v_and_b32_e32 v25, 1, v21
	v_cmp_eq_u32_e32 vcc, 1, v25
	s_and_b64 exec, exec, vcc
	s_cbranch_execz .LBB289_92
; %bb.91:
	v_mov_b32_e32 v33, 0
	v_lshl_add_u64 v[36:37], v[32:33], 3, s[0:1]
	global_store_dwordx2 v[36:37], v[12:13], off
.LBB289_92:
	s_or_b64 exec, exec, s[4:5]
	v_cmp_lt_u32_e32 vcc, v30, v23
	s_or_b64 s[6:7], s[26:27], vcc
	s_and_saveexec_b64 s[4:5], s[6:7]
	s_cbranch_execz .LBB289_95
; %bb.93:
	v_mov_b32_e32 v25, 1
	v_and_b32_sdwa v25, v25, v16 dst_sel:DWORD dst_unused:UNUSED_PAD src0_sel:DWORD src1_sel:WORD_1
	v_cmp_eq_u32_e32 vcc, 1, v25
	s_and_b64 exec, exec, vcc
	s_cbranch_execz .LBB289_95
; %bb.94:
	v_mov_b32_e32 v31, 0
	v_lshl_add_u64 v[36:37], v[30:31], 3, s[0:1]
	global_store_dwordx2 v[36:37], v[6:7], off
.LBB289_95:
	s_or_b64 exec, exec, s[4:5]
	v_cmp_lt_u32_e32 vcc, v28, v23
	s_or_b64 s[6:7], s[26:27], vcc
	s_and_saveexec_b64 s[4:5], s[6:7]
	s_cbranch_execz .LBB289_98
; %bb.96:
	v_and_b32_e32 v25, 1, v20
	v_cmp_eq_u32_e32 vcc, 1, v25
	s_and_b64 exec, exec, vcc
	s_cbranch_execz .LBB289_98
; %bb.97:
	v_mov_b32_e32 v29, 0
	v_lshl_add_u64 v[36:37], v[28:29], 3, s[0:1]
	global_store_dwordx2 v[36:37], v[8:9], off
.LBB289_98:
	s_or_b64 exec, exec, s[4:5]
	v_cmp_lt_u32_e32 vcc, v26, v23
	s_or_b64 s[6:7], s[26:27], vcc
	s_and_saveexec_b64 s[4:5], s[6:7]
	s_cbranch_execz .LBB289_101
; %bb.99:
	v_and_b32_e32 v25, 1, v17
	v_cmp_eq_u32_e32 vcc, 1, v25
	s_and_b64 exec, exec, vcc
	s_cbranch_execz .LBB289_101
; %bb.100:
	v_mov_b32_e32 v27, 0
	v_lshl_add_u64 v[36:37], v[26:27], 3, s[0:1]
	global_store_dwordx2 v[36:37], v[2:3], off
.LBB289_101:
	;; [unrolled: 15-line block ×3, first 2 shown]
	s_or_b64 exec, exec, s[4:5]
	v_cmp_lt_u32_e32 vcc, v22, v23
	s_or_b64 s[6:7], s[26:27], vcc
	s_and_saveexec_b64 s[4:5], s[6:7]
	s_cbranch_execz .LBB289_107
; %bb.105:
	v_mov_b32_e32 v23, 1
	v_and_b32_sdwa v23, v23, v17 dst_sel:DWORD dst_unused:UNUSED_PAD src0_sel:DWORD src1_sel:WORD_1
	v_cmp_eq_u32_e32 vcc, 1, v23
	s_and_b64 exec, exec, vcc
	s_cbranch_execz .LBB289_107
; %bb.106:
	v_mov_b32_e32 v23, 0
	v_lshl_add_u64 v[36:37], v[22:23], 3, s[0:1]
	global_store_dwordx2 v[36:37], v[14:15], off
.LBB289_107:
	s_or_b64 exec, exec, s[4:5]
	s_branch .LBB289_84
.LBB289_108:
	v_and_b32_e32 v23, 1, v16
	v_cmp_eq_u32_e32 vcc, 1, v23
	s_and_saveexec_b64 s[0:1], vcc
	s_cbranch_execz .LBB289_110
; %bb.109:
	v_sub_u32_e32 v23, v34, v19
	v_lshlrev_b32_e32 v23, 3, v23
	ds_write_b64 v23, v[10:11]
.LBB289_110:
	s_or_b64 exec, exec, s[0:1]
	v_and_b32_e32 v10, 1, v21
	v_cmp_eq_u32_e32 vcc, 1, v10
	s_and_saveexec_b64 s[0:1], vcc
	s_cbranch_execz .LBB289_112
; %bb.111:
	v_sub_u32_e32 v10, v32, v19
	v_lshlrev_b32_e32 v10, 3, v10
	ds_write_b64 v10, v[12:13]
.LBB289_112:
	s_or_b64 exec, exec, s[0:1]
	v_mov_b32_e32 v10, 1
	v_and_b32_sdwa v10, v10, v16 dst_sel:DWORD dst_unused:UNUSED_PAD src0_sel:DWORD src1_sel:WORD_1
	v_cmp_eq_u32_e32 vcc, 1, v10
	s_and_saveexec_b64 s[0:1], vcc
	s_cbranch_execz .LBB289_114
; %bb.113:
	v_sub_u32_e32 v10, v30, v19
	v_lshlrev_b32_e32 v10, 3, v10
	ds_write_b64 v10, v[6:7]
.LBB289_114:
	s_or_b64 exec, exec, s[0:1]
	v_and_b32_e32 v6, 1, v20
	v_cmp_eq_u32_e32 vcc, 1, v6
	s_and_saveexec_b64 s[0:1], vcc
	s_cbranch_execz .LBB289_116
; %bb.115:
	v_sub_u32_e32 v6, v28, v19
	v_lshlrev_b32_e32 v6, 3, v6
	ds_write_b64 v6, v[8:9]
.LBB289_116:
	s_or_b64 exec, exec, s[0:1]
	v_and_b32_e32 v6, 1, v17
	v_cmp_eq_u32_e32 vcc, 1, v6
	s_and_saveexec_b64 s[0:1], vcc
	s_cbranch_execz .LBB289_118
; %bb.117:
	v_sub_u32_e32 v6, v26, v19
	v_lshlrev_b32_e32 v6, 3, v6
	ds_write_b64 v6, v[2:3]
.LBB289_118:
	s_or_b64 exec, exec, s[0:1]
	v_and_b32_e32 v1, 1, v1
	v_cmp_eq_u32_e32 vcc, 1, v1
	s_and_saveexec_b64 s[0:1], vcc
	s_cbranch_execz .LBB289_120
; %bb.119:
	v_sub_u32_e32 v1, v24, v19
	v_lshlrev_b32_e32 v1, 3, v1
	ds_write_b64 v1, v[4:5]
.LBB289_120:
	s_or_b64 exec, exec, s[0:1]
	v_mov_b32_e32 v1, 1
	v_and_b32_sdwa v1, v1, v17 dst_sel:DWORD dst_unused:UNUSED_PAD src0_sel:DWORD src1_sel:WORD_1
	v_cmp_eq_u32_e32 vcc, 1, v1
	s_and_saveexec_b64 s[0:1], vcc
	s_cbranch_execz .LBB289_122
; %bb.121:
	v_sub_u32_e32 v1, v22, v19
	v_lshlrev_b32_e32 v1, 3, v1
	ds_write_b64 v1, v[14:15]
.LBB289_122:
	s_or_b64 exec, exec, s[0:1]
	v_cmp_lt_u32_e32 vcc, v0, v18
	s_waitcnt lgkmcnt(0)
	s_barrier
	s_and_saveexec_b64 s[0:1], vcc
	s_cbranch_execz .LBB289_125
; %bb.123:
	v_mov_b32_e32 v5, 0
	v_mov_b32_e32 v4, v19
	s_lshl_b64 s[4:5], s[22:23], 3
	v_lshlrev_b64 v[6:7], 3, v[4:5]
	v_lshl_add_u64 v[6:7], s[4:5], 0, v[6:7]
	v_lshlrev_b32_e32 v2, 3, v0
	v_mov_b32_e32 v3, v5
	v_lshl_add_u64 v[4:5], s[2:3], 0, v[6:7]
	v_lshl_add_u64 v[4:5], v[4:5], 0, v[2:3]
	s_mov_b64 s[2:3], 0
	s_mov_b64 s[4:5], 0x1000
	v_mov_b32_e32 v1, v0
.LBB289_124:                            ; =>This Inner Loop Header: Depth=1
	ds_read_b64 v[6:7], v2
	v_add_u32_e32 v1, 0x200, v1
	v_cmp_ge_u32_e32 vcc, v1, v18
	v_add_u32_e32 v2, 0x1000, v2
	s_or_b64 s[2:3], vcc, s[2:3]
	s_waitcnt lgkmcnt(0)
	global_store_dwordx2 v[4:5], v[6:7], off
	v_lshl_add_u64 v[4:5], v[4:5], 0, s[4:5]
	s_andn2_b64 exec, exec, s[2:3]
	s_cbranch_execnz .LBB289_124
.LBB289_125:
	s_or_b64 exec, exec, s[0:1]
	v_cmp_eq_u32_e32 vcc, 0, v0
	s_and_b64 s[0:1], vcc, s[24:25]
	s_and_saveexec_b64 s[2:3], s[0:1]
	s_cbranch_execz .LBB289_85
.LBB289_126:
	v_mov_b32_e32 v1, 0
	v_mov_b32_e32 v0, v18
	v_lshl_add_u64 v[2:3], s[22:23], 0, v[0:1]
	v_mov_b32_e32 v0, v19
	v_lshl_add_u64 v[2:3], v[2:3], 0, v[0:1]
	global_store_dwordx2 v1, v[2:3], s[20:21]
	s_endpgm
.LBB289_127:
	s_or_b64 exec, exec, s[6:7]
	s_and_saveexec_b64 s[6:7], s[18:19]
	s_cbranch_execnz .LBB289_38
	s_branch .LBB289_39
	.section	.rodata,"a",@progbits
	.p2align	6, 0x0
	.amdhsa_kernel _ZN7rocprim17ROCPRIM_400000_NS6detail17trampoline_kernelINS0_14default_configENS1_25partition_config_selectorILNS1_17partition_subalgoE8EdNS0_10empty_typeEbEEZZNS1_14partition_implILS5_8ELb0ES3_jPKdPS6_PKS6_NS0_5tupleIJPdS6_EEENSE_IJSB_SB_EEENS0_18inequality_wrapperIN6hipcub16HIPCUB_304000_NS8EqualityEEEPlJS6_EEE10hipError_tPvRmT3_T4_T5_T6_T7_T9_mT8_P12ihipStream_tbDpT10_ENKUlT_T0_E_clISt17integral_constantIbLb1EES16_IbLb0EEEEDaS12_S13_EUlS12_E_NS1_11comp_targetILNS1_3genE5ELNS1_11target_archE942ELNS1_3gpuE9ELNS1_3repE0EEENS1_30default_config_static_selectorELNS0_4arch9wavefront6targetE1EEEvT1_
		.amdhsa_group_segment_fixed_size 28680
		.amdhsa_private_segment_fixed_size 0
		.amdhsa_kernarg_size 112
		.amdhsa_user_sgpr_count 2
		.amdhsa_user_sgpr_dispatch_ptr 0
		.amdhsa_user_sgpr_queue_ptr 0
		.amdhsa_user_sgpr_kernarg_segment_ptr 1
		.amdhsa_user_sgpr_dispatch_id 0
		.amdhsa_user_sgpr_kernarg_preload_length 0
		.amdhsa_user_sgpr_kernarg_preload_offset 0
		.amdhsa_user_sgpr_private_segment_size 0
		.amdhsa_uses_dynamic_stack 0
		.amdhsa_enable_private_segment 0
		.amdhsa_system_sgpr_workgroup_id_x 1
		.amdhsa_system_sgpr_workgroup_id_y 0
		.amdhsa_system_sgpr_workgroup_id_z 0
		.amdhsa_system_sgpr_workgroup_info 0
		.amdhsa_system_vgpr_workitem_id 0
		.amdhsa_next_free_vgpr 53
		.amdhsa_next_free_sgpr 40
		.amdhsa_accum_offset 56
		.amdhsa_reserve_vcc 1
		.amdhsa_float_round_mode_32 0
		.amdhsa_float_round_mode_16_64 0
		.amdhsa_float_denorm_mode_32 3
		.amdhsa_float_denorm_mode_16_64 3
		.amdhsa_dx10_clamp 1
		.amdhsa_ieee_mode 1
		.amdhsa_fp16_overflow 0
		.amdhsa_tg_split 0
		.amdhsa_exception_fp_ieee_invalid_op 0
		.amdhsa_exception_fp_denorm_src 0
		.amdhsa_exception_fp_ieee_div_zero 0
		.amdhsa_exception_fp_ieee_overflow 0
		.amdhsa_exception_fp_ieee_underflow 0
		.amdhsa_exception_fp_ieee_inexact 0
		.amdhsa_exception_int_div_zero 0
	.end_amdhsa_kernel
	.section	.text._ZN7rocprim17ROCPRIM_400000_NS6detail17trampoline_kernelINS0_14default_configENS1_25partition_config_selectorILNS1_17partition_subalgoE8EdNS0_10empty_typeEbEEZZNS1_14partition_implILS5_8ELb0ES3_jPKdPS6_PKS6_NS0_5tupleIJPdS6_EEENSE_IJSB_SB_EEENS0_18inequality_wrapperIN6hipcub16HIPCUB_304000_NS8EqualityEEEPlJS6_EEE10hipError_tPvRmT3_T4_T5_T6_T7_T9_mT8_P12ihipStream_tbDpT10_ENKUlT_T0_E_clISt17integral_constantIbLb1EES16_IbLb0EEEEDaS12_S13_EUlS12_E_NS1_11comp_targetILNS1_3genE5ELNS1_11target_archE942ELNS1_3gpuE9ELNS1_3repE0EEENS1_30default_config_static_selectorELNS0_4arch9wavefront6targetE1EEEvT1_,"axG",@progbits,_ZN7rocprim17ROCPRIM_400000_NS6detail17trampoline_kernelINS0_14default_configENS1_25partition_config_selectorILNS1_17partition_subalgoE8EdNS0_10empty_typeEbEEZZNS1_14partition_implILS5_8ELb0ES3_jPKdPS6_PKS6_NS0_5tupleIJPdS6_EEENSE_IJSB_SB_EEENS0_18inequality_wrapperIN6hipcub16HIPCUB_304000_NS8EqualityEEEPlJS6_EEE10hipError_tPvRmT3_T4_T5_T6_T7_T9_mT8_P12ihipStream_tbDpT10_ENKUlT_T0_E_clISt17integral_constantIbLb1EES16_IbLb0EEEEDaS12_S13_EUlS12_E_NS1_11comp_targetILNS1_3genE5ELNS1_11target_archE942ELNS1_3gpuE9ELNS1_3repE0EEENS1_30default_config_static_selectorELNS0_4arch9wavefront6targetE1EEEvT1_,comdat
.Lfunc_end289:
	.size	_ZN7rocprim17ROCPRIM_400000_NS6detail17trampoline_kernelINS0_14default_configENS1_25partition_config_selectorILNS1_17partition_subalgoE8EdNS0_10empty_typeEbEEZZNS1_14partition_implILS5_8ELb0ES3_jPKdPS6_PKS6_NS0_5tupleIJPdS6_EEENSE_IJSB_SB_EEENS0_18inequality_wrapperIN6hipcub16HIPCUB_304000_NS8EqualityEEEPlJS6_EEE10hipError_tPvRmT3_T4_T5_T6_T7_T9_mT8_P12ihipStream_tbDpT10_ENKUlT_T0_E_clISt17integral_constantIbLb1EES16_IbLb0EEEEDaS12_S13_EUlS12_E_NS1_11comp_targetILNS1_3genE5ELNS1_11target_archE942ELNS1_3gpuE9ELNS1_3repE0EEENS1_30default_config_static_selectorELNS0_4arch9wavefront6targetE1EEEvT1_, .Lfunc_end289-_ZN7rocprim17ROCPRIM_400000_NS6detail17trampoline_kernelINS0_14default_configENS1_25partition_config_selectorILNS1_17partition_subalgoE8EdNS0_10empty_typeEbEEZZNS1_14partition_implILS5_8ELb0ES3_jPKdPS6_PKS6_NS0_5tupleIJPdS6_EEENSE_IJSB_SB_EEENS0_18inequality_wrapperIN6hipcub16HIPCUB_304000_NS8EqualityEEEPlJS6_EEE10hipError_tPvRmT3_T4_T5_T6_T7_T9_mT8_P12ihipStream_tbDpT10_ENKUlT_T0_E_clISt17integral_constantIbLb1EES16_IbLb0EEEEDaS12_S13_EUlS12_E_NS1_11comp_targetILNS1_3genE5ELNS1_11target_archE942ELNS1_3gpuE9ELNS1_3repE0EEENS1_30default_config_static_selectorELNS0_4arch9wavefront6targetE1EEEvT1_
                                        ; -- End function
	.section	.AMDGPU.csdata,"",@progbits
; Kernel info:
; codeLenInByte = 5416
; NumSgprs: 46
; NumVgprs: 53
; NumAgprs: 0
; TotalNumVgprs: 53
; ScratchSize: 0
; MemoryBound: 0
; FloatMode: 240
; IeeeMode: 1
; LDSByteSize: 28680 bytes/workgroup (compile time only)
; SGPRBlocks: 5
; VGPRBlocks: 6
; NumSGPRsForWavesPerEU: 46
; NumVGPRsForWavesPerEU: 53
; AccumOffset: 56
; Occupancy: 4
; WaveLimiterHint : 1
; COMPUTE_PGM_RSRC2:SCRATCH_EN: 0
; COMPUTE_PGM_RSRC2:USER_SGPR: 2
; COMPUTE_PGM_RSRC2:TRAP_HANDLER: 0
; COMPUTE_PGM_RSRC2:TGID_X_EN: 1
; COMPUTE_PGM_RSRC2:TGID_Y_EN: 0
; COMPUTE_PGM_RSRC2:TGID_Z_EN: 0
; COMPUTE_PGM_RSRC2:TIDIG_COMP_CNT: 0
; COMPUTE_PGM_RSRC3_GFX90A:ACCUM_OFFSET: 13
; COMPUTE_PGM_RSRC3_GFX90A:TG_SPLIT: 0
	.section	.text._ZN7rocprim17ROCPRIM_400000_NS6detail17trampoline_kernelINS0_14default_configENS1_25partition_config_selectorILNS1_17partition_subalgoE8EdNS0_10empty_typeEbEEZZNS1_14partition_implILS5_8ELb0ES3_jPKdPS6_PKS6_NS0_5tupleIJPdS6_EEENSE_IJSB_SB_EEENS0_18inequality_wrapperIN6hipcub16HIPCUB_304000_NS8EqualityEEEPlJS6_EEE10hipError_tPvRmT3_T4_T5_T6_T7_T9_mT8_P12ihipStream_tbDpT10_ENKUlT_T0_E_clISt17integral_constantIbLb1EES16_IbLb0EEEEDaS12_S13_EUlS12_E_NS1_11comp_targetILNS1_3genE4ELNS1_11target_archE910ELNS1_3gpuE8ELNS1_3repE0EEENS1_30default_config_static_selectorELNS0_4arch9wavefront6targetE1EEEvT1_,"axG",@progbits,_ZN7rocprim17ROCPRIM_400000_NS6detail17trampoline_kernelINS0_14default_configENS1_25partition_config_selectorILNS1_17partition_subalgoE8EdNS0_10empty_typeEbEEZZNS1_14partition_implILS5_8ELb0ES3_jPKdPS6_PKS6_NS0_5tupleIJPdS6_EEENSE_IJSB_SB_EEENS0_18inequality_wrapperIN6hipcub16HIPCUB_304000_NS8EqualityEEEPlJS6_EEE10hipError_tPvRmT3_T4_T5_T6_T7_T9_mT8_P12ihipStream_tbDpT10_ENKUlT_T0_E_clISt17integral_constantIbLb1EES16_IbLb0EEEEDaS12_S13_EUlS12_E_NS1_11comp_targetILNS1_3genE4ELNS1_11target_archE910ELNS1_3gpuE8ELNS1_3repE0EEENS1_30default_config_static_selectorELNS0_4arch9wavefront6targetE1EEEvT1_,comdat
	.protected	_ZN7rocprim17ROCPRIM_400000_NS6detail17trampoline_kernelINS0_14default_configENS1_25partition_config_selectorILNS1_17partition_subalgoE8EdNS0_10empty_typeEbEEZZNS1_14partition_implILS5_8ELb0ES3_jPKdPS6_PKS6_NS0_5tupleIJPdS6_EEENSE_IJSB_SB_EEENS0_18inequality_wrapperIN6hipcub16HIPCUB_304000_NS8EqualityEEEPlJS6_EEE10hipError_tPvRmT3_T4_T5_T6_T7_T9_mT8_P12ihipStream_tbDpT10_ENKUlT_T0_E_clISt17integral_constantIbLb1EES16_IbLb0EEEEDaS12_S13_EUlS12_E_NS1_11comp_targetILNS1_3genE4ELNS1_11target_archE910ELNS1_3gpuE8ELNS1_3repE0EEENS1_30default_config_static_selectorELNS0_4arch9wavefront6targetE1EEEvT1_ ; -- Begin function _ZN7rocprim17ROCPRIM_400000_NS6detail17trampoline_kernelINS0_14default_configENS1_25partition_config_selectorILNS1_17partition_subalgoE8EdNS0_10empty_typeEbEEZZNS1_14partition_implILS5_8ELb0ES3_jPKdPS6_PKS6_NS0_5tupleIJPdS6_EEENSE_IJSB_SB_EEENS0_18inequality_wrapperIN6hipcub16HIPCUB_304000_NS8EqualityEEEPlJS6_EEE10hipError_tPvRmT3_T4_T5_T6_T7_T9_mT8_P12ihipStream_tbDpT10_ENKUlT_T0_E_clISt17integral_constantIbLb1EES16_IbLb0EEEEDaS12_S13_EUlS12_E_NS1_11comp_targetILNS1_3genE4ELNS1_11target_archE910ELNS1_3gpuE8ELNS1_3repE0EEENS1_30default_config_static_selectorELNS0_4arch9wavefront6targetE1EEEvT1_
	.globl	_ZN7rocprim17ROCPRIM_400000_NS6detail17trampoline_kernelINS0_14default_configENS1_25partition_config_selectorILNS1_17partition_subalgoE8EdNS0_10empty_typeEbEEZZNS1_14partition_implILS5_8ELb0ES3_jPKdPS6_PKS6_NS0_5tupleIJPdS6_EEENSE_IJSB_SB_EEENS0_18inequality_wrapperIN6hipcub16HIPCUB_304000_NS8EqualityEEEPlJS6_EEE10hipError_tPvRmT3_T4_T5_T6_T7_T9_mT8_P12ihipStream_tbDpT10_ENKUlT_T0_E_clISt17integral_constantIbLb1EES16_IbLb0EEEEDaS12_S13_EUlS12_E_NS1_11comp_targetILNS1_3genE4ELNS1_11target_archE910ELNS1_3gpuE8ELNS1_3repE0EEENS1_30default_config_static_selectorELNS0_4arch9wavefront6targetE1EEEvT1_
	.p2align	8
	.type	_ZN7rocprim17ROCPRIM_400000_NS6detail17trampoline_kernelINS0_14default_configENS1_25partition_config_selectorILNS1_17partition_subalgoE8EdNS0_10empty_typeEbEEZZNS1_14partition_implILS5_8ELb0ES3_jPKdPS6_PKS6_NS0_5tupleIJPdS6_EEENSE_IJSB_SB_EEENS0_18inequality_wrapperIN6hipcub16HIPCUB_304000_NS8EqualityEEEPlJS6_EEE10hipError_tPvRmT3_T4_T5_T6_T7_T9_mT8_P12ihipStream_tbDpT10_ENKUlT_T0_E_clISt17integral_constantIbLb1EES16_IbLb0EEEEDaS12_S13_EUlS12_E_NS1_11comp_targetILNS1_3genE4ELNS1_11target_archE910ELNS1_3gpuE8ELNS1_3repE0EEENS1_30default_config_static_selectorELNS0_4arch9wavefront6targetE1EEEvT1_,@function
_ZN7rocprim17ROCPRIM_400000_NS6detail17trampoline_kernelINS0_14default_configENS1_25partition_config_selectorILNS1_17partition_subalgoE8EdNS0_10empty_typeEbEEZZNS1_14partition_implILS5_8ELb0ES3_jPKdPS6_PKS6_NS0_5tupleIJPdS6_EEENSE_IJSB_SB_EEENS0_18inequality_wrapperIN6hipcub16HIPCUB_304000_NS8EqualityEEEPlJS6_EEE10hipError_tPvRmT3_T4_T5_T6_T7_T9_mT8_P12ihipStream_tbDpT10_ENKUlT_T0_E_clISt17integral_constantIbLb1EES16_IbLb0EEEEDaS12_S13_EUlS12_E_NS1_11comp_targetILNS1_3genE4ELNS1_11target_archE910ELNS1_3gpuE8ELNS1_3repE0EEENS1_30default_config_static_selectorELNS0_4arch9wavefront6targetE1EEEvT1_: ; @_ZN7rocprim17ROCPRIM_400000_NS6detail17trampoline_kernelINS0_14default_configENS1_25partition_config_selectorILNS1_17partition_subalgoE8EdNS0_10empty_typeEbEEZZNS1_14partition_implILS5_8ELb0ES3_jPKdPS6_PKS6_NS0_5tupleIJPdS6_EEENSE_IJSB_SB_EEENS0_18inequality_wrapperIN6hipcub16HIPCUB_304000_NS8EqualityEEEPlJS6_EEE10hipError_tPvRmT3_T4_T5_T6_T7_T9_mT8_P12ihipStream_tbDpT10_ENKUlT_T0_E_clISt17integral_constantIbLb1EES16_IbLb0EEEEDaS12_S13_EUlS12_E_NS1_11comp_targetILNS1_3genE4ELNS1_11target_archE910ELNS1_3gpuE8ELNS1_3repE0EEENS1_30default_config_static_selectorELNS0_4arch9wavefront6targetE1EEEvT1_
; %bb.0:
	.section	.rodata,"a",@progbits
	.p2align	6, 0x0
	.amdhsa_kernel _ZN7rocprim17ROCPRIM_400000_NS6detail17trampoline_kernelINS0_14default_configENS1_25partition_config_selectorILNS1_17partition_subalgoE8EdNS0_10empty_typeEbEEZZNS1_14partition_implILS5_8ELb0ES3_jPKdPS6_PKS6_NS0_5tupleIJPdS6_EEENSE_IJSB_SB_EEENS0_18inequality_wrapperIN6hipcub16HIPCUB_304000_NS8EqualityEEEPlJS6_EEE10hipError_tPvRmT3_T4_T5_T6_T7_T9_mT8_P12ihipStream_tbDpT10_ENKUlT_T0_E_clISt17integral_constantIbLb1EES16_IbLb0EEEEDaS12_S13_EUlS12_E_NS1_11comp_targetILNS1_3genE4ELNS1_11target_archE910ELNS1_3gpuE8ELNS1_3repE0EEENS1_30default_config_static_selectorELNS0_4arch9wavefront6targetE1EEEvT1_
		.amdhsa_group_segment_fixed_size 0
		.amdhsa_private_segment_fixed_size 0
		.amdhsa_kernarg_size 112
		.amdhsa_user_sgpr_count 2
		.amdhsa_user_sgpr_dispatch_ptr 0
		.amdhsa_user_sgpr_queue_ptr 0
		.amdhsa_user_sgpr_kernarg_segment_ptr 1
		.amdhsa_user_sgpr_dispatch_id 0
		.amdhsa_user_sgpr_kernarg_preload_length 0
		.amdhsa_user_sgpr_kernarg_preload_offset 0
		.amdhsa_user_sgpr_private_segment_size 0
		.amdhsa_uses_dynamic_stack 0
		.amdhsa_enable_private_segment 0
		.amdhsa_system_sgpr_workgroup_id_x 1
		.amdhsa_system_sgpr_workgroup_id_y 0
		.amdhsa_system_sgpr_workgroup_id_z 0
		.amdhsa_system_sgpr_workgroup_info 0
		.amdhsa_system_vgpr_workitem_id 0
		.amdhsa_next_free_vgpr 1
		.amdhsa_next_free_sgpr 0
		.amdhsa_accum_offset 4
		.amdhsa_reserve_vcc 0
		.amdhsa_float_round_mode_32 0
		.amdhsa_float_round_mode_16_64 0
		.amdhsa_float_denorm_mode_32 3
		.amdhsa_float_denorm_mode_16_64 3
		.amdhsa_dx10_clamp 1
		.amdhsa_ieee_mode 1
		.amdhsa_fp16_overflow 0
		.amdhsa_tg_split 0
		.amdhsa_exception_fp_ieee_invalid_op 0
		.amdhsa_exception_fp_denorm_src 0
		.amdhsa_exception_fp_ieee_div_zero 0
		.amdhsa_exception_fp_ieee_overflow 0
		.amdhsa_exception_fp_ieee_underflow 0
		.amdhsa_exception_fp_ieee_inexact 0
		.amdhsa_exception_int_div_zero 0
	.end_amdhsa_kernel
	.section	.text._ZN7rocprim17ROCPRIM_400000_NS6detail17trampoline_kernelINS0_14default_configENS1_25partition_config_selectorILNS1_17partition_subalgoE8EdNS0_10empty_typeEbEEZZNS1_14partition_implILS5_8ELb0ES3_jPKdPS6_PKS6_NS0_5tupleIJPdS6_EEENSE_IJSB_SB_EEENS0_18inequality_wrapperIN6hipcub16HIPCUB_304000_NS8EqualityEEEPlJS6_EEE10hipError_tPvRmT3_T4_T5_T6_T7_T9_mT8_P12ihipStream_tbDpT10_ENKUlT_T0_E_clISt17integral_constantIbLb1EES16_IbLb0EEEEDaS12_S13_EUlS12_E_NS1_11comp_targetILNS1_3genE4ELNS1_11target_archE910ELNS1_3gpuE8ELNS1_3repE0EEENS1_30default_config_static_selectorELNS0_4arch9wavefront6targetE1EEEvT1_,"axG",@progbits,_ZN7rocprim17ROCPRIM_400000_NS6detail17trampoline_kernelINS0_14default_configENS1_25partition_config_selectorILNS1_17partition_subalgoE8EdNS0_10empty_typeEbEEZZNS1_14partition_implILS5_8ELb0ES3_jPKdPS6_PKS6_NS0_5tupleIJPdS6_EEENSE_IJSB_SB_EEENS0_18inequality_wrapperIN6hipcub16HIPCUB_304000_NS8EqualityEEEPlJS6_EEE10hipError_tPvRmT3_T4_T5_T6_T7_T9_mT8_P12ihipStream_tbDpT10_ENKUlT_T0_E_clISt17integral_constantIbLb1EES16_IbLb0EEEEDaS12_S13_EUlS12_E_NS1_11comp_targetILNS1_3genE4ELNS1_11target_archE910ELNS1_3gpuE8ELNS1_3repE0EEENS1_30default_config_static_selectorELNS0_4arch9wavefront6targetE1EEEvT1_,comdat
.Lfunc_end290:
	.size	_ZN7rocprim17ROCPRIM_400000_NS6detail17trampoline_kernelINS0_14default_configENS1_25partition_config_selectorILNS1_17partition_subalgoE8EdNS0_10empty_typeEbEEZZNS1_14partition_implILS5_8ELb0ES3_jPKdPS6_PKS6_NS0_5tupleIJPdS6_EEENSE_IJSB_SB_EEENS0_18inequality_wrapperIN6hipcub16HIPCUB_304000_NS8EqualityEEEPlJS6_EEE10hipError_tPvRmT3_T4_T5_T6_T7_T9_mT8_P12ihipStream_tbDpT10_ENKUlT_T0_E_clISt17integral_constantIbLb1EES16_IbLb0EEEEDaS12_S13_EUlS12_E_NS1_11comp_targetILNS1_3genE4ELNS1_11target_archE910ELNS1_3gpuE8ELNS1_3repE0EEENS1_30default_config_static_selectorELNS0_4arch9wavefront6targetE1EEEvT1_, .Lfunc_end290-_ZN7rocprim17ROCPRIM_400000_NS6detail17trampoline_kernelINS0_14default_configENS1_25partition_config_selectorILNS1_17partition_subalgoE8EdNS0_10empty_typeEbEEZZNS1_14partition_implILS5_8ELb0ES3_jPKdPS6_PKS6_NS0_5tupleIJPdS6_EEENSE_IJSB_SB_EEENS0_18inequality_wrapperIN6hipcub16HIPCUB_304000_NS8EqualityEEEPlJS6_EEE10hipError_tPvRmT3_T4_T5_T6_T7_T9_mT8_P12ihipStream_tbDpT10_ENKUlT_T0_E_clISt17integral_constantIbLb1EES16_IbLb0EEEEDaS12_S13_EUlS12_E_NS1_11comp_targetILNS1_3genE4ELNS1_11target_archE910ELNS1_3gpuE8ELNS1_3repE0EEENS1_30default_config_static_selectorELNS0_4arch9wavefront6targetE1EEEvT1_
                                        ; -- End function
	.section	.AMDGPU.csdata,"",@progbits
; Kernel info:
; codeLenInByte = 0
; NumSgprs: 6
; NumVgprs: 0
; NumAgprs: 0
; TotalNumVgprs: 0
; ScratchSize: 0
; MemoryBound: 0
; FloatMode: 240
; IeeeMode: 1
; LDSByteSize: 0 bytes/workgroup (compile time only)
; SGPRBlocks: 0
; VGPRBlocks: 0
; NumSGPRsForWavesPerEU: 6
; NumVGPRsForWavesPerEU: 1
; AccumOffset: 4
; Occupancy: 8
; WaveLimiterHint : 0
; COMPUTE_PGM_RSRC2:SCRATCH_EN: 0
; COMPUTE_PGM_RSRC2:USER_SGPR: 2
; COMPUTE_PGM_RSRC2:TRAP_HANDLER: 0
; COMPUTE_PGM_RSRC2:TGID_X_EN: 1
; COMPUTE_PGM_RSRC2:TGID_Y_EN: 0
; COMPUTE_PGM_RSRC2:TGID_Z_EN: 0
; COMPUTE_PGM_RSRC2:TIDIG_COMP_CNT: 0
; COMPUTE_PGM_RSRC3_GFX90A:ACCUM_OFFSET: 0
; COMPUTE_PGM_RSRC3_GFX90A:TG_SPLIT: 0
	.section	.text._ZN7rocprim17ROCPRIM_400000_NS6detail17trampoline_kernelINS0_14default_configENS1_25partition_config_selectorILNS1_17partition_subalgoE8EdNS0_10empty_typeEbEEZZNS1_14partition_implILS5_8ELb0ES3_jPKdPS6_PKS6_NS0_5tupleIJPdS6_EEENSE_IJSB_SB_EEENS0_18inequality_wrapperIN6hipcub16HIPCUB_304000_NS8EqualityEEEPlJS6_EEE10hipError_tPvRmT3_T4_T5_T6_T7_T9_mT8_P12ihipStream_tbDpT10_ENKUlT_T0_E_clISt17integral_constantIbLb1EES16_IbLb0EEEEDaS12_S13_EUlS12_E_NS1_11comp_targetILNS1_3genE3ELNS1_11target_archE908ELNS1_3gpuE7ELNS1_3repE0EEENS1_30default_config_static_selectorELNS0_4arch9wavefront6targetE1EEEvT1_,"axG",@progbits,_ZN7rocprim17ROCPRIM_400000_NS6detail17trampoline_kernelINS0_14default_configENS1_25partition_config_selectorILNS1_17partition_subalgoE8EdNS0_10empty_typeEbEEZZNS1_14partition_implILS5_8ELb0ES3_jPKdPS6_PKS6_NS0_5tupleIJPdS6_EEENSE_IJSB_SB_EEENS0_18inequality_wrapperIN6hipcub16HIPCUB_304000_NS8EqualityEEEPlJS6_EEE10hipError_tPvRmT3_T4_T5_T6_T7_T9_mT8_P12ihipStream_tbDpT10_ENKUlT_T0_E_clISt17integral_constantIbLb1EES16_IbLb0EEEEDaS12_S13_EUlS12_E_NS1_11comp_targetILNS1_3genE3ELNS1_11target_archE908ELNS1_3gpuE7ELNS1_3repE0EEENS1_30default_config_static_selectorELNS0_4arch9wavefront6targetE1EEEvT1_,comdat
	.protected	_ZN7rocprim17ROCPRIM_400000_NS6detail17trampoline_kernelINS0_14default_configENS1_25partition_config_selectorILNS1_17partition_subalgoE8EdNS0_10empty_typeEbEEZZNS1_14partition_implILS5_8ELb0ES3_jPKdPS6_PKS6_NS0_5tupleIJPdS6_EEENSE_IJSB_SB_EEENS0_18inequality_wrapperIN6hipcub16HIPCUB_304000_NS8EqualityEEEPlJS6_EEE10hipError_tPvRmT3_T4_T5_T6_T7_T9_mT8_P12ihipStream_tbDpT10_ENKUlT_T0_E_clISt17integral_constantIbLb1EES16_IbLb0EEEEDaS12_S13_EUlS12_E_NS1_11comp_targetILNS1_3genE3ELNS1_11target_archE908ELNS1_3gpuE7ELNS1_3repE0EEENS1_30default_config_static_selectorELNS0_4arch9wavefront6targetE1EEEvT1_ ; -- Begin function _ZN7rocprim17ROCPRIM_400000_NS6detail17trampoline_kernelINS0_14default_configENS1_25partition_config_selectorILNS1_17partition_subalgoE8EdNS0_10empty_typeEbEEZZNS1_14partition_implILS5_8ELb0ES3_jPKdPS6_PKS6_NS0_5tupleIJPdS6_EEENSE_IJSB_SB_EEENS0_18inequality_wrapperIN6hipcub16HIPCUB_304000_NS8EqualityEEEPlJS6_EEE10hipError_tPvRmT3_T4_T5_T6_T7_T9_mT8_P12ihipStream_tbDpT10_ENKUlT_T0_E_clISt17integral_constantIbLb1EES16_IbLb0EEEEDaS12_S13_EUlS12_E_NS1_11comp_targetILNS1_3genE3ELNS1_11target_archE908ELNS1_3gpuE7ELNS1_3repE0EEENS1_30default_config_static_selectorELNS0_4arch9wavefront6targetE1EEEvT1_
	.globl	_ZN7rocprim17ROCPRIM_400000_NS6detail17trampoline_kernelINS0_14default_configENS1_25partition_config_selectorILNS1_17partition_subalgoE8EdNS0_10empty_typeEbEEZZNS1_14partition_implILS5_8ELb0ES3_jPKdPS6_PKS6_NS0_5tupleIJPdS6_EEENSE_IJSB_SB_EEENS0_18inequality_wrapperIN6hipcub16HIPCUB_304000_NS8EqualityEEEPlJS6_EEE10hipError_tPvRmT3_T4_T5_T6_T7_T9_mT8_P12ihipStream_tbDpT10_ENKUlT_T0_E_clISt17integral_constantIbLb1EES16_IbLb0EEEEDaS12_S13_EUlS12_E_NS1_11comp_targetILNS1_3genE3ELNS1_11target_archE908ELNS1_3gpuE7ELNS1_3repE0EEENS1_30default_config_static_selectorELNS0_4arch9wavefront6targetE1EEEvT1_
	.p2align	8
	.type	_ZN7rocprim17ROCPRIM_400000_NS6detail17trampoline_kernelINS0_14default_configENS1_25partition_config_selectorILNS1_17partition_subalgoE8EdNS0_10empty_typeEbEEZZNS1_14partition_implILS5_8ELb0ES3_jPKdPS6_PKS6_NS0_5tupleIJPdS6_EEENSE_IJSB_SB_EEENS0_18inequality_wrapperIN6hipcub16HIPCUB_304000_NS8EqualityEEEPlJS6_EEE10hipError_tPvRmT3_T4_T5_T6_T7_T9_mT8_P12ihipStream_tbDpT10_ENKUlT_T0_E_clISt17integral_constantIbLb1EES16_IbLb0EEEEDaS12_S13_EUlS12_E_NS1_11comp_targetILNS1_3genE3ELNS1_11target_archE908ELNS1_3gpuE7ELNS1_3repE0EEENS1_30default_config_static_selectorELNS0_4arch9wavefront6targetE1EEEvT1_,@function
_ZN7rocprim17ROCPRIM_400000_NS6detail17trampoline_kernelINS0_14default_configENS1_25partition_config_selectorILNS1_17partition_subalgoE8EdNS0_10empty_typeEbEEZZNS1_14partition_implILS5_8ELb0ES3_jPKdPS6_PKS6_NS0_5tupleIJPdS6_EEENSE_IJSB_SB_EEENS0_18inequality_wrapperIN6hipcub16HIPCUB_304000_NS8EqualityEEEPlJS6_EEE10hipError_tPvRmT3_T4_T5_T6_T7_T9_mT8_P12ihipStream_tbDpT10_ENKUlT_T0_E_clISt17integral_constantIbLb1EES16_IbLb0EEEEDaS12_S13_EUlS12_E_NS1_11comp_targetILNS1_3genE3ELNS1_11target_archE908ELNS1_3gpuE7ELNS1_3repE0EEENS1_30default_config_static_selectorELNS0_4arch9wavefront6targetE1EEEvT1_: ; @_ZN7rocprim17ROCPRIM_400000_NS6detail17trampoline_kernelINS0_14default_configENS1_25partition_config_selectorILNS1_17partition_subalgoE8EdNS0_10empty_typeEbEEZZNS1_14partition_implILS5_8ELb0ES3_jPKdPS6_PKS6_NS0_5tupleIJPdS6_EEENSE_IJSB_SB_EEENS0_18inequality_wrapperIN6hipcub16HIPCUB_304000_NS8EqualityEEEPlJS6_EEE10hipError_tPvRmT3_T4_T5_T6_T7_T9_mT8_P12ihipStream_tbDpT10_ENKUlT_T0_E_clISt17integral_constantIbLb1EES16_IbLb0EEEEDaS12_S13_EUlS12_E_NS1_11comp_targetILNS1_3genE3ELNS1_11target_archE908ELNS1_3gpuE7ELNS1_3repE0EEENS1_30default_config_static_selectorELNS0_4arch9wavefront6targetE1EEEvT1_
; %bb.0:
	.section	.rodata,"a",@progbits
	.p2align	6, 0x0
	.amdhsa_kernel _ZN7rocprim17ROCPRIM_400000_NS6detail17trampoline_kernelINS0_14default_configENS1_25partition_config_selectorILNS1_17partition_subalgoE8EdNS0_10empty_typeEbEEZZNS1_14partition_implILS5_8ELb0ES3_jPKdPS6_PKS6_NS0_5tupleIJPdS6_EEENSE_IJSB_SB_EEENS0_18inequality_wrapperIN6hipcub16HIPCUB_304000_NS8EqualityEEEPlJS6_EEE10hipError_tPvRmT3_T4_T5_T6_T7_T9_mT8_P12ihipStream_tbDpT10_ENKUlT_T0_E_clISt17integral_constantIbLb1EES16_IbLb0EEEEDaS12_S13_EUlS12_E_NS1_11comp_targetILNS1_3genE3ELNS1_11target_archE908ELNS1_3gpuE7ELNS1_3repE0EEENS1_30default_config_static_selectorELNS0_4arch9wavefront6targetE1EEEvT1_
		.amdhsa_group_segment_fixed_size 0
		.amdhsa_private_segment_fixed_size 0
		.amdhsa_kernarg_size 112
		.amdhsa_user_sgpr_count 2
		.amdhsa_user_sgpr_dispatch_ptr 0
		.amdhsa_user_sgpr_queue_ptr 0
		.amdhsa_user_sgpr_kernarg_segment_ptr 1
		.amdhsa_user_sgpr_dispatch_id 0
		.amdhsa_user_sgpr_kernarg_preload_length 0
		.amdhsa_user_sgpr_kernarg_preload_offset 0
		.amdhsa_user_sgpr_private_segment_size 0
		.amdhsa_uses_dynamic_stack 0
		.amdhsa_enable_private_segment 0
		.amdhsa_system_sgpr_workgroup_id_x 1
		.amdhsa_system_sgpr_workgroup_id_y 0
		.amdhsa_system_sgpr_workgroup_id_z 0
		.amdhsa_system_sgpr_workgroup_info 0
		.amdhsa_system_vgpr_workitem_id 0
		.amdhsa_next_free_vgpr 1
		.amdhsa_next_free_sgpr 0
		.amdhsa_accum_offset 4
		.amdhsa_reserve_vcc 0
		.amdhsa_float_round_mode_32 0
		.amdhsa_float_round_mode_16_64 0
		.amdhsa_float_denorm_mode_32 3
		.amdhsa_float_denorm_mode_16_64 3
		.amdhsa_dx10_clamp 1
		.amdhsa_ieee_mode 1
		.amdhsa_fp16_overflow 0
		.amdhsa_tg_split 0
		.amdhsa_exception_fp_ieee_invalid_op 0
		.amdhsa_exception_fp_denorm_src 0
		.amdhsa_exception_fp_ieee_div_zero 0
		.amdhsa_exception_fp_ieee_overflow 0
		.amdhsa_exception_fp_ieee_underflow 0
		.amdhsa_exception_fp_ieee_inexact 0
		.amdhsa_exception_int_div_zero 0
	.end_amdhsa_kernel
	.section	.text._ZN7rocprim17ROCPRIM_400000_NS6detail17trampoline_kernelINS0_14default_configENS1_25partition_config_selectorILNS1_17partition_subalgoE8EdNS0_10empty_typeEbEEZZNS1_14partition_implILS5_8ELb0ES3_jPKdPS6_PKS6_NS0_5tupleIJPdS6_EEENSE_IJSB_SB_EEENS0_18inequality_wrapperIN6hipcub16HIPCUB_304000_NS8EqualityEEEPlJS6_EEE10hipError_tPvRmT3_T4_T5_T6_T7_T9_mT8_P12ihipStream_tbDpT10_ENKUlT_T0_E_clISt17integral_constantIbLb1EES16_IbLb0EEEEDaS12_S13_EUlS12_E_NS1_11comp_targetILNS1_3genE3ELNS1_11target_archE908ELNS1_3gpuE7ELNS1_3repE0EEENS1_30default_config_static_selectorELNS0_4arch9wavefront6targetE1EEEvT1_,"axG",@progbits,_ZN7rocprim17ROCPRIM_400000_NS6detail17trampoline_kernelINS0_14default_configENS1_25partition_config_selectorILNS1_17partition_subalgoE8EdNS0_10empty_typeEbEEZZNS1_14partition_implILS5_8ELb0ES3_jPKdPS6_PKS6_NS0_5tupleIJPdS6_EEENSE_IJSB_SB_EEENS0_18inequality_wrapperIN6hipcub16HIPCUB_304000_NS8EqualityEEEPlJS6_EEE10hipError_tPvRmT3_T4_T5_T6_T7_T9_mT8_P12ihipStream_tbDpT10_ENKUlT_T0_E_clISt17integral_constantIbLb1EES16_IbLb0EEEEDaS12_S13_EUlS12_E_NS1_11comp_targetILNS1_3genE3ELNS1_11target_archE908ELNS1_3gpuE7ELNS1_3repE0EEENS1_30default_config_static_selectorELNS0_4arch9wavefront6targetE1EEEvT1_,comdat
.Lfunc_end291:
	.size	_ZN7rocprim17ROCPRIM_400000_NS6detail17trampoline_kernelINS0_14default_configENS1_25partition_config_selectorILNS1_17partition_subalgoE8EdNS0_10empty_typeEbEEZZNS1_14partition_implILS5_8ELb0ES3_jPKdPS6_PKS6_NS0_5tupleIJPdS6_EEENSE_IJSB_SB_EEENS0_18inequality_wrapperIN6hipcub16HIPCUB_304000_NS8EqualityEEEPlJS6_EEE10hipError_tPvRmT3_T4_T5_T6_T7_T9_mT8_P12ihipStream_tbDpT10_ENKUlT_T0_E_clISt17integral_constantIbLb1EES16_IbLb0EEEEDaS12_S13_EUlS12_E_NS1_11comp_targetILNS1_3genE3ELNS1_11target_archE908ELNS1_3gpuE7ELNS1_3repE0EEENS1_30default_config_static_selectorELNS0_4arch9wavefront6targetE1EEEvT1_, .Lfunc_end291-_ZN7rocprim17ROCPRIM_400000_NS6detail17trampoline_kernelINS0_14default_configENS1_25partition_config_selectorILNS1_17partition_subalgoE8EdNS0_10empty_typeEbEEZZNS1_14partition_implILS5_8ELb0ES3_jPKdPS6_PKS6_NS0_5tupleIJPdS6_EEENSE_IJSB_SB_EEENS0_18inequality_wrapperIN6hipcub16HIPCUB_304000_NS8EqualityEEEPlJS6_EEE10hipError_tPvRmT3_T4_T5_T6_T7_T9_mT8_P12ihipStream_tbDpT10_ENKUlT_T0_E_clISt17integral_constantIbLb1EES16_IbLb0EEEEDaS12_S13_EUlS12_E_NS1_11comp_targetILNS1_3genE3ELNS1_11target_archE908ELNS1_3gpuE7ELNS1_3repE0EEENS1_30default_config_static_selectorELNS0_4arch9wavefront6targetE1EEEvT1_
                                        ; -- End function
	.section	.AMDGPU.csdata,"",@progbits
; Kernel info:
; codeLenInByte = 0
; NumSgprs: 6
; NumVgprs: 0
; NumAgprs: 0
; TotalNumVgprs: 0
; ScratchSize: 0
; MemoryBound: 0
; FloatMode: 240
; IeeeMode: 1
; LDSByteSize: 0 bytes/workgroup (compile time only)
; SGPRBlocks: 0
; VGPRBlocks: 0
; NumSGPRsForWavesPerEU: 6
; NumVGPRsForWavesPerEU: 1
; AccumOffset: 4
; Occupancy: 8
; WaveLimiterHint : 0
; COMPUTE_PGM_RSRC2:SCRATCH_EN: 0
; COMPUTE_PGM_RSRC2:USER_SGPR: 2
; COMPUTE_PGM_RSRC2:TRAP_HANDLER: 0
; COMPUTE_PGM_RSRC2:TGID_X_EN: 1
; COMPUTE_PGM_RSRC2:TGID_Y_EN: 0
; COMPUTE_PGM_RSRC2:TGID_Z_EN: 0
; COMPUTE_PGM_RSRC2:TIDIG_COMP_CNT: 0
; COMPUTE_PGM_RSRC3_GFX90A:ACCUM_OFFSET: 0
; COMPUTE_PGM_RSRC3_GFX90A:TG_SPLIT: 0
	.section	.text._ZN7rocprim17ROCPRIM_400000_NS6detail17trampoline_kernelINS0_14default_configENS1_25partition_config_selectorILNS1_17partition_subalgoE8EdNS0_10empty_typeEbEEZZNS1_14partition_implILS5_8ELb0ES3_jPKdPS6_PKS6_NS0_5tupleIJPdS6_EEENSE_IJSB_SB_EEENS0_18inequality_wrapperIN6hipcub16HIPCUB_304000_NS8EqualityEEEPlJS6_EEE10hipError_tPvRmT3_T4_T5_T6_T7_T9_mT8_P12ihipStream_tbDpT10_ENKUlT_T0_E_clISt17integral_constantIbLb1EES16_IbLb0EEEEDaS12_S13_EUlS12_E_NS1_11comp_targetILNS1_3genE2ELNS1_11target_archE906ELNS1_3gpuE6ELNS1_3repE0EEENS1_30default_config_static_selectorELNS0_4arch9wavefront6targetE1EEEvT1_,"axG",@progbits,_ZN7rocprim17ROCPRIM_400000_NS6detail17trampoline_kernelINS0_14default_configENS1_25partition_config_selectorILNS1_17partition_subalgoE8EdNS0_10empty_typeEbEEZZNS1_14partition_implILS5_8ELb0ES3_jPKdPS6_PKS6_NS0_5tupleIJPdS6_EEENSE_IJSB_SB_EEENS0_18inequality_wrapperIN6hipcub16HIPCUB_304000_NS8EqualityEEEPlJS6_EEE10hipError_tPvRmT3_T4_T5_T6_T7_T9_mT8_P12ihipStream_tbDpT10_ENKUlT_T0_E_clISt17integral_constantIbLb1EES16_IbLb0EEEEDaS12_S13_EUlS12_E_NS1_11comp_targetILNS1_3genE2ELNS1_11target_archE906ELNS1_3gpuE6ELNS1_3repE0EEENS1_30default_config_static_selectorELNS0_4arch9wavefront6targetE1EEEvT1_,comdat
	.protected	_ZN7rocprim17ROCPRIM_400000_NS6detail17trampoline_kernelINS0_14default_configENS1_25partition_config_selectorILNS1_17partition_subalgoE8EdNS0_10empty_typeEbEEZZNS1_14partition_implILS5_8ELb0ES3_jPKdPS6_PKS6_NS0_5tupleIJPdS6_EEENSE_IJSB_SB_EEENS0_18inequality_wrapperIN6hipcub16HIPCUB_304000_NS8EqualityEEEPlJS6_EEE10hipError_tPvRmT3_T4_T5_T6_T7_T9_mT8_P12ihipStream_tbDpT10_ENKUlT_T0_E_clISt17integral_constantIbLb1EES16_IbLb0EEEEDaS12_S13_EUlS12_E_NS1_11comp_targetILNS1_3genE2ELNS1_11target_archE906ELNS1_3gpuE6ELNS1_3repE0EEENS1_30default_config_static_selectorELNS0_4arch9wavefront6targetE1EEEvT1_ ; -- Begin function _ZN7rocprim17ROCPRIM_400000_NS6detail17trampoline_kernelINS0_14default_configENS1_25partition_config_selectorILNS1_17partition_subalgoE8EdNS0_10empty_typeEbEEZZNS1_14partition_implILS5_8ELb0ES3_jPKdPS6_PKS6_NS0_5tupleIJPdS6_EEENSE_IJSB_SB_EEENS0_18inequality_wrapperIN6hipcub16HIPCUB_304000_NS8EqualityEEEPlJS6_EEE10hipError_tPvRmT3_T4_T5_T6_T7_T9_mT8_P12ihipStream_tbDpT10_ENKUlT_T0_E_clISt17integral_constantIbLb1EES16_IbLb0EEEEDaS12_S13_EUlS12_E_NS1_11comp_targetILNS1_3genE2ELNS1_11target_archE906ELNS1_3gpuE6ELNS1_3repE0EEENS1_30default_config_static_selectorELNS0_4arch9wavefront6targetE1EEEvT1_
	.globl	_ZN7rocprim17ROCPRIM_400000_NS6detail17trampoline_kernelINS0_14default_configENS1_25partition_config_selectorILNS1_17partition_subalgoE8EdNS0_10empty_typeEbEEZZNS1_14partition_implILS5_8ELb0ES3_jPKdPS6_PKS6_NS0_5tupleIJPdS6_EEENSE_IJSB_SB_EEENS0_18inequality_wrapperIN6hipcub16HIPCUB_304000_NS8EqualityEEEPlJS6_EEE10hipError_tPvRmT3_T4_T5_T6_T7_T9_mT8_P12ihipStream_tbDpT10_ENKUlT_T0_E_clISt17integral_constantIbLb1EES16_IbLb0EEEEDaS12_S13_EUlS12_E_NS1_11comp_targetILNS1_3genE2ELNS1_11target_archE906ELNS1_3gpuE6ELNS1_3repE0EEENS1_30default_config_static_selectorELNS0_4arch9wavefront6targetE1EEEvT1_
	.p2align	8
	.type	_ZN7rocprim17ROCPRIM_400000_NS6detail17trampoline_kernelINS0_14default_configENS1_25partition_config_selectorILNS1_17partition_subalgoE8EdNS0_10empty_typeEbEEZZNS1_14partition_implILS5_8ELb0ES3_jPKdPS6_PKS6_NS0_5tupleIJPdS6_EEENSE_IJSB_SB_EEENS0_18inequality_wrapperIN6hipcub16HIPCUB_304000_NS8EqualityEEEPlJS6_EEE10hipError_tPvRmT3_T4_T5_T6_T7_T9_mT8_P12ihipStream_tbDpT10_ENKUlT_T0_E_clISt17integral_constantIbLb1EES16_IbLb0EEEEDaS12_S13_EUlS12_E_NS1_11comp_targetILNS1_3genE2ELNS1_11target_archE906ELNS1_3gpuE6ELNS1_3repE0EEENS1_30default_config_static_selectorELNS0_4arch9wavefront6targetE1EEEvT1_,@function
_ZN7rocprim17ROCPRIM_400000_NS6detail17trampoline_kernelINS0_14default_configENS1_25partition_config_selectorILNS1_17partition_subalgoE8EdNS0_10empty_typeEbEEZZNS1_14partition_implILS5_8ELb0ES3_jPKdPS6_PKS6_NS0_5tupleIJPdS6_EEENSE_IJSB_SB_EEENS0_18inequality_wrapperIN6hipcub16HIPCUB_304000_NS8EqualityEEEPlJS6_EEE10hipError_tPvRmT3_T4_T5_T6_T7_T9_mT8_P12ihipStream_tbDpT10_ENKUlT_T0_E_clISt17integral_constantIbLb1EES16_IbLb0EEEEDaS12_S13_EUlS12_E_NS1_11comp_targetILNS1_3genE2ELNS1_11target_archE906ELNS1_3gpuE6ELNS1_3repE0EEENS1_30default_config_static_selectorELNS0_4arch9wavefront6targetE1EEEvT1_: ; @_ZN7rocprim17ROCPRIM_400000_NS6detail17trampoline_kernelINS0_14default_configENS1_25partition_config_selectorILNS1_17partition_subalgoE8EdNS0_10empty_typeEbEEZZNS1_14partition_implILS5_8ELb0ES3_jPKdPS6_PKS6_NS0_5tupleIJPdS6_EEENSE_IJSB_SB_EEENS0_18inequality_wrapperIN6hipcub16HIPCUB_304000_NS8EqualityEEEPlJS6_EEE10hipError_tPvRmT3_T4_T5_T6_T7_T9_mT8_P12ihipStream_tbDpT10_ENKUlT_T0_E_clISt17integral_constantIbLb1EES16_IbLb0EEEEDaS12_S13_EUlS12_E_NS1_11comp_targetILNS1_3genE2ELNS1_11target_archE906ELNS1_3gpuE6ELNS1_3repE0EEENS1_30default_config_static_selectorELNS0_4arch9wavefront6targetE1EEEvT1_
; %bb.0:
	.section	.rodata,"a",@progbits
	.p2align	6, 0x0
	.amdhsa_kernel _ZN7rocprim17ROCPRIM_400000_NS6detail17trampoline_kernelINS0_14default_configENS1_25partition_config_selectorILNS1_17partition_subalgoE8EdNS0_10empty_typeEbEEZZNS1_14partition_implILS5_8ELb0ES3_jPKdPS6_PKS6_NS0_5tupleIJPdS6_EEENSE_IJSB_SB_EEENS0_18inequality_wrapperIN6hipcub16HIPCUB_304000_NS8EqualityEEEPlJS6_EEE10hipError_tPvRmT3_T4_T5_T6_T7_T9_mT8_P12ihipStream_tbDpT10_ENKUlT_T0_E_clISt17integral_constantIbLb1EES16_IbLb0EEEEDaS12_S13_EUlS12_E_NS1_11comp_targetILNS1_3genE2ELNS1_11target_archE906ELNS1_3gpuE6ELNS1_3repE0EEENS1_30default_config_static_selectorELNS0_4arch9wavefront6targetE1EEEvT1_
		.amdhsa_group_segment_fixed_size 0
		.amdhsa_private_segment_fixed_size 0
		.amdhsa_kernarg_size 112
		.amdhsa_user_sgpr_count 2
		.amdhsa_user_sgpr_dispatch_ptr 0
		.amdhsa_user_sgpr_queue_ptr 0
		.amdhsa_user_sgpr_kernarg_segment_ptr 1
		.amdhsa_user_sgpr_dispatch_id 0
		.amdhsa_user_sgpr_kernarg_preload_length 0
		.amdhsa_user_sgpr_kernarg_preload_offset 0
		.amdhsa_user_sgpr_private_segment_size 0
		.amdhsa_uses_dynamic_stack 0
		.amdhsa_enable_private_segment 0
		.amdhsa_system_sgpr_workgroup_id_x 1
		.amdhsa_system_sgpr_workgroup_id_y 0
		.amdhsa_system_sgpr_workgroup_id_z 0
		.amdhsa_system_sgpr_workgroup_info 0
		.amdhsa_system_vgpr_workitem_id 0
		.amdhsa_next_free_vgpr 1
		.amdhsa_next_free_sgpr 0
		.amdhsa_accum_offset 4
		.amdhsa_reserve_vcc 0
		.amdhsa_float_round_mode_32 0
		.amdhsa_float_round_mode_16_64 0
		.amdhsa_float_denorm_mode_32 3
		.amdhsa_float_denorm_mode_16_64 3
		.amdhsa_dx10_clamp 1
		.amdhsa_ieee_mode 1
		.amdhsa_fp16_overflow 0
		.amdhsa_tg_split 0
		.amdhsa_exception_fp_ieee_invalid_op 0
		.amdhsa_exception_fp_denorm_src 0
		.amdhsa_exception_fp_ieee_div_zero 0
		.amdhsa_exception_fp_ieee_overflow 0
		.amdhsa_exception_fp_ieee_underflow 0
		.amdhsa_exception_fp_ieee_inexact 0
		.amdhsa_exception_int_div_zero 0
	.end_amdhsa_kernel
	.section	.text._ZN7rocprim17ROCPRIM_400000_NS6detail17trampoline_kernelINS0_14default_configENS1_25partition_config_selectorILNS1_17partition_subalgoE8EdNS0_10empty_typeEbEEZZNS1_14partition_implILS5_8ELb0ES3_jPKdPS6_PKS6_NS0_5tupleIJPdS6_EEENSE_IJSB_SB_EEENS0_18inequality_wrapperIN6hipcub16HIPCUB_304000_NS8EqualityEEEPlJS6_EEE10hipError_tPvRmT3_T4_T5_T6_T7_T9_mT8_P12ihipStream_tbDpT10_ENKUlT_T0_E_clISt17integral_constantIbLb1EES16_IbLb0EEEEDaS12_S13_EUlS12_E_NS1_11comp_targetILNS1_3genE2ELNS1_11target_archE906ELNS1_3gpuE6ELNS1_3repE0EEENS1_30default_config_static_selectorELNS0_4arch9wavefront6targetE1EEEvT1_,"axG",@progbits,_ZN7rocprim17ROCPRIM_400000_NS6detail17trampoline_kernelINS0_14default_configENS1_25partition_config_selectorILNS1_17partition_subalgoE8EdNS0_10empty_typeEbEEZZNS1_14partition_implILS5_8ELb0ES3_jPKdPS6_PKS6_NS0_5tupleIJPdS6_EEENSE_IJSB_SB_EEENS0_18inequality_wrapperIN6hipcub16HIPCUB_304000_NS8EqualityEEEPlJS6_EEE10hipError_tPvRmT3_T4_T5_T6_T7_T9_mT8_P12ihipStream_tbDpT10_ENKUlT_T0_E_clISt17integral_constantIbLb1EES16_IbLb0EEEEDaS12_S13_EUlS12_E_NS1_11comp_targetILNS1_3genE2ELNS1_11target_archE906ELNS1_3gpuE6ELNS1_3repE0EEENS1_30default_config_static_selectorELNS0_4arch9wavefront6targetE1EEEvT1_,comdat
.Lfunc_end292:
	.size	_ZN7rocprim17ROCPRIM_400000_NS6detail17trampoline_kernelINS0_14default_configENS1_25partition_config_selectorILNS1_17partition_subalgoE8EdNS0_10empty_typeEbEEZZNS1_14partition_implILS5_8ELb0ES3_jPKdPS6_PKS6_NS0_5tupleIJPdS6_EEENSE_IJSB_SB_EEENS0_18inequality_wrapperIN6hipcub16HIPCUB_304000_NS8EqualityEEEPlJS6_EEE10hipError_tPvRmT3_T4_T5_T6_T7_T9_mT8_P12ihipStream_tbDpT10_ENKUlT_T0_E_clISt17integral_constantIbLb1EES16_IbLb0EEEEDaS12_S13_EUlS12_E_NS1_11comp_targetILNS1_3genE2ELNS1_11target_archE906ELNS1_3gpuE6ELNS1_3repE0EEENS1_30default_config_static_selectorELNS0_4arch9wavefront6targetE1EEEvT1_, .Lfunc_end292-_ZN7rocprim17ROCPRIM_400000_NS6detail17trampoline_kernelINS0_14default_configENS1_25partition_config_selectorILNS1_17partition_subalgoE8EdNS0_10empty_typeEbEEZZNS1_14partition_implILS5_8ELb0ES3_jPKdPS6_PKS6_NS0_5tupleIJPdS6_EEENSE_IJSB_SB_EEENS0_18inequality_wrapperIN6hipcub16HIPCUB_304000_NS8EqualityEEEPlJS6_EEE10hipError_tPvRmT3_T4_T5_T6_T7_T9_mT8_P12ihipStream_tbDpT10_ENKUlT_T0_E_clISt17integral_constantIbLb1EES16_IbLb0EEEEDaS12_S13_EUlS12_E_NS1_11comp_targetILNS1_3genE2ELNS1_11target_archE906ELNS1_3gpuE6ELNS1_3repE0EEENS1_30default_config_static_selectorELNS0_4arch9wavefront6targetE1EEEvT1_
                                        ; -- End function
	.section	.AMDGPU.csdata,"",@progbits
; Kernel info:
; codeLenInByte = 0
; NumSgprs: 6
; NumVgprs: 0
; NumAgprs: 0
; TotalNumVgprs: 0
; ScratchSize: 0
; MemoryBound: 0
; FloatMode: 240
; IeeeMode: 1
; LDSByteSize: 0 bytes/workgroup (compile time only)
; SGPRBlocks: 0
; VGPRBlocks: 0
; NumSGPRsForWavesPerEU: 6
; NumVGPRsForWavesPerEU: 1
; AccumOffset: 4
; Occupancy: 8
; WaveLimiterHint : 0
; COMPUTE_PGM_RSRC2:SCRATCH_EN: 0
; COMPUTE_PGM_RSRC2:USER_SGPR: 2
; COMPUTE_PGM_RSRC2:TRAP_HANDLER: 0
; COMPUTE_PGM_RSRC2:TGID_X_EN: 1
; COMPUTE_PGM_RSRC2:TGID_Y_EN: 0
; COMPUTE_PGM_RSRC2:TGID_Z_EN: 0
; COMPUTE_PGM_RSRC2:TIDIG_COMP_CNT: 0
; COMPUTE_PGM_RSRC3_GFX90A:ACCUM_OFFSET: 0
; COMPUTE_PGM_RSRC3_GFX90A:TG_SPLIT: 0
	.section	.text._ZN7rocprim17ROCPRIM_400000_NS6detail17trampoline_kernelINS0_14default_configENS1_25partition_config_selectorILNS1_17partition_subalgoE8EdNS0_10empty_typeEbEEZZNS1_14partition_implILS5_8ELb0ES3_jPKdPS6_PKS6_NS0_5tupleIJPdS6_EEENSE_IJSB_SB_EEENS0_18inequality_wrapperIN6hipcub16HIPCUB_304000_NS8EqualityEEEPlJS6_EEE10hipError_tPvRmT3_T4_T5_T6_T7_T9_mT8_P12ihipStream_tbDpT10_ENKUlT_T0_E_clISt17integral_constantIbLb1EES16_IbLb0EEEEDaS12_S13_EUlS12_E_NS1_11comp_targetILNS1_3genE10ELNS1_11target_archE1200ELNS1_3gpuE4ELNS1_3repE0EEENS1_30default_config_static_selectorELNS0_4arch9wavefront6targetE1EEEvT1_,"axG",@progbits,_ZN7rocprim17ROCPRIM_400000_NS6detail17trampoline_kernelINS0_14default_configENS1_25partition_config_selectorILNS1_17partition_subalgoE8EdNS0_10empty_typeEbEEZZNS1_14partition_implILS5_8ELb0ES3_jPKdPS6_PKS6_NS0_5tupleIJPdS6_EEENSE_IJSB_SB_EEENS0_18inequality_wrapperIN6hipcub16HIPCUB_304000_NS8EqualityEEEPlJS6_EEE10hipError_tPvRmT3_T4_T5_T6_T7_T9_mT8_P12ihipStream_tbDpT10_ENKUlT_T0_E_clISt17integral_constantIbLb1EES16_IbLb0EEEEDaS12_S13_EUlS12_E_NS1_11comp_targetILNS1_3genE10ELNS1_11target_archE1200ELNS1_3gpuE4ELNS1_3repE0EEENS1_30default_config_static_selectorELNS0_4arch9wavefront6targetE1EEEvT1_,comdat
	.protected	_ZN7rocprim17ROCPRIM_400000_NS6detail17trampoline_kernelINS0_14default_configENS1_25partition_config_selectorILNS1_17partition_subalgoE8EdNS0_10empty_typeEbEEZZNS1_14partition_implILS5_8ELb0ES3_jPKdPS6_PKS6_NS0_5tupleIJPdS6_EEENSE_IJSB_SB_EEENS0_18inequality_wrapperIN6hipcub16HIPCUB_304000_NS8EqualityEEEPlJS6_EEE10hipError_tPvRmT3_T4_T5_T6_T7_T9_mT8_P12ihipStream_tbDpT10_ENKUlT_T0_E_clISt17integral_constantIbLb1EES16_IbLb0EEEEDaS12_S13_EUlS12_E_NS1_11comp_targetILNS1_3genE10ELNS1_11target_archE1200ELNS1_3gpuE4ELNS1_3repE0EEENS1_30default_config_static_selectorELNS0_4arch9wavefront6targetE1EEEvT1_ ; -- Begin function _ZN7rocprim17ROCPRIM_400000_NS6detail17trampoline_kernelINS0_14default_configENS1_25partition_config_selectorILNS1_17partition_subalgoE8EdNS0_10empty_typeEbEEZZNS1_14partition_implILS5_8ELb0ES3_jPKdPS6_PKS6_NS0_5tupleIJPdS6_EEENSE_IJSB_SB_EEENS0_18inequality_wrapperIN6hipcub16HIPCUB_304000_NS8EqualityEEEPlJS6_EEE10hipError_tPvRmT3_T4_T5_T6_T7_T9_mT8_P12ihipStream_tbDpT10_ENKUlT_T0_E_clISt17integral_constantIbLb1EES16_IbLb0EEEEDaS12_S13_EUlS12_E_NS1_11comp_targetILNS1_3genE10ELNS1_11target_archE1200ELNS1_3gpuE4ELNS1_3repE0EEENS1_30default_config_static_selectorELNS0_4arch9wavefront6targetE1EEEvT1_
	.globl	_ZN7rocprim17ROCPRIM_400000_NS6detail17trampoline_kernelINS0_14default_configENS1_25partition_config_selectorILNS1_17partition_subalgoE8EdNS0_10empty_typeEbEEZZNS1_14partition_implILS5_8ELb0ES3_jPKdPS6_PKS6_NS0_5tupleIJPdS6_EEENSE_IJSB_SB_EEENS0_18inequality_wrapperIN6hipcub16HIPCUB_304000_NS8EqualityEEEPlJS6_EEE10hipError_tPvRmT3_T4_T5_T6_T7_T9_mT8_P12ihipStream_tbDpT10_ENKUlT_T0_E_clISt17integral_constantIbLb1EES16_IbLb0EEEEDaS12_S13_EUlS12_E_NS1_11comp_targetILNS1_3genE10ELNS1_11target_archE1200ELNS1_3gpuE4ELNS1_3repE0EEENS1_30default_config_static_selectorELNS0_4arch9wavefront6targetE1EEEvT1_
	.p2align	8
	.type	_ZN7rocprim17ROCPRIM_400000_NS6detail17trampoline_kernelINS0_14default_configENS1_25partition_config_selectorILNS1_17partition_subalgoE8EdNS0_10empty_typeEbEEZZNS1_14partition_implILS5_8ELb0ES3_jPKdPS6_PKS6_NS0_5tupleIJPdS6_EEENSE_IJSB_SB_EEENS0_18inequality_wrapperIN6hipcub16HIPCUB_304000_NS8EqualityEEEPlJS6_EEE10hipError_tPvRmT3_T4_T5_T6_T7_T9_mT8_P12ihipStream_tbDpT10_ENKUlT_T0_E_clISt17integral_constantIbLb1EES16_IbLb0EEEEDaS12_S13_EUlS12_E_NS1_11comp_targetILNS1_3genE10ELNS1_11target_archE1200ELNS1_3gpuE4ELNS1_3repE0EEENS1_30default_config_static_selectorELNS0_4arch9wavefront6targetE1EEEvT1_,@function
_ZN7rocprim17ROCPRIM_400000_NS6detail17trampoline_kernelINS0_14default_configENS1_25partition_config_selectorILNS1_17partition_subalgoE8EdNS0_10empty_typeEbEEZZNS1_14partition_implILS5_8ELb0ES3_jPKdPS6_PKS6_NS0_5tupleIJPdS6_EEENSE_IJSB_SB_EEENS0_18inequality_wrapperIN6hipcub16HIPCUB_304000_NS8EqualityEEEPlJS6_EEE10hipError_tPvRmT3_T4_T5_T6_T7_T9_mT8_P12ihipStream_tbDpT10_ENKUlT_T0_E_clISt17integral_constantIbLb1EES16_IbLb0EEEEDaS12_S13_EUlS12_E_NS1_11comp_targetILNS1_3genE10ELNS1_11target_archE1200ELNS1_3gpuE4ELNS1_3repE0EEENS1_30default_config_static_selectorELNS0_4arch9wavefront6targetE1EEEvT1_: ; @_ZN7rocprim17ROCPRIM_400000_NS6detail17trampoline_kernelINS0_14default_configENS1_25partition_config_selectorILNS1_17partition_subalgoE8EdNS0_10empty_typeEbEEZZNS1_14partition_implILS5_8ELb0ES3_jPKdPS6_PKS6_NS0_5tupleIJPdS6_EEENSE_IJSB_SB_EEENS0_18inequality_wrapperIN6hipcub16HIPCUB_304000_NS8EqualityEEEPlJS6_EEE10hipError_tPvRmT3_T4_T5_T6_T7_T9_mT8_P12ihipStream_tbDpT10_ENKUlT_T0_E_clISt17integral_constantIbLb1EES16_IbLb0EEEEDaS12_S13_EUlS12_E_NS1_11comp_targetILNS1_3genE10ELNS1_11target_archE1200ELNS1_3gpuE4ELNS1_3repE0EEENS1_30default_config_static_selectorELNS0_4arch9wavefront6targetE1EEEvT1_
; %bb.0:
	.section	.rodata,"a",@progbits
	.p2align	6, 0x0
	.amdhsa_kernel _ZN7rocprim17ROCPRIM_400000_NS6detail17trampoline_kernelINS0_14default_configENS1_25partition_config_selectorILNS1_17partition_subalgoE8EdNS0_10empty_typeEbEEZZNS1_14partition_implILS5_8ELb0ES3_jPKdPS6_PKS6_NS0_5tupleIJPdS6_EEENSE_IJSB_SB_EEENS0_18inequality_wrapperIN6hipcub16HIPCUB_304000_NS8EqualityEEEPlJS6_EEE10hipError_tPvRmT3_T4_T5_T6_T7_T9_mT8_P12ihipStream_tbDpT10_ENKUlT_T0_E_clISt17integral_constantIbLb1EES16_IbLb0EEEEDaS12_S13_EUlS12_E_NS1_11comp_targetILNS1_3genE10ELNS1_11target_archE1200ELNS1_3gpuE4ELNS1_3repE0EEENS1_30default_config_static_selectorELNS0_4arch9wavefront6targetE1EEEvT1_
		.amdhsa_group_segment_fixed_size 0
		.amdhsa_private_segment_fixed_size 0
		.amdhsa_kernarg_size 112
		.amdhsa_user_sgpr_count 2
		.amdhsa_user_sgpr_dispatch_ptr 0
		.amdhsa_user_sgpr_queue_ptr 0
		.amdhsa_user_sgpr_kernarg_segment_ptr 1
		.amdhsa_user_sgpr_dispatch_id 0
		.amdhsa_user_sgpr_kernarg_preload_length 0
		.amdhsa_user_sgpr_kernarg_preload_offset 0
		.amdhsa_user_sgpr_private_segment_size 0
		.amdhsa_uses_dynamic_stack 0
		.amdhsa_enable_private_segment 0
		.amdhsa_system_sgpr_workgroup_id_x 1
		.amdhsa_system_sgpr_workgroup_id_y 0
		.amdhsa_system_sgpr_workgroup_id_z 0
		.amdhsa_system_sgpr_workgroup_info 0
		.amdhsa_system_vgpr_workitem_id 0
		.amdhsa_next_free_vgpr 1
		.amdhsa_next_free_sgpr 0
		.amdhsa_accum_offset 4
		.amdhsa_reserve_vcc 0
		.amdhsa_float_round_mode_32 0
		.amdhsa_float_round_mode_16_64 0
		.amdhsa_float_denorm_mode_32 3
		.amdhsa_float_denorm_mode_16_64 3
		.amdhsa_dx10_clamp 1
		.amdhsa_ieee_mode 1
		.amdhsa_fp16_overflow 0
		.amdhsa_tg_split 0
		.amdhsa_exception_fp_ieee_invalid_op 0
		.amdhsa_exception_fp_denorm_src 0
		.amdhsa_exception_fp_ieee_div_zero 0
		.amdhsa_exception_fp_ieee_overflow 0
		.amdhsa_exception_fp_ieee_underflow 0
		.amdhsa_exception_fp_ieee_inexact 0
		.amdhsa_exception_int_div_zero 0
	.end_amdhsa_kernel
	.section	.text._ZN7rocprim17ROCPRIM_400000_NS6detail17trampoline_kernelINS0_14default_configENS1_25partition_config_selectorILNS1_17partition_subalgoE8EdNS0_10empty_typeEbEEZZNS1_14partition_implILS5_8ELb0ES3_jPKdPS6_PKS6_NS0_5tupleIJPdS6_EEENSE_IJSB_SB_EEENS0_18inequality_wrapperIN6hipcub16HIPCUB_304000_NS8EqualityEEEPlJS6_EEE10hipError_tPvRmT3_T4_T5_T6_T7_T9_mT8_P12ihipStream_tbDpT10_ENKUlT_T0_E_clISt17integral_constantIbLb1EES16_IbLb0EEEEDaS12_S13_EUlS12_E_NS1_11comp_targetILNS1_3genE10ELNS1_11target_archE1200ELNS1_3gpuE4ELNS1_3repE0EEENS1_30default_config_static_selectorELNS0_4arch9wavefront6targetE1EEEvT1_,"axG",@progbits,_ZN7rocprim17ROCPRIM_400000_NS6detail17trampoline_kernelINS0_14default_configENS1_25partition_config_selectorILNS1_17partition_subalgoE8EdNS0_10empty_typeEbEEZZNS1_14partition_implILS5_8ELb0ES3_jPKdPS6_PKS6_NS0_5tupleIJPdS6_EEENSE_IJSB_SB_EEENS0_18inequality_wrapperIN6hipcub16HIPCUB_304000_NS8EqualityEEEPlJS6_EEE10hipError_tPvRmT3_T4_T5_T6_T7_T9_mT8_P12ihipStream_tbDpT10_ENKUlT_T0_E_clISt17integral_constantIbLb1EES16_IbLb0EEEEDaS12_S13_EUlS12_E_NS1_11comp_targetILNS1_3genE10ELNS1_11target_archE1200ELNS1_3gpuE4ELNS1_3repE0EEENS1_30default_config_static_selectorELNS0_4arch9wavefront6targetE1EEEvT1_,comdat
.Lfunc_end293:
	.size	_ZN7rocprim17ROCPRIM_400000_NS6detail17trampoline_kernelINS0_14default_configENS1_25partition_config_selectorILNS1_17partition_subalgoE8EdNS0_10empty_typeEbEEZZNS1_14partition_implILS5_8ELb0ES3_jPKdPS6_PKS6_NS0_5tupleIJPdS6_EEENSE_IJSB_SB_EEENS0_18inequality_wrapperIN6hipcub16HIPCUB_304000_NS8EqualityEEEPlJS6_EEE10hipError_tPvRmT3_T4_T5_T6_T7_T9_mT8_P12ihipStream_tbDpT10_ENKUlT_T0_E_clISt17integral_constantIbLb1EES16_IbLb0EEEEDaS12_S13_EUlS12_E_NS1_11comp_targetILNS1_3genE10ELNS1_11target_archE1200ELNS1_3gpuE4ELNS1_3repE0EEENS1_30default_config_static_selectorELNS0_4arch9wavefront6targetE1EEEvT1_, .Lfunc_end293-_ZN7rocprim17ROCPRIM_400000_NS6detail17trampoline_kernelINS0_14default_configENS1_25partition_config_selectorILNS1_17partition_subalgoE8EdNS0_10empty_typeEbEEZZNS1_14partition_implILS5_8ELb0ES3_jPKdPS6_PKS6_NS0_5tupleIJPdS6_EEENSE_IJSB_SB_EEENS0_18inequality_wrapperIN6hipcub16HIPCUB_304000_NS8EqualityEEEPlJS6_EEE10hipError_tPvRmT3_T4_T5_T6_T7_T9_mT8_P12ihipStream_tbDpT10_ENKUlT_T0_E_clISt17integral_constantIbLb1EES16_IbLb0EEEEDaS12_S13_EUlS12_E_NS1_11comp_targetILNS1_3genE10ELNS1_11target_archE1200ELNS1_3gpuE4ELNS1_3repE0EEENS1_30default_config_static_selectorELNS0_4arch9wavefront6targetE1EEEvT1_
                                        ; -- End function
	.section	.AMDGPU.csdata,"",@progbits
; Kernel info:
; codeLenInByte = 0
; NumSgprs: 6
; NumVgprs: 0
; NumAgprs: 0
; TotalNumVgprs: 0
; ScratchSize: 0
; MemoryBound: 0
; FloatMode: 240
; IeeeMode: 1
; LDSByteSize: 0 bytes/workgroup (compile time only)
; SGPRBlocks: 0
; VGPRBlocks: 0
; NumSGPRsForWavesPerEU: 6
; NumVGPRsForWavesPerEU: 1
; AccumOffset: 4
; Occupancy: 8
; WaveLimiterHint : 0
; COMPUTE_PGM_RSRC2:SCRATCH_EN: 0
; COMPUTE_PGM_RSRC2:USER_SGPR: 2
; COMPUTE_PGM_RSRC2:TRAP_HANDLER: 0
; COMPUTE_PGM_RSRC2:TGID_X_EN: 1
; COMPUTE_PGM_RSRC2:TGID_Y_EN: 0
; COMPUTE_PGM_RSRC2:TGID_Z_EN: 0
; COMPUTE_PGM_RSRC2:TIDIG_COMP_CNT: 0
; COMPUTE_PGM_RSRC3_GFX90A:ACCUM_OFFSET: 0
; COMPUTE_PGM_RSRC3_GFX90A:TG_SPLIT: 0
	.section	.text._ZN7rocprim17ROCPRIM_400000_NS6detail17trampoline_kernelINS0_14default_configENS1_25partition_config_selectorILNS1_17partition_subalgoE8EdNS0_10empty_typeEbEEZZNS1_14partition_implILS5_8ELb0ES3_jPKdPS6_PKS6_NS0_5tupleIJPdS6_EEENSE_IJSB_SB_EEENS0_18inequality_wrapperIN6hipcub16HIPCUB_304000_NS8EqualityEEEPlJS6_EEE10hipError_tPvRmT3_T4_T5_T6_T7_T9_mT8_P12ihipStream_tbDpT10_ENKUlT_T0_E_clISt17integral_constantIbLb1EES16_IbLb0EEEEDaS12_S13_EUlS12_E_NS1_11comp_targetILNS1_3genE9ELNS1_11target_archE1100ELNS1_3gpuE3ELNS1_3repE0EEENS1_30default_config_static_selectorELNS0_4arch9wavefront6targetE1EEEvT1_,"axG",@progbits,_ZN7rocprim17ROCPRIM_400000_NS6detail17trampoline_kernelINS0_14default_configENS1_25partition_config_selectorILNS1_17partition_subalgoE8EdNS0_10empty_typeEbEEZZNS1_14partition_implILS5_8ELb0ES3_jPKdPS6_PKS6_NS0_5tupleIJPdS6_EEENSE_IJSB_SB_EEENS0_18inequality_wrapperIN6hipcub16HIPCUB_304000_NS8EqualityEEEPlJS6_EEE10hipError_tPvRmT3_T4_T5_T6_T7_T9_mT8_P12ihipStream_tbDpT10_ENKUlT_T0_E_clISt17integral_constantIbLb1EES16_IbLb0EEEEDaS12_S13_EUlS12_E_NS1_11comp_targetILNS1_3genE9ELNS1_11target_archE1100ELNS1_3gpuE3ELNS1_3repE0EEENS1_30default_config_static_selectorELNS0_4arch9wavefront6targetE1EEEvT1_,comdat
	.protected	_ZN7rocprim17ROCPRIM_400000_NS6detail17trampoline_kernelINS0_14default_configENS1_25partition_config_selectorILNS1_17partition_subalgoE8EdNS0_10empty_typeEbEEZZNS1_14partition_implILS5_8ELb0ES3_jPKdPS6_PKS6_NS0_5tupleIJPdS6_EEENSE_IJSB_SB_EEENS0_18inequality_wrapperIN6hipcub16HIPCUB_304000_NS8EqualityEEEPlJS6_EEE10hipError_tPvRmT3_T4_T5_T6_T7_T9_mT8_P12ihipStream_tbDpT10_ENKUlT_T0_E_clISt17integral_constantIbLb1EES16_IbLb0EEEEDaS12_S13_EUlS12_E_NS1_11comp_targetILNS1_3genE9ELNS1_11target_archE1100ELNS1_3gpuE3ELNS1_3repE0EEENS1_30default_config_static_selectorELNS0_4arch9wavefront6targetE1EEEvT1_ ; -- Begin function _ZN7rocprim17ROCPRIM_400000_NS6detail17trampoline_kernelINS0_14default_configENS1_25partition_config_selectorILNS1_17partition_subalgoE8EdNS0_10empty_typeEbEEZZNS1_14partition_implILS5_8ELb0ES3_jPKdPS6_PKS6_NS0_5tupleIJPdS6_EEENSE_IJSB_SB_EEENS0_18inequality_wrapperIN6hipcub16HIPCUB_304000_NS8EqualityEEEPlJS6_EEE10hipError_tPvRmT3_T4_T5_T6_T7_T9_mT8_P12ihipStream_tbDpT10_ENKUlT_T0_E_clISt17integral_constantIbLb1EES16_IbLb0EEEEDaS12_S13_EUlS12_E_NS1_11comp_targetILNS1_3genE9ELNS1_11target_archE1100ELNS1_3gpuE3ELNS1_3repE0EEENS1_30default_config_static_selectorELNS0_4arch9wavefront6targetE1EEEvT1_
	.globl	_ZN7rocprim17ROCPRIM_400000_NS6detail17trampoline_kernelINS0_14default_configENS1_25partition_config_selectorILNS1_17partition_subalgoE8EdNS0_10empty_typeEbEEZZNS1_14partition_implILS5_8ELb0ES3_jPKdPS6_PKS6_NS0_5tupleIJPdS6_EEENSE_IJSB_SB_EEENS0_18inequality_wrapperIN6hipcub16HIPCUB_304000_NS8EqualityEEEPlJS6_EEE10hipError_tPvRmT3_T4_T5_T6_T7_T9_mT8_P12ihipStream_tbDpT10_ENKUlT_T0_E_clISt17integral_constantIbLb1EES16_IbLb0EEEEDaS12_S13_EUlS12_E_NS1_11comp_targetILNS1_3genE9ELNS1_11target_archE1100ELNS1_3gpuE3ELNS1_3repE0EEENS1_30default_config_static_selectorELNS0_4arch9wavefront6targetE1EEEvT1_
	.p2align	8
	.type	_ZN7rocprim17ROCPRIM_400000_NS6detail17trampoline_kernelINS0_14default_configENS1_25partition_config_selectorILNS1_17partition_subalgoE8EdNS0_10empty_typeEbEEZZNS1_14partition_implILS5_8ELb0ES3_jPKdPS6_PKS6_NS0_5tupleIJPdS6_EEENSE_IJSB_SB_EEENS0_18inequality_wrapperIN6hipcub16HIPCUB_304000_NS8EqualityEEEPlJS6_EEE10hipError_tPvRmT3_T4_T5_T6_T7_T9_mT8_P12ihipStream_tbDpT10_ENKUlT_T0_E_clISt17integral_constantIbLb1EES16_IbLb0EEEEDaS12_S13_EUlS12_E_NS1_11comp_targetILNS1_3genE9ELNS1_11target_archE1100ELNS1_3gpuE3ELNS1_3repE0EEENS1_30default_config_static_selectorELNS0_4arch9wavefront6targetE1EEEvT1_,@function
_ZN7rocprim17ROCPRIM_400000_NS6detail17trampoline_kernelINS0_14default_configENS1_25partition_config_selectorILNS1_17partition_subalgoE8EdNS0_10empty_typeEbEEZZNS1_14partition_implILS5_8ELb0ES3_jPKdPS6_PKS6_NS0_5tupleIJPdS6_EEENSE_IJSB_SB_EEENS0_18inequality_wrapperIN6hipcub16HIPCUB_304000_NS8EqualityEEEPlJS6_EEE10hipError_tPvRmT3_T4_T5_T6_T7_T9_mT8_P12ihipStream_tbDpT10_ENKUlT_T0_E_clISt17integral_constantIbLb1EES16_IbLb0EEEEDaS12_S13_EUlS12_E_NS1_11comp_targetILNS1_3genE9ELNS1_11target_archE1100ELNS1_3gpuE3ELNS1_3repE0EEENS1_30default_config_static_selectorELNS0_4arch9wavefront6targetE1EEEvT1_: ; @_ZN7rocprim17ROCPRIM_400000_NS6detail17trampoline_kernelINS0_14default_configENS1_25partition_config_selectorILNS1_17partition_subalgoE8EdNS0_10empty_typeEbEEZZNS1_14partition_implILS5_8ELb0ES3_jPKdPS6_PKS6_NS0_5tupleIJPdS6_EEENSE_IJSB_SB_EEENS0_18inequality_wrapperIN6hipcub16HIPCUB_304000_NS8EqualityEEEPlJS6_EEE10hipError_tPvRmT3_T4_T5_T6_T7_T9_mT8_P12ihipStream_tbDpT10_ENKUlT_T0_E_clISt17integral_constantIbLb1EES16_IbLb0EEEEDaS12_S13_EUlS12_E_NS1_11comp_targetILNS1_3genE9ELNS1_11target_archE1100ELNS1_3gpuE3ELNS1_3repE0EEENS1_30default_config_static_selectorELNS0_4arch9wavefront6targetE1EEEvT1_
; %bb.0:
	.section	.rodata,"a",@progbits
	.p2align	6, 0x0
	.amdhsa_kernel _ZN7rocprim17ROCPRIM_400000_NS6detail17trampoline_kernelINS0_14default_configENS1_25partition_config_selectorILNS1_17partition_subalgoE8EdNS0_10empty_typeEbEEZZNS1_14partition_implILS5_8ELb0ES3_jPKdPS6_PKS6_NS0_5tupleIJPdS6_EEENSE_IJSB_SB_EEENS0_18inequality_wrapperIN6hipcub16HIPCUB_304000_NS8EqualityEEEPlJS6_EEE10hipError_tPvRmT3_T4_T5_T6_T7_T9_mT8_P12ihipStream_tbDpT10_ENKUlT_T0_E_clISt17integral_constantIbLb1EES16_IbLb0EEEEDaS12_S13_EUlS12_E_NS1_11comp_targetILNS1_3genE9ELNS1_11target_archE1100ELNS1_3gpuE3ELNS1_3repE0EEENS1_30default_config_static_selectorELNS0_4arch9wavefront6targetE1EEEvT1_
		.amdhsa_group_segment_fixed_size 0
		.amdhsa_private_segment_fixed_size 0
		.amdhsa_kernarg_size 112
		.amdhsa_user_sgpr_count 2
		.amdhsa_user_sgpr_dispatch_ptr 0
		.amdhsa_user_sgpr_queue_ptr 0
		.amdhsa_user_sgpr_kernarg_segment_ptr 1
		.amdhsa_user_sgpr_dispatch_id 0
		.amdhsa_user_sgpr_kernarg_preload_length 0
		.amdhsa_user_sgpr_kernarg_preload_offset 0
		.amdhsa_user_sgpr_private_segment_size 0
		.amdhsa_uses_dynamic_stack 0
		.amdhsa_enable_private_segment 0
		.amdhsa_system_sgpr_workgroup_id_x 1
		.amdhsa_system_sgpr_workgroup_id_y 0
		.amdhsa_system_sgpr_workgroup_id_z 0
		.amdhsa_system_sgpr_workgroup_info 0
		.amdhsa_system_vgpr_workitem_id 0
		.amdhsa_next_free_vgpr 1
		.amdhsa_next_free_sgpr 0
		.amdhsa_accum_offset 4
		.amdhsa_reserve_vcc 0
		.amdhsa_float_round_mode_32 0
		.amdhsa_float_round_mode_16_64 0
		.amdhsa_float_denorm_mode_32 3
		.amdhsa_float_denorm_mode_16_64 3
		.amdhsa_dx10_clamp 1
		.amdhsa_ieee_mode 1
		.amdhsa_fp16_overflow 0
		.amdhsa_tg_split 0
		.amdhsa_exception_fp_ieee_invalid_op 0
		.amdhsa_exception_fp_denorm_src 0
		.amdhsa_exception_fp_ieee_div_zero 0
		.amdhsa_exception_fp_ieee_overflow 0
		.amdhsa_exception_fp_ieee_underflow 0
		.amdhsa_exception_fp_ieee_inexact 0
		.amdhsa_exception_int_div_zero 0
	.end_amdhsa_kernel
	.section	.text._ZN7rocprim17ROCPRIM_400000_NS6detail17trampoline_kernelINS0_14default_configENS1_25partition_config_selectorILNS1_17partition_subalgoE8EdNS0_10empty_typeEbEEZZNS1_14partition_implILS5_8ELb0ES3_jPKdPS6_PKS6_NS0_5tupleIJPdS6_EEENSE_IJSB_SB_EEENS0_18inequality_wrapperIN6hipcub16HIPCUB_304000_NS8EqualityEEEPlJS6_EEE10hipError_tPvRmT3_T4_T5_T6_T7_T9_mT8_P12ihipStream_tbDpT10_ENKUlT_T0_E_clISt17integral_constantIbLb1EES16_IbLb0EEEEDaS12_S13_EUlS12_E_NS1_11comp_targetILNS1_3genE9ELNS1_11target_archE1100ELNS1_3gpuE3ELNS1_3repE0EEENS1_30default_config_static_selectorELNS0_4arch9wavefront6targetE1EEEvT1_,"axG",@progbits,_ZN7rocprim17ROCPRIM_400000_NS6detail17trampoline_kernelINS0_14default_configENS1_25partition_config_selectorILNS1_17partition_subalgoE8EdNS0_10empty_typeEbEEZZNS1_14partition_implILS5_8ELb0ES3_jPKdPS6_PKS6_NS0_5tupleIJPdS6_EEENSE_IJSB_SB_EEENS0_18inequality_wrapperIN6hipcub16HIPCUB_304000_NS8EqualityEEEPlJS6_EEE10hipError_tPvRmT3_T4_T5_T6_T7_T9_mT8_P12ihipStream_tbDpT10_ENKUlT_T0_E_clISt17integral_constantIbLb1EES16_IbLb0EEEEDaS12_S13_EUlS12_E_NS1_11comp_targetILNS1_3genE9ELNS1_11target_archE1100ELNS1_3gpuE3ELNS1_3repE0EEENS1_30default_config_static_selectorELNS0_4arch9wavefront6targetE1EEEvT1_,comdat
.Lfunc_end294:
	.size	_ZN7rocprim17ROCPRIM_400000_NS6detail17trampoline_kernelINS0_14default_configENS1_25partition_config_selectorILNS1_17partition_subalgoE8EdNS0_10empty_typeEbEEZZNS1_14partition_implILS5_8ELb0ES3_jPKdPS6_PKS6_NS0_5tupleIJPdS6_EEENSE_IJSB_SB_EEENS0_18inequality_wrapperIN6hipcub16HIPCUB_304000_NS8EqualityEEEPlJS6_EEE10hipError_tPvRmT3_T4_T5_T6_T7_T9_mT8_P12ihipStream_tbDpT10_ENKUlT_T0_E_clISt17integral_constantIbLb1EES16_IbLb0EEEEDaS12_S13_EUlS12_E_NS1_11comp_targetILNS1_3genE9ELNS1_11target_archE1100ELNS1_3gpuE3ELNS1_3repE0EEENS1_30default_config_static_selectorELNS0_4arch9wavefront6targetE1EEEvT1_, .Lfunc_end294-_ZN7rocprim17ROCPRIM_400000_NS6detail17trampoline_kernelINS0_14default_configENS1_25partition_config_selectorILNS1_17partition_subalgoE8EdNS0_10empty_typeEbEEZZNS1_14partition_implILS5_8ELb0ES3_jPKdPS6_PKS6_NS0_5tupleIJPdS6_EEENSE_IJSB_SB_EEENS0_18inequality_wrapperIN6hipcub16HIPCUB_304000_NS8EqualityEEEPlJS6_EEE10hipError_tPvRmT3_T4_T5_T6_T7_T9_mT8_P12ihipStream_tbDpT10_ENKUlT_T0_E_clISt17integral_constantIbLb1EES16_IbLb0EEEEDaS12_S13_EUlS12_E_NS1_11comp_targetILNS1_3genE9ELNS1_11target_archE1100ELNS1_3gpuE3ELNS1_3repE0EEENS1_30default_config_static_selectorELNS0_4arch9wavefront6targetE1EEEvT1_
                                        ; -- End function
	.section	.AMDGPU.csdata,"",@progbits
; Kernel info:
; codeLenInByte = 0
; NumSgprs: 6
; NumVgprs: 0
; NumAgprs: 0
; TotalNumVgprs: 0
; ScratchSize: 0
; MemoryBound: 0
; FloatMode: 240
; IeeeMode: 1
; LDSByteSize: 0 bytes/workgroup (compile time only)
; SGPRBlocks: 0
; VGPRBlocks: 0
; NumSGPRsForWavesPerEU: 6
; NumVGPRsForWavesPerEU: 1
; AccumOffset: 4
; Occupancy: 8
; WaveLimiterHint : 0
; COMPUTE_PGM_RSRC2:SCRATCH_EN: 0
; COMPUTE_PGM_RSRC2:USER_SGPR: 2
; COMPUTE_PGM_RSRC2:TRAP_HANDLER: 0
; COMPUTE_PGM_RSRC2:TGID_X_EN: 1
; COMPUTE_PGM_RSRC2:TGID_Y_EN: 0
; COMPUTE_PGM_RSRC2:TGID_Z_EN: 0
; COMPUTE_PGM_RSRC2:TIDIG_COMP_CNT: 0
; COMPUTE_PGM_RSRC3_GFX90A:ACCUM_OFFSET: 0
; COMPUTE_PGM_RSRC3_GFX90A:TG_SPLIT: 0
	.section	.text._ZN7rocprim17ROCPRIM_400000_NS6detail17trampoline_kernelINS0_14default_configENS1_25partition_config_selectorILNS1_17partition_subalgoE8EdNS0_10empty_typeEbEEZZNS1_14partition_implILS5_8ELb0ES3_jPKdPS6_PKS6_NS0_5tupleIJPdS6_EEENSE_IJSB_SB_EEENS0_18inequality_wrapperIN6hipcub16HIPCUB_304000_NS8EqualityEEEPlJS6_EEE10hipError_tPvRmT3_T4_T5_T6_T7_T9_mT8_P12ihipStream_tbDpT10_ENKUlT_T0_E_clISt17integral_constantIbLb1EES16_IbLb0EEEEDaS12_S13_EUlS12_E_NS1_11comp_targetILNS1_3genE8ELNS1_11target_archE1030ELNS1_3gpuE2ELNS1_3repE0EEENS1_30default_config_static_selectorELNS0_4arch9wavefront6targetE1EEEvT1_,"axG",@progbits,_ZN7rocprim17ROCPRIM_400000_NS6detail17trampoline_kernelINS0_14default_configENS1_25partition_config_selectorILNS1_17partition_subalgoE8EdNS0_10empty_typeEbEEZZNS1_14partition_implILS5_8ELb0ES3_jPKdPS6_PKS6_NS0_5tupleIJPdS6_EEENSE_IJSB_SB_EEENS0_18inequality_wrapperIN6hipcub16HIPCUB_304000_NS8EqualityEEEPlJS6_EEE10hipError_tPvRmT3_T4_T5_T6_T7_T9_mT8_P12ihipStream_tbDpT10_ENKUlT_T0_E_clISt17integral_constantIbLb1EES16_IbLb0EEEEDaS12_S13_EUlS12_E_NS1_11comp_targetILNS1_3genE8ELNS1_11target_archE1030ELNS1_3gpuE2ELNS1_3repE0EEENS1_30default_config_static_selectorELNS0_4arch9wavefront6targetE1EEEvT1_,comdat
	.protected	_ZN7rocprim17ROCPRIM_400000_NS6detail17trampoline_kernelINS0_14default_configENS1_25partition_config_selectorILNS1_17partition_subalgoE8EdNS0_10empty_typeEbEEZZNS1_14partition_implILS5_8ELb0ES3_jPKdPS6_PKS6_NS0_5tupleIJPdS6_EEENSE_IJSB_SB_EEENS0_18inequality_wrapperIN6hipcub16HIPCUB_304000_NS8EqualityEEEPlJS6_EEE10hipError_tPvRmT3_T4_T5_T6_T7_T9_mT8_P12ihipStream_tbDpT10_ENKUlT_T0_E_clISt17integral_constantIbLb1EES16_IbLb0EEEEDaS12_S13_EUlS12_E_NS1_11comp_targetILNS1_3genE8ELNS1_11target_archE1030ELNS1_3gpuE2ELNS1_3repE0EEENS1_30default_config_static_selectorELNS0_4arch9wavefront6targetE1EEEvT1_ ; -- Begin function _ZN7rocprim17ROCPRIM_400000_NS6detail17trampoline_kernelINS0_14default_configENS1_25partition_config_selectorILNS1_17partition_subalgoE8EdNS0_10empty_typeEbEEZZNS1_14partition_implILS5_8ELb0ES3_jPKdPS6_PKS6_NS0_5tupleIJPdS6_EEENSE_IJSB_SB_EEENS0_18inequality_wrapperIN6hipcub16HIPCUB_304000_NS8EqualityEEEPlJS6_EEE10hipError_tPvRmT3_T4_T5_T6_T7_T9_mT8_P12ihipStream_tbDpT10_ENKUlT_T0_E_clISt17integral_constantIbLb1EES16_IbLb0EEEEDaS12_S13_EUlS12_E_NS1_11comp_targetILNS1_3genE8ELNS1_11target_archE1030ELNS1_3gpuE2ELNS1_3repE0EEENS1_30default_config_static_selectorELNS0_4arch9wavefront6targetE1EEEvT1_
	.globl	_ZN7rocprim17ROCPRIM_400000_NS6detail17trampoline_kernelINS0_14default_configENS1_25partition_config_selectorILNS1_17partition_subalgoE8EdNS0_10empty_typeEbEEZZNS1_14partition_implILS5_8ELb0ES3_jPKdPS6_PKS6_NS0_5tupleIJPdS6_EEENSE_IJSB_SB_EEENS0_18inequality_wrapperIN6hipcub16HIPCUB_304000_NS8EqualityEEEPlJS6_EEE10hipError_tPvRmT3_T4_T5_T6_T7_T9_mT8_P12ihipStream_tbDpT10_ENKUlT_T0_E_clISt17integral_constantIbLb1EES16_IbLb0EEEEDaS12_S13_EUlS12_E_NS1_11comp_targetILNS1_3genE8ELNS1_11target_archE1030ELNS1_3gpuE2ELNS1_3repE0EEENS1_30default_config_static_selectorELNS0_4arch9wavefront6targetE1EEEvT1_
	.p2align	8
	.type	_ZN7rocprim17ROCPRIM_400000_NS6detail17trampoline_kernelINS0_14default_configENS1_25partition_config_selectorILNS1_17partition_subalgoE8EdNS0_10empty_typeEbEEZZNS1_14partition_implILS5_8ELb0ES3_jPKdPS6_PKS6_NS0_5tupleIJPdS6_EEENSE_IJSB_SB_EEENS0_18inequality_wrapperIN6hipcub16HIPCUB_304000_NS8EqualityEEEPlJS6_EEE10hipError_tPvRmT3_T4_T5_T6_T7_T9_mT8_P12ihipStream_tbDpT10_ENKUlT_T0_E_clISt17integral_constantIbLb1EES16_IbLb0EEEEDaS12_S13_EUlS12_E_NS1_11comp_targetILNS1_3genE8ELNS1_11target_archE1030ELNS1_3gpuE2ELNS1_3repE0EEENS1_30default_config_static_selectorELNS0_4arch9wavefront6targetE1EEEvT1_,@function
_ZN7rocprim17ROCPRIM_400000_NS6detail17trampoline_kernelINS0_14default_configENS1_25partition_config_selectorILNS1_17partition_subalgoE8EdNS0_10empty_typeEbEEZZNS1_14partition_implILS5_8ELb0ES3_jPKdPS6_PKS6_NS0_5tupleIJPdS6_EEENSE_IJSB_SB_EEENS0_18inequality_wrapperIN6hipcub16HIPCUB_304000_NS8EqualityEEEPlJS6_EEE10hipError_tPvRmT3_T4_T5_T6_T7_T9_mT8_P12ihipStream_tbDpT10_ENKUlT_T0_E_clISt17integral_constantIbLb1EES16_IbLb0EEEEDaS12_S13_EUlS12_E_NS1_11comp_targetILNS1_3genE8ELNS1_11target_archE1030ELNS1_3gpuE2ELNS1_3repE0EEENS1_30default_config_static_selectorELNS0_4arch9wavefront6targetE1EEEvT1_: ; @_ZN7rocprim17ROCPRIM_400000_NS6detail17trampoline_kernelINS0_14default_configENS1_25partition_config_selectorILNS1_17partition_subalgoE8EdNS0_10empty_typeEbEEZZNS1_14partition_implILS5_8ELb0ES3_jPKdPS6_PKS6_NS0_5tupleIJPdS6_EEENSE_IJSB_SB_EEENS0_18inequality_wrapperIN6hipcub16HIPCUB_304000_NS8EqualityEEEPlJS6_EEE10hipError_tPvRmT3_T4_T5_T6_T7_T9_mT8_P12ihipStream_tbDpT10_ENKUlT_T0_E_clISt17integral_constantIbLb1EES16_IbLb0EEEEDaS12_S13_EUlS12_E_NS1_11comp_targetILNS1_3genE8ELNS1_11target_archE1030ELNS1_3gpuE2ELNS1_3repE0EEENS1_30default_config_static_selectorELNS0_4arch9wavefront6targetE1EEEvT1_
; %bb.0:
	.section	.rodata,"a",@progbits
	.p2align	6, 0x0
	.amdhsa_kernel _ZN7rocprim17ROCPRIM_400000_NS6detail17trampoline_kernelINS0_14default_configENS1_25partition_config_selectorILNS1_17partition_subalgoE8EdNS0_10empty_typeEbEEZZNS1_14partition_implILS5_8ELb0ES3_jPKdPS6_PKS6_NS0_5tupleIJPdS6_EEENSE_IJSB_SB_EEENS0_18inequality_wrapperIN6hipcub16HIPCUB_304000_NS8EqualityEEEPlJS6_EEE10hipError_tPvRmT3_T4_T5_T6_T7_T9_mT8_P12ihipStream_tbDpT10_ENKUlT_T0_E_clISt17integral_constantIbLb1EES16_IbLb0EEEEDaS12_S13_EUlS12_E_NS1_11comp_targetILNS1_3genE8ELNS1_11target_archE1030ELNS1_3gpuE2ELNS1_3repE0EEENS1_30default_config_static_selectorELNS0_4arch9wavefront6targetE1EEEvT1_
		.amdhsa_group_segment_fixed_size 0
		.amdhsa_private_segment_fixed_size 0
		.amdhsa_kernarg_size 112
		.amdhsa_user_sgpr_count 2
		.amdhsa_user_sgpr_dispatch_ptr 0
		.amdhsa_user_sgpr_queue_ptr 0
		.amdhsa_user_sgpr_kernarg_segment_ptr 1
		.amdhsa_user_sgpr_dispatch_id 0
		.amdhsa_user_sgpr_kernarg_preload_length 0
		.amdhsa_user_sgpr_kernarg_preload_offset 0
		.amdhsa_user_sgpr_private_segment_size 0
		.amdhsa_uses_dynamic_stack 0
		.amdhsa_enable_private_segment 0
		.amdhsa_system_sgpr_workgroup_id_x 1
		.amdhsa_system_sgpr_workgroup_id_y 0
		.amdhsa_system_sgpr_workgroup_id_z 0
		.amdhsa_system_sgpr_workgroup_info 0
		.amdhsa_system_vgpr_workitem_id 0
		.amdhsa_next_free_vgpr 1
		.amdhsa_next_free_sgpr 0
		.amdhsa_accum_offset 4
		.amdhsa_reserve_vcc 0
		.amdhsa_float_round_mode_32 0
		.amdhsa_float_round_mode_16_64 0
		.amdhsa_float_denorm_mode_32 3
		.amdhsa_float_denorm_mode_16_64 3
		.amdhsa_dx10_clamp 1
		.amdhsa_ieee_mode 1
		.amdhsa_fp16_overflow 0
		.amdhsa_tg_split 0
		.amdhsa_exception_fp_ieee_invalid_op 0
		.amdhsa_exception_fp_denorm_src 0
		.amdhsa_exception_fp_ieee_div_zero 0
		.amdhsa_exception_fp_ieee_overflow 0
		.amdhsa_exception_fp_ieee_underflow 0
		.amdhsa_exception_fp_ieee_inexact 0
		.amdhsa_exception_int_div_zero 0
	.end_amdhsa_kernel
	.section	.text._ZN7rocprim17ROCPRIM_400000_NS6detail17trampoline_kernelINS0_14default_configENS1_25partition_config_selectorILNS1_17partition_subalgoE8EdNS0_10empty_typeEbEEZZNS1_14partition_implILS5_8ELb0ES3_jPKdPS6_PKS6_NS0_5tupleIJPdS6_EEENSE_IJSB_SB_EEENS0_18inequality_wrapperIN6hipcub16HIPCUB_304000_NS8EqualityEEEPlJS6_EEE10hipError_tPvRmT3_T4_T5_T6_T7_T9_mT8_P12ihipStream_tbDpT10_ENKUlT_T0_E_clISt17integral_constantIbLb1EES16_IbLb0EEEEDaS12_S13_EUlS12_E_NS1_11comp_targetILNS1_3genE8ELNS1_11target_archE1030ELNS1_3gpuE2ELNS1_3repE0EEENS1_30default_config_static_selectorELNS0_4arch9wavefront6targetE1EEEvT1_,"axG",@progbits,_ZN7rocprim17ROCPRIM_400000_NS6detail17trampoline_kernelINS0_14default_configENS1_25partition_config_selectorILNS1_17partition_subalgoE8EdNS0_10empty_typeEbEEZZNS1_14partition_implILS5_8ELb0ES3_jPKdPS6_PKS6_NS0_5tupleIJPdS6_EEENSE_IJSB_SB_EEENS0_18inequality_wrapperIN6hipcub16HIPCUB_304000_NS8EqualityEEEPlJS6_EEE10hipError_tPvRmT3_T4_T5_T6_T7_T9_mT8_P12ihipStream_tbDpT10_ENKUlT_T0_E_clISt17integral_constantIbLb1EES16_IbLb0EEEEDaS12_S13_EUlS12_E_NS1_11comp_targetILNS1_3genE8ELNS1_11target_archE1030ELNS1_3gpuE2ELNS1_3repE0EEENS1_30default_config_static_selectorELNS0_4arch9wavefront6targetE1EEEvT1_,comdat
.Lfunc_end295:
	.size	_ZN7rocprim17ROCPRIM_400000_NS6detail17trampoline_kernelINS0_14default_configENS1_25partition_config_selectorILNS1_17partition_subalgoE8EdNS0_10empty_typeEbEEZZNS1_14partition_implILS5_8ELb0ES3_jPKdPS6_PKS6_NS0_5tupleIJPdS6_EEENSE_IJSB_SB_EEENS0_18inequality_wrapperIN6hipcub16HIPCUB_304000_NS8EqualityEEEPlJS6_EEE10hipError_tPvRmT3_T4_T5_T6_T7_T9_mT8_P12ihipStream_tbDpT10_ENKUlT_T0_E_clISt17integral_constantIbLb1EES16_IbLb0EEEEDaS12_S13_EUlS12_E_NS1_11comp_targetILNS1_3genE8ELNS1_11target_archE1030ELNS1_3gpuE2ELNS1_3repE0EEENS1_30default_config_static_selectorELNS0_4arch9wavefront6targetE1EEEvT1_, .Lfunc_end295-_ZN7rocprim17ROCPRIM_400000_NS6detail17trampoline_kernelINS0_14default_configENS1_25partition_config_selectorILNS1_17partition_subalgoE8EdNS0_10empty_typeEbEEZZNS1_14partition_implILS5_8ELb0ES3_jPKdPS6_PKS6_NS0_5tupleIJPdS6_EEENSE_IJSB_SB_EEENS0_18inequality_wrapperIN6hipcub16HIPCUB_304000_NS8EqualityEEEPlJS6_EEE10hipError_tPvRmT3_T4_T5_T6_T7_T9_mT8_P12ihipStream_tbDpT10_ENKUlT_T0_E_clISt17integral_constantIbLb1EES16_IbLb0EEEEDaS12_S13_EUlS12_E_NS1_11comp_targetILNS1_3genE8ELNS1_11target_archE1030ELNS1_3gpuE2ELNS1_3repE0EEENS1_30default_config_static_selectorELNS0_4arch9wavefront6targetE1EEEvT1_
                                        ; -- End function
	.section	.AMDGPU.csdata,"",@progbits
; Kernel info:
; codeLenInByte = 0
; NumSgprs: 6
; NumVgprs: 0
; NumAgprs: 0
; TotalNumVgprs: 0
; ScratchSize: 0
; MemoryBound: 0
; FloatMode: 240
; IeeeMode: 1
; LDSByteSize: 0 bytes/workgroup (compile time only)
; SGPRBlocks: 0
; VGPRBlocks: 0
; NumSGPRsForWavesPerEU: 6
; NumVGPRsForWavesPerEU: 1
; AccumOffset: 4
; Occupancy: 8
; WaveLimiterHint : 0
; COMPUTE_PGM_RSRC2:SCRATCH_EN: 0
; COMPUTE_PGM_RSRC2:USER_SGPR: 2
; COMPUTE_PGM_RSRC2:TRAP_HANDLER: 0
; COMPUTE_PGM_RSRC2:TGID_X_EN: 1
; COMPUTE_PGM_RSRC2:TGID_Y_EN: 0
; COMPUTE_PGM_RSRC2:TGID_Z_EN: 0
; COMPUTE_PGM_RSRC2:TIDIG_COMP_CNT: 0
; COMPUTE_PGM_RSRC3_GFX90A:ACCUM_OFFSET: 0
; COMPUTE_PGM_RSRC3_GFX90A:TG_SPLIT: 0
	.section	.text._ZN7rocprim17ROCPRIM_400000_NS6detail17trampoline_kernelINS0_14default_configENS1_25partition_config_selectorILNS1_17partition_subalgoE8EdNS0_10empty_typeEbEEZZNS1_14partition_implILS5_8ELb0ES3_jPKdPS6_PKS6_NS0_5tupleIJPdS6_EEENSE_IJSB_SB_EEENS0_18inequality_wrapperIN6hipcub16HIPCUB_304000_NS8EqualityEEEPlJS6_EEE10hipError_tPvRmT3_T4_T5_T6_T7_T9_mT8_P12ihipStream_tbDpT10_ENKUlT_T0_E_clISt17integral_constantIbLb0EES16_IbLb1EEEEDaS12_S13_EUlS12_E_NS1_11comp_targetILNS1_3genE0ELNS1_11target_archE4294967295ELNS1_3gpuE0ELNS1_3repE0EEENS1_30default_config_static_selectorELNS0_4arch9wavefront6targetE1EEEvT1_,"axG",@progbits,_ZN7rocprim17ROCPRIM_400000_NS6detail17trampoline_kernelINS0_14default_configENS1_25partition_config_selectorILNS1_17partition_subalgoE8EdNS0_10empty_typeEbEEZZNS1_14partition_implILS5_8ELb0ES3_jPKdPS6_PKS6_NS0_5tupleIJPdS6_EEENSE_IJSB_SB_EEENS0_18inequality_wrapperIN6hipcub16HIPCUB_304000_NS8EqualityEEEPlJS6_EEE10hipError_tPvRmT3_T4_T5_T6_T7_T9_mT8_P12ihipStream_tbDpT10_ENKUlT_T0_E_clISt17integral_constantIbLb0EES16_IbLb1EEEEDaS12_S13_EUlS12_E_NS1_11comp_targetILNS1_3genE0ELNS1_11target_archE4294967295ELNS1_3gpuE0ELNS1_3repE0EEENS1_30default_config_static_selectorELNS0_4arch9wavefront6targetE1EEEvT1_,comdat
	.protected	_ZN7rocprim17ROCPRIM_400000_NS6detail17trampoline_kernelINS0_14default_configENS1_25partition_config_selectorILNS1_17partition_subalgoE8EdNS0_10empty_typeEbEEZZNS1_14partition_implILS5_8ELb0ES3_jPKdPS6_PKS6_NS0_5tupleIJPdS6_EEENSE_IJSB_SB_EEENS0_18inequality_wrapperIN6hipcub16HIPCUB_304000_NS8EqualityEEEPlJS6_EEE10hipError_tPvRmT3_T4_T5_T6_T7_T9_mT8_P12ihipStream_tbDpT10_ENKUlT_T0_E_clISt17integral_constantIbLb0EES16_IbLb1EEEEDaS12_S13_EUlS12_E_NS1_11comp_targetILNS1_3genE0ELNS1_11target_archE4294967295ELNS1_3gpuE0ELNS1_3repE0EEENS1_30default_config_static_selectorELNS0_4arch9wavefront6targetE1EEEvT1_ ; -- Begin function _ZN7rocprim17ROCPRIM_400000_NS6detail17trampoline_kernelINS0_14default_configENS1_25partition_config_selectorILNS1_17partition_subalgoE8EdNS0_10empty_typeEbEEZZNS1_14partition_implILS5_8ELb0ES3_jPKdPS6_PKS6_NS0_5tupleIJPdS6_EEENSE_IJSB_SB_EEENS0_18inequality_wrapperIN6hipcub16HIPCUB_304000_NS8EqualityEEEPlJS6_EEE10hipError_tPvRmT3_T4_T5_T6_T7_T9_mT8_P12ihipStream_tbDpT10_ENKUlT_T0_E_clISt17integral_constantIbLb0EES16_IbLb1EEEEDaS12_S13_EUlS12_E_NS1_11comp_targetILNS1_3genE0ELNS1_11target_archE4294967295ELNS1_3gpuE0ELNS1_3repE0EEENS1_30default_config_static_selectorELNS0_4arch9wavefront6targetE1EEEvT1_
	.globl	_ZN7rocprim17ROCPRIM_400000_NS6detail17trampoline_kernelINS0_14default_configENS1_25partition_config_selectorILNS1_17partition_subalgoE8EdNS0_10empty_typeEbEEZZNS1_14partition_implILS5_8ELb0ES3_jPKdPS6_PKS6_NS0_5tupleIJPdS6_EEENSE_IJSB_SB_EEENS0_18inequality_wrapperIN6hipcub16HIPCUB_304000_NS8EqualityEEEPlJS6_EEE10hipError_tPvRmT3_T4_T5_T6_T7_T9_mT8_P12ihipStream_tbDpT10_ENKUlT_T0_E_clISt17integral_constantIbLb0EES16_IbLb1EEEEDaS12_S13_EUlS12_E_NS1_11comp_targetILNS1_3genE0ELNS1_11target_archE4294967295ELNS1_3gpuE0ELNS1_3repE0EEENS1_30default_config_static_selectorELNS0_4arch9wavefront6targetE1EEEvT1_
	.p2align	8
	.type	_ZN7rocprim17ROCPRIM_400000_NS6detail17trampoline_kernelINS0_14default_configENS1_25partition_config_selectorILNS1_17partition_subalgoE8EdNS0_10empty_typeEbEEZZNS1_14partition_implILS5_8ELb0ES3_jPKdPS6_PKS6_NS0_5tupleIJPdS6_EEENSE_IJSB_SB_EEENS0_18inequality_wrapperIN6hipcub16HIPCUB_304000_NS8EqualityEEEPlJS6_EEE10hipError_tPvRmT3_T4_T5_T6_T7_T9_mT8_P12ihipStream_tbDpT10_ENKUlT_T0_E_clISt17integral_constantIbLb0EES16_IbLb1EEEEDaS12_S13_EUlS12_E_NS1_11comp_targetILNS1_3genE0ELNS1_11target_archE4294967295ELNS1_3gpuE0ELNS1_3repE0EEENS1_30default_config_static_selectorELNS0_4arch9wavefront6targetE1EEEvT1_,@function
_ZN7rocprim17ROCPRIM_400000_NS6detail17trampoline_kernelINS0_14default_configENS1_25partition_config_selectorILNS1_17partition_subalgoE8EdNS0_10empty_typeEbEEZZNS1_14partition_implILS5_8ELb0ES3_jPKdPS6_PKS6_NS0_5tupleIJPdS6_EEENSE_IJSB_SB_EEENS0_18inequality_wrapperIN6hipcub16HIPCUB_304000_NS8EqualityEEEPlJS6_EEE10hipError_tPvRmT3_T4_T5_T6_T7_T9_mT8_P12ihipStream_tbDpT10_ENKUlT_T0_E_clISt17integral_constantIbLb0EES16_IbLb1EEEEDaS12_S13_EUlS12_E_NS1_11comp_targetILNS1_3genE0ELNS1_11target_archE4294967295ELNS1_3gpuE0ELNS1_3repE0EEENS1_30default_config_static_selectorELNS0_4arch9wavefront6targetE1EEEvT1_: ; @_ZN7rocprim17ROCPRIM_400000_NS6detail17trampoline_kernelINS0_14default_configENS1_25partition_config_selectorILNS1_17partition_subalgoE8EdNS0_10empty_typeEbEEZZNS1_14partition_implILS5_8ELb0ES3_jPKdPS6_PKS6_NS0_5tupleIJPdS6_EEENSE_IJSB_SB_EEENS0_18inequality_wrapperIN6hipcub16HIPCUB_304000_NS8EqualityEEEPlJS6_EEE10hipError_tPvRmT3_T4_T5_T6_T7_T9_mT8_P12ihipStream_tbDpT10_ENKUlT_T0_E_clISt17integral_constantIbLb0EES16_IbLb1EEEEDaS12_S13_EUlS12_E_NS1_11comp_targetILNS1_3genE0ELNS1_11target_archE4294967295ELNS1_3gpuE0ELNS1_3repE0EEENS1_30default_config_static_selectorELNS0_4arch9wavefront6targetE1EEEvT1_
; %bb.0:
	.section	.rodata,"a",@progbits
	.p2align	6, 0x0
	.amdhsa_kernel _ZN7rocprim17ROCPRIM_400000_NS6detail17trampoline_kernelINS0_14default_configENS1_25partition_config_selectorILNS1_17partition_subalgoE8EdNS0_10empty_typeEbEEZZNS1_14partition_implILS5_8ELb0ES3_jPKdPS6_PKS6_NS0_5tupleIJPdS6_EEENSE_IJSB_SB_EEENS0_18inequality_wrapperIN6hipcub16HIPCUB_304000_NS8EqualityEEEPlJS6_EEE10hipError_tPvRmT3_T4_T5_T6_T7_T9_mT8_P12ihipStream_tbDpT10_ENKUlT_T0_E_clISt17integral_constantIbLb0EES16_IbLb1EEEEDaS12_S13_EUlS12_E_NS1_11comp_targetILNS1_3genE0ELNS1_11target_archE4294967295ELNS1_3gpuE0ELNS1_3repE0EEENS1_30default_config_static_selectorELNS0_4arch9wavefront6targetE1EEEvT1_
		.amdhsa_group_segment_fixed_size 0
		.amdhsa_private_segment_fixed_size 0
		.amdhsa_kernarg_size 128
		.amdhsa_user_sgpr_count 2
		.amdhsa_user_sgpr_dispatch_ptr 0
		.amdhsa_user_sgpr_queue_ptr 0
		.amdhsa_user_sgpr_kernarg_segment_ptr 1
		.amdhsa_user_sgpr_dispatch_id 0
		.amdhsa_user_sgpr_kernarg_preload_length 0
		.amdhsa_user_sgpr_kernarg_preload_offset 0
		.amdhsa_user_sgpr_private_segment_size 0
		.amdhsa_uses_dynamic_stack 0
		.amdhsa_enable_private_segment 0
		.amdhsa_system_sgpr_workgroup_id_x 1
		.amdhsa_system_sgpr_workgroup_id_y 0
		.amdhsa_system_sgpr_workgroup_id_z 0
		.amdhsa_system_sgpr_workgroup_info 0
		.amdhsa_system_vgpr_workitem_id 0
		.amdhsa_next_free_vgpr 1
		.amdhsa_next_free_sgpr 0
		.amdhsa_accum_offset 4
		.amdhsa_reserve_vcc 0
		.amdhsa_float_round_mode_32 0
		.amdhsa_float_round_mode_16_64 0
		.amdhsa_float_denorm_mode_32 3
		.amdhsa_float_denorm_mode_16_64 3
		.amdhsa_dx10_clamp 1
		.amdhsa_ieee_mode 1
		.amdhsa_fp16_overflow 0
		.amdhsa_tg_split 0
		.amdhsa_exception_fp_ieee_invalid_op 0
		.amdhsa_exception_fp_denorm_src 0
		.amdhsa_exception_fp_ieee_div_zero 0
		.amdhsa_exception_fp_ieee_overflow 0
		.amdhsa_exception_fp_ieee_underflow 0
		.amdhsa_exception_fp_ieee_inexact 0
		.amdhsa_exception_int_div_zero 0
	.end_amdhsa_kernel
	.section	.text._ZN7rocprim17ROCPRIM_400000_NS6detail17trampoline_kernelINS0_14default_configENS1_25partition_config_selectorILNS1_17partition_subalgoE8EdNS0_10empty_typeEbEEZZNS1_14partition_implILS5_8ELb0ES3_jPKdPS6_PKS6_NS0_5tupleIJPdS6_EEENSE_IJSB_SB_EEENS0_18inequality_wrapperIN6hipcub16HIPCUB_304000_NS8EqualityEEEPlJS6_EEE10hipError_tPvRmT3_T4_T5_T6_T7_T9_mT8_P12ihipStream_tbDpT10_ENKUlT_T0_E_clISt17integral_constantIbLb0EES16_IbLb1EEEEDaS12_S13_EUlS12_E_NS1_11comp_targetILNS1_3genE0ELNS1_11target_archE4294967295ELNS1_3gpuE0ELNS1_3repE0EEENS1_30default_config_static_selectorELNS0_4arch9wavefront6targetE1EEEvT1_,"axG",@progbits,_ZN7rocprim17ROCPRIM_400000_NS6detail17trampoline_kernelINS0_14default_configENS1_25partition_config_selectorILNS1_17partition_subalgoE8EdNS0_10empty_typeEbEEZZNS1_14partition_implILS5_8ELb0ES3_jPKdPS6_PKS6_NS0_5tupleIJPdS6_EEENSE_IJSB_SB_EEENS0_18inequality_wrapperIN6hipcub16HIPCUB_304000_NS8EqualityEEEPlJS6_EEE10hipError_tPvRmT3_T4_T5_T6_T7_T9_mT8_P12ihipStream_tbDpT10_ENKUlT_T0_E_clISt17integral_constantIbLb0EES16_IbLb1EEEEDaS12_S13_EUlS12_E_NS1_11comp_targetILNS1_3genE0ELNS1_11target_archE4294967295ELNS1_3gpuE0ELNS1_3repE0EEENS1_30default_config_static_selectorELNS0_4arch9wavefront6targetE1EEEvT1_,comdat
.Lfunc_end296:
	.size	_ZN7rocprim17ROCPRIM_400000_NS6detail17trampoline_kernelINS0_14default_configENS1_25partition_config_selectorILNS1_17partition_subalgoE8EdNS0_10empty_typeEbEEZZNS1_14partition_implILS5_8ELb0ES3_jPKdPS6_PKS6_NS0_5tupleIJPdS6_EEENSE_IJSB_SB_EEENS0_18inequality_wrapperIN6hipcub16HIPCUB_304000_NS8EqualityEEEPlJS6_EEE10hipError_tPvRmT3_T4_T5_T6_T7_T9_mT8_P12ihipStream_tbDpT10_ENKUlT_T0_E_clISt17integral_constantIbLb0EES16_IbLb1EEEEDaS12_S13_EUlS12_E_NS1_11comp_targetILNS1_3genE0ELNS1_11target_archE4294967295ELNS1_3gpuE0ELNS1_3repE0EEENS1_30default_config_static_selectorELNS0_4arch9wavefront6targetE1EEEvT1_, .Lfunc_end296-_ZN7rocprim17ROCPRIM_400000_NS6detail17trampoline_kernelINS0_14default_configENS1_25partition_config_selectorILNS1_17partition_subalgoE8EdNS0_10empty_typeEbEEZZNS1_14partition_implILS5_8ELb0ES3_jPKdPS6_PKS6_NS0_5tupleIJPdS6_EEENSE_IJSB_SB_EEENS0_18inequality_wrapperIN6hipcub16HIPCUB_304000_NS8EqualityEEEPlJS6_EEE10hipError_tPvRmT3_T4_T5_T6_T7_T9_mT8_P12ihipStream_tbDpT10_ENKUlT_T0_E_clISt17integral_constantIbLb0EES16_IbLb1EEEEDaS12_S13_EUlS12_E_NS1_11comp_targetILNS1_3genE0ELNS1_11target_archE4294967295ELNS1_3gpuE0ELNS1_3repE0EEENS1_30default_config_static_selectorELNS0_4arch9wavefront6targetE1EEEvT1_
                                        ; -- End function
	.section	.AMDGPU.csdata,"",@progbits
; Kernel info:
; codeLenInByte = 0
; NumSgprs: 6
; NumVgprs: 0
; NumAgprs: 0
; TotalNumVgprs: 0
; ScratchSize: 0
; MemoryBound: 0
; FloatMode: 240
; IeeeMode: 1
; LDSByteSize: 0 bytes/workgroup (compile time only)
; SGPRBlocks: 0
; VGPRBlocks: 0
; NumSGPRsForWavesPerEU: 6
; NumVGPRsForWavesPerEU: 1
; AccumOffset: 4
; Occupancy: 8
; WaveLimiterHint : 0
; COMPUTE_PGM_RSRC2:SCRATCH_EN: 0
; COMPUTE_PGM_RSRC2:USER_SGPR: 2
; COMPUTE_PGM_RSRC2:TRAP_HANDLER: 0
; COMPUTE_PGM_RSRC2:TGID_X_EN: 1
; COMPUTE_PGM_RSRC2:TGID_Y_EN: 0
; COMPUTE_PGM_RSRC2:TGID_Z_EN: 0
; COMPUTE_PGM_RSRC2:TIDIG_COMP_CNT: 0
; COMPUTE_PGM_RSRC3_GFX90A:ACCUM_OFFSET: 0
; COMPUTE_PGM_RSRC3_GFX90A:TG_SPLIT: 0
	.section	.text._ZN7rocprim17ROCPRIM_400000_NS6detail17trampoline_kernelINS0_14default_configENS1_25partition_config_selectorILNS1_17partition_subalgoE8EdNS0_10empty_typeEbEEZZNS1_14partition_implILS5_8ELb0ES3_jPKdPS6_PKS6_NS0_5tupleIJPdS6_EEENSE_IJSB_SB_EEENS0_18inequality_wrapperIN6hipcub16HIPCUB_304000_NS8EqualityEEEPlJS6_EEE10hipError_tPvRmT3_T4_T5_T6_T7_T9_mT8_P12ihipStream_tbDpT10_ENKUlT_T0_E_clISt17integral_constantIbLb0EES16_IbLb1EEEEDaS12_S13_EUlS12_E_NS1_11comp_targetILNS1_3genE5ELNS1_11target_archE942ELNS1_3gpuE9ELNS1_3repE0EEENS1_30default_config_static_selectorELNS0_4arch9wavefront6targetE1EEEvT1_,"axG",@progbits,_ZN7rocprim17ROCPRIM_400000_NS6detail17trampoline_kernelINS0_14default_configENS1_25partition_config_selectorILNS1_17partition_subalgoE8EdNS0_10empty_typeEbEEZZNS1_14partition_implILS5_8ELb0ES3_jPKdPS6_PKS6_NS0_5tupleIJPdS6_EEENSE_IJSB_SB_EEENS0_18inequality_wrapperIN6hipcub16HIPCUB_304000_NS8EqualityEEEPlJS6_EEE10hipError_tPvRmT3_T4_T5_T6_T7_T9_mT8_P12ihipStream_tbDpT10_ENKUlT_T0_E_clISt17integral_constantIbLb0EES16_IbLb1EEEEDaS12_S13_EUlS12_E_NS1_11comp_targetILNS1_3genE5ELNS1_11target_archE942ELNS1_3gpuE9ELNS1_3repE0EEENS1_30default_config_static_selectorELNS0_4arch9wavefront6targetE1EEEvT1_,comdat
	.protected	_ZN7rocprim17ROCPRIM_400000_NS6detail17trampoline_kernelINS0_14default_configENS1_25partition_config_selectorILNS1_17partition_subalgoE8EdNS0_10empty_typeEbEEZZNS1_14partition_implILS5_8ELb0ES3_jPKdPS6_PKS6_NS0_5tupleIJPdS6_EEENSE_IJSB_SB_EEENS0_18inequality_wrapperIN6hipcub16HIPCUB_304000_NS8EqualityEEEPlJS6_EEE10hipError_tPvRmT3_T4_T5_T6_T7_T9_mT8_P12ihipStream_tbDpT10_ENKUlT_T0_E_clISt17integral_constantIbLb0EES16_IbLb1EEEEDaS12_S13_EUlS12_E_NS1_11comp_targetILNS1_3genE5ELNS1_11target_archE942ELNS1_3gpuE9ELNS1_3repE0EEENS1_30default_config_static_selectorELNS0_4arch9wavefront6targetE1EEEvT1_ ; -- Begin function _ZN7rocprim17ROCPRIM_400000_NS6detail17trampoline_kernelINS0_14default_configENS1_25partition_config_selectorILNS1_17partition_subalgoE8EdNS0_10empty_typeEbEEZZNS1_14partition_implILS5_8ELb0ES3_jPKdPS6_PKS6_NS0_5tupleIJPdS6_EEENSE_IJSB_SB_EEENS0_18inequality_wrapperIN6hipcub16HIPCUB_304000_NS8EqualityEEEPlJS6_EEE10hipError_tPvRmT3_T4_T5_T6_T7_T9_mT8_P12ihipStream_tbDpT10_ENKUlT_T0_E_clISt17integral_constantIbLb0EES16_IbLb1EEEEDaS12_S13_EUlS12_E_NS1_11comp_targetILNS1_3genE5ELNS1_11target_archE942ELNS1_3gpuE9ELNS1_3repE0EEENS1_30default_config_static_selectorELNS0_4arch9wavefront6targetE1EEEvT1_
	.globl	_ZN7rocprim17ROCPRIM_400000_NS6detail17trampoline_kernelINS0_14default_configENS1_25partition_config_selectorILNS1_17partition_subalgoE8EdNS0_10empty_typeEbEEZZNS1_14partition_implILS5_8ELb0ES3_jPKdPS6_PKS6_NS0_5tupleIJPdS6_EEENSE_IJSB_SB_EEENS0_18inequality_wrapperIN6hipcub16HIPCUB_304000_NS8EqualityEEEPlJS6_EEE10hipError_tPvRmT3_T4_T5_T6_T7_T9_mT8_P12ihipStream_tbDpT10_ENKUlT_T0_E_clISt17integral_constantIbLb0EES16_IbLb1EEEEDaS12_S13_EUlS12_E_NS1_11comp_targetILNS1_3genE5ELNS1_11target_archE942ELNS1_3gpuE9ELNS1_3repE0EEENS1_30default_config_static_selectorELNS0_4arch9wavefront6targetE1EEEvT1_
	.p2align	8
	.type	_ZN7rocprim17ROCPRIM_400000_NS6detail17trampoline_kernelINS0_14default_configENS1_25partition_config_selectorILNS1_17partition_subalgoE8EdNS0_10empty_typeEbEEZZNS1_14partition_implILS5_8ELb0ES3_jPKdPS6_PKS6_NS0_5tupleIJPdS6_EEENSE_IJSB_SB_EEENS0_18inequality_wrapperIN6hipcub16HIPCUB_304000_NS8EqualityEEEPlJS6_EEE10hipError_tPvRmT3_T4_T5_T6_T7_T9_mT8_P12ihipStream_tbDpT10_ENKUlT_T0_E_clISt17integral_constantIbLb0EES16_IbLb1EEEEDaS12_S13_EUlS12_E_NS1_11comp_targetILNS1_3genE5ELNS1_11target_archE942ELNS1_3gpuE9ELNS1_3repE0EEENS1_30default_config_static_selectorELNS0_4arch9wavefront6targetE1EEEvT1_,@function
_ZN7rocprim17ROCPRIM_400000_NS6detail17trampoline_kernelINS0_14default_configENS1_25partition_config_selectorILNS1_17partition_subalgoE8EdNS0_10empty_typeEbEEZZNS1_14partition_implILS5_8ELb0ES3_jPKdPS6_PKS6_NS0_5tupleIJPdS6_EEENSE_IJSB_SB_EEENS0_18inequality_wrapperIN6hipcub16HIPCUB_304000_NS8EqualityEEEPlJS6_EEE10hipError_tPvRmT3_T4_T5_T6_T7_T9_mT8_P12ihipStream_tbDpT10_ENKUlT_T0_E_clISt17integral_constantIbLb0EES16_IbLb1EEEEDaS12_S13_EUlS12_E_NS1_11comp_targetILNS1_3genE5ELNS1_11target_archE942ELNS1_3gpuE9ELNS1_3repE0EEENS1_30default_config_static_selectorELNS0_4arch9wavefront6targetE1EEEvT1_: ; @_ZN7rocprim17ROCPRIM_400000_NS6detail17trampoline_kernelINS0_14default_configENS1_25partition_config_selectorILNS1_17partition_subalgoE8EdNS0_10empty_typeEbEEZZNS1_14partition_implILS5_8ELb0ES3_jPKdPS6_PKS6_NS0_5tupleIJPdS6_EEENSE_IJSB_SB_EEENS0_18inequality_wrapperIN6hipcub16HIPCUB_304000_NS8EqualityEEEPlJS6_EEE10hipError_tPvRmT3_T4_T5_T6_T7_T9_mT8_P12ihipStream_tbDpT10_ENKUlT_T0_E_clISt17integral_constantIbLb0EES16_IbLb1EEEEDaS12_S13_EUlS12_E_NS1_11comp_targetILNS1_3genE5ELNS1_11target_archE942ELNS1_3gpuE9ELNS1_3repE0EEENS1_30default_config_static_selectorELNS0_4arch9wavefront6targetE1EEEvT1_
; %bb.0:
	s_load_dwordx4 s[20:23], s[0:1], 0x40
	s_load_dwordx2 s[8:9], s[0:1], 0x50
	s_load_dwordx2 s[28:29], s[0:1], 0x60
	v_cmp_ne_u32_e64 s[2:3], 0, v0
	v_cmp_eq_u32_e64 s[18:19], 0, v0
	s_and_saveexec_b64 s[4:5], s[18:19]
	s_cbranch_execz .LBB297_4
; %bb.1:
	s_mov_b64 s[10:11], exec
	v_mbcnt_lo_u32_b32 v1, s10, 0
	v_mbcnt_hi_u32_b32 v1, s11, v1
	v_cmp_eq_u32_e32 vcc, 0, v1
                                        ; implicit-def: $vgpr2
	s_and_saveexec_b64 s[6:7], vcc
	s_cbranch_execz .LBB297_3
; %bb.2:
	s_load_dwordx2 s[12:13], s[0:1], 0x70
	s_bcnt1_i32_b64 s10, s[10:11]
	v_mov_b32_e32 v2, 0
	v_mov_b32_e32 v3, s10
	s_waitcnt lgkmcnt(0)
	global_atomic_add v2, v2, v3, s[12:13] sc0
.LBB297_3:
	s_or_b64 exec, exec, s[6:7]
	s_waitcnt vmcnt(0)
	v_readfirstlane_b32 s6, v2
	v_mov_b32_e32 v2, 0
	s_nop 0
	v_add_u32_e32 v1, s6, v1
	ds_write_b32 v2, v1
.LBB297_4:
	s_or_b64 exec, exec, s[4:5]
	v_mov_b32_e32 v3, 0
	s_load_dwordx4 s[4:7], s[0:1], 0x8
	s_load_dwordx2 s[24:25], s[0:1], 0x28
	s_load_dword s10, s[0:1], 0x68
	s_waitcnt lgkmcnt(0)
	s_barrier
	ds_read_b32 v1, v3
	s_waitcnt lgkmcnt(0)
	s_barrier
	global_load_dwordx2 v[18:19], v3, s[22:23]
	s_lshl_b64 s[0:1], s[6:7], 3
	s_add_u32 s4, s4, s0
	s_movk_i32 s0, 0xe00
	v_mul_lo_u32 v2, v1, s0
	s_mul_i32 s0, s10, 0xe00
	s_addc_u32 s5, s5, s1
	s_add_i32 s1, s0, s6
	v_mov_b32_e32 v5, s9
	s_add_i32 s9, s10, -1
	s_sub_i32 s34, s8, s1
	s_add_u32 s0, s6, s0
	v_readfirstlane_b32 s33, v1
	s_addc_u32 s1, s7, 0
	v_mov_b32_e32 v4, s8
	s_cmp_eq_u32 s33, s9
	v_cmp_ge_u64_e32 vcc, s[0:1], v[4:5]
	s_cselect_b64 s[22:23], -1, 0
	s_and_b64 s[14:15], vcc, s[22:23]
	s_xor_b64 s[26:27], s[14:15], -1
	v_lshlrev_b64 v[4:5], 3, v[2:3]
	s_mov_b64 s[0:1], -1
	v_lshl_add_u64 v[20:21], s[4:5], 0, v[4:5]
	s_and_b64 vcc, exec, s[26:27]
	s_cbranch_vccz .LBB297_6
; %bb.5:
	v_lshlrev_b32_e32 v2, 3, v0
	v_lshl_add_u64 v[4:5], v[20:21], 0, v[2:3]
	v_add_co_u32_e32 v8, vcc, 0x1000, v4
	v_readfirstlane_b32 s0, v20
	s_nop 0
	v_addc_co_u32_e32 v9, vcc, 0, v5, vcc
	v_add_co_u32_e32 v10, vcc, 0x2000, v4
	v_readfirstlane_b32 s1, v21
	s_nop 0
	v_addc_co_u32_e32 v11, vcc, 0, v5, vcc
	v_add_co_u32_e32 v12, vcc, 0x3000, v4
	s_nop 1
	v_addc_co_u32_e32 v13, vcc, 0, v5, vcc
	v_add_co_u32_e32 v14, vcc, 0x4000, v4
	global_load_dwordx2 v[6:7], v2, s[0:1]
	s_nop 0
	v_addc_co_u32_e32 v15, vcc, 0, v5, vcc
	global_load_dwordx2 v[16:17], v[8:9], off
	global_load_dwordx2 v[22:23], v[10:11], off
	;; [unrolled: 1-line block ×4, first 2 shown]
	v_add_co_u32_e32 v8, vcc, 0x5000, v4
	s_mov_b64 s[0:1], 0
	s_nop 0
	v_addc_co_u32_e32 v9, vcc, 0, v5, vcc
	v_add_co_u32_e32 v4, vcc, 0x6000, v4
	global_load_dwordx2 v[8:9], v[8:9], off
	s_nop 0
	v_addc_co_u32_e32 v5, vcc, 0, v5, vcc
	global_load_dwordx2 v[4:5], v[4:5], off
	s_waitcnt vmcnt(5)
	ds_write2st64_b64 v2, v[6:7], v[16:17] offset1:8
	s_waitcnt vmcnt(3)
	ds_write2st64_b64 v2, v[22:23], v[24:25] offset0:16 offset1:24
	s_waitcnt vmcnt(1)
	ds_write2st64_b64 v2, v[26:27], v[8:9] offset0:32 offset1:40
	s_waitcnt vmcnt(0)
	ds_write_b64 v2, v[4:5] offset:24576
	s_waitcnt lgkmcnt(0)
	s_barrier
.LBB297_6:
	s_andn2_b64 vcc, exec, s[0:1]
	s_addk_i32 s34, 0xe00
	s_cbranch_vccnz .LBB297_22
; %bb.7:
	v_cmp_gt_u32_e32 vcc, s34, v0
                                        ; implicit-def: $vgpr2_vgpr3_vgpr4_vgpr5_vgpr6_vgpr7_vgpr8_vgpr9_vgpr10_vgpr11_vgpr12_vgpr13_vgpr14_vgpr15_vgpr16_vgpr17
	s_and_saveexec_b64 s[0:1], vcc
	s_cbranch_execz .LBB297_9
; %bb.8:
	v_lshlrev_b32_e32 v1, 3, v0
	v_readfirstlane_b32 s4, v20
	v_readfirstlane_b32 s5, v21
	s_nop 4
	global_load_dwordx2 v[2:3], v1, s[4:5]
.LBB297_9:
	s_or_b64 exec, exec, s[0:1]
	v_or_b32_e32 v1, 0x200, v0
	v_cmp_gt_u32_e32 vcc, s34, v1
	s_and_saveexec_b64 s[0:1], vcc
	s_cbranch_execz .LBB297_11
; %bb.10:
	v_lshlrev_b32_e32 v1, 3, v1
	v_readfirstlane_b32 s4, v20
	v_readfirstlane_b32 s5, v21
	s_nop 4
	global_load_dwordx2 v[4:5], v1, s[4:5]
.LBB297_11:
	s_or_b64 exec, exec, s[0:1]
	v_or_b32_e32 v1, 0x400, v0
	v_cmp_gt_u32_e32 vcc, s34, v1
	;; [unrolled: 12-line block ×6, first 2 shown]
	s_and_saveexec_b64 s[0:1], vcc
	s_cbranch_execz .LBB297_21
; %bb.20:
	v_lshlrev_b32_e32 v1, 3, v1
	v_readfirstlane_b32 s4, v20
	v_readfirstlane_b32 s5, v21
	s_nop 4
	global_load_dwordx2 v[14:15], v1, s[4:5]
.LBB297_21:
	s_or_b64 exec, exec, s[0:1]
	v_lshlrev_b32_e32 v1, 3, v0
	s_waitcnt vmcnt(0)
	ds_write2st64_b64 v1, v[2:3], v[4:5] offset1:8
	ds_write2st64_b64 v1, v[6:7], v[8:9] offset0:16 offset1:24
	ds_write2st64_b64 v1, v[10:11], v[12:13] offset0:32 offset1:40
	ds_write_b64 v1, v[14:15] offset:24576
	s_waitcnt lgkmcnt(0)
	s_barrier
.LBB297_22:
	v_mul_u32_u24_e32 v22, 7, v0
	v_lshlrev_b32_e32 v1, 3, v22
	ds_read2_b64 v[10:13], v1 offset1:1
	ds_read2_b64 v[6:9], v1 offset0:2 offset1:3
	ds_read2_b64 v[2:5], v1 offset0:4 offset1:5
	ds_read_b64 v[14:15], v1 offset:48
	s_cmp_lg_u32 s33, 0
	s_cselect_b64 s[16:17], -1, 0
	s_cmp_lg_u64 s[6:7], 0
	s_cselect_b64 s[0:1], -1, 0
	s_or_b64 s[0:1], s[0:1], s[16:17]
	v_mad_u32_u24 v24, v0, 7, 1
	v_mad_u32_u24 v23, v0, 7, 2
	;; [unrolled: 1-line block ×6, first 2 shown]
	s_mov_b64 s[30:31], 0
	s_and_b64 vcc, exec, s[0:1]
	s_waitcnt lgkmcnt(0)
	s_barrier
	s_cbranch_vccz .LBB297_27
; %bb.23:
	global_load_dwordx2 v[16:17], v[20:21], off offset:-8
	v_lshlrev_b32_e32 v32, 3, v0
	s_and_b64 vcc, exec, s[26:27]
	ds_write_b64 v32, v[14:15]
	s_cbranch_vccz .LBB297_29
; %bb.24:
	s_waitcnt vmcnt(0)
	v_mov_b64_e32 v[20:21], v[16:17]
	s_waitcnt lgkmcnt(0)
	s_barrier
	s_and_saveexec_b64 s[0:1], s[2:3]
	s_cbranch_execz .LBB297_26
; %bb.25:
	v_add_u32_e32 v20, -8, v32
	ds_read_b64 v[20:21], v20
.LBB297_26:
	s_or_b64 exec, exec, s[0:1]
	v_cmp_neq_f64_e32 vcc, v[4:5], v[14:15]
	s_waitcnt lgkmcnt(0)
	v_cmp_neq_f64_e64 s[0:1], v[20:21], v[10:11]
	v_cndmask_b32_e64 v31, 0, 1, vcc
	v_cmp_neq_f64_e32 vcc, v[2:3], v[4:5]
	s_nop 1
	v_cndmask_b32_e64 v29, 0, 1, vcc
	v_cmp_neq_f64_e32 vcc, v[8:9], v[2:3]
	s_nop 1
	;; [unrolled: 3-line block ×3, first 2 shown]
	v_cndmask_b32_e64 v33, 0, 1, vcc
	v_cmp_neq_f64_e32 vcc, v[12:13], v[6:7]
	v_lshlrev_b16_e32 v20, 8, v33
	s_nop 0
	v_cndmask_b32_e64 v34, 0, 1, vcc
	v_cmp_neq_f64_e32 vcc, v[10:11], v[12:13]
	v_or_b32_sdwa v20, v34, v20 dst_sel:WORD_1 dst_unused:UNUSED_PAD src0_sel:DWORD src1_sel:DWORD
	s_nop 0
	v_cndmask_b32_e64 v35, 0, 1, vcc
	v_lshlrev_b16_e32 v21, 8, v35
	v_or_b32_e32 v20, v21, v20
	s_branch .LBB297_33
.LBB297_27:
                                        ; implicit-def: $sgpr0_sgpr1
                                        ; implicit-def: $vgpr31
                                        ; implicit-def: $vgpr29
                                        ; implicit-def: $vgpr30
                                        ; implicit-def: $vgpr20
	s_branch .LBB297_34
.LBB297_28:
                                        ; implicit-def: $vgpr16_vgpr17
	s_and_saveexec_b64 s[2:3], s[30:31]
	s_cbranch_execnz .LBB297_42
	s_branch .LBB297_43
.LBB297_29:
                                        ; implicit-def: $sgpr0_sgpr1
                                        ; implicit-def: $vgpr31
                                        ; implicit-def: $vgpr29
                                        ; implicit-def: $vgpr30
                                        ; implicit-def: $vgpr20
	s_cbranch_execz .LBB297_33
; %bb.30:
	s_waitcnt lgkmcnt(0)
	s_barrier
	s_and_saveexec_b64 s[0:1], s[2:3]
	s_cbranch_execz .LBB297_32
; %bb.31:
	s_waitcnt vmcnt(0)
	v_add_u32_e32 v16, -8, v32
	ds_read_b64 v[16:17], v16
.LBB297_32:
	s_or_b64 exec, exec, s[0:1]
	v_cmp_gt_u32_e32 vcc, s34, v26
	v_cmp_neq_f64_e64 s[0:1], v[4:5], v[14:15]
	s_and_b64 s[0:1], vcc, s[0:1]
	v_cmp_gt_u32_e32 vcc, s34, v28
	v_cndmask_b32_e64 v31, 0, 1, s[0:1]
	v_cmp_neq_f64_e64 s[0:1], v[2:3], v[4:5]
	s_and_b64 s[0:1], vcc, s[0:1]
	v_cmp_gt_u32_e32 vcc, s34, v25
	v_cndmask_b32_e64 v29, 0, 1, s[0:1]
	;; [unrolled: 4-line block ×6, first 2 shown]
	s_waitcnt vmcnt(0) lgkmcnt(0)
	v_cmp_neq_f64_e64 s[0:1], v[16:17], v[10:11]
	v_lshlrev_b16_e32 v16, 8, v20
	v_or_b32_sdwa v16, v21, v16 dst_sel:WORD_1 dst_unused:UNUSED_PAD src0_sel:DWORD src1_sel:DWORD
	v_lshlrev_b16_e32 v17, 8, v32
	s_and_b64 s[0:1], vcc, s[0:1]
	v_or_b32_e32 v20, v17, v16
.LBB297_33:
	s_mov_b64 s[30:31], -1
	s_cbranch_execnz .LBB297_28
.LBB297_34:
	s_movk_i32 s0, 0xffd0
	v_mad_i32_i24 v21, v0, s0, v1
	s_and_b64 vcc, exec, s[26:27]
	v_cmp_neq_f64_e64 s[0:1], v[4:5], v[14:15]
	v_cmp_neq_f64_e64 s[4:5], v[2:3], v[4:5]
	;; [unrolled: 1-line block ×6, first 2 shown]
	ds_write_b64 v21, v[14:15]
	s_cbranch_vccz .LBB297_38
; %bb.35:
	v_cndmask_b32_e64 v29, 0, 1, s[4:5]
	s_waitcnt vmcnt(0)
	v_cndmask_b32_e64 v16, 0, 1, s[8:9]
	v_cndmask_b32_e64 v30, 0, 1, s[6:7]
	;; [unrolled: 1-line block ×4, first 2 shown]
	v_lshlrev_b16_e32 v17, 8, v29
	v_lshlrev_b16_e32 v16, 8, v16
	v_or_b32_e32 v17, v30, v17
	v_or_b32_sdwa v16, v20, v16 dst_sel:WORD_1 dst_unused:UNUSED_PAD src0_sel:DWORD src1_sel:DWORD
	v_lshlrev_b16_e32 v20, 8, v32
	v_and_b32_e32 v17, 0xffff, v17
	v_cndmask_b32_e64 v31, 0, 1, s[0:1]
	v_or_b32_e32 v20, 1, v20
	v_lshl_or_b32 v17, v31, 16, v17
	v_or_b32_sdwa v16, v20, v16 dst_sel:DWORD dst_unused:UNUSED_PAD src0_sel:WORD_0 src1_sel:DWORD
	s_waitcnt lgkmcnt(0)
	s_barrier
	s_waitcnt lgkmcnt(0)
                                        ; implicit-def: $sgpr0_sgpr1
                                        ; implicit-def: $vgpr20
	s_and_saveexec_b64 s[4:5], s[2:3]
	s_xor_b64 s[4:5], exec, s[4:5]
	s_cbranch_execz .LBB297_37
; %bb.36:
	v_add_u32_e32 v17, -8, v21
	ds_read_b64 v[32:33], v17
	s_mov_b32 s0, 0x3020104
	v_perm_b32 v20, v16, v16, s0
	s_or_b64 s[30:31], s[30:31], exec
                                        ; implicit-def: $vgpr16_vgpr17
	s_waitcnt lgkmcnt(0)
	v_cmp_neq_f64_e32 vcc, v[32:33], v[10:11]
	s_and_b64 s[0:1], vcc, exec
.LBB297_37:
	s_or_b64 exec, exec, s[4:5]
	s_branch .LBB297_41
.LBB297_38:
                                        ; implicit-def: $sgpr0_sgpr1
                                        ; implicit-def: $vgpr31
                                        ; implicit-def: $vgpr29
                                        ; implicit-def: $vgpr30
                                        ; implicit-def: $vgpr20
                                        ; implicit-def: $vgpr16_vgpr17
	s_cbranch_execz .LBB297_41
; %bb.39:
	v_cmp_gt_u32_e64 s[4:5], s34, v28
	v_cmp_neq_f64_e64 s[6:7], v[2:3], v[4:5]
	s_and_b64 s[4:5], s[4:5], s[6:7]
	v_cndmask_b32_e64 v29, 0, 1, s[4:5]
	v_cmp_gt_u32_e64 s[4:5], s34, v25
	v_cmp_neq_f64_e64 s[6:7], v[8:9], v[2:3]
	s_and_b64 s[4:5], s[4:5], s[6:7]
	v_cndmask_b32_e64 v30, 0, 1, s[4:5]
	v_cmp_gt_u32_e64 s[4:5], s34, v27
	v_cmp_neq_f64_e64 s[6:7], v[6:7], v[8:9]
	s_and_b64 s[4:5], s[4:5], s[6:7]
	s_waitcnt vmcnt(0)
	v_cndmask_b32_e64 v16, 0, 1, s[4:5]
	v_cmp_gt_u32_e64 s[4:5], s34, v23
	v_cmp_neq_f64_e64 s[6:7], v[12:13], v[6:7]
	s_and_b64 s[4:5], s[4:5], s[6:7]
	v_cndmask_b32_e64 v20, 0, 1, s[4:5]
	v_cmp_gt_u32_e64 s[4:5], s34, v24
	v_cmp_neq_f64_e64 s[6:7], v[10:11], v[12:13]
	s_and_b64 s[4:5], s[4:5], s[6:7]
	v_cmp_gt_u32_e32 vcc, s34, v26
	v_cmp_neq_f64_e64 s[0:1], v[4:5], v[14:15]
	v_cndmask_b32_e64 v32, 0, 1, s[4:5]
	v_lshlrev_b16_e32 v17, 8, v29
	v_lshlrev_b16_e32 v16, 8, v16
	v_or_b32_e32 v17, v30, v17
	s_and_b64 s[0:1], vcc, s[0:1]
	v_or_b32_sdwa v16, v20, v16 dst_sel:WORD_1 dst_unused:UNUSED_PAD src0_sel:DWORD src1_sel:DWORD
	v_lshlrev_b16_e32 v20, 8, v32
	v_and_b32_e32 v17, 0xffff, v17
	v_cndmask_b32_e64 v31, 0, 1, s[0:1]
	v_or_b32_e32 v20, 1, v20
	v_lshl_or_b32 v17, v31, 16, v17
	v_or_b32_sdwa v16, v20, v16 dst_sel:DWORD dst_unused:UNUSED_PAD src0_sel:WORD_0 src1_sel:DWORD
	s_waitcnt lgkmcnt(0)
	s_barrier
	s_waitcnt lgkmcnt(0)
                                        ; implicit-def: $sgpr0_sgpr1
                                        ; implicit-def: $vgpr20
	s_and_saveexec_b64 s[4:5], s[2:3]
	s_cbranch_execz .LBB297_127
; %bb.40:
	v_add_u32_e32 v17, -8, v21
	ds_read_b64 v[32:33], v17
	s_mov_b32 s0, 0x3020104
	v_cmp_gt_u32_e32 vcc, s34, v22
	v_perm_b32 v20, v16, v16, s0
	s_or_b64 s[30:31], s[30:31], exec
	s_waitcnt lgkmcnt(0)
	v_cmp_neq_f64_e64 s[0:1], v[32:33], v[10:11]
	s_and_b64 s[0:1], vcc, s[0:1]
	s_and_b64 s[0:1], s[0:1], exec
                                        ; implicit-def: $vgpr16_vgpr17
	s_or_b64 exec, exec, s[4:5]
.LBB297_41:
	s_and_saveexec_b64 s[2:3], s[30:31]
	s_cbranch_execz .LBB297_43
.LBB297_42:
	s_waitcnt vmcnt(0)
	v_lshlrev_b16_e32 v17, 8, v29
	v_and_b32_e32 v21, 0xff, v31
	v_or_b32_sdwa v17, v30, v17 dst_sel:DWORD dst_unused:UNUSED_PAD src0_sel:BYTE_0 src1_sel:DWORD
	v_lshlrev_b32_e32 v21, 16, v21
	v_cndmask_b32_e64 v16, 0, 1, s[0:1]
	s_movk_i32 s0, 0xff
	v_or_b32_sdwa v17, v17, v21 dst_sel:DWORD dst_unused:UNUSED_PAD src0_sel:WORD_0 src1_sel:DWORD
	v_lshrrev_b32_e32 v21, 24, v20
	v_lshlrev_b16_e32 v21, 8, v21
	v_and_b32_sdwa v29, v20, s0 dst_sel:DWORD dst_unused:UNUSED_PAD src0_sel:WORD_1 src1_sel:DWORD
	v_or_b32_sdwa v21, v29, v21 dst_sel:WORD_1 dst_unused:UNUSED_PAD src0_sel:DWORD src1_sel:DWORD
	v_mov_b32_e32 v29, 8
	v_lshrrev_b32_sdwa v20, v29, v20 dst_sel:BYTE_1 dst_unused:UNUSED_PAD src0_sel:DWORD src1_sel:DWORD
	s_nop 0
	v_or_b32_e32 v16, v16, v20
	v_or_b32_sdwa v16, v16, v21 dst_sel:DWORD dst_unused:UNUSED_PAD src0_sel:WORD_0 src1_sel:DWORD
.LBB297_43:
	s_or_b64 exec, exec, s[2:3]
	s_andn2_b64 vcc, exec, s[14:15]
	s_cbranch_vccnz .LBB297_45
; %bb.44:
	s_waitcnt vmcnt(0)
	v_and_b32_e32 v20, 0xffff0000, v16
	v_cmp_gt_u32_e32 vcc, s34, v22
	s_mov_b32 s0, 0x40c0100
	s_nop 0
	v_cndmask_b32_e32 v20, v20, v16, vcc
	v_and_b32_e32 v20, 0xffff00ff, v20
	v_cmp_gt_u32_e32 vcc, s34, v24
	s_nop 1
	v_cndmask_b32_e32 v20, v20, v16, vcc
	v_lshrrev_b32_e32 v21, 24, v20
	v_perm_b32 v20, v21, v20, s0
	v_cmp_gt_u32_e32 vcc, s34, v23
	v_and_b32_e32 v21, 0xffffff00, v17
	s_nop 0
	v_cndmask_b32_e32 v20, v20, v16, vcc
	v_and_b32_e32 v20, 0xffffff, v20
	v_cmp_gt_u32_e32 vcc, s34, v27
	s_nop 1
	v_cndmask_b32_e32 v20, v20, v16, vcc
	v_cmp_gt_u32_e32 vcc, s34, v25
	s_nop 1
	v_cndmask_b32_e32 v21, v21, v17, vcc
	v_and_b32_e32 v21, 0xffff00ff, v21
	v_cndmask_b32_e32 v20, v20, v16, vcc
	v_cmp_gt_u32_e32 vcc, s34, v28
	s_nop 1
	v_cndmask_b32_e32 v21, v21, v17, vcc
	v_lshrrev_b32_e32 v22, 24, v21
	v_cndmask_b32_e32 v20, v20, v16, vcc
	v_perm_b32 v21, v22, v21, s0
	v_cmp_gt_u32_e32 vcc, s34, v26
	s_mov_b32 s0, 0x3020104
	s_nop 0
	v_cndmask_b32_e32 v16, v20, v16, vcc
	v_cndmask_b32_e32 v17, v21, v17, vcc
	v_mov_b32_e32 v20, 8
	v_lshrrev_b32_sdwa v20, v20, v17 dst_sel:BYTE_1 dst_unused:UNUSED_PAD src0_sel:DWORD src1_sel:DWORD
	v_perm_b32 v16, v16, v16, s0
	v_or_b32_sdwa v20, v17, v20 dst_sel:DWORD dst_unused:UNUSED_PAD src0_sel:BYTE_0 src1_sel:DWORD
	v_and_b32_e32 v20, 0xffff, v20
	v_bfe_u32 v17, v17, 16, 8
	v_lshl_or_b32 v17, v17, 16, v20
.LBB297_45:
	s_waitcnt vmcnt(0)
	v_and_b32_e32 v31, 0xff, v16
	v_bfe_u32 v33, v16, 8, 8
	v_bfe_u32 v35, v16, 16, 8
	v_alignbit_b32 v20, v17, v16, 24
	v_and_b32_e32 v37, 0xff, v20
	v_and_b32_e32 v38, 0xff, v17
	v_add3_u32 v21, v33, v31, v35
	v_bfe_u32 v39, v17, 8, 8
	v_bfe_u32 v20, v17, 16, 8
	v_add3_u32 v21, v21, v37, v38
	v_add3_u32 v42, v21, v39, v20
	v_mbcnt_lo_u32_b32 v20, -1, 0
	v_mbcnt_hi_u32_b32 v40, -1, v20
	v_and_b32_e32 v20, 15, v40
	v_cmp_eq_u32_e64 s[14:15], 0, v20
	v_cmp_lt_u32_e64 s[12:13], 1, v20
	v_cmp_lt_u32_e64 s[10:11], 3, v20
	;; [unrolled: 1-line block ×3, first 2 shown]
	v_and_b32_e32 v20, 16, v40
	v_cmp_eq_u32_e64 s[6:7], 0, v20
	v_or_b32_e32 v20, 63, v0
	v_cmp_lt_u32_e64 s[2:3], 31, v40
	v_lshrrev_b32_e32 v41, 6, v0
	v_cmp_eq_u32_e64 s[4:5], v20, v0
	s_and_b64 vcc, exec, s[16:17]
	s_waitcnt lgkmcnt(0)
	s_barrier
	s_cbranch_vccz .LBB297_72
; %bb.46:
	v_mov_b32_dpp v20, v42 row_shr:1 row_mask:0xf bank_mask:0xf
	v_cndmask_b32_e64 v20, v20, 0, s[14:15]
	v_add_u32_e32 v20, v20, v42
	s_nop 1
	v_mov_b32_dpp v21, v20 row_shr:2 row_mask:0xf bank_mask:0xf
	v_cndmask_b32_e64 v21, 0, v21, s[12:13]
	v_add_u32_e32 v20, v20, v21
	s_nop 1
	;; [unrolled: 4-line block ×4, first 2 shown]
	v_mov_b32_dpp v21, v20 row_bcast:15 row_mask:0xf bank_mask:0xf
	v_cndmask_b32_e64 v21, v21, 0, s[6:7]
	v_add_u32_e32 v20, v20, v21
	s_nop 1
	v_mov_b32_dpp v21, v20 row_bcast:31 row_mask:0xf bank_mask:0xf
	v_cndmask_b32_e64 v21, 0, v21, s[2:3]
	v_add_u32_e32 v20, v20, v21
	s_and_saveexec_b64 s[0:1], s[4:5]
	s_cbranch_execz .LBB297_48
; %bb.47:
	v_lshlrev_b32_e32 v21, 2, v41
	ds_write_b32 v21, v20
.LBB297_48:
	s_or_b64 exec, exec, s[0:1]
	v_cmp_gt_u32_e32 vcc, 8, v0
	s_waitcnt lgkmcnt(0)
	s_barrier
	s_and_saveexec_b64 s[0:1], vcc
	s_cbranch_execz .LBB297_50
; %bb.49:
	v_lshlrev_b32_e32 v21, 2, v0
	ds_read_b32 v22, v21
	v_and_b32_e32 v23, 7, v40
	v_cmp_ne_u32_e32 vcc, 0, v23
	s_waitcnt lgkmcnt(0)
	v_mov_b32_dpp v24, v22 row_shr:1 row_mask:0xf bank_mask:0xf
	v_cndmask_b32_e32 v24, 0, v24, vcc
	v_add_u32_e32 v22, v24, v22
	v_cmp_lt_u32_e32 vcc, 1, v23
	s_nop 0
	v_mov_b32_dpp v24, v22 row_shr:2 row_mask:0xf bank_mask:0xf
	v_cndmask_b32_e32 v24, 0, v24, vcc
	v_add_u32_e32 v22, v22, v24
	v_cmp_lt_u32_e32 vcc, 3, v23
	s_nop 0
	v_mov_b32_dpp v24, v22 row_shr:4 row_mask:0xf bank_mask:0xf
	v_cndmask_b32_e32 v23, 0, v24, vcc
	v_add_u32_e32 v22, v22, v23
	ds_write_b32 v21, v22
.LBB297_50:
	s_or_b64 exec, exec, s[0:1]
	v_cmp_gt_u32_e32 vcc, 64, v0
	v_cmp_lt_u32_e64 s[0:1], 63, v0
	s_waitcnt lgkmcnt(0)
	s_barrier
	s_waitcnt lgkmcnt(0)
                                        ; implicit-def: $vgpr30
	s_and_saveexec_b64 s[16:17], s[0:1]
	s_cbranch_execz .LBB297_52
; %bb.51:
	v_lshl_add_u32 v21, v41, 2, -4
	ds_read_b32 v30, v21
	s_waitcnt lgkmcnt(0)
	v_add_u32_e32 v20, v30, v20
.LBB297_52:
	s_or_b64 exec, exec, s[16:17]
	v_add_u32_e32 v21, -1, v40
	v_and_b32_e32 v22, 64, v40
	v_cmp_lt_i32_e64 s[0:1], v21, v22
	v_cmp_eq_u32_e64 s[16:17], 0, v40
	s_nop 0
	v_cndmask_b32_e64 v21, v21, v40, s[0:1]
	v_lshlrev_b32_e32 v21, 2, v21
	ds_bpermute_b32 v32, v21, v20
	s_and_saveexec_b64 s[0:1], vcc
	s_cbranch_execz .LBB297_71
; %bb.53:
	v_mov_b32_e32 v27, 0
	ds_read_b32 v20, v27 offset:28
	s_and_saveexec_b64 s[30:31], s[16:17]
	s_cbranch_execz .LBB297_55
; %bb.54:
	s_add_i32 s34, s33, 64
	s_mov_b32 s35, 0
	s_lshl_b64 s[34:35], s[34:35], 3
	s_add_u32 s34, s28, s34
	v_mov_b32_e32 v21, 1
	s_addc_u32 s35, s29, s35
	s_waitcnt lgkmcnt(0)
	global_store_dwordx2 v27, v[20:21], s[34:35] sc1
.LBB297_55:
	s_or_b64 exec, exec, s[30:31]
	v_xad_u32 v22, v40, -1, s33
	v_add_u32_e32 v26, 64, v22
	v_lshl_add_u64 v[28:29], v[26:27], 3, s[28:29]
	global_load_dwordx2 v[24:25], v[28:29], off sc1
	s_waitcnt vmcnt(0)
	v_cmp_eq_u16_sdwa s[34:35], v25, v27 src0_sel:BYTE_0 src1_sel:DWORD
	s_and_saveexec_b64 s[30:31], s[34:35]
	s_cbranch_execz .LBB297_59
; %bb.56:
	s_mov_b64 s[34:35], 0
	v_mov_b32_e32 v21, 0
.LBB297_57:                             ; =>This Inner Loop Header: Depth=1
	global_load_dwordx2 v[24:25], v[28:29], off sc1
	s_waitcnt vmcnt(0)
	v_cmp_ne_u16_sdwa s[36:37], v25, v21 src0_sel:BYTE_0 src1_sel:DWORD
	s_or_b64 s[34:35], s[36:37], s[34:35]
	s_andn2_b64 exec, exec, s[34:35]
	s_cbranch_execnz .LBB297_57
; %bb.58:
	s_or_b64 exec, exec, s[34:35]
.LBB297_59:
	s_or_b64 exec, exec, s[30:31]
	v_and_b32_e32 v36, 63, v40
	v_mov_b32_e32 v34, 2
	v_cmp_ne_u32_e32 vcc, 63, v36
	v_cmp_eq_u16_sdwa s[30:31], v25, v34 src0_sel:BYTE_0 src1_sel:DWORD
	v_lshlrev_b64 v[26:27], v40, -1
	v_addc_co_u32_e32 v28, vcc, 0, v40, vcc
	v_and_b32_e32 v21, s31, v27
	v_lshlrev_b32_e32 v43, 2, v28
	v_or_b32_e32 v21, 0x80000000, v21
	ds_bpermute_b32 v28, v43, v24
	v_and_b32_e32 v23, s30, v26
	v_ffbl_b32_e32 v21, v21
	v_add_u32_e32 v21, 32, v21
	v_ffbl_b32_e32 v23, v23
	v_min_u32_e32 v21, v23, v21
	v_cmp_lt_u32_e32 vcc, v36, v21
	v_add_u32_e32 v45, 2, v36
	v_add_u32_e32 v47, 4, v36
	s_waitcnt lgkmcnt(0)
	v_cndmask_b32_e32 v23, 0, v28, vcc
	v_cmp_gt_u32_e32 vcc, 62, v36
	v_add_u32_e32 v23, v23, v24
	v_add_u32_e32 v49, 8, v36
	v_cndmask_b32_e64 v24, 0, 1, vcc
	v_lshlrev_b32_e32 v24, 1, v24
	v_add_lshl_u32 v44, v24, v40, 2
	ds_bpermute_b32 v24, v44, v23
	v_cmp_le_u32_e32 vcc, v45, v21
	v_add_u32_e32 v51, 16, v36
	v_add_u32_e32 v53, 32, v36
	s_waitcnt lgkmcnt(0)
	v_cndmask_b32_e32 v24, 0, v24, vcc
	v_cmp_gt_u32_e32 vcc, 60, v36
	v_add_u32_e32 v23, v23, v24
	s_nop 0
	v_cndmask_b32_e64 v24, 0, 1, vcc
	v_lshlrev_b32_e32 v24, 2, v24
	v_add_lshl_u32 v46, v24, v40, 2
	ds_bpermute_b32 v24, v46, v23
	v_cmp_le_u32_e32 vcc, v47, v21
	s_waitcnt lgkmcnt(0)
	s_nop 0
	v_cndmask_b32_e32 v24, 0, v24, vcc
	v_cmp_gt_u32_e32 vcc, 56, v36
	v_add_u32_e32 v23, v23, v24
	s_nop 0
	v_cndmask_b32_e64 v24, 0, 1, vcc
	v_lshlrev_b32_e32 v24, 3, v24
	v_add_lshl_u32 v48, v24, v40, 2
	ds_bpermute_b32 v24, v48, v23
	v_cmp_le_u32_e32 vcc, v49, v21
	s_waitcnt lgkmcnt(0)
	s_nop 0
	;; [unrolled: 11-line block ×4, first 2 shown]
	v_cndmask_b32_e32 v21, 0, v24, vcc
	v_add_u32_e32 v24, v23, v21
	v_mov_b32_e32 v23, 0
	s_branch .LBB297_61
.LBB297_60:                             ;   in Loop: Header=BB297_61 Depth=1
	s_or_b64 exec, exec, s[30:31]
	v_cmp_eq_u16_sdwa s[30:31], v25, v34 src0_sel:BYTE_0 src1_sel:DWORD
	ds_bpermute_b32 v54, v43, v24
	v_subrev_u32_e32 v22, 64, v22
	v_and_b32_e32 v28, s31, v27
	v_or_b32_e32 v28, 0x80000000, v28
	v_and_b32_e32 v29, s30, v26
	v_ffbl_b32_e32 v28, v28
	v_add_u32_e32 v28, 32, v28
	v_ffbl_b32_e32 v29, v29
	v_min_u32_e32 v28, v29, v28
	v_cmp_lt_u32_e32 vcc, v36, v28
	s_waitcnt lgkmcnt(0)
	s_nop 0
	v_cndmask_b32_e32 v29, 0, v54, vcc
	v_add_u32_e32 v24, v29, v24
	ds_bpermute_b32 v29, v44, v24
	v_cmp_le_u32_e32 vcc, v45, v28
	s_waitcnt lgkmcnt(0)
	s_nop 0
	v_cndmask_b32_e32 v29, 0, v29, vcc
	v_add_u32_e32 v24, v24, v29
	ds_bpermute_b32 v29, v46, v24
	v_cmp_le_u32_e32 vcc, v47, v28
	;; [unrolled: 6-line block ×5, first 2 shown]
	s_waitcnt lgkmcnt(0)
	s_nop 0
	v_cndmask_b32_e32 v28, 0, v29, vcc
	v_add3_u32 v24, v28, v21, v24
.LBB297_61:                             ; =>This Loop Header: Depth=1
                                        ;     Child Loop BB297_64 Depth 2
	v_cmp_ne_u16_sdwa s[30:31], v25, v34 src0_sel:BYTE_0 src1_sel:DWORD
	s_nop 1
	v_cndmask_b32_e64 v21, 0, 1, s[30:31]
	;;#ASMSTART
	;;#ASMEND
	s_nop 0
	v_cmp_ne_u32_e32 vcc, 0, v21
	s_cmp_lg_u64 vcc, exec
	v_mov_b32_e32 v21, v24
	s_cbranch_scc1 .LBB297_66
; %bb.62:                               ;   in Loop: Header=BB297_61 Depth=1
	v_lshl_add_u64 v[28:29], v[22:23], 3, s[28:29]
	global_load_dwordx2 v[24:25], v[28:29], off sc1
	s_waitcnt vmcnt(0)
	v_cmp_eq_u16_sdwa s[34:35], v25, v23 src0_sel:BYTE_0 src1_sel:DWORD
	s_and_saveexec_b64 s[30:31], s[34:35]
	s_cbranch_execz .LBB297_60
; %bb.63:                               ;   in Loop: Header=BB297_61 Depth=1
	s_mov_b64 s[34:35], 0
.LBB297_64:                             ;   Parent Loop BB297_61 Depth=1
                                        ; =>  This Inner Loop Header: Depth=2
	global_load_dwordx2 v[24:25], v[28:29], off sc1
	s_waitcnt vmcnt(0)
	v_cmp_ne_u16_sdwa s[36:37], v25, v23 src0_sel:BYTE_0 src1_sel:DWORD
	s_or_b64 s[34:35], s[36:37], s[34:35]
	s_andn2_b64 exec, exec, s[34:35]
	s_cbranch_execnz .LBB297_64
; %bb.65:                               ;   in Loop: Header=BB297_61 Depth=1
	s_or_b64 exec, exec, s[34:35]
	s_branch .LBB297_60
.LBB297_66:                             ;   in Loop: Header=BB297_61 Depth=1
                                        ; implicit-def: $vgpr24
                                        ; implicit-def: $vgpr25
	s_cbranch_execz .LBB297_61
; %bb.67:
	s_and_saveexec_b64 s[30:31], s[16:17]
	s_cbranch_execz .LBB297_69
; %bb.68:
	s_add_i32 s34, s33, 64
	s_mov_b32 s35, 0
	s_lshl_b64 s[34:35], s[34:35], 3
	s_add_u32 s34, s28, s34
	v_add_u32_e32 v22, v21, v20
	v_mov_b32_e32 v23, 2
	s_addc_u32 s35, s29, s35
	v_mov_b32_e32 v24, 0
	global_store_dwordx2 v24, v[22:23], s[34:35] sc1
	ds_write_b64 v24, v[20:21] offset:28672
.LBB297_69:
	s_or_b64 exec, exec, s[30:31]
	s_and_b64 exec, exec, s[18:19]
	s_cbranch_execz .LBB297_71
; %bb.70:
	v_mov_b32_e32 v20, 0
	ds_write_b32 v20, v21 offset:28
.LBB297_71:
	s_or_b64 exec, exec, s[0:1]
	v_mov_b32_e32 v20, 0
	s_waitcnt lgkmcnt(0)
	s_barrier
	ds_read_b32 v21, v20 offset:28
	v_cndmask_b32_e64 v22, v32, v30, s[16:17]
	v_cndmask_b32_e64 v22, v22, 0, s[18:19]
	s_waitcnt lgkmcnt(0)
	s_barrier
	v_add_u32_e32 v36, v21, v22
	v_add_u32_e32 v34, v36, v31
	;; [unrolled: 1-line block ×3, first 2 shown]
	ds_read_b64 v[20:21], v20 offset:28672
	v_add_u32_e32 v30, v32, v35
	v_add_u32_e32 v28, v30, v37
	;; [unrolled: 1-line block ×4, first 2 shown]
	v_lshrrev_b64 v[22:23], 24, v[16:17]
	s_branch .LBB297_82
.LBB297_72:
                                        ; implicit-def: $vgpr21
                                        ; implicit-def: $vgpr24
                                        ; implicit-def: $vgpr26
                                        ; implicit-def: $vgpr28
                                        ; implicit-def: $vgpr30
                                        ; implicit-def: $vgpr32
                                        ; implicit-def: $vgpr34
                                        ; implicit-def: $vgpr36
	v_lshrrev_b64 v[22:23], 24, v[16:17]
	s_cbranch_execz .LBB297_82
; %bb.73:
	s_waitcnt lgkmcnt(0)
	v_mov_b32_dpp v20, v42 row_shr:1 row_mask:0xf bank_mask:0xf
	v_cndmask_b32_e64 v20, v20, 0, s[14:15]
	v_add_u32_e32 v20, v20, v42
	s_nop 1
	v_mov_b32_dpp v21, v20 row_shr:2 row_mask:0xf bank_mask:0xf
	v_cndmask_b32_e64 v21, 0, v21, s[12:13]
	v_add_u32_e32 v20, v20, v21
	s_nop 1
	;; [unrolled: 4-line block ×4, first 2 shown]
	v_mov_b32_dpp v21, v20 row_bcast:15 row_mask:0xf bank_mask:0xf
	v_cndmask_b32_e64 v21, v21, 0, s[6:7]
	v_add_u32_e32 v20, v20, v21
	s_nop 1
	v_mov_b32_dpp v21, v20 row_bcast:31 row_mask:0xf bank_mask:0xf
	v_cndmask_b32_e64 v21, 0, v21, s[2:3]
	v_add_u32_e32 v20, v20, v21
	s_and_saveexec_b64 s[0:1], s[4:5]
	s_cbranch_execz .LBB297_75
; %bb.74:
	v_lshlrev_b32_e32 v21, 2, v41
	ds_write_b32 v21, v20
.LBB297_75:
	s_or_b64 exec, exec, s[0:1]
	v_cmp_gt_u32_e32 vcc, 8, v0
	s_waitcnt lgkmcnt(0)
	s_barrier
	s_and_saveexec_b64 s[0:1], vcc
	s_cbranch_execz .LBB297_77
; %bb.76:
	s_movk_i32 s2, 0xffcc
	v_mad_i32_i24 v1, v0, s2, v1
	ds_read_b32 v21, v1
	v_and_b32_e32 v23, 7, v40
	v_cmp_ne_u32_e32 vcc, 0, v23
	s_waitcnt lgkmcnt(0)
	v_mov_b32_dpp v24, v21 row_shr:1 row_mask:0xf bank_mask:0xf
	v_cndmask_b32_e32 v24, 0, v24, vcc
	v_add_u32_e32 v21, v24, v21
	v_cmp_lt_u32_e32 vcc, 1, v23
	s_nop 0
	v_mov_b32_dpp v24, v21 row_shr:2 row_mask:0xf bank_mask:0xf
	v_cndmask_b32_e32 v24, 0, v24, vcc
	v_add_u32_e32 v21, v21, v24
	v_cmp_lt_u32_e32 vcc, 3, v23
	s_nop 0
	v_mov_b32_dpp v24, v21 row_shr:4 row_mask:0xf bank_mask:0xf
	v_cndmask_b32_e32 v23, 0, v24, vcc
	v_add_u32_e32 v21, v21, v23
	ds_write_b32 v1, v21
.LBB297_77:
	s_or_b64 exec, exec, s[0:1]
	v_cmp_lt_u32_e32 vcc, 63, v0
	v_mov_b32_e32 v21, 0
	v_mov_b32_e32 v1, 0
	s_waitcnt lgkmcnt(0)
	s_barrier
	s_and_saveexec_b64 s[0:1], vcc
	s_cbranch_execz .LBB297_79
; %bb.78:
	v_lshl_add_u32 v1, v41, 2, -4
	ds_read_b32 v1, v1
.LBB297_79:
	s_or_b64 exec, exec, s[0:1]
	v_add_u32_e32 v23, -1, v40
	v_and_b32_e32 v24, 64, v40
	v_cmp_lt_i32_e32 vcc, v23, v24
	s_waitcnt lgkmcnt(0)
	v_add_u32_e32 v20, v1, v20
	v_cndmask_b32_e32 v23, v23, v40, vcc
	v_lshlrev_b32_e32 v23, 2, v23
	ds_bpermute_b32 v23, v23, v20
	ds_read_b32 v20, v21 offset:28
	s_and_saveexec_b64 s[0:1], s[18:19]
	s_cbranch_execz .LBB297_81
; %bb.80:
	v_mov_b32_e32 v24, 0
	v_mov_b32_e32 v21, 2
	s_waitcnt lgkmcnt(0)
	global_store_dwordx2 v24, v[20:21], s[28:29] offset:512 sc1
.LBB297_81:
	s_or_b64 exec, exec, s[0:1]
	v_cmp_eq_u32_e32 vcc, 0, v40
	v_mov_b32_e32 v21, 0
	s_waitcnt lgkmcnt(0)
	v_cndmask_b32_e32 v1, v23, v1, vcc
	v_cndmask_b32_e64 v36, v1, 0, s[18:19]
	v_add_u32_e32 v34, v36, v31
	v_add_u32_e32 v32, v34, v33
	;; [unrolled: 1-line block ×6, first 2 shown]
	s_barrier
.LBB297_82:
	s_movk_i32 s0, 0x201
	s_waitcnt lgkmcnt(0)
	v_cmp_gt_u32_e32 vcc, s0, v20
	v_lshrrev_b32_e32 v23, 8, v16
	v_lshrrev_b32_e32 v1, 8, v17
	s_mov_b64 s[0:1], -1
	s_cbranch_vccnz .LBB297_86
; %bb.83:
	s_and_b64 vcc, exec, s[0:1]
	s_cbranch_vccnz .LBB297_108
.LBB297_84:
	s_and_b64 s[0:1], s[18:19], s[22:23]
	s_and_saveexec_b64 s[2:3], s[0:1]
	s_cbranch_execnz .LBB297_126
.LBB297_85:
	s_endpgm
.LBB297_86:
	v_add_u32_e32 v25, v21, v20
	v_lshlrev_b64 v[38:39], 3, v[18:19]
	v_cmp_lt_u32_e32 vcc, v36, v25
	v_lshl_add_u64 v[38:39], s[24:25], 0, v[38:39]
	s_or_b64 s[2:3], s[26:27], vcc
	s_and_saveexec_b64 s[0:1], s[2:3]
	s_cbranch_execz .LBB297_89
; %bb.87:
	v_and_b32_e32 v27, 1, v16
	v_cmp_eq_u32_e32 vcc, 1, v27
	s_and_b64 exec, exec, vcc
	s_cbranch_execz .LBB297_89
; %bb.88:
	v_mov_b32_e32 v37, 0
	v_lshl_add_u64 v[40:41], v[36:37], 3, v[38:39]
	global_store_dwordx2 v[40:41], v[10:11], off
.LBB297_89:
	s_or_b64 exec, exec, s[0:1]
	v_cmp_lt_u32_e32 vcc, v34, v25
	s_or_b64 s[2:3], s[26:27], vcc
	s_and_saveexec_b64 s[0:1], s[2:3]
	s_cbranch_execz .LBB297_92
; %bb.90:
	v_and_b32_e32 v27, 1, v23
	v_cmp_eq_u32_e32 vcc, 1, v27
	s_and_b64 exec, exec, vcc
	s_cbranch_execz .LBB297_92
; %bb.91:
	v_mov_b32_e32 v35, 0
	v_lshl_add_u64 v[40:41], v[34:35], 3, v[38:39]
	global_store_dwordx2 v[40:41], v[12:13], off
.LBB297_92:
	s_or_b64 exec, exec, s[0:1]
	v_cmp_lt_u32_e32 vcc, v32, v25
	s_or_b64 s[2:3], s[26:27], vcc
	s_and_saveexec_b64 s[0:1], s[2:3]
	s_cbranch_execz .LBB297_95
; %bb.93:
	v_mov_b32_e32 v27, 1
	v_and_b32_sdwa v27, v27, v16 dst_sel:DWORD dst_unused:UNUSED_PAD src0_sel:DWORD src1_sel:WORD_1
	v_cmp_eq_u32_e32 vcc, 1, v27
	s_and_b64 exec, exec, vcc
	s_cbranch_execz .LBB297_95
; %bb.94:
	v_mov_b32_e32 v33, 0
	v_lshl_add_u64 v[40:41], v[32:33], 3, v[38:39]
	global_store_dwordx2 v[40:41], v[6:7], off
.LBB297_95:
	s_or_b64 exec, exec, s[0:1]
	v_cmp_lt_u32_e32 vcc, v30, v25
	s_or_b64 s[2:3], s[26:27], vcc
	s_and_saveexec_b64 s[0:1], s[2:3]
	s_cbranch_execz .LBB297_98
; %bb.96:
	v_and_b32_e32 v27, 1, v22
	v_cmp_eq_u32_e32 vcc, 1, v27
	s_and_b64 exec, exec, vcc
	s_cbranch_execz .LBB297_98
; %bb.97:
	v_mov_b32_e32 v31, 0
	v_lshl_add_u64 v[40:41], v[30:31], 3, v[38:39]
	global_store_dwordx2 v[40:41], v[8:9], off
.LBB297_98:
	s_or_b64 exec, exec, s[0:1]
	v_cmp_lt_u32_e32 vcc, v28, v25
	s_or_b64 s[2:3], s[26:27], vcc
	s_and_saveexec_b64 s[0:1], s[2:3]
	s_cbranch_execz .LBB297_101
; %bb.99:
	v_and_b32_e32 v27, 1, v17
	v_cmp_eq_u32_e32 vcc, 1, v27
	s_and_b64 exec, exec, vcc
	s_cbranch_execz .LBB297_101
; %bb.100:
	v_mov_b32_e32 v29, 0
	v_lshl_add_u64 v[40:41], v[28:29], 3, v[38:39]
	global_store_dwordx2 v[40:41], v[2:3], off
.LBB297_101:
	;; [unrolled: 15-line block ×3, first 2 shown]
	s_or_b64 exec, exec, s[0:1]
	v_cmp_lt_u32_e32 vcc, v24, v25
	s_or_b64 s[2:3], s[26:27], vcc
	s_and_saveexec_b64 s[0:1], s[2:3]
	s_cbranch_execz .LBB297_107
; %bb.105:
	v_mov_b32_e32 v25, 1
	v_and_b32_sdwa v25, v25, v17 dst_sel:DWORD dst_unused:UNUSED_PAD src0_sel:DWORD src1_sel:WORD_1
	v_cmp_eq_u32_e32 vcc, 1, v25
	s_and_b64 exec, exec, vcc
	s_cbranch_execz .LBB297_107
; %bb.106:
	v_mov_b32_e32 v25, 0
	v_lshl_add_u64 v[38:39], v[24:25], 3, v[38:39]
	global_store_dwordx2 v[38:39], v[14:15], off
.LBB297_107:
	s_or_b64 exec, exec, s[0:1]
	s_branch .LBB297_84
.LBB297_108:
	v_and_b32_e32 v25, 1, v16
	v_cmp_eq_u32_e32 vcc, 1, v25
	s_and_saveexec_b64 s[0:1], vcc
	s_cbranch_execz .LBB297_110
; %bb.109:
	v_sub_u32_e32 v25, v36, v21
	v_lshlrev_b32_e32 v25, 3, v25
	ds_write_b64 v25, v[10:11]
.LBB297_110:
	s_or_b64 exec, exec, s[0:1]
	v_and_b32_e32 v10, 1, v23
	v_cmp_eq_u32_e32 vcc, 1, v10
	s_and_saveexec_b64 s[0:1], vcc
	s_cbranch_execz .LBB297_112
; %bb.111:
	v_sub_u32_e32 v10, v34, v21
	v_lshlrev_b32_e32 v10, 3, v10
	ds_write_b64 v10, v[12:13]
.LBB297_112:
	s_or_b64 exec, exec, s[0:1]
	v_mov_b32_e32 v10, 1
	v_and_b32_sdwa v10, v10, v16 dst_sel:DWORD dst_unused:UNUSED_PAD src0_sel:DWORD src1_sel:WORD_1
	v_cmp_eq_u32_e32 vcc, 1, v10
	s_and_saveexec_b64 s[0:1], vcc
	s_cbranch_execz .LBB297_114
; %bb.113:
	v_sub_u32_e32 v10, v32, v21
	v_lshlrev_b32_e32 v10, 3, v10
	ds_write_b64 v10, v[6:7]
.LBB297_114:
	s_or_b64 exec, exec, s[0:1]
	v_and_b32_e32 v6, 1, v22
	v_cmp_eq_u32_e32 vcc, 1, v6
	s_and_saveexec_b64 s[0:1], vcc
	s_cbranch_execz .LBB297_116
; %bb.115:
	v_sub_u32_e32 v6, v30, v21
	v_lshlrev_b32_e32 v6, 3, v6
	ds_write_b64 v6, v[8:9]
.LBB297_116:
	s_or_b64 exec, exec, s[0:1]
	v_and_b32_e32 v6, 1, v17
	v_cmp_eq_u32_e32 vcc, 1, v6
	s_and_saveexec_b64 s[0:1], vcc
	s_cbranch_execz .LBB297_118
; %bb.117:
	v_sub_u32_e32 v6, v28, v21
	v_lshlrev_b32_e32 v6, 3, v6
	ds_write_b64 v6, v[2:3]
.LBB297_118:
	s_or_b64 exec, exec, s[0:1]
	v_and_b32_e32 v1, 1, v1
	v_cmp_eq_u32_e32 vcc, 1, v1
	s_and_saveexec_b64 s[0:1], vcc
	s_cbranch_execz .LBB297_120
; %bb.119:
	v_sub_u32_e32 v1, v26, v21
	v_lshlrev_b32_e32 v1, 3, v1
	ds_write_b64 v1, v[4:5]
.LBB297_120:
	s_or_b64 exec, exec, s[0:1]
	v_mov_b32_e32 v1, 1
	v_and_b32_sdwa v1, v1, v17 dst_sel:DWORD dst_unused:UNUSED_PAD src0_sel:DWORD src1_sel:WORD_1
	v_cmp_eq_u32_e32 vcc, 1, v1
	s_and_saveexec_b64 s[0:1], vcc
	s_cbranch_execz .LBB297_122
; %bb.121:
	v_sub_u32_e32 v1, v24, v21
	v_lshlrev_b32_e32 v1, 3, v1
	ds_write_b64 v1, v[14:15]
.LBB297_122:
	s_or_b64 exec, exec, s[0:1]
	v_cmp_lt_u32_e32 vcc, v0, v20
	s_waitcnt lgkmcnt(0)
	s_barrier
	s_and_saveexec_b64 s[0:1], vcc
	s_cbranch_execz .LBB297_125
; %bb.123:
	v_mov_b32_e32 v5, 0
	v_mov_b32_e32 v4, v21
	v_lshlrev_b64 v[6:7], 3, v[18:19]
	v_lshlrev_b64 v[8:9], 3, v[4:5]
	v_lshl_add_u64 v[6:7], v[6:7], 0, v[8:9]
	v_lshlrev_b32_e32 v2, 3, v0
	v_mov_b32_e32 v3, v5
	v_lshl_add_u64 v[4:5], s[24:25], 0, v[6:7]
	v_lshl_add_u64 v[4:5], v[4:5], 0, v[2:3]
	s_mov_b64 s[2:3], 0
	s_mov_b64 s[4:5], 0x1000
.LBB297_124:                            ; =>This Inner Loop Header: Depth=1
	ds_read_b64 v[6:7], v2
	v_add_u32_e32 v0, 0x200, v0
	v_cmp_ge_u32_e32 vcc, v0, v20
	v_add_u32_e32 v2, 0x1000, v2
	s_or_b64 s[2:3], vcc, s[2:3]
	s_waitcnt lgkmcnt(0)
	global_store_dwordx2 v[4:5], v[6:7], off
	v_lshl_add_u64 v[4:5], v[4:5], 0, s[4:5]
	s_andn2_b64 exec, exec, s[2:3]
	s_cbranch_execnz .LBB297_124
.LBB297_125:
	s_or_b64 exec, exec, s[0:1]
	s_and_b64 s[0:1], s[18:19], s[22:23]
	s_and_saveexec_b64 s[2:3], s[0:1]
	s_cbranch_execz .LBB297_85
.LBB297_126:
	v_mov_b32_e32 v1, 0
	v_mov_b32_e32 v0, v20
	v_lshl_add_u64 v[2:3], v[18:19], 0, v[0:1]
	v_mov_b32_e32 v0, v21
	v_lshl_add_u64 v[2:3], v[2:3], 0, v[0:1]
	global_store_dwordx2 v1, v[2:3], s[20:21]
	s_endpgm
.LBB297_127:
	s_or_b64 exec, exec, s[4:5]
	s_and_saveexec_b64 s[2:3], s[30:31]
	s_cbranch_execnz .LBB297_42
	s_branch .LBB297_43
	.section	.rodata,"a",@progbits
	.p2align	6, 0x0
	.amdhsa_kernel _ZN7rocprim17ROCPRIM_400000_NS6detail17trampoline_kernelINS0_14default_configENS1_25partition_config_selectorILNS1_17partition_subalgoE8EdNS0_10empty_typeEbEEZZNS1_14partition_implILS5_8ELb0ES3_jPKdPS6_PKS6_NS0_5tupleIJPdS6_EEENSE_IJSB_SB_EEENS0_18inequality_wrapperIN6hipcub16HIPCUB_304000_NS8EqualityEEEPlJS6_EEE10hipError_tPvRmT3_T4_T5_T6_T7_T9_mT8_P12ihipStream_tbDpT10_ENKUlT_T0_E_clISt17integral_constantIbLb0EES16_IbLb1EEEEDaS12_S13_EUlS12_E_NS1_11comp_targetILNS1_3genE5ELNS1_11target_archE942ELNS1_3gpuE9ELNS1_3repE0EEENS1_30default_config_static_selectorELNS0_4arch9wavefront6targetE1EEEvT1_
		.amdhsa_group_segment_fixed_size 28680
		.amdhsa_private_segment_fixed_size 0
		.amdhsa_kernarg_size 128
		.amdhsa_user_sgpr_count 2
		.amdhsa_user_sgpr_dispatch_ptr 0
		.amdhsa_user_sgpr_queue_ptr 0
		.amdhsa_user_sgpr_kernarg_segment_ptr 1
		.amdhsa_user_sgpr_dispatch_id 0
		.amdhsa_user_sgpr_kernarg_preload_length 0
		.amdhsa_user_sgpr_kernarg_preload_offset 0
		.amdhsa_user_sgpr_private_segment_size 0
		.amdhsa_uses_dynamic_stack 0
		.amdhsa_enable_private_segment 0
		.amdhsa_system_sgpr_workgroup_id_x 1
		.amdhsa_system_sgpr_workgroup_id_y 0
		.amdhsa_system_sgpr_workgroup_id_z 0
		.amdhsa_system_sgpr_workgroup_info 0
		.amdhsa_system_vgpr_workitem_id 0
		.amdhsa_next_free_vgpr 55
		.amdhsa_next_free_sgpr 38
		.amdhsa_accum_offset 56
		.amdhsa_reserve_vcc 1
		.amdhsa_float_round_mode_32 0
		.amdhsa_float_round_mode_16_64 0
		.amdhsa_float_denorm_mode_32 3
		.amdhsa_float_denorm_mode_16_64 3
		.amdhsa_dx10_clamp 1
		.amdhsa_ieee_mode 1
		.amdhsa_fp16_overflow 0
		.amdhsa_tg_split 0
		.amdhsa_exception_fp_ieee_invalid_op 0
		.amdhsa_exception_fp_denorm_src 0
		.amdhsa_exception_fp_ieee_div_zero 0
		.amdhsa_exception_fp_ieee_overflow 0
		.amdhsa_exception_fp_ieee_underflow 0
		.amdhsa_exception_fp_ieee_inexact 0
		.amdhsa_exception_int_div_zero 0
	.end_amdhsa_kernel
	.section	.text._ZN7rocprim17ROCPRIM_400000_NS6detail17trampoline_kernelINS0_14default_configENS1_25partition_config_selectorILNS1_17partition_subalgoE8EdNS0_10empty_typeEbEEZZNS1_14partition_implILS5_8ELb0ES3_jPKdPS6_PKS6_NS0_5tupleIJPdS6_EEENSE_IJSB_SB_EEENS0_18inequality_wrapperIN6hipcub16HIPCUB_304000_NS8EqualityEEEPlJS6_EEE10hipError_tPvRmT3_T4_T5_T6_T7_T9_mT8_P12ihipStream_tbDpT10_ENKUlT_T0_E_clISt17integral_constantIbLb0EES16_IbLb1EEEEDaS12_S13_EUlS12_E_NS1_11comp_targetILNS1_3genE5ELNS1_11target_archE942ELNS1_3gpuE9ELNS1_3repE0EEENS1_30default_config_static_selectorELNS0_4arch9wavefront6targetE1EEEvT1_,"axG",@progbits,_ZN7rocprim17ROCPRIM_400000_NS6detail17trampoline_kernelINS0_14default_configENS1_25partition_config_selectorILNS1_17partition_subalgoE8EdNS0_10empty_typeEbEEZZNS1_14partition_implILS5_8ELb0ES3_jPKdPS6_PKS6_NS0_5tupleIJPdS6_EEENSE_IJSB_SB_EEENS0_18inequality_wrapperIN6hipcub16HIPCUB_304000_NS8EqualityEEEPlJS6_EEE10hipError_tPvRmT3_T4_T5_T6_T7_T9_mT8_P12ihipStream_tbDpT10_ENKUlT_T0_E_clISt17integral_constantIbLb0EES16_IbLb1EEEEDaS12_S13_EUlS12_E_NS1_11comp_targetILNS1_3genE5ELNS1_11target_archE942ELNS1_3gpuE9ELNS1_3repE0EEENS1_30default_config_static_selectorELNS0_4arch9wavefront6targetE1EEEvT1_,comdat
.Lfunc_end297:
	.size	_ZN7rocprim17ROCPRIM_400000_NS6detail17trampoline_kernelINS0_14default_configENS1_25partition_config_selectorILNS1_17partition_subalgoE8EdNS0_10empty_typeEbEEZZNS1_14partition_implILS5_8ELb0ES3_jPKdPS6_PKS6_NS0_5tupleIJPdS6_EEENSE_IJSB_SB_EEENS0_18inequality_wrapperIN6hipcub16HIPCUB_304000_NS8EqualityEEEPlJS6_EEE10hipError_tPvRmT3_T4_T5_T6_T7_T9_mT8_P12ihipStream_tbDpT10_ENKUlT_T0_E_clISt17integral_constantIbLb0EES16_IbLb1EEEEDaS12_S13_EUlS12_E_NS1_11comp_targetILNS1_3genE5ELNS1_11target_archE942ELNS1_3gpuE9ELNS1_3repE0EEENS1_30default_config_static_selectorELNS0_4arch9wavefront6targetE1EEEvT1_, .Lfunc_end297-_ZN7rocprim17ROCPRIM_400000_NS6detail17trampoline_kernelINS0_14default_configENS1_25partition_config_selectorILNS1_17partition_subalgoE8EdNS0_10empty_typeEbEEZZNS1_14partition_implILS5_8ELb0ES3_jPKdPS6_PKS6_NS0_5tupleIJPdS6_EEENSE_IJSB_SB_EEENS0_18inequality_wrapperIN6hipcub16HIPCUB_304000_NS8EqualityEEEPlJS6_EEE10hipError_tPvRmT3_T4_T5_T6_T7_T9_mT8_P12ihipStream_tbDpT10_ENKUlT_T0_E_clISt17integral_constantIbLb0EES16_IbLb1EEEEDaS12_S13_EUlS12_E_NS1_11comp_targetILNS1_3genE5ELNS1_11target_archE942ELNS1_3gpuE9ELNS1_3repE0EEENS1_30default_config_static_selectorELNS0_4arch9wavefront6targetE1EEEvT1_
                                        ; -- End function
	.section	.AMDGPU.csdata,"",@progbits
; Kernel info:
; codeLenInByte = 5544
; NumSgprs: 44
; NumVgprs: 55
; NumAgprs: 0
; TotalNumVgprs: 55
; ScratchSize: 0
; MemoryBound: 0
; FloatMode: 240
; IeeeMode: 1
; LDSByteSize: 28680 bytes/workgroup (compile time only)
; SGPRBlocks: 5
; VGPRBlocks: 6
; NumSGPRsForWavesPerEU: 44
; NumVGPRsForWavesPerEU: 55
; AccumOffset: 56
; Occupancy: 4
; WaveLimiterHint : 1
; COMPUTE_PGM_RSRC2:SCRATCH_EN: 0
; COMPUTE_PGM_RSRC2:USER_SGPR: 2
; COMPUTE_PGM_RSRC2:TRAP_HANDLER: 0
; COMPUTE_PGM_RSRC2:TGID_X_EN: 1
; COMPUTE_PGM_RSRC2:TGID_Y_EN: 0
; COMPUTE_PGM_RSRC2:TGID_Z_EN: 0
; COMPUTE_PGM_RSRC2:TIDIG_COMP_CNT: 0
; COMPUTE_PGM_RSRC3_GFX90A:ACCUM_OFFSET: 13
; COMPUTE_PGM_RSRC3_GFX90A:TG_SPLIT: 0
	.section	.text._ZN7rocprim17ROCPRIM_400000_NS6detail17trampoline_kernelINS0_14default_configENS1_25partition_config_selectorILNS1_17partition_subalgoE8EdNS0_10empty_typeEbEEZZNS1_14partition_implILS5_8ELb0ES3_jPKdPS6_PKS6_NS0_5tupleIJPdS6_EEENSE_IJSB_SB_EEENS0_18inequality_wrapperIN6hipcub16HIPCUB_304000_NS8EqualityEEEPlJS6_EEE10hipError_tPvRmT3_T4_T5_T6_T7_T9_mT8_P12ihipStream_tbDpT10_ENKUlT_T0_E_clISt17integral_constantIbLb0EES16_IbLb1EEEEDaS12_S13_EUlS12_E_NS1_11comp_targetILNS1_3genE4ELNS1_11target_archE910ELNS1_3gpuE8ELNS1_3repE0EEENS1_30default_config_static_selectorELNS0_4arch9wavefront6targetE1EEEvT1_,"axG",@progbits,_ZN7rocprim17ROCPRIM_400000_NS6detail17trampoline_kernelINS0_14default_configENS1_25partition_config_selectorILNS1_17partition_subalgoE8EdNS0_10empty_typeEbEEZZNS1_14partition_implILS5_8ELb0ES3_jPKdPS6_PKS6_NS0_5tupleIJPdS6_EEENSE_IJSB_SB_EEENS0_18inequality_wrapperIN6hipcub16HIPCUB_304000_NS8EqualityEEEPlJS6_EEE10hipError_tPvRmT3_T4_T5_T6_T7_T9_mT8_P12ihipStream_tbDpT10_ENKUlT_T0_E_clISt17integral_constantIbLb0EES16_IbLb1EEEEDaS12_S13_EUlS12_E_NS1_11comp_targetILNS1_3genE4ELNS1_11target_archE910ELNS1_3gpuE8ELNS1_3repE0EEENS1_30default_config_static_selectorELNS0_4arch9wavefront6targetE1EEEvT1_,comdat
	.protected	_ZN7rocprim17ROCPRIM_400000_NS6detail17trampoline_kernelINS0_14default_configENS1_25partition_config_selectorILNS1_17partition_subalgoE8EdNS0_10empty_typeEbEEZZNS1_14partition_implILS5_8ELb0ES3_jPKdPS6_PKS6_NS0_5tupleIJPdS6_EEENSE_IJSB_SB_EEENS0_18inequality_wrapperIN6hipcub16HIPCUB_304000_NS8EqualityEEEPlJS6_EEE10hipError_tPvRmT3_T4_T5_T6_T7_T9_mT8_P12ihipStream_tbDpT10_ENKUlT_T0_E_clISt17integral_constantIbLb0EES16_IbLb1EEEEDaS12_S13_EUlS12_E_NS1_11comp_targetILNS1_3genE4ELNS1_11target_archE910ELNS1_3gpuE8ELNS1_3repE0EEENS1_30default_config_static_selectorELNS0_4arch9wavefront6targetE1EEEvT1_ ; -- Begin function _ZN7rocprim17ROCPRIM_400000_NS6detail17trampoline_kernelINS0_14default_configENS1_25partition_config_selectorILNS1_17partition_subalgoE8EdNS0_10empty_typeEbEEZZNS1_14partition_implILS5_8ELb0ES3_jPKdPS6_PKS6_NS0_5tupleIJPdS6_EEENSE_IJSB_SB_EEENS0_18inequality_wrapperIN6hipcub16HIPCUB_304000_NS8EqualityEEEPlJS6_EEE10hipError_tPvRmT3_T4_T5_T6_T7_T9_mT8_P12ihipStream_tbDpT10_ENKUlT_T0_E_clISt17integral_constantIbLb0EES16_IbLb1EEEEDaS12_S13_EUlS12_E_NS1_11comp_targetILNS1_3genE4ELNS1_11target_archE910ELNS1_3gpuE8ELNS1_3repE0EEENS1_30default_config_static_selectorELNS0_4arch9wavefront6targetE1EEEvT1_
	.globl	_ZN7rocprim17ROCPRIM_400000_NS6detail17trampoline_kernelINS0_14default_configENS1_25partition_config_selectorILNS1_17partition_subalgoE8EdNS0_10empty_typeEbEEZZNS1_14partition_implILS5_8ELb0ES3_jPKdPS6_PKS6_NS0_5tupleIJPdS6_EEENSE_IJSB_SB_EEENS0_18inequality_wrapperIN6hipcub16HIPCUB_304000_NS8EqualityEEEPlJS6_EEE10hipError_tPvRmT3_T4_T5_T6_T7_T9_mT8_P12ihipStream_tbDpT10_ENKUlT_T0_E_clISt17integral_constantIbLb0EES16_IbLb1EEEEDaS12_S13_EUlS12_E_NS1_11comp_targetILNS1_3genE4ELNS1_11target_archE910ELNS1_3gpuE8ELNS1_3repE0EEENS1_30default_config_static_selectorELNS0_4arch9wavefront6targetE1EEEvT1_
	.p2align	8
	.type	_ZN7rocprim17ROCPRIM_400000_NS6detail17trampoline_kernelINS0_14default_configENS1_25partition_config_selectorILNS1_17partition_subalgoE8EdNS0_10empty_typeEbEEZZNS1_14partition_implILS5_8ELb0ES3_jPKdPS6_PKS6_NS0_5tupleIJPdS6_EEENSE_IJSB_SB_EEENS0_18inequality_wrapperIN6hipcub16HIPCUB_304000_NS8EqualityEEEPlJS6_EEE10hipError_tPvRmT3_T4_T5_T6_T7_T9_mT8_P12ihipStream_tbDpT10_ENKUlT_T0_E_clISt17integral_constantIbLb0EES16_IbLb1EEEEDaS12_S13_EUlS12_E_NS1_11comp_targetILNS1_3genE4ELNS1_11target_archE910ELNS1_3gpuE8ELNS1_3repE0EEENS1_30default_config_static_selectorELNS0_4arch9wavefront6targetE1EEEvT1_,@function
_ZN7rocprim17ROCPRIM_400000_NS6detail17trampoline_kernelINS0_14default_configENS1_25partition_config_selectorILNS1_17partition_subalgoE8EdNS0_10empty_typeEbEEZZNS1_14partition_implILS5_8ELb0ES3_jPKdPS6_PKS6_NS0_5tupleIJPdS6_EEENSE_IJSB_SB_EEENS0_18inequality_wrapperIN6hipcub16HIPCUB_304000_NS8EqualityEEEPlJS6_EEE10hipError_tPvRmT3_T4_T5_T6_T7_T9_mT8_P12ihipStream_tbDpT10_ENKUlT_T0_E_clISt17integral_constantIbLb0EES16_IbLb1EEEEDaS12_S13_EUlS12_E_NS1_11comp_targetILNS1_3genE4ELNS1_11target_archE910ELNS1_3gpuE8ELNS1_3repE0EEENS1_30default_config_static_selectorELNS0_4arch9wavefront6targetE1EEEvT1_: ; @_ZN7rocprim17ROCPRIM_400000_NS6detail17trampoline_kernelINS0_14default_configENS1_25partition_config_selectorILNS1_17partition_subalgoE8EdNS0_10empty_typeEbEEZZNS1_14partition_implILS5_8ELb0ES3_jPKdPS6_PKS6_NS0_5tupleIJPdS6_EEENSE_IJSB_SB_EEENS0_18inequality_wrapperIN6hipcub16HIPCUB_304000_NS8EqualityEEEPlJS6_EEE10hipError_tPvRmT3_T4_T5_T6_T7_T9_mT8_P12ihipStream_tbDpT10_ENKUlT_T0_E_clISt17integral_constantIbLb0EES16_IbLb1EEEEDaS12_S13_EUlS12_E_NS1_11comp_targetILNS1_3genE4ELNS1_11target_archE910ELNS1_3gpuE8ELNS1_3repE0EEENS1_30default_config_static_selectorELNS0_4arch9wavefront6targetE1EEEvT1_
; %bb.0:
	.section	.rodata,"a",@progbits
	.p2align	6, 0x0
	.amdhsa_kernel _ZN7rocprim17ROCPRIM_400000_NS6detail17trampoline_kernelINS0_14default_configENS1_25partition_config_selectorILNS1_17partition_subalgoE8EdNS0_10empty_typeEbEEZZNS1_14partition_implILS5_8ELb0ES3_jPKdPS6_PKS6_NS0_5tupleIJPdS6_EEENSE_IJSB_SB_EEENS0_18inequality_wrapperIN6hipcub16HIPCUB_304000_NS8EqualityEEEPlJS6_EEE10hipError_tPvRmT3_T4_T5_T6_T7_T9_mT8_P12ihipStream_tbDpT10_ENKUlT_T0_E_clISt17integral_constantIbLb0EES16_IbLb1EEEEDaS12_S13_EUlS12_E_NS1_11comp_targetILNS1_3genE4ELNS1_11target_archE910ELNS1_3gpuE8ELNS1_3repE0EEENS1_30default_config_static_selectorELNS0_4arch9wavefront6targetE1EEEvT1_
		.amdhsa_group_segment_fixed_size 0
		.amdhsa_private_segment_fixed_size 0
		.amdhsa_kernarg_size 128
		.amdhsa_user_sgpr_count 2
		.amdhsa_user_sgpr_dispatch_ptr 0
		.amdhsa_user_sgpr_queue_ptr 0
		.amdhsa_user_sgpr_kernarg_segment_ptr 1
		.amdhsa_user_sgpr_dispatch_id 0
		.amdhsa_user_sgpr_kernarg_preload_length 0
		.amdhsa_user_sgpr_kernarg_preload_offset 0
		.amdhsa_user_sgpr_private_segment_size 0
		.amdhsa_uses_dynamic_stack 0
		.amdhsa_enable_private_segment 0
		.amdhsa_system_sgpr_workgroup_id_x 1
		.amdhsa_system_sgpr_workgroup_id_y 0
		.amdhsa_system_sgpr_workgroup_id_z 0
		.amdhsa_system_sgpr_workgroup_info 0
		.amdhsa_system_vgpr_workitem_id 0
		.amdhsa_next_free_vgpr 1
		.amdhsa_next_free_sgpr 0
		.amdhsa_accum_offset 4
		.amdhsa_reserve_vcc 0
		.amdhsa_float_round_mode_32 0
		.amdhsa_float_round_mode_16_64 0
		.amdhsa_float_denorm_mode_32 3
		.amdhsa_float_denorm_mode_16_64 3
		.amdhsa_dx10_clamp 1
		.amdhsa_ieee_mode 1
		.amdhsa_fp16_overflow 0
		.amdhsa_tg_split 0
		.amdhsa_exception_fp_ieee_invalid_op 0
		.amdhsa_exception_fp_denorm_src 0
		.amdhsa_exception_fp_ieee_div_zero 0
		.amdhsa_exception_fp_ieee_overflow 0
		.amdhsa_exception_fp_ieee_underflow 0
		.amdhsa_exception_fp_ieee_inexact 0
		.amdhsa_exception_int_div_zero 0
	.end_amdhsa_kernel
	.section	.text._ZN7rocprim17ROCPRIM_400000_NS6detail17trampoline_kernelINS0_14default_configENS1_25partition_config_selectorILNS1_17partition_subalgoE8EdNS0_10empty_typeEbEEZZNS1_14partition_implILS5_8ELb0ES3_jPKdPS6_PKS6_NS0_5tupleIJPdS6_EEENSE_IJSB_SB_EEENS0_18inequality_wrapperIN6hipcub16HIPCUB_304000_NS8EqualityEEEPlJS6_EEE10hipError_tPvRmT3_T4_T5_T6_T7_T9_mT8_P12ihipStream_tbDpT10_ENKUlT_T0_E_clISt17integral_constantIbLb0EES16_IbLb1EEEEDaS12_S13_EUlS12_E_NS1_11comp_targetILNS1_3genE4ELNS1_11target_archE910ELNS1_3gpuE8ELNS1_3repE0EEENS1_30default_config_static_selectorELNS0_4arch9wavefront6targetE1EEEvT1_,"axG",@progbits,_ZN7rocprim17ROCPRIM_400000_NS6detail17trampoline_kernelINS0_14default_configENS1_25partition_config_selectorILNS1_17partition_subalgoE8EdNS0_10empty_typeEbEEZZNS1_14partition_implILS5_8ELb0ES3_jPKdPS6_PKS6_NS0_5tupleIJPdS6_EEENSE_IJSB_SB_EEENS0_18inequality_wrapperIN6hipcub16HIPCUB_304000_NS8EqualityEEEPlJS6_EEE10hipError_tPvRmT3_T4_T5_T6_T7_T9_mT8_P12ihipStream_tbDpT10_ENKUlT_T0_E_clISt17integral_constantIbLb0EES16_IbLb1EEEEDaS12_S13_EUlS12_E_NS1_11comp_targetILNS1_3genE4ELNS1_11target_archE910ELNS1_3gpuE8ELNS1_3repE0EEENS1_30default_config_static_selectorELNS0_4arch9wavefront6targetE1EEEvT1_,comdat
.Lfunc_end298:
	.size	_ZN7rocprim17ROCPRIM_400000_NS6detail17trampoline_kernelINS0_14default_configENS1_25partition_config_selectorILNS1_17partition_subalgoE8EdNS0_10empty_typeEbEEZZNS1_14partition_implILS5_8ELb0ES3_jPKdPS6_PKS6_NS0_5tupleIJPdS6_EEENSE_IJSB_SB_EEENS0_18inequality_wrapperIN6hipcub16HIPCUB_304000_NS8EqualityEEEPlJS6_EEE10hipError_tPvRmT3_T4_T5_T6_T7_T9_mT8_P12ihipStream_tbDpT10_ENKUlT_T0_E_clISt17integral_constantIbLb0EES16_IbLb1EEEEDaS12_S13_EUlS12_E_NS1_11comp_targetILNS1_3genE4ELNS1_11target_archE910ELNS1_3gpuE8ELNS1_3repE0EEENS1_30default_config_static_selectorELNS0_4arch9wavefront6targetE1EEEvT1_, .Lfunc_end298-_ZN7rocprim17ROCPRIM_400000_NS6detail17trampoline_kernelINS0_14default_configENS1_25partition_config_selectorILNS1_17partition_subalgoE8EdNS0_10empty_typeEbEEZZNS1_14partition_implILS5_8ELb0ES3_jPKdPS6_PKS6_NS0_5tupleIJPdS6_EEENSE_IJSB_SB_EEENS0_18inequality_wrapperIN6hipcub16HIPCUB_304000_NS8EqualityEEEPlJS6_EEE10hipError_tPvRmT3_T4_T5_T6_T7_T9_mT8_P12ihipStream_tbDpT10_ENKUlT_T0_E_clISt17integral_constantIbLb0EES16_IbLb1EEEEDaS12_S13_EUlS12_E_NS1_11comp_targetILNS1_3genE4ELNS1_11target_archE910ELNS1_3gpuE8ELNS1_3repE0EEENS1_30default_config_static_selectorELNS0_4arch9wavefront6targetE1EEEvT1_
                                        ; -- End function
	.section	.AMDGPU.csdata,"",@progbits
; Kernel info:
; codeLenInByte = 0
; NumSgprs: 6
; NumVgprs: 0
; NumAgprs: 0
; TotalNumVgprs: 0
; ScratchSize: 0
; MemoryBound: 0
; FloatMode: 240
; IeeeMode: 1
; LDSByteSize: 0 bytes/workgroup (compile time only)
; SGPRBlocks: 0
; VGPRBlocks: 0
; NumSGPRsForWavesPerEU: 6
; NumVGPRsForWavesPerEU: 1
; AccumOffset: 4
; Occupancy: 8
; WaveLimiterHint : 0
; COMPUTE_PGM_RSRC2:SCRATCH_EN: 0
; COMPUTE_PGM_RSRC2:USER_SGPR: 2
; COMPUTE_PGM_RSRC2:TRAP_HANDLER: 0
; COMPUTE_PGM_RSRC2:TGID_X_EN: 1
; COMPUTE_PGM_RSRC2:TGID_Y_EN: 0
; COMPUTE_PGM_RSRC2:TGID_Z_EN: 0
; COMPUTE_PGM_RSRC2:TIDIG_COMP_CNT: 0
; COMPUTE_PGM_RSRC3_GFX90A:ACCUM_OFFSET: 0
; COMPUTE_PGM_RSRC3_GFX90A:TG_SPLIT: 0
	.section	.text._ZN7rocprim17ROCPRIM_400000_NS6detail17trampoline_kernelINS0_14default_configENS1_25partition_config_selectorILNS1_17partition_subalgoE8EdNS0_10empty_typeEbEEZZNS1_14partition_implILS5_8ELb0ES3_jPKdPS6_PKS6_NS0_5tupleIJPdS6_EEENSE_IJSB_SB_EEENS0_18inequality_wrapperIN6hipcub16HIPCUB_304000_NS8EqualityEEEPlJS6_EEE10hipError_tPvRmT3_T4_T5_T6_T7_T9_mT8_P12ihipStream_tbDpT10_ENKUlT_T0_E_clISt17integral_constantIbLb0EES16_IbLb1EEEEDaS12_S13_EUlS12_E_NS1_11comp_targetILNS1_3genE3ELNS1_11target_archE908ELNS1_3gpuE7ELNS1_3repE0EEENS1_30default_config_static_selectorELNS0_4arch9wavefront6targetE1EEEvT1_,"axG",@progbits,_ZN7rocprim17ROCPRIM_400000_NS6detail17trampoline_kernelINS0_14default_configENS1_25partition_config_selectorILNS1_17partition_subalgoE8EdNS0_10empty_typeEbEEZZNS1_14partition_implILS5_8ELb0ES3_jPKdPS6_PKS6_NS0_5tupleIJPdS6_EEENSE_IJSB_SB_EEENS0_18inequality_wrapperIN6hipcub16HIPCUB_304000_NS8EqualityEEEPlJS6_EEE10hipError_tPvRmT3_T4_T5_T6_T7_T9_mT8_P12ihipStream_tbDpT10_ENKUlT_T0_E_clISt17integral_constantIbLb0EES16_IbLb1EEEEDaS12_S13_EUlS12_E_NS1_11comp_targetILNS1_3genE3ELNS1_11target_archE908ELNS1_3gpuE7ELNS1_3repE0EEENS1_30default_config_static_selectorELNS0_4arch9wavefront6targetE1EEEvT1_,comdat
	.protected	_ZN7rocprim17ROCPRIM_400000_NS6detail17trampoline_kernelINS0_14default_configENS1_25partition_config_selectorILNS1_17partition_subalgoE8EdNS0_10empty_typeEbEEZZNS1_14partition_implILS5_8ELb0ES3_jPKdPS6_PKS6_NS0_5tupleIJPdS6_EEENSE_IJSB_SB_EEENS0_18inequality_wrapperIN6hipcub16HIPCUB_304000_NS8EqualityEEEPlJS6_EEE10hipError_tPvRmT3_T4_T5_T6_T7_T9_mT8_P12ihipStream_tbDpT10_ENKUlT_T0_E_clISt17integral_constantIbLb0EES16_IbLb1EEEEDaS12_S13_EUlS12_E_NS1_11comp_targetILNS1_3genE3ELNS1_11target_archE908ELNS1_3gpuE7ELNS1_3repE0EEENS1_30default_config_static_selectorELNS0_4arch9wavefront6targetE1EEEvT1_ ; -- Begin function _ZN7rocprim17ROCPRIM_400000_NS6detail17trampoline_kernelINS0_14default_configENS1_25partition_config_selectorILNS1_17partition_subalgoE8EdNS0_10empty_typeEbEEZZNS1_14partition_implILS5_8ELb0ES3_jPKdPS6_PKS6_NS0_5tupleIJPdS6_EEENSE_IJSB_SB_EEENS0_18inequality_wrapperIN6hipcub16HIPCUB_304000_NS8EqualityEEEPlJS6_EEE10hipError_tPvRmT3_T4_T5_T6_T7_T9_mT8_P12ihipStream_tbDpT10_ENKUlT_T0_E_clISt17integral_constantIbLb0EES16_IbLb1EEEEDaS12_S13_EUlS12_E_NS1_11comp_targetILNS1_3genE3ELNS1_11target_archE908ELNS1_3gpuE7ELNS1_3repE0EEENS1_30default_config_static_selectorELNS0_4arch9wavefront6targetE1EEEvT1_
	.globl	_ZN7rocprim17ROCPRIM_400000_NS6detail17trampoline_kernelINS0_14default_configENS1_25partition_config_selectorILNS1_17partition_subalgoE8EdNS0_10empty_typeEbEEZZNS1_14partition_implILS5_8ELb0ES3_jPKdPS6_PKS6_NS0_5tupleIJPdS6_EEENSE_IJSB_SB_EEENS0_18inequality_wrapperIN6hipcub16HIPCUB_304000_NS8EqualityEEEPlJS6_EEE10hipError_tPvRmT3_T4_T5_T6_T7_T9_mT8_P12ihipStream_tbDpT10_ENKUlT_T0_E_clISt17integral_constantIbLb0EES16_IbLb1EEEEDaS12_S13_EUlS12_E_NS1_11comp_targetILNS1_3genE3ELNS1_11target_archE908ELNS1_3gpuE7ELNS1_3repE0EEENS1_30default_config_static_selectorELNS0_4arch9wavefront6targetE1EEEvT1_
	.p2align	8
	.type	_ZN7rocprim17ROCPRIM_400000_NS6detail17trampoline_kernelINS0_14default_configENS1_25partition_config_selectorILNS1_17partition_subalgoE8EdNS0_10empty_typeEbEEZZNS1_14partition_implILS5_8ELb0ES3_jPKdPS6_PKS6_NS0_5tupleIJPdS6_EEENSE_IJSB_SB_EEENS0_18inequality_wrapperIN6hipcub16HIPCUB_304000_NS8EqualityEEEPlJS6_EEE10hipError_tPvRmT3_T4_T5_T6_T7_T9_mT8_P12ihipStream_tbDpT10_ENKUlT_T0_E_clISt17integral_constantIbLb0EES16_IbLb1EEEEDaS12_S13_EUlS12_E_NS1_11comp_targetILNS1_3genE3ELNS1_11target_archE908ELNS1_3gpuE7ELNS1_3repE0EEENS1_30default_config_static_selectorELNS0_4arch9wavefront6targetE1EEEvT1_,@function
_ZN7rocprim17ROCPRIM_400000_NS6detail17trampoline_kernelINS0_14default_configENS1_25partition_config_selectorILNS1_17partition_subalgoE8EdNS0_10empty_typeEbEEZZNS1_14partition_implILS5_8ELb0ES3_jPKdPS6_PKS6_NS0_5tupleIJPdS6_EEENSE_IJSB_SB_EEENS0_18inequality_wrapperIN6hipcub16HIPCUB_304000_NS8EqualityEEEPlJS6_EEE10hipError_tPvRmT3_T4_T5_T6_T7_T9_mT8_P12ihipStream_tbDpT10_ENKUlT_T0_E_clISt17integral_constantIbLb0EES16_IbLb1EEEEDaS12_S13_EUlS12_E_NS1_11comp_targetILNS1_3genE3ELNS1_11target_archE908ELNS1_3gpuE7ELNS1_3repE0EEENS1_30default_config_static_selectorELNS0_4arch9wavefront6targetE1EEEvT1_: ; @_ZN7rocprim17ROCPRIM_400000_NS6detail17trampoline_kernelINS0_14default_configENS1_25partition_config_selectorILNS1_17partition_subalgoE8EdNS0_10empty_typeEbEEZZNS1_14partition_implILS5_8ELb0ES3_jPKdPS6_PKS6_NS0_5tupleIJPdS6_EEENSE_IJSB_SB_EEENS0_18inequality_wrapperIN6hipcub16HIPCUB_304000_NS8EqualityEEEPlJS6_EEE10hipError_tPvRmT3_T4_T5_T6_T7_T9_mT8_P12ihipStream_tbDpT10_ENKUlT_T0_E_clISt17integral_constantIbLb0EES16_IbLb1EEEEDaS12_S13_EUlS12_E_NS1_11comp_targetILNS1_3genE3ELNS1_11target_archE908ELNS1_3gpuE7ELNS1_3repE0EEENS1_30default_config_static_selectorELNS0_4arch9wavefront6targetE1EEEvT1_
; %bb.0:
	.section	.rodata,"a",@progbits
	.p2align	6, 0x0
	.amdhsa_kernel _ZN7rocprim17ROCPRIM_400000_NS6detail17trampoline_kernelINS0_14default_configENS1_25partition_config_selectorILNS1_17partition_subalgoE8EdNS0_10empty_typeEbEEZZNS1_14partition_implILS5_8ELb0ES3_jPKdPS6_PKS6_NS0_5tupleIJPdS6_EEENSE_IJSB_SB_EEENS0_18inequality_wrapperIN6hipcub16HIPCUB_304000_NS8EqualityEEEPlJS6_EEE10hipError_tPvRmT3_T4_T5_T6_T7_T9_mT8_P12ihipStream_tbDpT10_ENKUlT_T0_E_clISt17integral_constantIbLb0EES16_IbLb1EEEEDaS12_S13_EUlS12_E_NS1_11comp_targetILNS1_3genE3ELNS1_11target_archE908ELNS1_3gpuE7ELNS1_3repE0EEENS1_30default_config_static_selectorELNS0_4arch9wavefront6targetE1EEEvT1_
		.amdhsa_group_segment_fixed_size 0
		.amdhsa_private_segment_fixed_size 0
		.amdhsa_kernarg_size 128
		.amdhsa_user_sgpr_count 2
		.amdhsa_user_sgpr_dispatch_ptr 0
		.amdhsa_user_sgpr_queue_ptr 0
		.amdhsa_user_sgpr_kernarg_segment_ptr 1
		.amdhsa_user_sgpr_dispatch_id 0
		.amdhsa_user_sgpr_kernarg_preload_length 0
		.amdhsa_user_sgpr_kernarg_preload_offset 0
		.amdhsa_user_sgpr_private_segment_size 0
		.amdhsa_uses_dynamic_stack 0
		.amdhsa_enable_private_segment 0
		.amdhsa_system_sgpr_workgroup_id_x 1
		.amdhsa_system_sgpr_workgroup_id_y 0
		.amdhsa_system_sgpr_workgroup_id_z 0
		.amdhsa_system_sgpr_workgroup_info 0
		.amdhsa_system_vgpr_workitem_id 0
		.amdhsa_next_free_vgpr 1
		.amdhsa_next_free_sgpr 0
		.amdhsa_accum_offset 4
		.amdhsa_reserve_vcc 0
		.amdhsa_float_round_mode_32 0
		.amdhsa_float_round_mode_16_64 0
		.amdhsa_float_denorm_mode_32 3
		.amdhsa_float_denorm_mode_16_64 3
		.amdhsa_dx10_clamp 1
		.amdhsa_ieee_mode 1
		.amdhsa_fp16_overflow 0
		.amdhsa_tg_split 0
		.amdhsa_exception_fp_ieee_invalid_op 0
		.amdhsa_exception_fp_denorm_src 0
		.amdhsa_exception_fp_ieee_div_zero 0
		.amdhsa_exception_fp_ieee_overflow 0
		.amdhsa_exception_fp_ieee_underflow 0
		.amdhsa_exception_fp_ieee_inexact 0
		.amdhsa_exception_int_div_zero 0
	.end_amdhsa_kernel
	.section	.text._ZN7rocprim17ROCPRIM_400000_NS6detail17trampoline_kernelINS0_14default_configENS1_25partition_config_selectorILNS1_17partition_subalgoE8EdNS0_10empty_typeEbEEZZNS1_14partition_implILS5_8ELb0ES3_jPKdPS6_PKS6_NS0_5tupleIJPdS6_EEENSE_IJSB_SB_EEENS0_18inequality_wrapperIN6hipcub16HIPCUB_304000_NS8EqualityEEEPlJS6_EEE10hipError_tPvRmT3_T4_T5_T6_T7_T9_mT8_P12ihipStream_tbDpT10_ENKUlT_T0_E_clISt17integral_constantIbLb0EES16_IbLb1EEEEDaS12_S13_EUlS12_E_NS1_11comp_targetILNS1_3genE3ELNS1_11target_archE908ELNS1_3gpuE7ELNS1_3repE0EEENS1_30default_config_static_selectorELNS0_4arch9wavefront6targetE1EEEvT1_,"axG",@progbits,_ZN7rocprim17ROCPRIM_400000_NS6detail17trampoline_kernelINS0_14default_configENS1_25partition_config_selectorILNS1_17partition_subalgoE8EdNS0_10empty_typeEbEEZZNS1_14partition_implILS5_8ELb0ES3_jPKdPS6_PKS6_NS0_5tupleIJPdS6_EEENSE_IJSB_SB_EEENS0_18inequality_wrapperIN6hipcub16HIPCUB_304000_NS8EqualityEEEPlJS6_EEE10hipError_tPvRmT3_T4_T5_T6_T7_T9_mT8_P12ihipStream_tbDpT10_ENKUlT_T0_E_clISt17integral_constantIbLb0EES16_IbLb1EEEEDaS12_S13_EUlS12_E_NS1_11comp_targetILNS1_3genE3ELNS1_11target_archE908ELNS1_3gpuE7ELNS1_3repE0EEENS1_30default_config_static_selectorELNS0_4arch9wavefront6targetE1EEEvT1_,comdat
.Lfunc_end299:
	.size	_ZN7rocprim17ROCPRIM_400000_NS6detail17trampoline_kernelINS0_14default_configENS1_25partition_config_selectorILNS1_17partition_subalgoE8EdNS0_10empty_typeEbEEZZNS1_14partition_implILS5_8ELb0ES3_jPKdPS6_PKS6_NS0_5tupleIJPdS6_EEENSE_IJSB_SB_EEENS0_18inequality_wrapperIN6hipcub16HIPCUB_304000_NS8EqualityEEEPlJS6_EEE10hipError_tPvRmT3_T4_T5_T6_T7_T9_mT8_P12ihipStream_tbDpT10_ENKUlT_T0_E_clISt17integral_constantIbLb0EES16_IbLb1EEEEDaS12_S13_EUlS12_E_NS1_11comp_targetILNS1_3genE3ELNS1_11target_archE908ELNS1_3gpuE7ELNS1_3repE0EEENS1_30default_config_static_selectorELNS0_4arch9wavefront6targetE1EEEvT1_, .Lfunc_end299-_ZN7rocprim17ROCPRIM_400000_NS6detail17trampoline_kernelINS0_14default_configENS1_25partition_config_selectorILNS1_17partition_subalgoE8EdNS0_10empty_typeEbEEZZNS1_14partition_implILS5_8ELb0ES3_jPKdPS6_PKS6_NS0_5tupleIJPdS6_EEENSE_IJSB_SB_EEENS0_18inequality_wrapperIN6hipcub16HIPCUB_304000_NS8EqualityEEEPlJS6_EEE10hipError_tPvRmT3_T4_T5_T6_T7_T9_mT8_P12ihipStream_tbDpT10_ENKUlT_T0_E_clISt17integral_constantIbLb0EES16_IbLb1EEEEDaS12_S13_EUlS12_E_NS1_11comp_targetILNS1_3genE3ELNS1_11target_archE908ELNS1_3gpuE7ELNS1_3repE0EEENS1_30default_config_static_selectorELNS0_4arch9wavefront6targetE1EEEvT1_
                                        ; -- End function
	.section	.AMDGPU.csdata,"",@progbits
; Kernel info:
; codeLenInByte = 0
; NumSgprs: 6
; NumVgprs: 0
; NumAgprs: 0
; TotalNumVgprs: 0
; ScratchSize: 0
; MemoryBound: 0
; FloatMode: 240
; IeeeMode: 1
; LDSByteSize: 0 bytes/workgroup (compile time only)
; SGPRBlocks: 0
; VGPRBlocks: 0
; NumSGPRsForWavesPerEU: 6
; NumVGPRsForWavesPerEU: 1
; AccumOffset: 4
; Occupancy: 8
; WaveLimiterHint : 0
; COMPUTE_PGM_RSRC2:SCRATCH_EN: 0
; COMPUTE_PGM_RSRC2:USER_SGPR: 2
; COMPUTE_PGM_RSRC2:TRAP_HANDLER: 0
; COMPUTE_PGM_RSRC2:TGID_X_EN: 1
; COMPUTE_PGM_RSRC2:TGID_Y_EN: 0
; COMPUTE_PGM_RSRC2:TGID_Z_EN: 0
; COMPUTE_PGM_RSRC2:TIDIG_COMP_CNT: 0
; COMPUTE_PGM_RSRC3_GFX90A:ACCUM_OFFSET: 0
; COMPUTE_PGM_RSRC3_GFX90A:TG_SPLIT: 0
	.section	.text._ZN7rocprim17ROCPRIM_400000_NS6detail17trampoline_kernelINS0_14default_configENS1_25partition_config_selectorILNS1_17partition_subalgoE8EdNS0_10empty_typeEbEEZZNS1_14partition_implILS5_8ELb0ES3_jPKdPS6_PKS6_NS0_5tupleIJPdS6_EEENSE_IJSB_SB_EEENS0_18inequality_wrapperIN6hipcub16HIPCUB_304000_NS8EqualityEEEPlJS6_EEE10hipError_tPvRmT3_T4_T5_T6_T7_T9_mT8_P12ihipStream_tbDpT10_ENKUlT_T0_E_clISt17integral_constantIbLb0EES16_IbLb1EEEEDaS12_S13_EUlS12_E_NS1_11comp_targetILNS1_3genE2ELNS1_11target_archE906ELNS1_3gpuE6ELNS1_3repE0EEENS1_30default_config_static_selectorELNS0_4arch9wavefront6targetE1EEEvT1_,"axG",@progbits,_ZN7rocprim17ROCPRIM_400000_NS6detail17trampoline_kernelINS0_14default_configENS1_25partition_config_selectorILNS1_17partition_subalgoE8EdNS0_10empty_typeEbEEZZNS1_14partition_implILS5_8ELb0ES3_jPKdPS6_PKS6_NS0_5tupleIJPdS6_EEENSE_IJSB_SB_EEENS0_18inequality_wrapperIN6hipcub16HIPCUB_304000_NS8EqualityEEEPlJS6_EEE10hipError_tPvRmT3_T4_T5_T6_T7_T9_mT8_P12ihipStream_tbDpT10_ENKUlT_T0_E_clISt17integral_constantIbLb0EES16_IbLb1EEEEDaS12_S13_EUlS12_E_NS1_11comp_targetILNS1_3genE2ELNS1_11target_archE906ELNS1_3gpuE6ELNS1_3repE0EEENS1_30default_config_static_selectorELNS0_4arch9wavefront6targetE1EEEvT1_,comdat
	.protected	_ZN7rocprim17ROCPRIM_400000_NS6detail17trampoline_kernelINS0_14default_configENS1_25partition_config_selectorILNS1_17partition_subalgoE8EdNS0_10empty_typeEbEEZZNS1_14partition_implILS5_8ELb0ES3_jPKdPS6_PKS6_NS0_5tupleIJPdS6_EEENSE_IJSB_SB_EEENS0_18inequality_wrapperIN6hipcub16HIPCUB_304000_NS8EqualityEEEPlJS6_EEE10hipError_tPvRmT3_T4_T5_T6_T7_T9_mT8_P12ihipStream_tbDpT10_ENKUlT_T0_E_clISt17integral_constantIbLb0EES16_IbLb1EEEEDaS12_S13_EUlS12_E_NS1_11comp_targetILNS1_3genE2ELNS1_11target_archE906ELNS1_3gpuE6ELNS1_3repE0EEENS1_30default_config_static_selectorELNS0_4arch9wavefront6targetE1EEEvT1_ ; -- Begin function _ZN7rocprim17ROCPRIM_400000_NS6detail17trampoline_kernelINS0_14default_configENS1_25partition_config_selectorILNS1_17partition_subalgoE8EdNS0_10empty_typeEbEEZZNS1_14partition_implILS5_8ELb0ES3_jPKdPS6_PKS6_NS0_5tupleIJPdS6_EEENSE_IJSB_SB_EEENS0_18inequality_wrapperIN6hipcub16HIPCUB_304000_NS8EqualityEEEPlJS6_EEE10hipError_tPvRmT3_T4_T5_T6_T7_T9_mT8_P12ihipStream_tbDpT10_ENKUlT_T0_E_clISt17integral_constantIbLb0EES16_IbLb1EEEEDaS12_S13_EUlS12_E_NS1_11comp_targetILNS1_3genE2ELNS1_11target_archE906ELNS1_3gpuE6ELNS1_3repE0EEENS1_30default_config_static_selectorELNS0_4arch9wavefront6targetE1EEEvT1_
	.globl	_ZN7rocprim17ROCPRIM_400000_NS6detail17trampoline_kernelINS0_14default_configENS1_25partition_config_selectorILNS1_17partition_subalgoE8EdNS0_10empty_typeEbEEZZNS1_14partition_implILS5_8ELb0ES3_jPKdPS6_PKS6_NS0_5tupleIJPdS6_EEENSE_IJSB_SB_EEENS0_18inequality_wrapperIN6hipcub16HIPCUB_304000_NS8EqualityEEEPlJS6_EEE10hipError_tPvRmT3_T4_T5_T6_T7_T9_mT8_P12ihipStream_tbDpT10_ENKUlT_T0_E_clISt17integral_constantIbLb0EES16_IbLb1EEEEDaS12_S13_EUlS12_E_NS1_11comp_targetILNS1_3genE2ELNS1_11target_archE906ELNS1_3gpuE6ELNS1_3repE0EEENS1_30default_config_static_selectorELNS0_4arch9wavefront6targetE1EEEvT1_
	.p2align	8
	.type	_ZN7rocprim17ROCPRIM_400000_NS6detail17trampoline_kernelINS0_14default_configENS1_25partition_config_selectorILNS1_17partition_subalgoE8EdNS0_10empty_typeEbEEZZNS1_14partition_implILS5_8ELb0ES3_jPKdPS6_PKS6_NS0_5tupleIJPdS6_EEENSE_IJSB_SB_EEENS0_18inequality_wrapperIN6hipcub16HIPCUB_304000_NS8EqualityEEEPlJS6_EEE10hipError_tPvRmT3_T4_T5_T6_T7_T9_mT8_P12ihipStream_tbDpT10_ENKUlT_T0_E_clISt17integral_constantIbLb0EES16_IbLb1EEEEDaS12_S13_EUlS12_E_NS1_11comp_targetILNS1_3genE2ELNS1_11target_archE906ELNS1_3gpuE6ELNS1_3repE0EEENS1_30default_config_static_selectorELNS0_4arch9wavefront6targetE1EEEvT1_,@function
_ZN7rocprim17ROCPRIM_400000_NS6detail17trampoline_kernelINS0_14default_configENS1_25partition_config_selectorILNS1_17partition_subalgoE8EdNS0_10empty_typeEbEEZZNS1_14partition_implILS5_8ELb0ES3_jPKdPS6_PKS6_NS0_5tupleIJPdS6_EEENSE_IJSB_SB_EEENS0_18inequality_wrapperIN6hipcub16HIPCUB_304000_NS8EqualityEEEPlJS6_EEE10hipError_tPvRmT3_T4_T5_T6_T7_T9_mT8_P12ihipStream_tbDpT10_ENKUlT_T0_E_clISt17integral_constantIbLb0EES16_IbLb1EEEEDaS12_S13_EUlS12_E_NS1_11comp_targetILNS1_3genE2ELNS1_11target_archE906ELNS1_3gpuE6ELNS1_3repE0EEENS1_30default_config_static_selectorELNS0_4arch9wavefront6targetE1EEEvT1_: ; @_ZN7rocprim17ROCPRIM_400000_NS6detail17trampoline_kernelINS0_14default_configENS1_25partition_config_selectorILNS1_17partition_subalgoE8EdNS0_10empty_typeEbEEZZNS1_14partition_implILS5_8ELb0ES3_jPKdPS6_PKS6_NS0_5tupleIJPdS6_EEENSE_IJSB_SB_EEENS0_18inequality_wrapperIN6hipcub16HIPCUB_304000_NS8EqualityEEEPlJS6_EEE10hipError_tPvRmT3_T4_T5_T6_T7_T9_mT8_P12ihipStream_tbDpT10_ENKUlT_T0_E_clISt17integral_constantIbLb0EES16_IbLb1EEEEDaS12_S13_EUlS12_E_NS1_11comp_targetILNS1_3genE2ELNS1_11target_archE906ELNS1_3gpuE6ELNS1_3repE0EEENS1_30default_config_static_selectorELNS0_4arch9wavefront6targetE1EEEvT1_
; %bb.0:
	.section	.rodata,"a",@progbits
	.p2align	6, 0x0
	.amdhsa_kernel _ZN7rocprim17ROCPRIM_400000_NS6detail17trampoline_kernelINS0_14default_configENS1_25partition_config_selectorILNS1_17partition_subalgoE8EdNS0_10empty_typeEbEEZZNS1_14partition_implILS5_8ELb0ES3_jPKdPS6_PKS6_NS0_5tupleIJPdS6_EEENSE_IJSB_SB_EEENS0_18inequality_wrapperIN6hipcub16HIPCUB_304000_NS8EqualityEEEPlJS6_EEE10hipError_tPvRmT3_T4_T5_T6_T7_T9_mT8_P12ihipStream_tbDpT10_ENKUlT_T0_E_clISt17integral_constantIbLb0EES16_IbLb1EEEEDaS12_S13_EUlS12_E_NS1_11comp_targetILNS1_3genE2ELNS1_11target_archE906ELNS1_3gpuE6ELNS1_3repE0EEENS1_30default_config_static_selectorELNS0_4arch9wavefront6targetE1EEEvT1_
		.amdhsa_group_segment_fixed_size 0
		.amdhsa_private_segment_fixed_size 0
		.amdhsa_kernarg_size 128
		.amdhsa_user_sgpr_count 2
		.amdhsa_user_sgpr_dispatch_ptr 0
		.amdhsa_user_sgpr_queue_ptr 0
		.amdhsa_user_sgpr_kernarg_segment_ptr 1
		.amdhsa_user_sgpr_dispatch_id 0
		.amdhsa_user_sgpr_kernarg_preload_length 0
		.amdhsa_user_sgpr_kernarg_preload_offset 0
		.amdhsa_user_sgpr_private_segment_size 0
		.amdhsa_uses_dynamic_stack 0
		.amdhsa_enable_private_segment 0
		.amdhsa_system_sgpr_workgroup_id_x 1
		.amdhsa_system_sgpr_workgroup_id_y 0
		.amdhsa_system_sgpr_workgroup_id_z 0
		.amdhsa_system_sgpr_workgroup_info 0
		.amdhsa_system_vgpr_workitem_id 0
		.amdhsa_next_free_vgpr 1
		.amdhsa_next_free_sgpr 0
		.amdhsa_accum_offset 4
		.amdhsa_reserve_vcc 0
		.amdhsa_float_round_mode_32 0
		.amdhsa_float_round_mode_16_64 0
		.amdhsa_float_denorm_mode_32 3
		.amdhsa_float_denorm_mode_16_64 3
		.amdhsa_dx10_clamp 1
		.amdhsa_ieee_mode 1
		.amdhsa_fp16_overflow 0
		.amdhsa_tg_split 0
		.amdhsa_exception_fp_ieee_invalid_op 0
		.amdhsa_exception_fp_denorm_src 0
		.amdhsa_exception_fp_ieee_div_zero 0
		.amdhsa_exception_fp_ieee_overflow 0
		.amdhsa_exception_fp_ieee_underflow 0
		.amdhsa_exception_fp_ieee_inexact 0
		.amdhsa_exception_int_div_zero 0
	.end_amdhsa_kernel
	.section	.text._ZN7rocprim17ROCPRIM_400000_NS6detail17trampoline_kernelINS0_14default_configENS1_25partition_config_selectorILNS1_17partition_subalgoE8EdNS0_10empty_typeEbEEZZNS1_14partition_implILS5_8ELb0ES3_jPKdPS6_PKS6_NS0_5tupleIJPdS6_EEENSE_IJSB_SB_EEENS0_18inequality_wrapperIN6hipcub16HIPCUB_304000_NS8EqualityEEEPlJS6_EEE10hipError_tPvRmT3_T4_T5_T6_T7_T9_mT8_P12ihipStream_tbDpT10_ENKUlT_T0_E_clISt17integral_constantIbLb0EES16_IbLb1EEEEDaS12_S13_EUlS12_E_NS1_11comp_targetILNS1_3genE2ELNS1_11target_archE906ELNS1_3gpuE6ELNS1_3repE0EEENS1_30default_config_static_selectorELNS0_4arch9wavefront6targetE1EEEvT1_,"axG",@progbits,_ZN7rocprim17ROCPRIM_400000_NS6detail17trampoline_kernelINS0_14default_configENS1_25partition_config_selectorILNS1_17partition_subalgoE8EdNS0_10empty_typeEbEEZZNS1_14partition_implILS5_8ELb0ES3_jPKdPS6_PKS6_NS0_5tupleIJPdS6_EEENSE_IJSB_SB_EEENS0_18inequality_wrapperIN6hipcub16HIPCUB_304000_NS8EqualityEEEPlJS6_EEE10hipError_tPvRmT3_T4_T5_T6_T7_T9_mT8_P12ihipStream_tbDpT10_ENKUlT_T0_E_clISt17integral_constantIbLb0EES16_IbLb1EEEEDaS12_S13_EUlS12_E_NS1_11comp_targetILNS1_3genE2ELNS1_11target_archE906ELNS1_3gpuE6ELNS1_3repE0EEENS1_30default_config_static_selectorELNS0_4arch9wavefront6targetE1EEEvT1_,comdat
.Lfunc_end300:
	.size	_ZN7rocprim17ROCPRIM_400000_NS6detail17trampoline_kernelINS0_14default_configENS1_25partition_config_selectorILNS1_17partition_subalgoE8EdNS0_10empty_typeEbEEZZNS1_14partition_implILS5_8ELb0ES3_jPKdPS6_PKS6_NS0_5tupleIJPdS6_EEENSE_IJSB_SB_EEENS0_18inequality_wrapperIN6hipcub16HIPCUB_304000_NS8EqualityEEEPlJS6_EEE10hipError_tPvRmT3_T4_T5_T6_T7_T9_mT8_P12ihipStream_tbDpT10_ENKUlT_T0_E_clISt17integral_constantIbLb0EES16_IbLb1EEEEDaS12_S13_EUlS12_E_NS1_11comp_targetILNS1_3genE2ELNS1_11target_archE906ELNS1_3gpuE6ELNS1_3repE0EEENS1_30default_config_static_selectorELNS0_4arch9wavefront6targetE1EEEvT1_, .Lfunc_end300-_ZN7rocprim17ROCPRIM_400000_NS6detail17trampoline_kernelINS0_14default_configENS1_25partition_config_selectorILNS1_17partition_subalgoE8EdNS0_10empty_typeEbEEZZNS1_14partition_implILS5_8ELb0ES3_jPKdPS6_PKS6_NS0_5tupleIJPdS6_EEENSE_IJSB_SB_EEENS0_18inequality_wrapperIN6hipcub16HIPCUB_304000_NS8EqualityEEEPlJS6_EEE10hipError_tPvRmT3_T4_T5_T6_T7_T9_mT8_P12ihipStream_tbDpT10_ENKUlT_T0_E_clISt17integral_constantIbLb0EES16_IbLb1EEEEDaS12_S13_EUlS12_E_NS1_11comp_targetILNS1_3genE2ELNS1_11target_archE906ELNS1_3gpuE6ELNS1_3repE0EEENS1_30default_config_static_selectorELNS0_4arch9wavefront6targetE1EEEvT1_
                                        ; -- End function
	.section	.AMDGPU.csdata,"",@progbits
; Kernel info:
; codeLenInByte = 0
; NumSgprs: 6
; NumVgprs: 0
; NumAgprs: 0
; TotalNumVgprs: 0
; ScratchSize: 0
; MemoryBound: 0
; FloatMode: 240
; IeeeMode: 1
; LDSByteSize: 0 bytes/workgroup (compile time only)
; SGPRBlocks: 0
; VGPRBlocks: 0
; NumSGPRsForWavesPerEU: 6
; NumVGPRsForWavesPerEU: 1
; AccumOffset: 4
; Occupancy: 8
; WaveLimiterHint : 0
; COMPUTE_PGM_RSRC2:SCRATCH_EN: 0
; COMPUTE_PGM_RSRC2:USER_SGPR: 2
; COMPUTE_PGM_RSRC2:TRAP_HANDLER: 0
; COMPUTE_PGM_RSRC2:TGID_X_EN: 1
; COMPUTE_PGM_RSRC2:TGID_Y_EN: 0
; COMPUTE_PGM_RSRC2:TGID_Z_EN: 0
; COMPUTE_PGM_RSRC2:TIDIG_COMP_CNT: 0
; COMPUTE_PGM_RSRC3_GFX90A:ACCUM_OFFSET: 0
; COMPUTE_PGM_RSRC3_GFX90A:TG_SPLIT: 0
	.section	.text._ZN7rocprim17ROCPRIM_400000_NS6detail17trampoline_kernelINS0_14default_configENS1_25partition_config_selectorILNS1_17partition_subalgoE8EdNS0_10empty_typeEbEEZZNS1_14partition_implILS5_8ELb0ES3_jPKdPS6_PKS6_NS0_5tupleIJPdS6_EEENSE_IJSB_SB_EEENS0_18inequality_wrapperIN6hipcub16HIPCUB_304000_NS8EqualityEEEPlJS6_EEE10hipError_tPvRmT3_T4_T5_T6_T7_T9_mT8_P12ihipStream_tbDpT10_ENKUlT_T0_E_clISt17integral_constantIbLb0EES16_IbLb1EEEEDaS12_S13_EUlS12_E_NS1_11comp_targetILNS1_3genE10ELNS1_11target_archE1200ELNS1_3gpuE4ELNS1_3repE0EEENS1_30default_config_static_selectorELNS0_4arch9wavefront6targetE1EEEvT1_,"axG",@progbits,_ZN7rocprim17ROCPRIM_400000_NS6detail17trampoline_kernelINS0_14default_configENS1_25partition_config_selectorILNS1_17partition_subalgoE8EdNS0_10empty_typeEbEEZZNS1_14partition_implILS5_8ELb0ES3_jPKdPS6_PKS6_NS0_5tupleIJPdS6_EEENSE_IJSB_SB_EEENS0_18inequality_wrapperIN6hipcub16HIPCUB_304000_NS8EqualityEEEPlJS6_EEE10hipError_tPvRmT3_T4_T5_T6_T7_T9_mT8_P12ihipStream_tbDpT10_ENKUlT_T0_E_clISt17integral_constantIbLb0EES16_IbLb1EEEEDaS12_S13_EUlS12_E_NS1_11comp_targetILNS1_3genE10ELNS1_11target_archE1200ELNS1_3gpuE4ELNS1_3repE0EEENS1_30default_config_static_selectorELNS0_4arch9wavefront6targetE1EEEvT1_,comdat
	.protected	_ZN7rocprim17ROCPRIM_400000_NS6detail17trampoline_kernelINS0_14default_configENS1_25partition_config_selectorILNS1_17partition_subalgoE8EdNS0_10empty_typeEbEEZZNS1_14partition_implILS5_8ELb0ES3_jPKdPS6_PKS6_NS0_5tupleIJPdS6_EEENSE_IJSB_SB_EEENS0_18inequality_wrapperIN6hipcub16HIPCUB_304000_NS8EqualityEEEPlJS6_EEE10hipError_tPvRmT3_T4_T5_T6_T7_T9_mT8_P12ihipStream_tbDpT10_ENKUlT_T0_E_clISt17integral_constantIbLb0EES16_IbLb1EEEEDaS12_S13_EUlS12_E_NS1_11comp_targetILNS1_3genE10ELNS1_11target_archE1200ELNS1_3gpuE4ELNS1_3repE0EEENS1_30default_config_static_selectorELNS0_4arch9wavefront6targetE1EEEvT1_ ; -- Begin function _ZN7rocprim17ROCPRIM_400000_NS6detail17trampoline_kernelINS0_14default_configENS1_25partition_config_selectorILNS1_17partition_subalgoE8EdNS0_10empty_typeEbEEZZNS1_14partition_implILS5_8ELb0ES3_jPKdPS6_PKS6_NS0_5tupleIJPdS6_EEENSE_IJSB_SB_EEENS0_18inequality_wrapperIN6hipcub16HIPCUB_304000_NS8EqualityEEEPlJS6_EEE10hipError_tPvRmT3_T4_T5_T6_T7_T9_mT8_P12ihipStream_tbDpT10_ENKUlT_T0_E_clISt17integral_constantIbLb0EES16_IbLb1EEEEDaS12_S13_EUlS12_E_NS1_11comp_targetILNS1_3genE10ELNS1_11target_archE1200ELNS1_3gpuE4ELNS1_3repE0EEENS1_30default_config_static_selectorELNS0_4arch9wavefront6targetE1EEEvT1_
	.globl	_ZN7rocprim17ROCPRIM_400000_NS6detail17trampoline_kernelINS0_14default_configENS1_25partition_config_selectorILNS1_17partition_subalgoE8EdNS0_10empty_typeEbEEZZNS1_14partition_implILS5_8ELb0ES3_jPKdPS6_PKS6_NS0_5tupleIJPdS6_EEENSE_IJSB_SB_EEENS0_18inequality_wrapperIN6hipcub16HIPCUB_304000_NS8EqualityEEEPlJS6_EEE10hipError_tPvRmT3_T4_T5_T6_T7_T9_mT8_P12ihipStream_tbDpT10_ENKUlT_T0_E_clISt17integral_constantIbLb0EES16_IbLb1EEEEDaS12_S13_EUlS12_E_NS1_11comp_targetILNS1_3genE10ELNS1_11target_archE1200ELNS1_3gpuE4ELNS1_3repE0EEENS1_30default_config_static_selectorELNS0_4arch9wavefront6targetE1EEEvT1_
	.p2align	8
	.type	_ZN7rocprim17ROCPRIM_400000_NS6detail17trampoline_kernelINS0_14default_configENS1_25partition_config_selectorILNS1_17partition_subalgoE8EdNS0_10empty_typeEbEEZZNS1_14partition_implILS5_8ELb0ES3_jPKdPS6_PKS6_NS0_5tupleIJPdS6_EEENSE_IJSB_SB_EEENS0_18inequality_wrapperIN6hipcub16HIPCUB_304000_NS8EqualityEEEPlJS6_EEE10hipError_tPvRmT3_T4_T5_T6_T7_T9_mT8_P12ihipStream_tbDpT10_ENKUlT_T0_E_clISt17integral_constantIbLb0EES16_IbLb1EEEEDaS12_S13_EUlS12_E_NS1_11comp_targetILNS1_3genE10ELNS1_11target_archE1200ELNS1_3gpuE4ELNS1_3repE0EEENS1_30default_config_static_selectorELNS0_4arch9wavefront6targetE1EEEvT1_,@function
_ZN7rocprim17ROCPRIM_400000_NS6detail17trampoline_kernelINS0_14default_configENS1_25partition_config_selectorILNS1_17partition_subalgoE8EdNS0_10empty_typeEbEEZZNS1_14partition_implILS5_8ELb0ES3_jPKdPS6_PKS6_NS0_5tupleIJPdS6_EEENSE_IJSB_SB_EEENS0_18inequality_wrapperIN6hipcub16HIPCUB_304000_NS8EqualityEEEPlJS6_EEE10hipError_tPvRmT3_T4_T5_T6_T7_T9_mT8_P12ihipStream_tbDpT10_ENKUlT_T0_E_clISt17integral_constantIbLb0EES16_IbLb1EEEEDaS12_S13_EUlS12_E_NS1_11comp_targetILNS1_3genE10ELNS1_11target_archE1200ELNS1_3gpuE4ELNS1_3repE0EEENS1_30default_config_static_selectorELNS0_4arch9wavefront6targetE1EEEvT1_: ; @_ZN7rocprim17ROCPRIM_400000_NS6detail17trampoline_kernelINS0_14default_configENS1_25partition_config_selectorILNS1_17partition_subalgoE8EdNS0_10empty_typeEbEEZZNS1_14partition_implILS5_8ELb0ES3_jPKdPS6_PKS6_NS0_5tupleIJPdS6_EEENSE_IJSB_SB_EEENS0_18inequality_wrapperIN6hipcub16HIPCUB_304000_NS8EqualityEEEPlJS6_EEE10hipError_tPvRmT3_T4_T5_T6_T7_T9_mT8_P12ihipStream_tbDpT10_ENKUlT_T0_E_clISt17integral_constantIbLb0EES16_IbLb1EEEEDaS12_S13_EUlS12_E_NS1_11comp_targetILNS1_3genE10ELNS1_11target_archE1200ELNS1_3gpuE4ELNS1_3repE0EEENS1_30default_config_static_selectorELNS0_4arch9wavefront6targetE1EEEvT1_
; %bb.0:
	.section	.rodata,"a",@progbits
	.p2align	6, 0x0
	.amdhsa_kernel _ZN7rocprim17ROCPRIM_400000_NS6detail17trampoline_kernelINS0_14default_configENS1_25partition_config_selectorILNS1_17partition_subalgoE8EdNS0_10empty_typeEbEEZZNS1_14partition_implILS5_8ELb0ES3_jPKdPS6_PKS6_NS0_5tupleIJPdS6_EEENSE_IJSB_SB_EEENS0_18inequality_wrapperIN6hipcub16HIPCUB_304000_NS8EqualityEEEPlJS6_EEE10hipError_tPvRmT3_T4_T5_T6_T7_T9_mT8_P12ihipStream_tbDpT10_ENKUlT_T0_E_clISt17integral_constantIbLb0EES16_IbLb1EEEEDaS12_S13_EUlS12_E_NS1_11comp_targetILNS1_3genE10ELNS1_11target_archE1200ELNS1_3gpuE4ELNS1_3repE0EEENS1_30default_config_static_selectorELNS0_4arch9wavefront6targetE1EEEvT1_
		.amdhsa_group_segment_fixed_size 0
		.amdhsa_private_segment_fixed_size 0
		.amdhsa_kernarg_size 128
		.amdhsa_user_sgpr_count 2
		.amdhsa_user_sgpr_dispatch_ptr 0
		.amdhsa_user_sgpr_queue_ptr 0
		.amdhsa_user_sgpr_kernarg_segment_ptr 1
		.amdhsa_user_sgpr_dispatch_id 0
		.amdhsa_user_sgpr_kernarg_preload_length 0
		.amdhsa_user_sgpr_kernarg_preload_offset 0
		.amdhsa_user_sgpr_private_segment_size 0
		.amdhsa_uses_dynamic_stack 0
		.amdhsa_enable_private_segment 0
		.amdhsa_system_sgpr_workgroup_id_x 1
		.amdhsa_system_sgpr_workgroup_id_y 0
		.amdhsa_system_sgpr_workgroup_id_z 0
		.amdhsa_system_sgpr_workgroup_info 0
		.amdhsa_system_vgpr_workitem_id 0
		.amdhsa_next_free_vgpr 1
		.amdhsa_next_free_sgpr 0
		.amdhsa_accum_offset 4
		.amdhsa_reserve_vcc 0
		.amdhsa_float_round_mode_32 0
		.amdhsa_float_round_mode_16_64 0
		.amdhsa_float_denorm_mode_32 3
		.amdhsa_float_denorm_mode_16_64 3
		.amdhsa_dx10_clamp 1
		.amdhsa_ieee_mode 1
		.amdhsa_fp16_overflow 0
		.amdhsa_tg_split 0
		.amdhsa_exception_fp_ieee_invalid_op 0
		.amdhsa_exception_fp_denorm_src 0
		.amdhsa_exception_fp_ieee_div_zero 0
		.amdhsa_exception_fp_ieee_overflow 0
		.amdhsa_exception_fp_ieee_underflow 0
		.amdhsa_exception_fp_ieee_inexact 0
		.amdhsa_exception_int_div_zero 0
	.end_amdhsa_kernel
	.section	.text._ZN7rocprim17ROCPRIM_400000_NS6detail17trampoline_kernelINS0_14default_configENS1_25partition_config_selectorILNS1_17partition_subalgoE8EdNS0_10empty_typeEbEEZZNS1_14partition_implILS5_8ELb0ES3_jPKdPS6_PKS6_NS0_5tupleIJPdS6_EEENSE_IJSB_SB_EEENS0_18inequality_wrapperIN6hipcub16HIPCUB_304000_NS8EqualityEEEPlJS6_EEE10hipError_tPvRmT3_T4_T5_T6_T7_T9_mT8_P12ihipStream_tbDpT10_ENKUlT_T0_E_clISt17integral_constantIbLb0EES16_IbLb1EEEEDaS12_S13_EUlS12_E_NS1_11comp_targetILNS1_3genE10ELNS1_11target_archE1200ELNS1_3gpuE4ELNS1_3repE0EEENS1_30default_config_static_selectorELNS0_4arch9wavefront6targetE1EEEvT1_,"axG",@progbits,_ZN7rocprim17ROCPRIM_400000_NS6detail17trampoline_kernelINS0_14default_configENS1_25partition_config_selectorILNS1_17partition_subalgoE8EdNS0_10empty_typeEbEEZZNS1_14partition_implILS5_8ELb0ES3_jPKdPS6_PKS6_NS0_5tupleIJPdS6_EEENSE_IJSB_SB_EEENS0_18inequality_wrapperIN6hipcub16HIPCUB_304000_NS8EqualityEEEPlJS6_EEE10hipError_tPvRmT3_T4_T5_T6_T7_T9_mT8_P12ihipStream_tbDpT10_ENKUlT_T0_E_clISt17integral_constantIbLb0EES16_IbLb1EEEEDaS12_S13_EUlS12_E_NS1_11comp_targetILNS1_3genE10ELNS1_11target_archE1200ELNS1_3gpuE4ELNS1_3repE0EEENS1_30default_config_static_selectorELNS0_4arch9wavefront6targetE1EEEvT1_,comdat
.Lfunc_end301:
	.size	_ZN7rocprim17ROCPRIM_400000_NS6detail17trampoline_kernelINS0_14default_configENS1_25partition_config_selectorILNS1_17partition_subalgoE8EdNS0_10empty_typeEbEEZZNS1_14partition_implILS5_8ELb0ES3_jPKdPS6_PKS6_NS0_5tupleIJPdS6_EEENSE_IJSB_SB_EEENS0_18inequality_wrapperIN6hipcub16HIPCUB_304000_NS8EqualityEEEPlJS6_EEE10hipError_tPvRmT3_T4_T5_T6_T7_T9_mT8_P12ihipStream_tbDpT10_ENKUlT_T0_E_clISt17integral_constantIbLb0EES16_IbLb1EEEEDaS12_S13_EUlS12_E_NS1_11comp_targetILNS1_3genE10ELNS1_11target_archE1200ELNS1_3gpuE4ELNS1_3repE0EEENS1_30default_config_static_selectorELNS0_4arch9wavefront6targetE1EEEvT1_, .Lfunc_end301-_ZN7rocprim17ROCPRIM_400000_NS6detail17trampoline_kernelINS0_14default_configENS1_25partition_config_selectorILNS1_17partition_subalgoE8EdNS0_10empty_typeEbEEZZNS1_14partition_implILS5_8ELb0ES3_jPKdPS6_PKS6_NS0_5tupleIJPdS6_EEENSE_IJSB_SB_EEENS0_18inequality_wrapperIN6hipcub16HIPCUB_304000_NS8EqualityEEEPlJS6_EEE10hipError_tPvRmT3_T4_T5_T6_T7_T9_mT8_P12ihipStream_tbDpT10_ENKUlT_T0_E_clISt17integral_constantIbLb0EES16_IbLb1EEEEDaS12_S13_EUlS12_E_NS1_11comp_targetILNS1_3genE10ELNS1_11target_archE1200ELNS1_3gpuE4ELNS1_3repE0EEENS1_30default_config_static_selectorELNS0_4arch9wavefront6targetE1EEEvT1_
                                        ; -- End function
	.section	.AMDGPU.csdata,"",@progbits
; Kernel info:
; codeLenInByte = 0
; NumSgprs: 6
; NumVgprs: 0
; NumAgprs: 0
; TotalNumVgprs: 0
; ScratchSize: 0
; MemoryBound: 0
; FloatMode: 240
; IeeeMode: 1
; LDSByteSize: 0 bytes/workgroup (compile time only)
; SGPRBlocks: 0
; VGPRBlocks: 0
; NumSGPRsForWavesPerEU: 6
; NumVGPRsForWavesPerEU: 1
; AccumOffset: 4
; Occupancy: 8
; WaveLimiterHint : 0
; COMPUTE_PGM_RSRC2:SCRATCH_EN: 0
; COMPUTE_PGM_RSRC2:USER_SGPR: 2
; COMPUTE_PGM_RSRC2:TRAP_HANDLER: 0
; COMPUTE_PGM_RSRC2:TGID_X_EN: 1
; COMPUTE_PGM_RSRC2:TGID_Y_EN: 0
; COMPUTE_PGM_RSRC2:TGID_Z_EN: 0
; COMPUTE_PGM_RSRC2:TIDIG_COMP_CNT: 0
; COMPUTE_PGM_RSRC3_GFX90A:ACCUM_OFFSET: 0
; COMPUTE_PGM_RSRC3_GFX90A:TG_SPLIT: 0
	.section	.text._ZN7rocprim17ROCPRIM_400000_NS6detail17trampoline_kernelINS0_14default_configENS1_25partition_config_selectorILNS1_17partition_subalgoE8EdNS0_10empty_typeEbEEZZNS1_14partition_implILS5_8ELb0ES3_jPKdPS6_PKS6_NS0_5tupleIJPdS6_EEENSE_IJSB_SB_EEENS0_18inequality_wrapperIN6hipcub16HIPCUB_304000_NS8EqualityEEEPlJS6_EEE10hipError_tPvRmT3_T4_T5_T6_T7_T9_mT8_P12ihipStream_tbDpT10_ENKUlT_T0_E_clISt17integral_constantIbLb0EES16_IbLb1EEEEDaS12_S13_EUlS12_E_NS1_11comp_targetILNS1_3genE9ELNS1_11target_archE1100ELNS1_3gpuE3ELNS1_3repE0EEENS1_30default_config_static_selectorELNS0_4arch9wavefront6targetE1EEEvT1_,"axG",@progbits,_ZN7rocprim17ROCPRIM_400000_NS6detail17trampoline_kernelINS0_14default_configENS1_25partition_config_selectorILNS1_17partition_subalgoE8EdNS0_10empty_typeEbEEZZNS1_14partition_implILS5_8ELb0ES3_jPKdPS6_PKS6_NS0_5tupleIJPdS6_EEENSE_IJSB_SB_EEENS0_18inequality_wrapperIN6hipcub16HIPCUB_304000_NS8EqualityEEEPlJS6_EEE10hipError_tPvRmT3_T4_T5_T6_T7_T9_mT8_P12ihipStream_tbDpT10_ENKUlT_T0_E_clISt17integral_constantIbLb0EES16_IbLb1EEEEDaS12_S13_EUlS12_E_NS1_11comp_targetILNS1_3genE9ELNS1_11target_archE1100ELNS1_3gpuE3ELNS1_3repE0EEENS1_30default_config_static_selectorELNS0_4arch9wavefront6targetE1EEEvT1_,comdat
	.protected	_ZN7rocprim17ROCPRIM_400000_NS6detail17trampoline_kernelINS0_14default_configENS1_25partition_config_selectorILNS1_17partition_subalgoE8EdNS0_10empty_typeEbEEZZNS1_14partition_implILS5_8ELb0ES3_jPKdPS6_PKS6_NS0_5tupleIJPdS6_EEENSE_IJSB_SB_EEENS0_18inequality_wrapperIN6hipcub16HIPCUB_304000_NS8EqualityEEEPlJS6_EEE10hipError_tPvRmT3_T4_T5_T6_T7_T9_mT8_P12ihipStream_tbDpT10_ENKUlT_T0_E_clISt17integral_constantIbLb0EES16_IbLb1EEEEDaS12_S13_EUlS12_E_NS1_11comp_targetILNS1_3genE9ELNS1_11target_archE1100ELNS1_3gpuE3ELNS1_3repE0EEENS1_30default_config_static_selectorELNS0_4arch9wavefront6targetE1EEEvT1_ ; -- Begin function _ZN7rocprim17ROCPRIM_400000_NS6detail17trampoline_kernelINS0_14default_configENS1_25partition_config_selectorILNS1_17partition_subalgoE8EdNS0_10empty_typeEbEEZZNS1_14partition_implILS5_8ELb0ES3_jPKdPS6_PKS6_NS0_5tupleIJPdS6_EEENSE_IJSB_SB_EEENS0_18inequality_wrapperIN6hipcub16HIPCUB_304000_NS8EqualityEEEPlJS6_EEE10hipError_tPvRmT3_T4_T5_T6_T7_T9_mT8_P12ihipStream_tbDpT10_ENKUlT_T0_E_clISt17integral_constantIbLb0EES16_IbLb1EEEEDaS12_S13_EUlS12_E_NS1_11comp_targetILNS1_3genE9ELNS1_11target_archE1100ELNS1_3gpuE3ELNS1_3repE0EEENS1_30default_config_static_selectorELNS0_4arch9wavefront6targetE1EEEvT1_
	.globl	_ZN7rocprim17ROCPRIM_400000_NS6detail17trampoline_kernelINS0_14default_configENS1_25partition_config_selectorILNS1_17partition_subalgoE8EdNS0_10empty_typeEbEEZZNS1_14partition_implILS5_8ELb0ES3_jPKdPS6_PKS6_NS0_5tupleIJPdS6_EEENSE_IJSB_SB_EEENS0_18inequality_wrapperIN6hipcub16HIPCUB_304000_NS8EqualityEEEPlJS6_EEE10hipError_tPvRmT3_T4_T5_T6_T7_T9_mT8_P12ihipStream_tbDpT10_ENKUlT_T0_E_clISt17integral_constantIbLb0EES16_IbLb1EEEEDaS12_S13_EUlS12_E_NS1_11comp_targetILNS1_3genE9ELNS1_11target_archE1100ELNS1_3gpuE3ELNS1_3repE0EEENS1_30default_config_static_selectorELNS0_4arch9wavefront6targetE1EEEvT1_
	.p2align	8
	.type	_ZN7rocprim17ROCPRIM_400000_NS6detail17trampoline_kernelINS0_14default_configENS1_25partition_config_selectorILNS1_17partition_subalgoE8EdNS0_10empty_typeEbEEZZNS1_14partition_implILS5_8ELb0ES3_jPKdPS6_PKS6_NS0_5tupleIJPdS6_EEENSE_IJSB_SB_EEENS0_18inequality_wrapperIN6hipcub16HIPCUB_304000_NS8EqualityEEEPlJS6_EEE10hipError_tPvRmT3_T4_T5_T6_T7_T9_mT8_P12ihipStream_tbDpT10_ENKUlT_T0_E_clISt17integral_constantIbLb0EES16_IbLb1EEEEDaS12_S13_EUlS12_E_NS1_11comp_targetILNS1_3genE9ELNS1_11target_archE1100ELNS1_3gpuE3ELNS1_3repE0EEENS1_30default_config_static_selectorELNS0_4arch9wavefront6targetE1EEEvT1_,@function
_ZN7rocprim17ROCPRIM_400000_NS6detail17trampoline_kernelINS0_14default_configENS1_25partition_config_selectorILNS1_17partition_subalgoE8EdNS0_10empty_typeEbEEZZNS1_14partition_implILS5_8ELb0ES3_jPKdPS6_PKS6_NS0_5tupleIJPdS6_EEENSE_IJSB_SB_EEENS0_18inequality_wrapperIN6hipcub16HIPCUB_304000_NS8EqualityEEEPlJS6_EEE10hipError_tPvRmT3_T4_T5_T6_T7_T9_mT8_P12ihipStream_tbDpT10_ENKUlT_T0_E_clISt17integral_constantIbLb0EES16_IbLb1EEEEDaS12_S13_EUlS12_E_NS1_11comp_targetILNS1_3genE9ELNS1_11target_archE1100ELNS1_3gpuE3ELNS1_3repE0EEENS1_30default_config_static_selectorELNS0_4arch9wavefront6targetE1EEEvT1_: ; @_ZN7rocprim17ROCPRIM_400000_NS6detail17trampoline_kernelINS0_14default_configENS1_25partition_config_selectorILNS1_17partition_subalgoE8EdNS0_10empty_typeEbEEZZNS1_14partition_implILS5_8ELb0ES3_jPKdPS6_PKS6_NS0_5tupleIJPdS6_EEENSE_IJSB_SB_EEENS0_18inequality_wrapperIN6hipcub16HIPCUB_304000_NS8EqualityEEEPlJS6_EEE10hipError_tPvRmT3_T4_T5_T6_T7_T9_mT8_P12ihipStream_tbDpT10_ENKUlT_T0_E_clISt17integral_constantIbLb0EES16_IbLb1EEEEDaS12_S13_EUlS12_E_NS1_11comp_targetILNS1_3genE9ELNS1_11target_archE1100ELNS1_3gpuE3ELNS1_3repE0EEENS1_30default_config_static_selectorELNS0_4arch9wavefront6targetE1EEEvT1_
; %bb.0:
	.section	.rodata,"a",@progbits
	.p2align	6, 0x0
	.amdhsa_kernel _ZN7rocprim17ROCPRIM_400000_NS6detail17trampoline_kernelINS0_14default_configENS1_25partition_config_selectorILNS1_17partition_subalgoE8EdNS0_10empty_typeEbEEZZNS1_14partition_implILS5_8ELb0ES3_jPKdPS6_PKS6_NS0_5tupleIJPdS6_EEENSE_IJSB_SB_EEENS0_18inequality_wrapperIN6hipcub16HIPCUB_304000_NS8EqualityEEEPlJS6_EEE10hipError_tPvRmT3_T4_T5_T6_T7_T9_mT8_P12ihipStream_tbDpT10_ENKUlT_T0_E_clISt17integral_constantIbLb0EES16_IbLb1EEEEDaS12_S13_EUlS12_E_NS1_11comp_targetILNS1_3genE9ELNS1_11target_archE1100ELNS1_3gpuE3ELNS1_3repE0EEENS1_30default_config_static_selectorELNS0_4arch9wavefront6targetE1EEEvT1_
		.amdhsa_group_segment_fixed_size 0
		.amdhsa_private_segment_fixed_size 0
		.amdhsa_kernarg_size 128
		.amdhsa_user_sgpr_count 2
		.amdhsa_user_sgpr_dispatch_ptr 0
		.amdhsa_user_sgpr_queue_ptr 0
		.amdhsa_user_sgpr_kernarg_segment_ptr 1
		.amdhsa_user_sgpr_dispatch_id 0
		.amdhsa_user_sgpr_kernarg_preload_length 0
		.amdhsa_user_sgpr_kernarg_preload_offset 0
		.amdhsa_user_sgpr_private_segment_size 0
		.amdhsa_uses_dynamic_stack 0
		.amdhsa_enable_private_segment 0
		.amdhsa_system_sgpr_workgroup_id_x 1
		.amdhsa_system_sgpr_workgroup_id_y 0
		.amdhsa_system_sgpr_workgroup_id_z 0
		.amdhsa_system_sgpr_workgroup_info 0
		.amdhsa_system_vgpr_workitem_id 0
		.amdhsa_next_free_vgpr 1
		.amdhsa_next_free_sgpr 0
		.amdhsa_accum_offset 4
		.amdhsa_reserve_vcc 0
		.amdhsa_float_round_mode_32 0
		.amdhsa_float_round_mode_16_64 0
		.amdhsa_float_denorm_mode_32 3
		.amdhsa_float_denorm_mode_16_64 3
		.amdhsa_dx10_clamp 1
		.amdhsa_ieee_mode 1
		.amdhsa_fp16_overflow 0
		.amdhsa_tg_split 0
		.amdhsa_exception_fp_ieee_invalid_op 0
		.amdhsa_exception_fp_denorm_src 0
		.amdhsa_exception_fp_ieee_div_zero 0
		.amdhsa_exception_fp_ieee_overflow 0
		.amdhsa_exception_fp_ieee_underflow 0
		.amdhsa_exception_fp_ieee_inexact 0
		.amdhsa_exception_int_div_zero 0
	.end_amdhsa_kernel
	.section	.text._ZN7rocprim17ROCPRIM_400000_NS6detail17trampoline_kernelINS0_14default_configENS1_25partition_config_selectorILNS1_17partition_subalgoE8EdNS0_10empty_typeEbEEZZNS1_14partition_implILS5_8ELb0ES3_jPKdPS6_PKS6_NS0_5tupleIJPdS6_EEENSE_IJSB_SB_EEENS0_18inequality_wrapperIN6hipcub16HIPCUB_304000_NS8EqualityEEEPlJS6_EEE10hipError_tPvRmT3_T4_T5_T6_T7_T9_mT8_P12ihipStream_tbDpT10_ENKUlT_T0_E_clISt17integral_constantIbLb0EES16_IbLb1EEEEDaS12_S13_EUlS12_E_NS1_11comp_targetILNS1_3genE9ELNS1_11target_archE1100ELNS1_3gpuE3ELNS1_3repE0EEENS1_30default_config_static_selectorELNS0_4arch9wavefront6targetE1EEEvT1_,"axG",@progbits,_ZN7rocprim17ROCPRIM_400000_NS6detail17trampoline_kernelINS0_14default_configENS1_25partition_config_selectorILNS1_17partition_subalgoE8EdNS0_10empty_typeEbEEZZNS1_14partition_implILS5_8ELb0ES3_jPKdPS6_PKS6_NS0_5tupleIJPdS6_EEENSE_IJSB_SB_EEENS0_18inequality_wrapperIN6hipcub16HIPCUB_304000_NS8EqualityEEEPlJS6_EEE10hipError_tPvRmT3_T4_T5_T6_T7_T9_mT8_P12ihipStream_tbDpT10_ENKUlT_T0_E_clISt17integral_constantIbLb0EES16_IbLb1EEEEDaS12_S13_EUlS12_E_NS1_11comp_targetILNS1_3genE9ELNS1_11target_archE1100ELNS1_3gpuE3ELNS1_3repE0EEENS1_30default_config_static_selectorELNS0_4arch9wavefront6targetE1EEEvT1_,comdat
.Lfunc_end302:
	.size	_ZN7rocprim17ROCPRIM_400000_NS6detail17trampoline_kernelINS0_14default_configENS1_25partition_config_selectorILNS1_17partition_subalgoE8EdNS0_10empty_typeEbEEZZNS1_14partition_implILS5_8ELb0ES3_jPKdPS6_PKS6_NS0_5tupleIJPdS6_EEENSE_IJSB_SB_EEENS0_18inequality_wrapperIN6hipcub16HIPCUB_304000_NS8EqualityEEEPlJS6_EEE10hipError_tPvRmT3_T4_T5_T6_T7_T9_mT8_P12ihipStream_tbDpT10_ENKUlT_T0_E_clISt17integral_constantIbLb0EES16_IbLb1EEEEDaS12_S13_EUlS12_E_NS1_11comp_targetILNS1_3genE9ELNS1_11target_archE1100ELNS1_3gpuE3ELNS1_3repE0EEENS1_30default_config_static_selectorELNS0_4arch9wavefront6targetE1EEEvT1_, .Lfunc_end302-_ZN7rocprim17ROCPRIM_400000_NS6detail17trampoline_kernelINS0_14default_configENS1_25partition_config_selectorILNS1_17partition_subalgoE8EdNS0_10empty_typeEbEEZZNS1_14partition_implILS5_8ELb0ES3_jPKdPS6_PKS6_NS0_5tupleIJPdS6_EEENSE_IJSB_SB_EEENS0_18inequality_wrapperIN6hipcub16HIPCUB_304000_NS8EqualityEEEPlJS6_EEE10hipError_tPvRmT3_T4_T5_T6_T7_T9_mT8_P12ihipStream_tbDpT10_ENKUlT_T0_E_clISt17integral_constantIbLb0EES16_IbLb1EEEEDaS12_S13_EUlS12_E_NS1_11comp_targetILNS1_3genE9ELNS1_11target_archE1100ELNS1_3gpuE3ELNS1_3repE0EEENS1_30default_config_static_selectorELNS0_4arch9wavefront6targetE1EEEvT1_
                                        ; -- End function
	.section	.AMDGPU.csdata,"",@progbits
; Kernel info:
; codeLenInByte = 0
; NumSgprs: 6
; NumVgprs: 0
; NumAgprs: 0
; TotalNumVgprs: 0
; ScratchSize: 0
; MemoryBound: 0
; FloatMode: 240
; IeeeMode: 1
; LDSByteSize: 0 bytes/workgroup (compile time only)
; SGPRBlocks: 0
; VGPRBlocks: 0
; NumSGPRsForWavesPerEU: 6
; NumVGPRsForWavesPerEU: 1
; AccumOffset: 4
; Occupancy: 8
; WaveLimiterHint : 0
; COMPUTE_PGM_RSRC2:SCRATCH_EN: 0
; COMPUTE_PGM_RSRC2:USER_SGPR: 2
; COMPUTE_PGM_RSRC2:TRAP_HANDLER: 0
; COMPUTE_PGM_RSRC2:TGID_X_EN: 1
; COMPUTE_PGM_RSRC2:TGID_Y_EN: 0
; COMPUTE_PGM_RSRC2:TGID_Z_EN: 0
; COMPUTE_PGM_RSRC2:TIDIG_COMP_CNT: 0
; COMPUTE_PGM_RSRC3_GFX90A:ACCUM_OFFSET: 0
; COMPUTE_PGM_RSRC3_GFX90A:TG_SPLIT: 0
	.section	.text._ZN7rocprim17ROCPRIM_400000_NS6detail17trampoline_kernelINS0_14default_configENS1_25partition_config_selectorILNS1_17partition_subalgoE8EdNS0_10empty_typeEbEEZZNS1_14partition_implILS5_8ELb0ES3_jPKdPS6_PKS6_NS0_5tupleIJPdS6_EEENSE_IJSB_SB_EEENS0_18inequality_wrapperIN6hipcub16HIPCUB_304000_NS8EqualityEEEPlJS6_EEE10hipError_tPvRmT3_T4_T5_T6_T7_T9_mT8_P12ihipStream_tbDpT10_ENKUlT_T0_E_clISt17integral_constantIbLb0EES16_IbLb1EEEEDaS12_S13_EUlS12_E_NS1_11comp_targetILNS1_3genE8ELNS1_11target_archE1030ELNS1_3gpuE2ELNS1_3repE0EEENS1_30default_config_static_selectorELNS0_4arch9wavefront6targetE1EEEvT1_,"axG",@progbits,_ZN7rocprim17ROCPRIM_400000_NS6detail17trampoline_kernelINS0_14default_configENS1_25partition_config_selectorILNS1_17partition_subalgoE8EdNS0_10empty_typeEbEEZZNS1_14partition_implILS5_8ELb0ES3_jPKdPS6_PKS6_NS0_5tupleIJPdS6_EEENSE_IJSB_SB_EEENS0_18inequality_wrapperIN6hipcub16HIPCUB_304000_NS8EqualityEEEPlJS6_EEE10hipError_tPvRmT3_T4_T5_T6_T7_T9_mT8_P12ihipStream_tbDpT10_ENKUlT_T0_E_clISt17integral_constantIbLb0EES16_IbLb1EEEEDaS12_S13_EUlS12_E_NS1_11comp_targetILNS1_3genE8ELNS1_11target_archE1030ELNS1_3gpuE2ELNS1_3repE0EEENS1_30default_config_static_selectorELNS0_4arch9wavefront6targetE1EEEvT1_,comdat
	.protected	_ZN7rocprim17ROCPRIM_400000_NS6detail17trampoline_kernelINS0_14default_configENS1_25partition_config_selectorILNS1_17partition_subalgoE8EdNS0_10empty_typeEbEEZZNS1_14partition_implILS5_8ELb0ES3_jPKdPS6_PKS6_NS0_5tupleIJPdS6_EEENSE_IJSB_SB_EEENS0_18inequality_wrapperIN6hipcub16HIPCUB_304000_NS8EqualityEEEPlJS6_EEE10hipError_tPvRmT3_T4_T5_T6_T7_T9_mT8_P12ihipStream_tbDpT10_ENKUlT_T0_E_clISt17integral_constantIbLb0EES16_IbLb1EEEEDaS12_S13_EUlS12_E_NS1_11comp_targetILNS1_3genE8ELNS1_11target_archE1030ELNS1_3gpuE2ELNS1_3repE0EEENS1_30default_config_static_selectorELNS0_4arch9wavefront6targetE1EEEvT1_ ; -- Begin function _ZN7rocprim17ROCPRIM_400000_NS6detail17trampoline_kernelINS0_14default_configENS1_25partition_config_selectorILNS1_17partition_subalgoE8EdNS0_10empty_typeEbEEZZNS1_14partition_implILS5_8ELb0ES3_jPKdPS6_PKS6_NS0_5tupleIJPdS6_EEENSE_IJSB_SB_EEENS0_18inequality_wrapperIN6hipcub16HIPCUB_304000_NS8EqualityEEEPlJS6_EEE10hipError_tPvRmT3_T4_T5_T6_T7_T9_mT8_P12ihipStream_tbDpT10_ENKUlT_T0_E_clISt17integral_constantIbLb0EES16_IbLb1EEEEDaS12_S13_EUlS12_E_NS1_11comp_targetILNS1_3genE8ELNS1_11target_archE1030ELNS1_3gpuE2ELNS1_3repE0EEENS1_30default_config_static_selectorELNS0_4arch9wavefront6targetE1EEEvT1_
	.globl	_ZN7rocprim17ROCPRIM_400000_NS6detail17trampoline_kernelINS0_14default_configENS1_25partition_config_selectorILNS1_17partition_subalgoE8EdNS0_10empty_typeEbEEZZNS1_14partition_implILS5_8ELb0ES3_jPKdPS6_PKS6_NS0_5tupleIJPdS6_EEENSE_IJSB_SB_EEENS0_18inequality_wrapperIN6hipcub16HIPCUB_304000_NS8EqualityEEEPlJS6_EEE10hipError_tPvRmT3_T4_T5_T6_T7_T9_mT8_P12ihipStream_tbDpT10_ENKUlT_T0_E_clISt17integral_constantIbLb0EES16_IbLb1EEEEDaS12_S13_EUlS12_E_NS1_11comp_targetILNS1_3genE8ELNS1_11target_archE1030ELNS1_3gpuE2ELNS1_3repE0EEENS1_30default_config_static_selectorELNS0_4arch9wavefront6targetE1EEEvT1_
	.p2align	8
	.type	_ZN7rocprim17ROCPRIM_400000_NS6detail17trampoline_kernelINS0_14default_configENS1_25partition_config_selectorILNS1_17partition_subalgoE8EdNS0_10empty_typeEbEEZZNS1_14partition_implILS5_8ELb0ES3_jPKdPS6_PKS6_NS0_5tupleIJPdS6_EEENSE_IJSB_SB_EEENS0_18inequality_wrapperIN6hipcub16HIPCUB_304000_NS8EqualityEEEPlJS6_EEE10hipError_tPvRmT3_T4_T5_T6_T7_T9_mT8_P12ihipStream_tbDpT10_ENKUlT_T0_E_clISt17integral_constantIbLb0EES16_IbLb1EEEEDaS12_S13_EUlS12_E_NS1_11comp_targetILNS1_3genE8ELNS1_11target_archE1030ELNS1_3gpuE2ELNS1_3repE0EEENS1_30default_config_static_selectorELNS0_4arch9wavefront6targetE1EEEvT1_,@function
_ZN7rocprim17ROCPRIM_400000_NS6detail17trampoline_kernelINS0_14default_configENS1_25partition_config_selectorILNS1_17partition_subalgoE8EdNS0_10empty_typeEbEEZZNS1_14partition_implILS5_8ELb0ES3_jPKdPS6_PKS6_NS0_5tupleIJPdS6_EEENSE_IJSB_SB_EEENS0_18inequality_wrapperIN6hipcub16HIPCUB_304000_NS8EqualityEEEPlJS6_EEE10hipError_tPvRmT3_T4_T5_T6_T7_T9_mT8_P12ihipStream_tbDpT10_ENKUlT_T0_E_clISt17integral_constantIbLb0EES16_IbLb1EEEEDaS12_S13_EUlS12_E_NS1_11comp_targetILNS1_3genE8ELNS1_11target_archE1030ELNS1_3gpuE2ELNS1_3repE0EEENS1_30default_config_static_selectorELNS0_4arch9wavefront6targetE1EEEvT1_: ; @_ZN7rocprim17ROCPRIM_400000_NS6detail17trampoline_kernelINS0_14default_configENS1_25partition_config_selectorILNS1_17partition_subalgoE8EdNS0_10empty_typeEbEEZZNS1_14partition_implILS5_8ELb0ES3_jPKdPS6_PKS6_NS0_5tupleIJPdS6_EEENSE_IJSB_SB_EEENS0_18inequality_wrapperIN6hipcub16HIPCUB_304000_NS8EqualityEEEPlJS6_EEE10hipError_tPvRmT3_T4_T5_T6_T7_T9_mT8_P12ihipStream_tbDpT10_ENKUlT_T0_E_clISt17integral_constantIbLb0EES16_IbLb1EEEEDaS12_S13_EUlS12_E_NS1_11comp_targetILNS1_3genE8ELNS1_11target_archE1030ELNS1_3gpuE2ELNS1_3repE0EEENS1_30default_config_static_selectorELNS0_4arch9wavefront6targetE1EEEvT1_
; %bb.0:
	.section	.rodata,"a",@progbits
	.p2align	6, 0x0
	.amdhsa_kernel _ZN7rocprim17ROCPRIM_400000_NS6detail17trampoline_kernelINS0_14default_configENS1_25partition_config_selectorILNS1_17partition_subalgoE8EdNS0_10empty_typeEbEEZZNS1_14partition_implILS5_8ELb0ES3_jPKdPS6_PKS6_NS0_5tupleIJPdS6_EEENSE_IJSB_SB_EEENS0_18inequality_wrapperIN6hipcub16HIPCUB_304000_NS8EqualityEEEPlJS6_EEE10hipError_tPvRmT3_T4_T5_T6_T7_T9_mT8_P12ihipStream_tbDpT10_ENKUlT_T0_E_clISt17integral_constantIbLb0EES16_IbLb1EEEEDaS12_S13_EUlS12_E_NS1_11comp_targetILNS1_3genE8ELNS1_11target_archE1030ELNS1_3gpuE2ELNS1_3repE0EEENS1_30default_config_static_selectorELNS0_4arch9wavefront6targetE1EEEvT1_
		.amdhsa_group_segment_fixed_size 0
		.amdhsa_private_segment_fixed_size 0
		.amdhsa_kernarg_size 128
		.amdhsa_user_sgpr_count 2
		.amdhsa_user_sgpr_dispatch_ptr 0
		.amdhsa_user_sgpr_queue_ptr 0
		.amdhsa_user_sgpr_kernarg_segment_ptr 1
		.amdhsa_user_sgpr_dispatch_id 0
		.amdhsa_user_sgpr_kernarg_preload_length 0
		.amdhsa_user_sgpr_kernarg_preload_offset 0
		.amdhsa_user_sgpr_private_segment_size 0
		.amdhsa_uses_dynamic_stack 0
		.amdhsa_enable_private_segment 0
		.amdhsa_system_sgpr_workgroup_id_x 1
		.amdhsa_system_sgpr_workgroup_id_y 0
		.amdhsa_system_sgpr_workgroup_id_z 0
		.amdhsa_system_sgpr_workgroup_info 0
		.amdhsa_system_vgpr_workitem_id 0
		.amdhsa_next_free_vgpr 1
		.amdhsa_next_free_sgpr 0
		.amdhsa_accum_offset 4
		.amdhsa_reserve_vcc 0
		.amdhsa_float_round_mode_32 0
		.amdhsa_float_round_mode_16_64 0
		.amdhsa_float_denorm_mode_32 3
		.amdhsa_float_denorm_mode_16_64 3
		.amdhsa_dx10_clamp 1
		.amdhsa_ieee_mode 1
		.amdhsa_fp16_overflow 0
		.amdhsa_tg_split 0
		.amdhsa_exception_fp_ieee_invalid_op 0
		.amdhsa_exception_fp_denorm_src 0
		.amdhsa_exception_fp_ieee_div_zero 0
		.amdhsa_exception_fp_ieee_overflow 0
		.amdhsa_exception_fp_ieee_underflow 0
		.amdhsa_exception_fp_ieee_inexact 0
		.amdhsa_exception_int_div_zero 0
	.end_amdhsa_kernel
	.section	.text._ZN7rocprim17ROCPRIM_400000_NS6detail17trampoline_kernelINS0_14default_configENS1_25partition_config_selectorILNS1_17partition_subalgoE8EdNS0_10empty_typeEbEEZZNS1_14partition_implILS5_8ELb0ES3_jPKdPS6_PKS6_NS0_5tupleIJPdS6_EEENSE_IJSB_SB_EEENS0_18inequality_wrapperIN6hipcub16HIPCUB_304000_NS8EqualityEEEPlJS6_EEE10hipError_tPvRmT3_T4_T5_T6_T7_T9_mT8_P12ihipStream_tbDpT10_ENKUlT_T0_E_clISt17integral_constantIbLb0EES16_IbLb1EEEEDaS12_S13_EUlS12_E_NS1_11comp_targetILNS1_3genE8ELNS1_11target_archE1030ELNS1_3gpuE2ELNS1_3repE0EEENS1_30default_config_static_selectorELNS0_4arch9wavefront6targetE1EEEvT1_,"axG",@progbits,_ZN7rocprim17ROCPRIM_400000_NS6detail17trampoline_kernelINS0_14default_configENS1_25partition_config_selectorILNS1_17partition_subalgoE8EdNS0_10empty_typeEbEEZZNS1_14partition_implILS5_8ELb0ES3_jPKdPS6_PKS6_NS0_5tupleIJPdS6_EEENSE_IJSB_SB_EEENS0_18inequality_wrapperIN6hipcub16HIPCUB_304000_NS8EqualityEEEPlJS6_EEE10hipError_tPvRmT3_T4_T5_T6_T7_T9_mT8_P12ihipStream_tbDpT10_ENKUlT_T0_E_clISt17integral_constantIbLb0EES16_IbLb1EEEEDaS12_S13_EUlS12_E_NS1_11comp_targetILNS1_3genE8ELNS1_11target_archE1030ELNS1_3gpuE2ELNS1_3repE0EEENS1_30default_config_static_selectorELNS0_4arch9wavefront6targetE1EEEvT1_,comdat
.Lfunc_end303:
	.size	_ZN7rocprim17ROCPRIM_400000_NS6detail17trampoline_kernelINS0_14default_configENS1_25partition_config_selectorILNS1_17partition_subalgoE8EdNS0_10empty_typeEbEEZZNS1_14partition_implILS5_8ELb0ES3_jPKdPS6_PKS6_NS0_5tupleIJPdS6_EEENSE_IJSB_SB_EEENS0_18inequality_wrapperIN6hipcub16HIPCUB_304000_NS8EqualityEEEPlJS6_EEE10hipError_tPvRmT3_T4_T5_T6_T7_T9_mT8_P12ihipStream_tbDpT10_ENKUlT_T0_E_clISt17integral_constantIbLb0EES16_IbLb1EEEEDaS12_S13_EUlS12_E_NS1_11comp_targetILNS1_3genE8ELNS1_11target_archE1030ELNS1_3gpuE2ELNS1_3repE0EEENS1_30default_config_static_selectorELNS0_4arch9wavefront6targetE1EEEvT1_, .Lfunc_end303-_ZN7rocprim17ROCPRIM_400000_NS6detail17trampoline_kernelINS0_14default_configENS1_25partition_config_selectorILNS1_17partition_subalgoE8EdNS0_10empty_typeEbEEZZNS1_14partition_implILS5_8ELb0ES3_jPKdPS6_PKS6_NS0_5tupleIJPdS6_EEENSE_IJSB_SB_EEENS0_18inequality_wrapperIN6hipcub16HIPCUB_304000_NS8EqualityEEEPlJS6_EEE10hipError_tPvRmT3_T4_T5_T6_T7_T9_mT8_P12ihipStream_tbDpT10_ENKUlT_T0_E_clISt17integral_constantIbLb0EES16_IbLb1EEEEDaS12_S13_EUlS12_E_NS1_11comp_targetILNS1_3genE8ELNS1_11target_archE1030ELNS1_3gpuE2ELNS1_3repE0EEENS1_30default_config_static_selectorELNS0_4arch9wavefront6targetE1EEEvT1_
                                        ; -- End function
	.section	.AMDGPU.csdata,"",@progbits
; Kernel info:
; codeLenInByte = 0
; NumSgprs: 6
; NumVgprs: 0
; NumAgprs: 0
; TotalNumVgprs: 0
; ScratchSize: 0
; MemoryBound: 0
; FloatMode: 240
; IeeeMode: 1
; LDSByteSize: 0 bytes/workgroup (compile time only)
; SGPRBlocks: 0
; VGPRBlocks: 0
; NumSGPRsForWavesPerEU: 6
; NumVGPRsForWavesPerEU: 1
; AccumOffset: 4
; Occupancy: 8
; WaveLimiterHint : 0
; COMPUTE_PGM_RSRC2:SCRATCH_EN: 0
; COMPUTE_PGM_RSRC2:USER_SGPR: 2
; COMPUTE_PGM_RSRC2:TRAP_HANDLER: 0
; COMPUTE_PGM_RSRC2:TGID_X_EN: 1
; COMPUTE_PGM_RSRC2:TGID_Y_EN: 0
; COMPUTE_PGM_RSRC2:TGID_Z_EN: 0
; COMPUTE_PGM_RSRC2:TIDIG_COMP_CNT: 0
; COMPUTE_PGM_RSRC3_GFX90A:ACCUM_OFFSET: 0
; COMPUTE_PGM_RSRC3_GFX90A:TG_SPLIT: 0
	.section	.text._ZN7rocprim17ROCPRIM_400000_NS6detail17trampoline_kernelINS0_14default_configENS1_33run_length_encode_config_selectorIdjNS0_4plusIjEEEEZZNS1_33reduce_by_key_impl_wrapped_configILNS1_25lookback_scan_determinismE0ES3_S7_PKdNS0_17constant_iteratorIjlEEPdPlSF_S6_NS0_8equal_toIdEEEE10hipError_tPvRmT2_T3_mT4_T5_T6_T7_T8_P12ihipStream_tbENKUlT_T0_E_clISt17integral_constantIbLb0EESZ_EEDaSU_SV_EUlSU_E_NS1_11comp_targetILNS1_3genE0ELNS1_11target_archE4294967295ELNS1_3gpuE0ELNS1_3repE0EEENS1_30default_config_static_selectorELNS0_4arch9wavefront6targetE1EEEvT1_,"axG",@progbits,_ZN7rocprim17ROCPRIM_400000_NS6detail17trampoline_kernelINS0_14default_configENS1_33run_length_encode_config_selectorIdjNS0_4plusIjEEEEZZNS1_33reduce_by_key_impl_wrapped_configILNS1_25lookback_scan_determinismE0ES3_S7_PKdNS0_17constant_iteratorIjlEEPdPlSF_S6_NS0_8equal_toIdEEEE10hipError_tPvRmT2_T3_mT4_T5_T6_T7_T8_P12ihipStream_tbENKUlT_T0_E_clISt17integral_constantIbLb0EESZ_EEDaSU_SV_EUlSU_E_NS1_11comp_targetILNS1_3genE0ELNS1_11target_archE4294967295ELNS1_3gpuE0ELNS1_3repE0EEENS1_30default_config_static_selectorELNS0_4arch9wavefront6targetE1EEEvT1_,comdat
	.protected	_ZN7rocprim17ROCPRIM_400000_NS6detail17trampoline_kernelINS0_14default_configENS1_33run_length_encode_config_selectorIdjNS0_4plusIjEEEEZZNS1_33reduce_by_key_impl_wrapped_configILNS1_25lookback_scan_determinismE0ES3_S7_PKdNS0_17constant_iteratorIjlEEPdPlSF_S6_NS0_8equal_toIdEEEE10hipError_tPvRmT2_T3_mT4_T5_T6_T7_T8_P12ihipStream_tbENKUlT_T0_E_clISt17integral_constantIbLb0EESZ_EEDaSU_SV_EUlSU_E_NS1_11comp_targetILNS1_3genE0ELNS1_11target_archE4294967295ELNS1_3gpuE0ELNS1_3repE0EEENS1_30default_config_static_selectorELNS0_4arch9wavefront6targetE1EEEvT1_ ; -- Begin function _ZN7rocprim17ROCPRIM_400000_NS6detail17trampoline_kernelINS0_14default_configENS1_33run_length_encode_config_selectorIdjNS0_4plusIjEEEEZZNS1_33reduce_by_key_impl_wrapped_configILNS1_25lookback_scan_determinismE0ES3_S7_PKdNS0_17constant_iteratorIjlEEPdPlSF_S6_NS0_8equal_toIdEEEE10hipError_tPvRmT2_T3_mT4_T5_T6_T7_T8_P12ihipStream_tbENKUlT_T0_E_clISt17integral_constantIbLb0EESZ_EEDaSU_SV_EUlSU_E_NS1_11comp_targetILNS1_3genE0ELNS1_11target_archE4294967295ELNS1_3gpuE0ELNS1_3repE0EEENS1_30default_config_static_selectorELNS0_4arch9wavefront6targetE1EEEvT1_
	.globl	_ZN7rocprim17ROCPRIM_400000_NS6detail17trampoline_kernelINS0_14default_configENS1_33run_length_encode_config_selectorIdjNS0_4plusIjEEEEZZNS1_33reduce_by_key_impl_wrapped_configILNS1_25lookback_scan_determinismE0ES3_S7_PKdNS0_17constant_iteratorIjlEEPdPlSF_S6_NS0_8equal_toIdEEEE10hipError_tPvRmT2_T3_mT4_T5_T6_T7_T8_P12ihipStream_tbENKUlT_T0_E_clISt17integral_constantIbLb0EESZ_EEDaSU_SV_EUlSU_E_NS1_11comp_targetILNS1_3genE0ELNS1_11target_archE4294967295ELNS1_3gpuE0ELNS1_3repE0EEENS1_30default_config_static_selectorELNS0_4arch9wavefront6targetE1EEEvT1_
	.p2align	8
	.type	_ZN7rocprim17ROCPRIM_400000_NS6detail17trampoline_kernelINS0_14default_configENS1_33run_length_encode_config_selectorIdjNS0_4plusIjEEEEZZNS1_33reduce_by_key_impl_wrapped_configILNS1_25lookback_scan_determinismE0ES3_S7_PKdNS0_17constant_iteratorIjlEEPdPlSF_S6_NS0_8equal_toIdEEEE10hipError_tPvRmT2_T3_mT4_T5_T6_T7_T8_P12ihipStream_tbENKUlT_T0_E_clISt17integral_constantIbLb0EESZ_EEDaSU_SV_EUlSU_E_NS1_11comp_targetILNS1_3genE0ELNS1_11target_archE4294967295ELNS1_3gpuE0ELNS1_3repE0EEENS1_30default_config_static_selectorELNS0_4arch9wavefront6targetE1EEEvT1_,@function
_ZN7rocprim17ROCPRIM_400000_NS6detail17trampoline_kernelINS0_14default_configENS1_33run_length_encode_config_selectorIdjNS0_4plusIjEEEEZZNS1_33reduce_by_key_impl_wrapped_configILNS1_25lookback_scan_determinismE0ES3_S7_PKdNS0_17constant_iteratorIjlEEPdPlSF_S6_NS0_8equal_toIdEEEE10hipError_tPvRmT2_T3_mT4_T5_T6_T7_T8_P12ihipStream_tbENKUlT_T0_E_clISt17integral_constantIbLb0EESZ_EEDaSU_SV_EUlSU_E_NS1_11comp_targetILNS1_3genE0ELNS1_11target_archE4294967295ELNS1_3gpuE0ELNS1_3repE0EEENS1_30default_config_static_selectorELNS0_4arch9wavefront6targetE1EEEvT1_: ; @_ZN7rocprim17ROCPRIM_400000_NS6detail17trampoline_kernelINS0_14default_configENS1_33run_length_encode_config_selectorIdjNS0_4plusIjEEEEZZNS1_33reduce_by_key_impl_wrapped_configILNS1_25lookback_scan_determinismE0ES3_S7_PKdNS0_17constant_iteratorIjlEEPdPlSF_S6_NS0_8equal_toIdEEEE10hipError_tPvRmT2_T3_mT4_T5_T6_T7_T8_P12ihipStream_tbENKUlT_T0_E_clISt17integral_constantIbLb0EESZ_EEDaSU_SV_EUlSU_E_NS1_11comp_targetILNS1_3genE0ELNS1_11target_archE4294967295ELNS1_3gpuE0ELNS1_3repE0EEENS1_30default_config_static_selectorELNS0_4arch9wavefront6targetE1EEEvT1_
; %bb.0:
	.section	.rodata,"a",@progbits
	.p2align	6, 0x0
	.amdhsa_kernel _ZN7rocprim17ROCPRIM_400000_NS6detail17trampoline_kernelINS0_14default_configENS1_33run_length_encode_config_selectorIdjNS0_4plusIjEEEEZZNS1_33reduce_by_key_impl_wrapped_configILNS1_25lookback_scan_determinismE0ES3_S7_PKdNS0_17constant_iteratorIjlEEPdPlSF_S6_NS0_8equal_toIdEEEE10hipError_tPvRmT2_T3_mT4_T5_T6_T7_T8_P12ihipStream_tbENKUlT_T0_E_clISt17integral_constantIbLb0EESZ_EEDaSU_SV_EUlSU_E_NS1_11comp_targetILNS1_3genE0ELNS1_11target_archE4294967295ELNS1_3gpuE0ELNS1_3repE0EEENS1_30default_config_static_selectorELNS0_4arch9wavefront6targetE1EEEvT1_
		.amdhsa_group_segment_fixed_size 0
		.amdhsa_private_segment_fixed_size 0
		.amdhsa_kernarg_size 128
		.amdhsa_user_sgpr_count 2
		.amdhsa_user_sgpr_dispatch_ptr 0
		.amdhsa_user_sgpr_queue_ptr 0
		.amdhsa_user_sgpr_kernarg_segment_ptr 1
		.amdhsa_user_sgpr_dispatch_id 0
		.amdhsa_user_sgpr_kernarg_preload_length 0
		.amdhsa_user_sgpr_kernarg_preload_offset 0
		.amdhsa_user_sgpr_private_segment_size 0
		.amdhsa_uses_dynamic_stack 0
		.amdhsa_enable_private_segment 0
		.amdhsa_system_sgpr_workgroup_id_x 1
		.amdhsa_system_sgpr_workgroup_id_y 0
		.amdhsa_system_sgpr_workgroup_id_z 0
		.amdhsa_system_sgpr_workgroup_info 0
		.amdhsa_system_vgpr_workitem_id 0
		.amdhsa_next_free_vgpr 1
		.amdhsa_next_free_sgpr 0
		.amdhsa_accum_offset 4
		.amdhsa_reserve_vcc 0
		.amdhsa_float_round_mode_32 0
		.amdhsa_float_round_mode_16_64 0
		.amdhsa_float_denorm_mode_32 3
		.amdhsa_float_denorm_mode_16_64 3
		.amdhsa_dx10_clamp 1
		.amdhsa_ieee_mode 1
		.amdhsa_fp16_overflow 0
		.amdhsa_tg_split 0
		.amdhsa_exception_fp_ieee_invalid_op 0
		.amdhsa_exception_fp_denorm_src 0
		.amdhsa_exception_fp_ieee_div_zero 0
		.amdhsa_exception_fp_ieee_overflow 0
		.amdhsa_exception_fp_ieee_underflow 0
		.amdhsa_exception_fp_ieee_inexact 0
		.amdhsa_exception_int_div_zero 0
	.end_amdhsa_kernel
	.section	.text._ZN7rocprim17ROCPRIM_400000_NS6detail17trampoline_kernelINS0_14default_configENS1_33run_length_encode_config_selectorIdjNS0_4plusIjEEEEZZNS1_33reduce_by_key_impl_wrapped_configILNS1_25lookback_scan_determinismE0ES3_S7_PKdNS0_17constant_iteratorIjlEEPdPlSF_S6_NS0_8equal_toIdEEEE10hipError_tPvRmT2_T3_mT4_T5_T6_T7_T8_P12ihipStream_tbENKUlT_T0_E_clISt17integral_constantIbLb0EESZ_EEDaSU_SV_EUlSU_E_NS1_11comp_targetILNS1_3genE0ELNS1_11target_archE4294967295ELNS1_3gpuE0ELNS1_3repE0EEENS1_30default_config_static_selectorELNS0_4arch9wavefront6targetE1EEEvT1_,"axG",@progbits,_ZN7rocprim17ROCPRIM_400000_NS6detail17trampoline_kernelINS0_14default_configENS1_33run_length_encode_config_selectorIdjNS0_4plusIjEEEEZZNS1_33reduce_by_key_impl_wrapped_configILNS1_25lookback_scan_determinismE0ES3_S7_PKdNS0_17constant_iteratorIjlEEPdPlSF_S6_NS0_8equal_toIdEEEE10hipError_tPvRmT2_T3_mT4_T5_T6_T7_T8_P12ihipStream_tbENKUlT_T0_E_clISt17integral_constantIbLb0EESZ_EEDaSU_SV_EUlSU_E_NS1_11comp_targetILNS1_3genE0ELNS1_11target_archE4294967295ELNS1_3gpuE0ELNS1_3repE0EEENS1_30default_config_static_selectorELNS0_4arch9wavefront6targetE1EEEvT1_,comdat
.Lfunc_end304:
	.size	_ZN7rocprim17ROCPRIM_400000_NS6detail17trampoline_kernelINS0_14default_configENS1_33run_length_encode_config_selectorIdjNS0_4plusIjEEEEZZNS1_33reduce_by_key_impl_wrapped_configILNS1_25lookback_scan_determinismE0ES3_S7_PKdNS0_17constant_iteratorIjlEEPdPlSF_S6_NS0_8equal_toIdEEEE10hipError_tPvRmT2_T3_mT4_T5_T6_T7_T8_P12ihipStream_tbENKUlT_T0_E_clISt17integral_constantIbLb0EESZ_EEDaSU_SV_EUlSU_E_NS1_11comp_targetILNS1_3genE0ELNS1_11target_archE4294967295ELNS1_3gpuE0ELNS1_3repE0EEENS1_30default_config_static_selectorELNS0_4arch9wavefront6targetE1EEEvT1_, .Lfunc_end304-_ZN7rocprim17ROCPRIM_400000_NS6detail17trampoline_kernelINS0_14default_configENS1_33run_length_encode_config_selectorIdjNS0_4plusIjEEEEZZNS1_33reduce_by_key_impl_wrapped_configILNS1_25lookback_scan_determinismE0ES3_S7_PKdNS0_17constant_iteratorIjlEEPdPlSF_S6_NS0_8equal_toIdEEEE10hipError_tPvRmT2_T3_mT4_T5_T6_T7_T8_P12ihipStream_tbENKUlT_T0_E_clISt17integral_constantIbLb0EESZ_EEDaSU_SV_EUlSU_E_NS1_11comp_targetILNS1_3genE0ELNS1_11target_archE4294967295ELNS1_3gpuE0ELNS1_3repE0EEENS1_30default_config_static_selectorELNS0_4arch9wavefront6targetE1EEEvT1_
                                        ; -- End function
	.section	.AMDGPU.csdata,"",@progbits
; Kernel info:
; codeLenInByte = 0
; NumSgprs: 6
; NumVgprs: 0
; NumAgprs: 0
; TotalNumVgprs: 0
; ScratchSize: 0
; MemoryBound: 0
; FloatMode: 240
; IeeeMode: 1
; LDSByteSize: 0 bytes/workgroup (compile time only)
; SGPRBlocks: 0
; VGPRBlocks: 0
; NumSGPRsForWavesPerEU: 6
; NumVGPRsForWavesPerEU: 1
; AccumOffset: 4
; Occupancy: 8
; WaveLimiterHint : 0
; COMPUTE_PGM_RSRC2:SCRATCH_EN: 0
; COMPUTE_PGM_RSRC2:USER_SGPR: 2
; COMPUTE_PGM_RSRC2:TRAP_HANDLER: 0
; COMPUTE_PGM_RSRC2:TGID_X_EN: 1
; COMPUTE_PGM_RSRC2:TGID_Y_EN: 0
; COMPUTE_PGM_RSRC2:TGID_Z_EN: 0
; COMPUTE_PGM_RSRC2:TIDIG_COMP_CNT: 0
; COMPUTE_PGM_RSRC3_GFX90A:ACCUM_OFFSET: 0
; COMPUTE_PGM_RSRC3_GFX90A:TG_SPLIT: 0
	.section	.text._ZN7rocprim17ROCPRIM_400000_NS6detail17trampoline_kernelINS0_14default_configENS1_33run_length_encode_config_selectorIdjNS0_4plusIjEEEEZZNS1_33reduce_by_key_impl_wrapped_configILNS1_25lookback_scan_determinismE0ES3_S7_PKdNS0_17constant_iteratorIjlEEPdPlSF_S6_NS0_8equal_toIdEEEE10hipError_tPvRmT2_T3_mT4_T5_T6_T7_T8_P12ihipStream_tbENKUlT_T0_E_clISt17integral_constantIbLb0EESZ_EEDaSU_SV_EUlSU_E_NS1_11comp_targetILNS1_3genE5ELNS1_11target_archE942ELNS1_3gpuE9ELNS1_3repE0EEENS1_30default_config_static_selectorELNS0_4arch9wavefront6targetE1EEEvT1_,"axG",@progbits,_ZN7rocprim17ROCPRIM_400000_NS6detail17trampoline_kernelINS0_14default_configENS1_33run_length_encode_config_selectorIdjNS0_4plusIjEEEEZZNS1_33reduce_by_key_impl_wrapped_configILNS1_25lookback_scan_determinismE0ES3_S7_PKdNS0_17constant_iteratorIjlEEPdPlSF_S6_NS0_8equal_toIdEEEE10hipError_tPvRmT2_T3_mT4_T5_T6_T7_T8_P12ihipStream_tbENKUlT_T0_E_clISt17integral_constantIbLb0EESZ_EEDaSU_SV_EUlSU_E_NS1_11comp_targetILNS1_3genE5ELNS1_11target_archE942ELNS1_3gpuE9ELNS1_3repE0EEENS1_30default_config_static_selectorELNS0_4arch9wavefront6targetE1EEEvT1_,comdat
	.protected	_ZN7rocprim17ROCPRIM_400000_NS6detail17trampoline_kernelINS0_14default_configENS1_33run_length_encode_config_selectorIdjNS0_4plusIjEEEEZZNS1_33reduce_by_key_impl_wrapped_configILNS1_25lookback_scan_determinismE0ES3_S7_PKdNS0_17constant_iteratorIjlEEPdPlSF_S6_NS0_8equal_toIdEEEE10hipError_tPvRmT2_T3_mT4_T5_T6_T7_T8_P12ihipStream_tbENKUlT_T0_E_clISt17integral_constantIbLb0EESZ_EEDaSU_SV_EUlSU_E_NS1_11comp_targetILNS1_3genE5ELNS1_11target_archE942ELNS1_3gpuE9ELNS1_3repE0EEENS1_30default_config_static_selectorELNS0_4arch9wavefront6targetE1EEEvT1_ ; -- Begin function _ZN7rocprim17ROCPRIM_400000_NS6detail17trampoline_kernelINS0_14default_configENS1_33run_length_encode_config_selectorIdjNS0_4plusIjEEEEZZNS1_33reduce_by_key_impl_wrapped_configILNS1_25lookback_scan_determinismE0ES3_S7_PKdNS0_17constant_iteratorIjlEEPdPlSF_S6_NS0_8equal_toIdEEEE10hipError_tPvRmT2_T3_mT4_T5_T6_T7_T8_P12ihipStream_tbENKUlT_T0_E_clISt17integral_constantIbLb0EESZ_EEDaSU_SV_EUlSU_E_NS1_11comp_targetILNS1_3genE5ELNS1_11target_archE942ELNS1_3gpuE9ELNS1_3repE0EEENS1_30default_config_static_selectorELNS0_4arch9wavefront6targetE1EEEvT1_
	.globl	_ZN7rocprim17ROCPRIM_400000_NS6detail17trampoline_kernelINS0_14default_configENS1_33run_length_encode_config_selectorIdjNS0_4plusIjEEEEZZNS1_33reduce_by_key_impl_wrapped_configILNS1_25lookback_scan_determinismE0ES3_S7_PKdNS0_17constant_iteratorIjlEEPdPlSF_S6_NS0_8equal_toIdEEEE10hipError_tPvRmT2_T3_mT4_T5_T6_T7_T8_P12ihipStream_tbENKUlT_T0_E_clISt17integral_constantIbLb0EESZ_EEDaSU_SV_EUlSU_E_NS1_11comp_targetILNS1_3genE5ELNS1_11target_archE942ELNS1_3gpuE9ELNS1_3repE0EEENS1_30default_config_static_selectorELNS0_4arch9wavefront6targetE1EEEvT1_
	.p2align	8
	.type	_ZN7rocprim17ROCPRIM_400000_NS6detail17trampoline_kernelINS0_14default_configENS1_33run_length_encode_config_selectorIdjNS0_4plusIjEEEEZZNS1_33reduce_by_key_impl_wrapped_configILNS1_25lookback_scan_determinismE0ES3_S7_PKdNS0_17constant_iteratorIjlEEPdPlSF_S6_NS0_8equal_toIdEEEE10hipError_tPvRmT2_T3_mT4_T5_T6_T7_T8_P12ihipStream_tbENKUlT_T0_E_clISt17integral_constantIbLb0EESZ_EEDaSU_SV_EUlSU_E_NS1_11comp_targetILNS1_3genE5ELNS1_11target_archE942ELNS1_3gpuE9ELNS1_3repE0EEENS1_30default_config_static_selectorELNS0_4arch9wavefront6targetE1EEEvT1_,@function
_ZN7rocprim17ROCPRIM_400000_NS6detail17trampoline_kernelINS0_14default_configENS1_33run_length_encode_config_selectorIdjNS0_4plusIjEEEEZZNS1_33reduce_by_key_impl_wrapped_configILNS1_25lookback_scan_determinismE0ES3_S7_PKdNS0_17constant_iteratorIjlEEPdPlSF_S6_NS0_8equal_toIdEEEE10hipError_tPvRmT2_T3_mT4_T5_T6_T7_T8_P12ihipStream_tbENKUlT_T0_E_clISt17integral_constantIbLb0EESZ_EEDaSU_SV_EUlSU_E_NS1_11comp_targetILNS1_3genE5ELNS1_11target_archE942ELNS1_3gpuE9ELNS1_3repE0EEENS1_30default_config_static_selectorELNS0_4arch9wavefront6targetE1EEEvT1_: ; @_ZN7rocprim17ROCPRIM_400000_NS6detail17trampoline_kernelINS0_14default_configENS1_33run_length_encode_config_selectorIdjNS0_4plusIjEEEEZZNS1_33reduce_by_key_impl_wrapped_configILNS1_25lookback_scan_determinismE0ES3_S7_PKdNS0_17constant_iteratorIjlEEPdPlSF_S6_NS0_8equal_toIdEEEE10hipError_tPvRmT2_T3_mT4_T5_T6_T7_T8_P12ihipStream_tbENKUlT_T0_E_clISt17integral_constantIbLb0EESZ_EEDaSU_SV_EUlSU_E_NS1_11comp_targetILNS1_3genE5ELNS1_11target_archE942ELNS1_3gpuE9ELNS1_3repE0EEENS1_30default_config_static_selectorELNS0_4arch9wavefront6targetE1EEEvT1_
; %bb.0:
	s_load_dwordx8 s[36:43], s[0:1], 0x40
	s_load_dwordx4 s[4:7], s[0:1], 0x0
	s_load_dword s3, s[0:1], 0x10
	s_load_dwordx4 s[44:47], s[0:1], 0x60
	s_waitcnt lgkmcnt(0)
	s_mul_i32 s8, s40, s39
	s_mul_hi_u32 s9, s40, s38
	s_add_i32 s8, s9, s8
	s_mul_i32 s9, s41, s38
	s_add_i32 s8, s8, s9
	s_lshl_b64 s[6:7], s[6:7], 3
	s_add_u32 s6, s4, s6
	s_addc_u32 s7, s5, s7
	s_mul_i32 s4, s2, 0x1e00
	s_mov_b32 s5, 0
	s_lshl_b64 s[4:5], s[4:5], 3
	s_mul_i32 s9, s40, s38
	s_add_u32 s40, s6, s4
	s_addc_u32 s41, s7, s5
	s_add_u32 s34, s9, s2
	s_addc_u32 s35, s8, 0
	s_add_u32 s6, s42, -1
	s_addc_u32 s7, s43, -1
	s_cmp_eq_u64 s[34:35], s[6:7]
	s_cselect_b64 s[48:49], -1, 0
	s_cmp_lg_u64 s[34:35], s[6:7]
	s_mov_b64 s[8:9], -1
	s_cselect_b64 s[4:5], -1, 0
	s_mul_i32 s33, s6, 0xffffe200
	s_and_b64 vcc, exec, s[48:49]
	s_cbranch_vccnz .LBB305_2
; %bb.1:
	v_lshlrev_b32_e32 v2, 3, v0
	v_mov_b32_e32 v3, 0
	v_lshl_add_u64 v[4:5], s[40:41], 0, v[2:3]
	v_add_co_u32_e32 v8, vcc, 0x1000, v4
	global_load_dwordx2 v[6:7], v2, s[40:41]
	s_nop 0
	v_addc_co_u32_e32 v9, vcc, 0, v5, vcc
	v_add_co_u32_e32 v10, vcc, 0x2000, v4
	s_movk_i32 s6, 0x70
	s_nop 0
	v_addc_co_u32_e32 v11, vcc, 0, v5, vcc
	v_add_co_u32_e32 v12, vcc, 0x3000, v4
	v_mad_u32_u24 v1, v0, s6, v2
	s_nop 0
	v_addc_co_u32_e32 v13, vcc, 0, v5, vcc
	v_add_co_u32_e32 v14, vcc, 0x4000, v4
	s_nop 1
	v_addc_co_u32_e32 v15, vcc, 0, v5, vcc
	global_load_dwordx2 v[16:17], v[8:9], off
	global_load_dwordx2 v[18:19], v[10:11], off
	;; [unrolled: 1-line block ×4, first 2 shown]
	v_add_co_u32_e32 v8, vcc, 0x5000, v4
	s_mov_b64 s[6:7], -1
	s_nop 0
	v_addc_co_u32_e32 v9, vcc, 0, v5, vcc
	v_add_co_u32_e32 v10, vcc, 0x6000, v4
	s_nop 1
	v_addc_co_u32_e32 v11, vcc, 0, v5, vcc
	v_add_co_u32_e32 v12, vcc, 0x7000, v4
	;; [unrolled: 3-line block ×3, first 2 shown]
	s_nop 1
	v_addc_co_u32_e32 v15, vcc, 0, v5, vcc
	global_load_dwordx2 v[24:25], v[8:9], off
	global_load_dwordx2 v[26:27], v[10:11], off
	global_load_dwordx2 v[28:29], v[12:13], off
	global_load_dwordx2 v[30:31], v[14:15], off
	v_add_co_u32_e32 v8, vcc, 0x9000, v4
	s_nop 1
	v_addc_co_u32_e32 v9, vcc, 0, v5, vcc
	v_add_co_u32_e32 v10, vcc, 0xa000, v4
	s_nop 1
	v_addc_co_u32_e32 v11, vcc, 0, v5, vcc
	;; [unrolled: 3-line block ×4, first 2 shown]
	global_load_dwordx2 v[32:33], v[8:9], off
	global_load_dwordx2 v[34:35], v[10:11], off
	;; [unrolled: 1-line block ×4, first 2 shown]
	v_add_co_u32_e32 v8, vcc, 0xd000, v4
	s_nop 1
	v_addc_co_u32_e32 v9, vcc, 0, v5, vcc
	v_add_co_u32_e32 v4, vcc, 0xe000, v4
	global_load_dwordx2 v[8:9], v[8:9], off
	s_nop 0
	v_addc_co_u32_e32 v5, vcc, 0, v5, vcc
	global_load_dwordx2 v[4:5], v[4:5], off
	s_waitcnt vmcnt(13)
	ds_write2st64_b64 v2, v[6:7], v[16:17] offset1:8
	s_waitcnt vmcnt(11)
	ds_write2st64_b64 v2, v[18:19], v[20:21] offset0:16 offset1:24
	s_waitcnt vmcnt(9)
	ds_write2st64_b64 v2, v[22:23], v[24:25] offset0:32 offset1:40
	;; [unrolled: 2-line block ×6, first 2 shown]
	s_waitcnt vmcnt(0)
	ds_write_b64 v2, v[4:5] offset:57344
	s_waitcnt lgkmcnt(0)
	s_barrier
	ds_read2_b64 v[26:29], v1 offset1:1
	ds_read2_b64 v[22:25], v1 offset0:2 offset1:3
	ds_read2_b64 v[18:21], v1 offset0:4 offset1:5
	;; [unrolled: 1-line block ×6, first 2 shown]
	ds_read_b64 v[46:47], v1 offset:112
	s_waitcnt lgkmcnt(7)
	v_mov_b32_e32 v30, v26
	v_mov_b32_e32 v31, v27
	s_waitcnt lgkmcnt(6)
	v_mov_b32_e32 v32, v22
	v_mov_b32_e32 v33, v23
	;; [unrolled: 3-line block ×7, first 2 shown]
	s_add_i32 s33, s33, s44
	s_cbranch_execz .LBB305_3
	s_branch .LBB305_34
.LBB305_2:
	s_mov_b64 s[6:7], 0
                                        ; implicit-def: $vgpr46_vgpr47
                                        ; implicit-def: $vgpr6_vgpr7
                                        ; implicit-def: $vgpr2_vgpr3
                                        ; implicit-def: $vgpr10_vgpr11
                                        ; implicit-def: $vgpr14_vgpr15
                                        ; implicit-def: $vgpr18_vgpr19
                                        ; implicit-def: $vgpr22_vgpr23
                                        ; implicit-def: $vgpr26_vgpr27
                                        ; implicit-def: $vgpr38_vgpr39_vgpr40_vgpr41
                                        ; implicit-def: $vgpr34_vgpr35_vgpr36_vgpr37
                                        ; implicit-def: $vgpr30_vgpr31_vgpr32_vgpr33
                                        ; implicit-def: $vgpr42_vgpr43_vgpr44_vgpr45
	s_add_i32 s33, s33, s44
	s_andn2_b64 vcc, exec, s[8:9]
	s_cbranch_vccnz .LBB305_34
.LBB305_3:
	v_cmp_gt_u32_e32 vcc, s33, v0
                                        ; implicit-def: $vgpr2_vgpr3
	s_and_saveexec_b64 s[6:7], vcc
	s_cbranch_execz .LBB305_5
; %bb.4:
	v_lshlrev_b32_e32 v1, 3, v0
	global_load_dwordx2 v[2:3], v1, s[40:41]
.LBB305_5:
	s_or_b64 exec, exec, s[6:7]
	v_or_b32_e32 v1, 0x200, v0
	v_cmp_gt_u32_e32 vcc, s33, v1
                                        ; implicit-def: $vgpr4_vgpr5
	s_and_saveexec_b64 s[6:7], vcc
	s_cbranch_execz .LBB305_7
; %bb.6:
	v_lshlrev_b32_e32 v1, 3, v1
	global_load_dwordx2 v[4:5], v1, s[40:41]
.LBB305_7:
	s_or_b64 exec, exec, s[6:7]
	v_or_b32_e32 v1, 0x400, v0
	v_cmp_gt_u32_e32 vcc, s33, v1
                                        ; implicit-def: $vgpr6_vgpr7
	s_and_saveexec_b64 s[6:7], vcc
	s_cbranch_execz .LBB305_9
; %bb.8:
	v_lshlrev_b32_e32 v1, 3, v1
	global_load_dwordx2 v[6:7], v1, s[40:41]
.LBB305_9:
	s_or_b64 exec, exec, s[6:7]
	v_or_b32_e32 v1, 0x600, v0
	v_cmp_gt_u32_e32 vcc, s33, v1
                                        ; implicit-def: $vgpr8_vgpr9
	s_and_saveexec_b64 s[6:7], vcc
	s_cbranch_execz .LBB305_11
; %bb.10:
	v_lshlrev_b32_e32 v1, 3, v1
	global_load_dwordx2 v[8:9], v1, s[40:41]
.LBB305_11:
	s_or_b64 exec, exec, s[6:7]
	v_or_b32_e32 v1, 0x800, v0
	v_cmp_gt_u32_e32 vcc, s33, v1
                                        ; implicit-def: $vgpr10_vgpr11
	s_and_saveexec_b64 s[6:7], vcc
	s_cbranch_execz .LBB305_13
; %bb.12:
	v_lshlrev_b32_e32 v1, 3, v1
	global_load_dwordx2 v[10:11], v1, s[40:41]
.LBB305_13:
	s_or_b64 exec, exec, s[6:7]
	v_or_b32_e32 v1, 0xa00, v0
	v_cmp_gt_u32_e32 vcc, s33, v1
                                        ; implicit-def: $vgpr12_vgpr13
	s_and_saveexec_b64 s[6:7], vcc
	s_cbranch_execz .LBB305_15
; %bb.14:
	v_lshlrev_b32_e32 v1, 3, v1
	global_load_dwordx2 v[12:13], v1, s[40:41]
.LBB305_15:
	s_or_b64 exec, exec, s[6:7]
	v_or_b32_e32 v1, 0xc00, v0
	v_cmp_gt_u32_e32 vcc, s33, v1
                                        ; implicit-def: $vgpr14_vgpr15
	s_and_saveexec_b64 s[6:7], vcc
	s_cbranch_execz .LBB305_17
; %bb.16:
	v_lshlrev_b32_e32 v1, 3, v1
	global_load_dwordx2 v[14:15], v1, s[40:41]
.LBB305_17:
	s_or_b64 exec, exec, s[6:7]
	v_or_b32_e32 v1, 0xe00, v0
	v_cmp_gt_u32_e32 vcc, s33, v1
                                        ; implicit-def: $vgpr16_vgpr17
	s_and_saveexec_b64 s[6:7], vcc
	s_cbranch_execz .LBB305_19
; %bb.18:
	v_lshlrev_b32_e32 v1, 3, v1
	global_load_dwordx2 v[16:17], v1, s[40:41]
.LBB305_19:
	s_or_b64 exec, exec, s[6:7]
	v_or_b32_e32 v1, 0x1000, v0
	v_cmp_gt_u32_e32 vcc, s33, v1
                                        ; implicit-def: $vgpr18_vgpr19
	s_and_saveexec_b64 s[6:7], vcc
	s_cbranch_execz .LBB305_21
; %bb.20:
	v_lshlrev_b32_e32 v1, 3, v1
	global_load_dwordx2 v[18:19], v1, s[40:41]
.LBB305_21:
	s_or_b64 exec, exec, s[6:7]
	v_or_b32_e32 v1, 0x1200, v0
	v_cmp_gt_u32_e32 vcc, s33, v1
                                        ; implicit-def: $vgpr20_vgpr21
	s_and_saveexec_b64 s[6:7], vcc
	s_cbranch_execz .LBB305_23
; %bb.22:
	v_lshlrev_b32_e32 v1, 3, v1
	global_load_dwordx2 v[20:21], v1, s[40:41]
.LBB305_23:
	s_or_b64 exec, exec, s[6:7]
	v_or_b32_e32 v1, 0x1400, v0
	v_cmp_gt_u32_e32 vcc, s33, v1
                                        ; implicit-def: $vgpr22_vgpr23
	s_and_saveexec_b64 s[6:7], vcc
	s_cbranch_execz .LBB305_25
; %bb.24:
	v_lshlrev_b32_e32 v1, 3, v1
	global_load_dwordx2 v[22:23], v1, s[40:41]
.LBB305_25:
	s_or_b64 exec, exec, s[6:7]
	v_or_b32_e32 v1, 0x1600, v0
	v_cmp_gt_u32_e32 vcc, s33, v1
                                        ; implicit-def: $vgpr24_vgpr25
	s_and_saveexec_b64 s[6:7], vcc
	s_cbranch_execz .LBB305_27
; %bb.26:
	v_lshlrev_b32_e32 v1, 3, v1
	global_load_dwordx2 v[24:25], v1, s[40:41]
.LBB305_27:
	s_or_b64 exec, exec, s[6:7]
	v_or_b32_e32 v1, 0x1800, v0
	v_cmp_gt_u32_e32 vcc, s33, v1
                                        ; implicit-def: $vgpr26_vgpr27
	s_and_saveexec_b64 s[6:7], vcc
	s_cbranch_execz .LBB305_29
; %bb.28:
	v_lshlrev_b32_e32 v1, 3, v1
	global_load_dwordx2 v[26:27], v1, s[40:41]
.LBB305_29:
	s_or_b64 exec, exec, s[6:7]
	v_or_b32_e32 v1, 0x1a00, v0
	v_cmp_gt_u32_e32 vcc, s33, v1
                                        ; implicit-def: $vgpr28_vgpr29
	s_and_saveexec_b64 s[6:7], vcc
	s_cbranch_execz .LBB305_31
; %bb.30:
	v_lshlrev_b32_e32 v1, 3, v1
	global_load_dwordx2 v[28:29], v1, s[40:41]
.LBB305_31:
	s_or_b64 exec, exec, s[6:7]
	v_or_b32_e32 v1, 0x1c00, v0
	v_cmp_gt_u32_e32 vcc, s33, v1
                                        ; implicit-def: $vgpr30_vgpr31
	s_and_saveexec_b64 s[6:7], vcc
	s_cbranch_execz .LBB305_33
; %bb.32:
	v_lshlrev_b32_e32 v1, 3, v1
	global_load_dwordx2 v[30:31], v1, s[40:41]
.LBB305_33:
	s_or_b64 exec, exec, s[6:7]
	v_lshlrev_b32_e32 v1, 3, v0
	s_movk_i32 s6, 0x70
	s_waitcnt vmcnt(0)
	ds_write2st64_b64 v1, v[2:3], v[4:5] offset1:8
	ds_write2st64_b64 v1, v[6:7], v[8:9] offset0:16 offset1:24
	ds_write2st64_b64 v1, v[10:11], v[12:13] offset0:32 offset1:40
	;; [unrolled: 1-line block ×6, first 2 shown]
	ds_write_b64 v1, v[30:31] offset:57344
	v_mad_u32_u24 v1, v0, s6, v1
	s_waitcnt lgkmcnt(0)
	s_barrier
	ds_read2_b64 v[26:29], v1 offset1:1
	ds_read2_b64 v[22:25], v1 offset0:2 offset1:3
	ds_read2_b64 v[18:21], v1 offset0:4 offset1:5
	;; [unrolled: 1-line block ×6, first 2 shown]
	ds_read_b64 v[46:47], v1 offset:112
	v_mad_u32_u24 v30, v0, 15, 14
	v_cmp_gt_u32_e64 s[6:7], s33, v30
	s_waitcnt lgkmcnt(7)
	v_mov_b32_e32 v30, v26
	v_mov_b32_e32 v31, v27
	s_waitcnt lgkmcnt(6)
	v_mov_b32_e32 v32, v22
	v_mov_b32_e32 v33, v23
	;; [unrolled: 3-line block ×7, first 2 shown]
.LBB305_34:
	v_mov_b32_e32 v68, s3
                                        ; implicit-def: $vgpr69
	s_and_saveexec_b64 s[8:9], s[6:7]
; %bb.35:
	v_mov_b32_e32 v69, s3
; %bb.36:
	s_or_b64 exec, exec, s[8:9]
	s_load_dwordx2 s[52:53], s[0:1], 0x70
	s_cmp_eq_u64 s[34:35], 0
	s_cselect_b64 s[50:51], -1, 0
	s_cmp_lg_u64 s[34:35], 0
	s_mov_b64 s[42:43], 0
	s_cselect_b64 s[54:55], -1, 0
	s_and_b64 vcc, exec, s[4:5]
	s_waitcnt lgkmcnt(0)
	s_barrier
	s_cbranch_vccz .LBB305_42
; %bb.37:
	s_and_b64 vcc, exec, s[54:55]
	s_cbranch_vccz .LBB305_43
; %bb.38:
	s_add_u32 s4, s40, -8
	s_addc_u32 s5, s41, -1
	s_load_dwordx2 s[42:43], s[4:5], 0x0
	v_lshlrev_b32_e32 v1, 3, v0
	v_cmp_neq_f64_e32 vcc, v[8:9], v[46:47]
	v_cmp_neq_f64_e64 s[28:29], v[6:7], v[8:9]
	v_cmp_neq_f64_e64 s[4:5], v[4:5], v[6:7]
	;; [unrolled: 1-line block ×13, first 2 shown]
	v_cmp_ne_u32_e64 s[30:31], 0, v0
	s_waitcnt lgkmcnt(0)
	v_mov_b64_e32 v[44:45], s[42:43]
	ds_write_b64 v1, v[46:47]
	s_waitcnt lgkmcnt(0)
	s_barrier
	s_and_saveexec_b64 s[42:43], s[30:31]
	s_cbranch_execz .LBB305_40
; %bb.39:
	v_add_u32_e32 v1, -8, v1
	ds_read_b64 v[44:45], v1
.LBB305_40:
	s_or_b64 exec, exec, s[42:43]
	v_cndmask_b32_e64 v1, 0, 1, vcc
	v_cndmask_b32_e64 v72, 0, 1, s[28:29]
	v_cndmask_b32_e64 v73, 0, 1, s[4:5]
	;; [unrolled: 1-line block ×13, first 2 shown]
	s_waitcnt lgkmcnt(0)
	v_cmp_neq_f64_e64 s[4:5], v[44:45], v[26:27]
	s_mov_b64 s[42:43], -1
.LBB305_41:
                                        ; implicit-def: $sgpr3
	s_branch .LBB305_55
.LBB305_42:
                                        ; implicit-def: $sgpr4_sgpr5
                                        ; implicit-def: $vgpr1
                                        ; implicit-def: $vgpr72
                                        ; implicit-def: $vgpr73
                                        ; implicit-def: $vgpr74
                                        ; implicit-def: $vgpr75
                                        ; implicit-def: $vgpr76
                                        ; implicit-def: $vgpr77
                                        ; implicit-def: $vgpr78
                                        ; implicit-def: $vgpr79
                                        ; implicit-def: $vgpr80
                                        ; implicit-def: $vgpr81
                                        ; implicit-def: $vgpr82
                                        ; implicit-def: $vgpr83
                                        ; implicit-def: $vgpr84
                                        ; implicit-def: $sgpr3
	s_cbranch_execnz .LBB305_47
	s_branch .LBB305_55
.LBB305_43:
                                        ; implicit-def: $sgpr4_sgpr5
                                        ; implicit-def: $vgpr1
                                        ; implicit-def: $vgpr72
                                        ; implicit-def: $vgpr73
                                        ; implicit-def: $vgpr74
                                        ; implicit-def: $vgpr75
                                        ; implicit-def: $vgpr76
                                        ; implicit-def: $vgpr77
                                        ; implicit-def: $vgpr78
                                        ; implicit-def: $vgpr79
                                        ; implicit-def: $vgpr80
                                        ; implicit-def: $vgpr81
                                        ; implicit-def: $vgpr82
                                        ; implicit-def: $vgpr83
                                        ; implicit-def: $vgpr84
	s_cbranch_execz .LBB305_41
; %bb.44:
	v_cmp_neq_f64_e32 vcc, v[28:29], v[30:31]
	v_lshlrev_b32_e32 v44, 3, v0
	ds_write_b64 v44, v[46:47]
	v_cndmask_b32_e64 v84, 0, 1, vcc
	v_cmp_neq_f64_e32 vcc, v[28:29], v[32:33]
	s_waitcnt lgkmcnt(0)
	s_barrier
	v_cndmask_b32_e64 v83, 0, 1, vcc
	v_cmp_neq_f64_e32 vcc, v[32:33], v[24:25]
	s_waitcnt lgkmcnt(0)
                                        ; implicit-def: $sgpr4_sgpr5
	s_nop 0
	v_cndmask_b32_e64 v82, 0, 1, vcc
	v_cmp_neq_f64_e32 vcc, v[34:35], v[24:25]
	s_nop 1
	v_cndmask_b32_e64 v81, 0, 1, vcc
	v_cmp_neq_f64_e32 vcc, v[20:21], v[34:35]
	;; [unrolled: 3-line block ×11, first 2 shown]
	s_nop 1
	v_cndmask_b32_e64 v1, 0, 1, vcc
	v_cmp_ne_u32_e32 vcc, 0, v0
	s_and_saveexec_b64 s[6:7], vcc
	s_xor_b64 s[6:7], exec, s[6:7]
	s_cbranch_execz .LBB305_46
; %bb.45:
	v_add_u32_e32 v30, -8, v44
	ds_read_b64 v[30:31], v30
	s_or_b64 s[42:43], s[42:43], exec
	s_waitcnt lgkmcnt(0)
	v_cmp_neq_f64_e32 vcc, v[30:31], v[26:27]
	s_and_b64 s[4:5], vcc, exec
.LBB305_46:
	s_or_b64 exec, exec, s[6:7]
	s_mov_b32 s3, 1
	s_branch .LBB305_55
.LBB305_47:
	s_mul_hi_u32 s4, s34, 0xffffe200
	s_mul_i32 s3, s35, 0xffffe200
	s_sub_i32 s4, s4, s34
	s_add_i32 s4, s4, s3
	s_mul_i32 s3, s34, 0xffffe200
	s_add_u32 s44, s3, s44
	s_addc_u32 s45, s4, s45
	s_and_b64 vcc, exec, s[54:55]
	v_cmp_neq_f64_e64 s[30:31], v[8:9], v[46:47]
	v_cmp_neq_f64_e64 s[28:29], v[6:7], v[8:9]
	;; [unrolled: 1-line block ×14, first 2 shown]
	v_mad_u32_u24 v30, v0, 15, 14
	v_mad_u32_u24 v58, v0, 15, 13
	;; [unrolled: 1-line block ×14, first 2 shown]
	v_cmp_ne_u32_e64 s[8:9], 0, v0
	s_cbranch_vccz .LBB305_52
; %bb.48:
	v_mov_b32_e32 v31, 0
	s_add_u32 s40, s40, -8
	v_cmp_gt_u64_e32 vcc, s[44:45], v[30:31]
	v_mov_b32_e32 v59, v31
	s_addc_u32 s41, s41, -1
	s_and_b64 s[30:31], vcc, s[30:31]
	v_cmp_gt_u64_e32 vcc, s[44:45], v[58:59]
	v_mov_b32_e32 v57, v31
	s_and_b64 s[28:29], vcc, s[28:29]
	v_cmp_gt_u64_e32 vcc, s[44:45], v[56:57]
	v_mov_b32_e32 v55, v31
	;; [unrolled: 3-line block ×8, first 2 shown]
	s_load_dwordx2 s[40:41], s[40:41], 0x0
	s_and_b64 s[14:15], vcc, s[14:15]
	v_cmp_gt_u64_e32 vcc, s[44:45], v[40:41]
	v_mov_b32_e32 v39, v31
	s_and_b64 s[12:13], vcc, s[12:13]
	v_cmp_gt_u64_e32 vcc, s[44:45], v[38:39]
	v_mov_b32_e32 v37, v31
	;; [unrolled: 3-line block ×4, first 2 shown]
	s_and_b64 s[4:5], vcc, s[4:5]
	v_cmp_gt_u64_e32 vcc, s[44:45], v[32:33]
	v_lshlrev_b32_e32 v1, 3, v0
	v_mul_u32_u24_e32 v60, 15, v0
	s_and_b64 s[34:35], vcc, s[34:35]
	s_waitcnt lgkmcnt(0)
	v_mov_b64_e32 v[62:63], s[40:41]
	ds_write_b64 v1, v[46:47]
	s_waitcnt lgkmcnt(0)
	s_barrier
	s_and_saveexec_b64 s[40:41], s[8:9]
	s_cbranch_execz .LBB305_50
; %bb.49:
	v_add_u32_e32 v1, -8, v1
	ds_read_b64 v[62:63], v1
.LBB305_50:
	s_or_b64 exec, exec, s[40:41]
	v_mov_b32_e32 v61, v31
	v_cndmask_b32_e64 v83, 0, 1, s[4:5]
	v_cmp_gt_u64_e32 vcc, s[44:45], v[60:61]
	s_waitcnt lgkmcnt(0)
	v_cmp_neq_f64_e64 s[4:5], v[62:63], v[26:27]
	v_cndmask_b32_e64 v1, 0, 1, s[30:31]
	v_cndmask_b32_e64 v72, 0, 1, s[28:29]
	;; [unrolled: 1-line block ×13, first 2 shown]
	s_and_b64 s[4:5], vcc, s[4:5]
	s_mov_b64 s[42:43], -1
.LBB305_51:
                                        ; implicit-def: $sgpr3
	v_mov_b32_e32 v85, s3
	s_and_saveexec_b64 s[6:7], s[42:43]
	s_cbranch_execnz .LBB305_56
	s_branch .LBB305_57
.LBB305_52:
                                        ; implicit-def: $sgpr4_sgpr5
                                        ; implicit-def: $vgpr1
                                        ; implicit-def: $vgpr72
                                        ; implicit-def: $vgpr73
                                        ; implicit-def: $vgpr74
                                        ; implicit-def: $vgpr75
                                        ; implicit-def: $vgpr76
                                        ; implicit-def: $vgpr77
                                        ; implicit-def: $vgpr78
                                        ; implicit-def: $vgpr79
                                        ; implicit-def: $vgpr80
                                        ; implicit-def: $vgpr81
                                        ; implicit-def: $vgpr82
                                        ; implicit-def: $vgpr83
                                        ; implicit-def: $vgpr84
	s_cbranch_execz .LBB305_51
; %bb.53:
	v_mov_b32_e32 v31, 0
	v_cmp_gt_u64_e32 vcc, s[44:45], v[30:31]
	v_cmp_neq_f64_e64 s[4:5], v[8:9], v[46:47]
	s_and_b64 s[4:5], vcc, s[4:5]
	v_mov_b32_e32 v59, v31
	v_cndmask_b32_e64 v1, 0, 1, s[4:5]
	v_cmp_gt_u64_e32 vcc, s[44:45], v[58:59]
	v_cmp_neq_f64_e64 s[4:5], v[6:7], v[8:9]
	s_and_b64 s[4:5], vcc, s[4:5]
	v_mov_b32_e32 v57, v31
	v_cndmask_b32_e64 v72, 0, 1, s[4:5]
	;; [unrolled: 5-line block ×13, first 2 shown]
	v_cmp_gt_u64_e32 vcc, s[44:45], v[32:33]
	v_cmp_neq_f64_e64 s[4:5], v[26:27], v[28:29]
	s_and_b64 s[4:5], vcc, s[4:5]
	v_lshlrev_b32_e32 v60, 3, v0
	s_mov_b32 s3, 1
	v_cndmask_b32_e64 v84, 0, 1, s[4:5]
	v_cmp_ne_u32_e32 vcc, 0, v0
	ds_write_b64 v60, v[46:47]
	s_waitcnt lgkmcnt(0)
	s_barrier
	s_waitcnt lgkmcnt(0)
                                        ; implicit-def: $sgpr4_sgpr5
	s_and_saveexec_b64 s[6:7], vcc
	s_cbranch_execz .LBB305_136
; %bb.54:
	v_add_u32_e32 v30, -8, v60
	ds_read_b64 v[32:33], v30
	v_mul_u32_u24_e32 v30, 15, v0
	v_cmp_gt_u64_e32 vcc, s[44:45], v[30:31]
	s_or_b64 s[42:43], s[42:43], exec
	s_waitcnt lgkmcnt(0)
	v_cmp_neq_f64_e64 s[4:5], v[32:33], v[26:27]
	s_and_b64 s[4:5], vcc, s[4:5]
	s_and_b64 s[4:5], s[4:5], exec
	s_or_b64 exec, exec, s[6:7]
.LBB305_55:
	v_mov_b32_e32 v85, s3
	s_and_saveexec_b64 s[6:7], s[42:43]
.LBB305_56:
	v_cndmask_b32_e64 v85, 0, 1, s[4:5]
.LBB305_57:
	s_or_b64 exec, exec, s[6:7]
	s_load_dwordx4 s[40:43], s[0:1], 0x20
	s_load_dwordx2 s[34:35], s[0:1], 0x30
	s_cmp_eq_u64 s[38:39], 0
	v_add3_u32 v30, v84, v85, v83
	s_cselect_b64 s[38:39], -1, 0
	s_cmp_lg_u32 s2, 0
	v_cmp_eq_u32_e64 s[24:25], 0, v84
	v_cmp_eq_u32_e64 s[22:23], 0, v83
	;; [unrolled: 1-line block ×3, first 2 shown]
	v_add3_u32 v87, v30, v82, v81
	v_cmp_eq_u32_e64 s[18:19], 0, v81
	v_cmp_eq_u32_e64 s[16:17], 0, v80
	;; [unrolled: 1-line block ×10, first 2 shown]
	v_cmp_eq_u32_e32 vcc, 0, v1
	v_mbcnt_lo_u32_b32 v86, -1, 0
	v_lshrrev_b32_e32 v70, 6, v0
	v_or_b32_e32 v71, 63, v0
	s_cbranch_scc0 .LBB305_84
; %bb.58:
	v_cndmask_b32_e64 v30, 0, v68, s[24:25]
	v_add_u32_e32 v30, v30, v68
	v_cndmask_b32_e64 v30, 0, v30, s[22:23]
	v_add_u32_e32 v30, v30, v68
	;; [unrolled: 2-line block ×11, first 2 shown]
	v_cndmask_b32_e64 v30, 0, v30, s[28:29]
	v_add3_u32 v31, v87, v80, v79
	v_add_u32_e32 v30, v30, v68
	v_add3_u32 v31, v31, v78, v77
	v_cndmask_b32_e64 v30, 0, v30, s[0:1]
	v_add3_u32 v31, v31, v76, v75
	v_add_u32_e32 v30, v30, v68
	v_add3_u32 v31, v31, v74, v73
	v_cndmask_b32_e32 v30, 0, v30, vcc
	v_add3_u32 v31, v31, v72, v1
	v_add_u32_e32 v30, v30, v69
	v_mbcnt_hi_u32_b32 v39, -1, v86
	v_and_b32_e32 v32, 15, v39
	v_mov_b32_dpp v34, v30 row_shr:1 row_mask:0xf bank_mask:0xf
	v_cmp_eq_u32_e32 vcc, 0, v31
	v_mov_b32_dpp v33, v31 row_shr:1 row_mask:0xf bank_mask:0xf
	v_cmp_lt_u32_e64 s[26:27], 1, v32
	v_cndmask_b32_e32 v34, 0, v34, vcc
	v_cmp_eq_u32_e32 vcc, 0, v32
	s_nop 1
	v_cndmask_b32_e64 v33, v33, 0, vcc
	v_add_u32_e32 v31, v33, v31
	v_cndmask_b32_e64 v33, v34, 0, vcc
	v_add_u32_e32 v30, v33, v30
	v_cmp_eq_u32_e32 vcc, 0, v31
	v_mov_b32_dpp v33, v31 row_shr:2 row_mask:0xf bank_mask:0xf
	v_mov_b32_dpp v34, v30 row_shr:2 row_mask:0xf bank_mask:0xf
	v_cndmask_b32_e64 v33, 0, v33, s[26:27]
	s_and_b64 vcc, s[26:27], vcc
	v_cndmask_b32_e32 v34, 0, v34, vcc
	v_add_u32_e32 v31, v31, v33
	v_add_u32_e32 v30, v34, v30
	v_cmp_eq_u32_e32 vcc, 0, v31
	v_mov_b32_dpp v33, v31 row_shr:4 row_mask:0xf bank_mask:0xf
	v_cmp_lt_u32_e64 s[26:27], 3, v32
	v_mov_b32_dpp v34, v30 row_shr:4 row_mask:0xf bank_mask:0xf
	s_and_b64 vcc, s[26:27], vcc
	v_cndmask_b32_e64 v33, 0, v33, s[26:27]
	v_cndmask_b32_e32 v34, 0, v34, vcc
	v_add_u32_e32 v31, v33, v31
	v_add_u32_e32 v30, v30, v34
	v_cmp_eq_u32_e32 vcc, 0, v31
	v_cmp_lt_u32_e64 s[26:27], 7, v32
	v_mov_b32_dpp v33, v31 row_shr:8 row_mask:0xf bank_mask:0xf
	v_mov_b32_dpp v34, v30 row_shr:8 row_mask:0xf bank_mask:0xf
	s_and_b64 vcc, s[26:27], vcc
	v_cndmask_b32_e64 v32, 0, v33, s[26:27]
	v_cndmask_b32_e32 v33, 0, v34, vcc
	v_add_u32_e32 v30, v33, v30
	v_add_u32_e32 v31, v32, v31
	v_bfe_i32 v34, v39, 4, 1
	v_mov_b32_dpp v33, v30 row_bcast:15 row_mask:0xf bank_mask:0xf
	v_mov_b32_dpp v32, v31 row_bcast:15 row_mask:0xf bank_mask:0xf
	v_cmp_eq_u32_e32 vcc, 0, v31
	v_and_b32_e32 v32, v34, v32
	v_add_u32_e32 v31, v32, v31
	v_cndmask_b32_e32 v33, 0, v33, vcc
	v_and_b32_e32 v32, v34, v33
	v_add_u32_e32 v32, v32, v30
	v_mov_b32_dpp v30, v31 row_bcast:31 row_mask:0xf bank_mask:0xf
	v_cmp_eq_u32_e32 vcc, 0, v31
	v_cmp_lt_u32_e64 s[26:27], 31, v39
	v_mov_b32_dpp v33, v32 row_bcast:31 row_mask:0xf bank_mask:0xf
	s_and_b64 vcc, s[26:27], vcc
	v_cndmask_b32_e64 v30, 0, v30, s[26:27]
	v_add_u32_e32 v30, v30, v31
	v_cndmask_b32_e32 v31, 0, v33, vcc
	v_add_u32_e32 v31, v31, v32
	v_cmp_eq_u32_e32 vcc, v71, v0
	v_lshlrev_b32_e32 v32, 3, v70
	s_and_saveexec_b64 s[26:27], vcc
	s_cbranch_execz .LBB305_60
; %bb.59:
	ds_write_b64 v32, v[30:31] offset:8208
.LBB305_60:
	s_or_b64 exec, exec, s[26:27]
	v_cmp_gt_u32_e32 vcc, 8, v0
	s_waitcnt lgkmcnt(0)
	s_barrier
	s_and_saveexec_b64 s[30:31], vcc
	s_cbranch_execz .LBB305_62
; %bb.61:
	v_lshlrev_b32_e32 v33, 3, v0
	ds_read_b64 v[34:35], v33 offset:8208
	v_and_b32_e32 v36, 7, v39
	v_cmp_lt_u32_e64 s[26:27], 1, v36
	s_waitcnt lgkmcnt(0)
	v_mov_b32_dpp v38, v35 row_shr:1 row_mask:0xf bank_mask:0xf
	v_cmp_eq_u32_e32 vcc, 0, v34
	v_mov_b32_dpp v37, v34 row_shr:1 row_mask:0xf bank_mask:0xf
	s_nop 0
	v_cndmask_b32_e32 v38, 0, v38, vcc
	v_cmp_eq_u32_e32 vcc, 0, v36
	s_nop 1
	v_cndmask_b32_e64 v37, v37, 0, vcc
	v_add_u32_e32 v34, v37, v34
	v_cndmask_b32_e64 v37, v38, 0, vcc
	v_add_u32_e32 v35, v37, v35
	v_cmp_eq_u32_e32 vcc, 0, v34
	v_mov_b32_dpp v37, v34 row_shr:2 row_mask:0xf bank_mask:0xf
	v_mov_b32_dpp v38, v35 row_shr:2 row_mask:0xf bank_mask:0xf
	v_cndmask_b32_e64 v37, 0, v37, s[26:27]
	s_and_b64 vcc, s[26:27], vcc
	v_cndmask_b32_e32 v38, 0, v38, vcc
	v_add_u32_e32 v34, v37, v34
	v_add_u32_e32 v35, v38, v35
	v_cmp_eq_u32_e32 vcc, 0, v34
	v_mov_b32_dpp v37, v34 row_shr:4 row_mask:0xf bank_mask:0xf
	v_cmp_lt_u32_e64 s[26:27], 3, v36
	v_mov_b32_dpp v38, v35 row_shr:4 row_mask:0xf bank_mask:0xf
	s_and_b64 vcc, s[26:27], vcc
	v_cndmask_b32_e64 v36, 0, v37, s[26:27]
	v_add_u32_e32 v34, v36, v34
	v_cndmask_b32_e32 v36, 0, v38, vcc
	v_add_u32_e32 v35, v36, v35
	ds_write_b64 v33, v[34:35] offset:8208
.LBB305_62:
	s_or_b64 exec, exec, s[30:31]
	v_cmp_gt_u32_e32 vcc, 64, v0
	v_cmp_lt_u32_e64 s[26:27], 63, v0
	v_mov_b32_e32 v36, 0
	v_mov_b32_e32 v37, 0
	s_waitcnt lgkmcnt(0)
	s_barrier
	s_and_saveexec_b64 s[30:31], s[26:27]
	s_cbranch_execz .LBB305_64
; %bb.63:
	ds_read_b64 v[36:37], v32 offset:8200
	v_cmp_eq_u32_e64 s[26:27], 0, v30
	s_waitcnt lgkmcnt(0)
	v_add_u32_e32 v32, v36, v30
	v_cndmask_b32_e64 v30, 0, v37, s[26:27]
	v_add_u32_e32 v31, v30, v31
	v_mov_b32_e32 v30, v32
.LBB305_64:
	s_or_b64 exec, exec, s[30:31]
	v_add_u32_e32 v32, -1, v39
	v_and_b32_e32 v33, 64, v39
	v_cmp_lt_i32_e64 s[26:27], v32, v33
	s_nop 1
	v_cndmask_b32_e64 v32, v32, v39, s[26:27]
	v_lshlrev_b32_e32 v32, 2, v32
	ds_bpermute_b32 v44, v32, v30
	ds_bpermute_b32 v45, v32, v31
	v_cmp_eq_u32_e64 s[26:27], 0, v39
	s_and_saveexec_b64 s[44:45], vcc
	s_cbranch_execz .LBB305_83
; %bb.65:
	v_mov_b32_e32 v35, 0
	ds_read_b64 v[30:31], v35 offset:8264
	s_waitcnt lgkmcnt(0)
	v_readfirstlane_b32 s3, v30
	v_readfirstlane_b32 s56, v31
	s_and_saveexec_b64 s[30:31], s[26:27]
	s_cbranch_execz .LBB305_67
; %bb.66:
	s_add_i32 s54, s2, 64
	s_mov_b32 s55, 0
	s_lshl_b64 s[58:59], s[54:55], 4
	s_add_u32 s58, s36, s58
	s_addc_u32 s59, s37, s59
	s_and_b32 s61, s56, 0xff000000
	s_mov_b32 s60, s55
	s_and_b32 s63, s56, 0xff0000
	s_mov_b32 s62, s55
	s_or_b64 s[60:61], s[62:63], s[60:61]
	s_and_b32 s63, s56, 0xff00
	s_or_b64 s[60:61], s[60:61], s[62:63]
	s_and_b32 s63, s56, 0xff
	s_or_b64 s[54:55], s[60:61], s[62:63]
	v_mov_b32_e32 v32, s3
	v_mov_b32_e32 v33, s55
	;; [unrolled: 1-line block ×3, first 2 shown]
	v_mov_b64_e32 v[30:31], s[58:59]
	;;#ASMSTART
	global_store_dwordx4 v[30:31], v[32:35] off sc1	
s_waitcnt vmcnt(0)
	;;#ASMEND
.LBB305_67:
	s_or_b64 exec, exec, s[30:31]
	v_xad_u32 v38, v39, -1, s2
	v_add_u32_e32 v34, 64, v38
	v_lshl_add_u64 v[40:41], v[34:35], 4, s[36:37]
	;;#ASMSTART
	global_load_dwordx4 v[30:33], v[40:41] off sc1	
s_waitcnt vmcnt(0)
	;;#ASMEND
	s_nop 0
	v_and_b32_e32 v33, 0xff, v31
	v_and_b32_e32 v34, 0xff00, v31
	v_or3_b32 v30, v30, 0, 0
	v_and_b32_e32 v42, 0xff000000, v31
	v_or3_b32 v33, 0, v33, v34
	;; [unrolled: 2-line block ×3, first 2 shown]
	v_or3_b32 v30, v30, 0, 0
	v_cmp_eq_u16_sdwa s[54:55], v32, v35 src0_sel:BYTE_0 src1_sel:DWORD
	s_and_saveexec_b64 s[30:31], s[54:55]
	s_cbranch_execz .LBB305_71
; %bb.68:
	s_mov_b64 s[54:55], 0
	v_mov_b32_e32 v34, 0
.LBB305_69:                             ; =>This Inner Loop Header: Depth=1
	;;#ASMSTART
	global_load_dwordx4 v[30:33], v[40:41] off sc1	
s_waitcnt vmcnt(0)
	;;#ASMEND
	s_nop 0
	v_cmp_ne_u16_sdwa s[58:59], v32, v34 src0_sel:BYTE_0 src1_sel:DWORD
	s_or_b64 s[54:55], s[58:59], s[54:55]
	s_andn2_b64 exec, exec, s[54:55]
	s_cbranch_execnz .LBB305_69
; %bb.70:
	s_or_b64 exec, exec, s[54:55]
.LBB305_71:
	s_or_b64 exec, exec, s[30:31]
	v_mov_b32_e32 v48, 2
	v_cmp_eq_u16_sdwa s[30:31], v32, v48 src0_sel:BYTE_0 src1_sel:DWORD
	v_lshlrev_b64 v[40:41], v39, -1
	v_and_b32_e32 v49, 63, v39
	v_and_b32_e32 v33, s31, v41
	v_or_b32_e32 v33, 0x80000000, v33
	v_cmp_ne_u32_e32 vcc, 63, v49
	v_and_b32_e32 v34, s30, v40
	v_ffbl_b32_e32 v33, v33
	v_addc_co_u32_e32 v35, vcc, 0, v39, vcc
	v_add_u32_e32 v33, 32, v33
	v_ffbl_b32_e32 v34, v34
	v_lshlrev_b32_e32 v50, 2, v35
	v_min_u32_e32 v33, v34, v33
	ds_bpermute_b32 v34, v50, v31
	v_cmp_eq_u32_e32 vcc, 0, v30
	v_cmp_lt_u32_e64 s[30:31], v49, v33
	ds_bpermute_b32 v35, v50, v30
	s_and_b64 vcc, s[30:31], vcc
	s_waitcnt lgkmcnt(1)
	v_cndmask_b32_e32 v34, 0, v34, vcc
	v_cmp_gt_u32_e32 vcc, 62, v49
	v_add_u32_e32 v31, v34, v31
	s_waitcnt lgkmcnt(0)
	v_cndmask_b32_e64 v35, 0, v35, s[30:31]
	v_cndmask_b32_e64 v34, 0, 1, vcc
	v_lshlrev_b32_e32 v34, 1, v34
	v_add_lshl_u32 v51, v34, v39, 2
	ds_bpermute_b32 v34, v51, v31
	v_add_u32_e32 v30, v35, v30
	ds_bpermute_b32 v35, v51, v30
	v_add_u32_e32 v52, 2, v49
	v_cmp_eq_u32_e32 vcc, 0, v30
	v_add_u32_e32 v54, 4, v49
	v_add_u32_e32 v56, 8, v49
	s_waitcnt lgkmcnt(1)
	v_cndmask_b32_e32 v34, 0, v34, vcc
	v_cmp_gt_u32_e32 vcc, v52, v33
	v_add_u32_e32 v58, 16, v49
	v_add_u32_e32 v60, 32, v49
	v_cndmask_b32_e64 v34, v34, 0, vcc
	v_add_u32_e32 v31, v34, v31
	s_waitcnt lgkmcnt(0)
	v_cndmask_b32_e64 v34, v35, 0, vcc
	v_cmp_gt_u32_e32 vcc, 60, v49
	v_add_u32_e32 v30, v30, v34
	s_nop 0
	v_cndmask_b32_e64 v35, 0, 1, vcc
	v_lshlrev_b32_e32 v35, 2, v35
	v_add_lshl_u32 v53, v35, v39, 2
	ds_bpermute_b32 v35, v53, v31
	ds_bpermute_b32 v34, v53, v30
	v_cmp_eq_u32_e32 vcc, 0, v30
	s_waitcnt lgkmcnt(1)
	s_nop 0
	v_cndmask_b32_e32 v35, 0, v35, vcc
	v_cmp_gt_u32_e32 vcc, v54, v33
	s_nop 1
	v_cndmask_b32_e64 v35, v35, 0, vcc
	s_waitcnt lgkmcnt(0)
	v_cndmask_b32_e64 v34, v34, 0, vcc
	v_cmp_gt_u32_e32 vcc, 56, v49
	v_add_u32_e32 v31, v31, v35
	v_add_u32_e32 v30, v30, v34
	v_cndmask_b32_e64 v35, 0, 1, vcc
	v_lshlrev_b32_e32 v35, 3, v35
	v_add_lshl_u32 v55, v35, v39, 2
	ds_bpermute_b32 v35, v55, v31
	ds_bpermute_b32 v34, v55, v30
	v_cmp_eq_u32_e32 vcc, 0, v30
	s_waitcnt lgkmcnt(1)
	s_nop 0
	v_cndmask_b32_e32 v35, 0, v35, vcc
	v_cmp_gt_u32_e32 vcc, v56, v33
	s_nop 1
	v_cndmask_b32_e64 v35, v35, 0, vcc
	s_waitcnt lgkmcnt(0)
	v_cndmask_b32_e64 v34, v34, 0, vcc
	v_cmp_gt_u32_e32 vcc, 48, v49
	v_add_u32_e32 v31, v31, v35
	v_add_u32_e32 v30, v30, v34
	;; [unrolled: 17-line block ×3, first 2 shown]
	v_cndmask_b32_e64 v35, 0, 1, vcc
	v_lshlrev_b32_e32 v35, 5, v35
	v_add_lshl_u32 v59, v35, v39, 2
	ds_bpermute_b32 v35, v59, v31
	ds_bpermute_b32 v34, v59, v30
	v_cmp_eq_u32_e32 vcc, 0, v30
	v_mov_b32_e32 v39, 0
	s_waitcnt lgkmcnt(1)
	v_cndmask_b32_e32 v35, 0, v35, vcc
	v_cmp_gt_u32_e32 vcc, v60, v33
	s_nop 1
	v_cndmask_b32_e64 v33, v35, 0, vcc
	v_add_u32_e32 v31, v33, v31
	s_waitcnt lgkmcnt(0)
	v_cndmask_b32_e64 v33, v34, 0, vcc
	v_add_u32_e32 v30, v33, v30
	s_branch .LBB305_73
.LBB305_72:                             ;   in Loop: Header=BB305_73 Depth=1
	s_or_b64 exec, exec, s[30:31]
	v_cmp_eq_u16_sdwa s[30:31], v32, v48 src0_sel:BYTE_0 src1_sel:DWORD
	v_cmp_eq_u32_e32 vcc, 0, v30
	ds_bpermute_b32 v43, v50, v30
	v_and_b32_e32 v33, s31, v41
	v_or_b32_e32 v33, 0x80000000, v33
	v_and_b32_e32 v42, s30, v40
	v_ffbl_b32_e32 v33, v33
	v_add_u32_e32 v33, 32, v33
	v_ffbl_b32_e32 v42, v42
	v_min_u32_e32 v33, v42, v33
	ds_bpermute_b32 v42, v50, v31
	v_cmp_lt_u32_e64 s[30:31], v49, v33
	s_and_b64 vcc, s[30:31], vcc
	v_subrev_u32_e32 v38, 64, v38
	s_waitcnt lgkmcnt(1)
	v_cndmask_b32_e64 v43, 0, v43, s[30:31]
	s_waitcnt lgkmcnt(0)
	v_cndmask_b32_e32 v42, 0, v42, vcc
	v_add_u32_e32 v31, v42, v31
	ds_bpermute_b32 v42, v51, v31
	v_add_u32_e32 v30, v43, v30
	v_cmp_eq_u32_e32 vcc, 0, v30
	ds_bpermute_b32 v43, v51, v30
	s_waitcnt lgkmcnt(1)
	v_cndmask_b32_e32 v42, 0, v42, vcc
	v_cmp_gt_u32_e32 vcc, v52, v33
	s_nop 1
	v_cndmask_b32_e64 v42, v42, 0, vcc
	v_add_u32_e32 v31, v42, v31
	ds_bpermute_b32 v42, v53, v31
	s_waitcnt lgkmcnt(1)
	v_cndmask_b32_e64 v43, v43, 0, vcc
	v_add_u32_e32 v30, v30, v43
	v_cmp_eq_u32_e32 vcc, 0, v30
	ds_bpermute_b32 v43, v53, v30
	s_waitcnt lgkmcnt(1)
	v_cndmask_b32_e32 v42, 0, v42, vcc
	v_cmp_gt_u32_e32 vcc, v54, v33
	s_nop 1
	v_cndmask_b32_e64 v42, v42, 0, vcc
	v_add_u32_e32 v31, v31, v42
	ds_bpermute_b32 v42, v55, v31
	s_waitcnt lgkmcnt(1)
	v_cndmask_b32_e64 v43, v43, 0, vcc
	v_add_u32_e32 v30, v30, v43
	ds_bpermute_b32 v43, v55, v30
	v_cmp_eq_u32_e32 vcc, 0, v30
	s_waitcnt lgkmcnt(1)
	s_nop 0
	v_cndmask_b32_e32 v42, 0, v42, vcc
	v_cmp_gt_u32_e32 vcc, v56, v33
	s_nop 1
	v_cndmask_b32_e64 v42, v42, 0, vcc
	v_add_u32_e32 v31, v31, v42
	ds_bpermute_b32 v42, v57, v31
	s_waitcnt lgkmcnt(1)
	v_cndmask_b32_e64 v43, v43, 0, vcc
	v_add_u32_e32 v30, v30, v43
	ds_bpermute_b32 v43, v57, v30
	v_cmp_eq_u32_e32 vcc, 0, v30
	s_waitcnt lgkmcnt(1)
	s_nop 0
	;; [unrolled: 13-line block ×3, first 2 shown]
	v_cndmask_b32_e32 v42, 0, v42, vcc
	v_cmp_gt_u32_e32 vcc, v60, v33
	s_nop 1
	v_cndmask_b32_e64 v33, v42, 0, vcc
	v_add_u32_e32 v31, v33, v31
	s_waitcnt lgkmcnt(0)
	v_cndmask_b32_e64 v33, v43, 0, vcc
	v_cmp_eq_u32_e32 vcc, 0, v34
	v_add3_u32 v30, v30, v34, v33
	s_nop 0
	v_cndmask_b32_e32 v31, 0, v31, vcc
	v_add_u32_e32 v31, v31, v35
.LBB305_73:                             ; =>This Loop Header: Depth=1
                                        ;     Child Loop BB305_76 Depth 2
	v_cmp_ne_u16_sdwa s[30:31], v32, v48 src0_sel:BYTE_0 src1_sel:DWORD
	v_mov_b32_e32 v35, v31
	v_mov_b32_e32 v34, v30
	v_cndmask_b32_e64 v31, 0, 1, s[30:31]
	;;#ASMSTART
	;;#ASMEND
	s_nop 0
	v_cmp_ne_u32_e32 vcc, 0, v31
	s_cmp_lg_u64 vcc, exec
	s_cbranch_scc1 .LBB305_78
; %bb.74:                               ;   in Loop: Header=BB305_73 Depth=1
	v_lshl_add_u64 v[42:43], v[38:39], 4, s[36:37]
	;;#ASMSTART
	global_load_dwordx4 v[30:33], v[42:43] off sc1	
s_waitcnt vmcnt(0)
	;;#ASMEND
	s_nop 0
	v_and_b32_e32 v33, 0xff, v31
	v_and_b32_e32 v61, 0xff00, v31
	v_or3_b32 v30, v30, 0, 0
	v_and_b32_e32 v62, 0xff000000, v31
	v_or3_b32 v33, 0, v33, v61
	;; [unrolled: 2-line block ×3, first 2 shown]
	v_or3_b32 v30, v30, 0, 0
	v_cmp_eq_u16_sdwa s[54:55], v32, v39 src0_sel:BYTE_0 src1_sel:DWORD
	s_and_saveexec_b64 s[30:31], s[54:55]
	s_cbranch_execz .LBB305_72
; %bb.75:                               ;   in Loop: Header=BB305_73 Depth=1
	s_mov_b64 s[54:55], 0
.LBB305_76:                             ;   Parent Loop BB305_73 Depth=1
                                        ; =>  This Inner Loop Header: Depth=2
	;;#ASMSTART
	global_load_dwordx4 v[30:33], v[42:43] off sc1	
s_waitcnt vmcnt(0)
	;;#ASMEND
	s_nop 0
	v_cmp_ne_u16_sdwa s[58:59], v32, v39 src0_sel:BYTE_0 src1_sel:DWORD
	s_or_b64 s[54:55], s[58:59], s[54:55]
	s_andn2_b64 exec, exec, s[54:55]
	s_cbranch_execnz .LBB305_76
; %bb.77:                               ;   in Loop: Header=BB305_73 Depth=1
	s_or_b64 exec, exec, s[54:55]
	s_branch .LBB305_72
.LBB305_78:                             ;   in Loop: Header=BB305_73 Depth=1
                                        ; implicit-def: $vgpr31
                                        ; implicit-def: $vgpr30
                                        ; implicit-def: $vgpr32
	s_cbranch_execz .LBB305_73
; %bb.79:
	s_and_saveexec_b64 s[30:31], s[26:27]
	s_cbranch_execz .LBB305_81
; %bb.80:
	s_cmp_eq_u32 s3, 0
	s_cselect_b64 vcc, -1, 0
	s_mov_b32 s55, 0
	v_cndmask_b32_e32 v30, 0, v35, vcc
	s_add_i32 s54, s2, 64
	v_add_u32_e32 v30, s56, v30
	s_lshl_b64 s[54:55], s[54:55], 4
	s_add_u32 s54, s36, s54
	v_and_b32_e32 v31, 0xff000000, v30
	v_and_b32_e32 v32, 0xff0000, v30
	s_addc_u32 s55, s37, s55
	v_or_b32_e32 v31, v32, v31
	v_and_b32_e32 v32, 0xff00, v30
	v_and_b32_e32 v30, 0xff, v30
	v_add_u32_e32 v38, s3, v34
	v_mov_b32_e32 v41, 0
	v_or3_b32 v39, v31, v32, v30
	v_mov_b32_e32 v40, 2
	v_mov_b64_e32 v[30:31], s[54:55]
	;;#ASMSTART
	global_store_dwordx4 v[30:31], v[38:41] off sc1	
s_waitcnt vmcnt(0)
	;;#ASMEND
	v_mov_b32_e32 v32, s3
	v_mov_b32_e32 v33, s56
	ds_write_b128 v41, v[32:35] offset:8192
.LBB305_81:
	s_or_b64 exec, exec, s[30:31]
	v_cmp_eq_u32_e32 vcc, 0, v0
	s_and_b64 exec, exec, vcc
	s_cbranch_execz .LBB305_83
; %bb.82:
	v_mov_b32_e32 v30, 0
	ds_write_b64 v30, v[34:35] offset:8264
.LBB305_83:
	s_or_b64 exec, exec, s[44:45]
	v_mov_b32_e32 v32, 0
	s_waitcnt lgkmcnt(0)
	s_barrier
	ds_read_b64 v[30:31], v32 offset:8264
	v_cndmask_b32_e64 v34, v44, v36, s[26:27]
	v_cmp_eq_u32_e32 vcc, 0, v34
	v_cndmask_b32_e64 v33, v45, v37, s[26:27]
	s_waitcnt lgkmcnt(0)
	v_cndmask_b32_e32 v35, 0, v31, vcc
	v_add_u32_e32 v33, v35, v33
	v_cmp_eq_u32_e32 vcc, 0, v0
	s_barrier
	s_nop 0
	v_cndmask_b32_e32 v67, v33, v31, vcc
	v_cndmask_b32_e64 v31, v34, 0, vcc
	v_cmp_eq_u32_e32 vcc, 0, v85
	v_add_u32_e32 v66, v30, v31
	v_add_u32_e32 v64, v66, v85
	v_cndmask_b32_e32 v30, 0, v67, vcc
	v_add_u32_e32 v65, v30, v68
	v_cndmask_b32_e64 v30, 0, v65, s[24:25]
	v_add_u32_e32 v63, v30, v68
	v_cndmask_b32_e64 v30, 0, v63, s[22:23]
	;; [unrolled: 2-line block ×8, first 2 shown]
	v_add_u32_e32 v49, v30, v68
	v_add_u32_e32 v62, v64, v84
	v_cndmask_b32_e64 v30, 0, v49, s[8:9]
	v_add_u32_e32 v60, v62, v83
	v_add_u32_e32 v45, v30, v68
	v_add_u32_e32 v58, v60, v82
	v_cndmask_b32_e64 v30, 0, v45, s[6:7]
	v_add_u32_e32 v56, v58, v81
	;; [unrolled: 4-line block ×3, first 2 shown]
	v_add_u32_e32 v41, v30, v68
	ds_read_b128 v[30:33], v32 offset:8192
	v_add_u32_e32 v50, v52, v78
	v_add_u32_e32 v48, v50, v77
	;; [unrolled: 1-line block ×4, first 2 shown]
	v_cndmask_b32_e64 v34, 0, v41, s[28:29]
	v_add_u32_e32 v40, v42, v74
	v_add_u32_e32 v37, v34, v68
	s_waitcnt lgkmcnt(0)
	v_cmp_eq_u32_e32 vcc, 0, v30
	v_add_u32_e32 v36, v40, v73
	v_cndmask_b32_e64 v34, 0, v37, s[0:1]
	v_cndmask_b32_e32 v33, 0, v33, vcc
	v_add_u32_e32 v38, v36, v72
	v_add_u32_e32 v39, v34, v68
	;; [unrolled: 1-line block ×3, first 2 shown]
	s_branch .LBB305_96
.LBB305_84:
                                        ; implicit-def: $vgpr30
                                        ; implicit-def: $vgpr34
                                        ; implicit-def: $vgpr38_vgpr39
                                        ; implicit-def: $vgpr36_vgpr37
                                        ; implicit-def: $vgpr40_vgpr41
                                        ; implicit-def: $vgpr42_vgpr43
                                        ; implicit-def: $vgpr66_vgpr67
                                        ; implicit-def: $vgpr64_vgpr65
                                        ; implicit-def: $vgpr62_vgpr63
                                        ; implicit-def: $vgpr60_vgpr61
                                        ; implicit-def: $vgpr58_vgpr59
                                        ; implicit-def: $vgpr56_vgpr57
                                        ; implicit-def: $vgpr54_vgpr55
                                        ; implicit-def: $vgpr52_vgpr53
                                        ; implicit-def: $vgpr50_vgpr51
                                        ; implicit-def: $vgpr48_vgpr49
                                        ; implicit-def: $vgpr44_vgpr45
	s_cbranch_execz .LBB305_96
; %bb.85:
	s_and_b64 s[0:1], s[38:39], exec
	s_cselect_b32 s1, 0, s53
	s_cselect_b32 s0, 0, s52
	s_cmp_eq_u64 s[0:1], 0
	v_mov_b32_e32 v34, v68
	s_cbranch_scc1 .LBB305_87
; %bb.86:
	v_mov_b32_e32 v30, 0
	global_load_dword v34, v30, s[0:1]
.LBB305_87:
	v_cmp_eq_u32_e64 s[0:1], 0, v84
	v_cmp_eq_u32_e64 s[2:3], 0, v83
	v_cmp_eq_u32_e64 s[4:5], 0, v82
	v_cndmask_b32_e64 v30, 0, v68, s[0:1]
	v_add_u32_e32 v30, v30, v68
	v_cndmask_b32_e64 v30, 0, v30, s[2:3]
	v_add_u32_e32 v30, v30, v68
	v_cndmask_b32_e64 v30, 0, v30, s[4:5]
	v_add_u32_e32 v30, v30, v68
	v_cmp_eq_u32_e64 s[6:7], 0, v81
	v_cmp_eq_u32_e64 s[8:9], 0, v80
	v_cmp_eq_u32_e64 s[10:11], 0, v79
	v_cndmask_b32_e64 v30, 0, v30, s[6:7]
	v_add_u32_e32 v30, v30, v68
	v_cndmask_b32_e64 v30, 0, v30, s[8:9]
	v_add_u32_e32 v30, v30, v68
	v_cndmask_b32_e64 v30, 0, v30, s[10:11]
	v_add_u32_e32 v30, v30, v68
	;; [unrolled: 9-line block ×3, first 2 shown]
	v_cmp_eq_u32_e64 s[18:19], 0, v75
	v_cmp_eq_u32_e64 s[20:21], 0, v74
	;; [unrolled: 1-line block ×3, first 2 shown]
	v_cndmask_b32_e64 v30, 0, v30, s[18:19]
	v_add_u32_e32 v30, v30, v68
	v_cndmask_b32_e64 v30, 0, v30, s[20:21]
	v_add_u32_e32 v30, v30, v68
	v_cndmask_b32_e64 v30, 0, v30, s[22:23]
	v_add3_u32 v31, v87, v80, v79
	v_add_u32_e32 v30, v30, v68
	v_cmp_eq_u32_e32 vcc, 0, v72
	v_add3_u32 v31, v31, v78, v77
	v_add3_u32 v31, v31, v76, v75
	v_cndmask_b32_e32 v30, 0, v30, vcc
	v_add_u32_e32 v30, v30, v68
	v_cmp_eq_u32_e64 s[24:25], 0, v1
	v_add3_u32 v31, v31, v74, v73
	v_add3_u32 v31, v31, v72, v1
	v_cndmask_b32_e64 v30, 0, v30, s[24:25]
	v_add_u32_e32 v30, v30, v69
	v_mbcnt_hi_u32_b32 v35, -1, v86
	v_and_b32_e32 v32, 15, v35
	v_mov_b32_dpp v36, v30 row_shr:1 row_mask:0xf bank_mask:0xf
	v_cmp_eq_u32_e64 s[24:25], 0, v31
	v_mov_b32_dpp v33, v31 row_shr:1 row_mask:0xf bank_mask:0xf
	v_cmp_lt_u32_e64 s[26:27], 1, v32
	v_cndmask_b32_e64 v36, 0, v36, s[24:25]
	v_cmp_eq_u32_e64 s[24:25], 0, v32
	s_nop 1
	v_cndmask_b32_e64 v33, v33, 0, s[24:25]
	v_add_u32_e32 v31, v33, v31
	v_cndmask_b32_e64 v33, v36, 0, s[24:25]
	v_add_u32_e32 v30, v33, v30
	v_cmp_eq_u32_e64 s[24:25], 0, v31
	v_mov_b32_dpp v33, v31 row_shr:2 row_mask:0xf bank_mask:0xf
	v_mov_b32_dpp v36, v30 row_shr:2 row_mask:0xf bank_mask:0xf
	v_cndmask_b32_e64 v33, 0, v33, s[26:27]
	s_and_b64 s[24:25], s[26:27], s[24:25]
	v_cndmask_b32_e64 v36, 0, v36, s[24:25]
	v_add_u32_e32 v31, v31, v33
	v_add_u32_e32 v30, v36, v30
	v_cmp_eq_u32_e64 s[24:25], 0, v31
	v_mov_b32_dpp v33, v31 row_shr:4 row_mask:0xf bank_mask:0xf
	v_cmp_lt_u32_e64 s[26:27], 3, v32
	v_mov_b32_dpp v36, v30 row_shr:4 row_mask:0xf bank_mask:0xf
	s_and_b64 s[24:25], s[26:27], s[24:25]
	v_cndmask_b32_e64 v33, 0, v33, s[26:27]
	v_cndmask_b32_e64 v36, 0, v36, s[24:25]
	v_add_u32_e32 v31, v33, v31
	v_add_u32_e32 v30, v30, v36
	v_cmp_eq_u32_e64 s[24:25], 0, v31
	v_cmp_lt_u32_e64 s[26:27], 7, v32
	v_mov_b32_dpp v33, v31 row_shr:8 row_mask:0xf bank_mask:0xf
	v_mov_b32_dpp v36, v30 row_shr:8 row_mask:0xf bank_mask:0xf
	s_and_b64 s[24:25], s[26:27], s[24:25]
	v_cndmask_b32_e64 v32, 0, v33, s[26:27]
	v_cndmask_b32_e64 v33, 0, v36, s[24:25]
	v_add_u32_e32 v30, v33, v30
	v_add_u32_e32 v31, v32, v31
	v_bfe_i32 v36, v35, 4, 1
	v_mov_b32_dpp v33, v30 row_bcast:15 row_mask:0xf bank_mask:0xf
	v_mov_b32_dpp v32, v31 row_bcast:15 row_mask:0xf bank_mask:0xf
	v_cmp_eq_u32_e64 s[24:25], 0, v31
	v_and_b32_e32 v32, v36, v32
	v_add_u32_e32 v31, v32, v31
	v_cndmask_b32_e64 v33, 0, v33, s[24:25]
	v_and_b32_e32 v32, v36, v33
	v_add_u32_e32 v32, v32, v30
	v_mov_b32_dpp v30, v31 row_bcast:31 row_mask:0xf bank_mask:0xf
	v_cmp_eq_u32_e64 s[24:25], 0, v31
	v_cmp_lt_u32_e64 s[26:27], 31, v35
	v_mov_b32_dpp v33, v32 row_bcast:31 row_mask:0xf bank_mask:0xf
	s_and_b64 s[24:25], s[26:27], s[24:25]
	v_cndmask_b32_e64 v30, 0, v30, s[26:27]
	v_add_u32_e32 v30, v30, v31
	v_cndmask_b32_e64 v31, 0, v33, s[24:25]
	v_add_u32_e32 v31, v31, v32
	v_cmp_eq_u32_e64 s[24:25], v71, v0
	v_lshlrev_b32_e32 v33, 3, v70
	s_and_saveexec_b64 s[26:27], s[24:25]
	s_cbranch_execz .LBB305_89
; %bb.88:
	ds_write_b64 v33, v[30:31] offset:8208
.LBB305_89:
	s_or_b64 exec, exec, s[26:27]
	v_cmp_gt_u32_e64 s[24:25], 8, v0
	s_waitcnt lgkmcnt(0)
	s_barrier
	s_and_saveexec_b64 s[28:29], s[24:25]
	s_cbranch_execz .LBB305_91
; %bb.90:
	v_lshlrev_b32_e32 v32, 3, v0
	ds_read_b64 v[36:37], v32 offset:8208
	v_and_b32_e32 v38, 7, v35
	v_cmp_lt_u32_e64 s[26:27], 1, v38
	s_waitcnt lgkmcnt(0)
	v_mov_b32_dpp v40, v37 row_shr:1 row_mask:0xf bank_mask:0xf
	v_cmp_eq_u32_e64 s[24:25], 0, v36
	v_mov_b32_dpp v39, v36 row_shr:1 row_mask:0xf bank_mask:0xf
	s_nop 0
	v_cndmask_b32_e64 v40, 0, v40, s[24:25]
	v_cmp_eq_u32_e64 s[24:25], 0, v38
	s_nop 1
	v_cndmask_b32_e64 v39, v39, 0, s[24:25]
	v_add_u32_e32 v36, v39, v36
	v_cndmask_b32_e64 v39, v40, 0, s[24:25]
	v_add_u32_e32 v37, v39, v37
	v_cmp_eq_u32_e64 s[24:25], 0, v36
	v_mov_b32_dpp v39, v36 row_shr:2 row_mask:0xf bank_mask:0xf
	v_mov_b32_dpp v40, v37 row_shr:2 row_mask:0xf bank_mask:0xf
	v_cndmask_b32_e64 v39, 0, v39, s[26:27]
	s_and_b64 s[24:25], s[26:27], s[24:25]
	v_cndmask_b32_e64 v40, 0, v40, s[24:25]
	v_add_u32_e32 v36, v39, v36
	v_add_u32_e32 v37, v40, v37
	v_cmp_eq_u32_e64 s[24:25], 0, v36
	v_mov_b32_dpp v39, v36 row_shr:4 row_mask:0xf bank_mask:0xf
	v_cmp_lt_u32_e64 s[26:27], 3, v38
	v_mov_b32_dpp v40, v37 row_shr:4 row_mask:0xf bank_mask:0xf
	s_and_b64 s[24:25], s[26:27], s[24:25]
	v_cndmask_b32_e64 v38, 0, v39, s[26:27]
	v_add_u32_e32 v36, v38, v36
	v_cndmask_b32_e64 v38, 0, v40, s[24:25]
	v_add_u32_e32 v37, v38, v37
	ds_write_b64 v32, v[36:37] offset:8208
.LBB305_91:
	s_or_b64 exec, exec, s[28:29]
	v_cmp_lt_u32_e64 s[24:25], 63, v0
	v_mov_b32_e32 v37, 0
	v_mov_b32_e32 v32, 0
	s_waitcnt vmcnt(0)
	v_mov_b32_e32 v36, v34
	s_waitcnt lgkmcnt(0)
	s_barrier
	s_and_saveexec_b64 s[26:27], s[24:25]
	s_cbranch_execz .LBB305_93
; %bb.92:
	ds_read_b64 v[32:33], v33 offset:8200
	s_waitcnt lgkmcnt(0)
	v_cmp_eq_u32_e64 s[24:25], 0, v32
	s_nop 1
	v_cndmask_b32_e64 v36, 0, v34, s[24:25]
	v_add_u32_e32 v36, v36, v33
.LBB305_93:
	s_or_b64 exec, exec, s[26:27]
	v_cmp_eq_u32_e64 s[24:25], 0, v30
	v_add_u32_e32 v33, v32, v30
	v_and_b32_e32 v38, 64, v35
	v_cndmask_b32_e64 v30, 0, v36, s[24:25]
	v_add_u32_e32 v30, v30, v31
	v_add_u32_e32 v31, -1, v35
	v_cmp_lt_i32_e64 s[24:25], v31, v38
	v_cmp_eq_u32_e64 s[26:27], 0, v85
	s_nop 0
	v_cndmask_b32_e64 v31, v31, v35, s[24:25]
	v_lshlrev_b32_e32 v31, 2, v31
	ds_bpermute_b32 v33, v31, v33
	ds_bpermute_b32 v30, v31, v30
	v_cmp_eq_u32_e64 s[24:25], 0, v35
	s_waitcnt lgkmcnt(1)
	s_nop 0
	v_cndmask_b32_e64 v31, v33, v32, s[24:25]
	s_waitcnt lgkmcnt(0)
	v_cndmask_b32_e64 v30, v30, v36, s[24:25]
	v_cmp_eq_u32_e64 s[24:25], 0, v0
	s_nop 1
	v_cndmask_b32_e64 v67, v30, v34, s[24:25]
	v_cndmask_b32_e64 v30, 0, v67, s[26:27]
	v_add_u32_e32 v65, v30, v68
	v_cndmask_b32_e64 v30, 0, v65, s[0:1]
	v_add_u32_e32 v63, v30, v68
	;; [unrolled: 2-line block ×8, first 2 shown]
	v_cndmask_b32_e64 v66, v31, 0, s[24:25]
	v_cndmask_b32_e64 v30, 0, v51, s[14:15]
	v_add_u32_e32 v64, v66, v85
	v_add_u32_e32 v49, v30, v68
	v_add_u32_e32 v62, v64, v84
	v_cndmask_b32_e64 v30, 0, v49, s[16:17]
	v_add_u32_e32 v60, v62, v83
	v_add_u32_e32 v45, v30, v68
	v_add_u32_e32 v58, v60, v82
	;; [unrolled: 4-line block ×3, first 2 shown]
	v_cndmask_b32_e64 v30, 0, v43, s[20:21]
	v_add_u32_e32 v52, v54, v79
	v_add_u32_e32 v41, v30, v68
	ds_read_b64 v[30:31], v37 offset:8264
	v_add_u32_e32 v50, v52, v78
	v_add_u32_e32 v48, v50, v77
	;; [unrolled: 1-line block ×3, first 2 shown]
	v_cndmask_b32_e64 v32, 0, v41, s[22:23]
	v_add_u32_e32 v42, v44, v75
	v_add_u32_e32 v37, v32, v68
	;; [unrolled: 1-line block ×3, first 2 shown]
	v_cndmask_b32_e32 v32, 0, v37, vcc
	s_waitcnt lgkmcnt(0)
	v_cmp_eq_u32_e32 vcc, 0, v30
	v_add_u32_e32 v36, v40, v73
	v_add_u32_e32 v39, v32, v68
	v_cndmask_b32_e32 v32, 0, v34, vcc
	v_add_u32_e32 v38, v36, v72
	v_add_u32_e32 v34, v32, v31
	s_and_saveexec_b64 s[0:1], s[24:25]
	s_cbranch_execz .LBB305_95
; %bb.94:
	s_add_u32 s2, s36, 0x400
	v_and_b32_e32 v31, 0xff000000, v34
	v_and_b32_e32 v32, 0xff0000, v34
	s_addc_u32 s3, s37, 0
	v_or_b32_e32 v31, v32, v31
	v_and_b32_e32 v32, 0xff00, v34
	v_and_b32_e32 v35, 0xff, v34
	v_mov_b32_e32 v33, 0
	v_or3_b32 v31, v31, v32, v35
	v_mov_b32_e32 v32, 2
	v_mov_b64_e32 v[68:69], s[2:3]
	;;#ASMSTART
	global_store_dwordx4 v[68:69], v[30:33] off sc1	
s_waitcnt vmcnt(0)
	;;#ASMEND
.LBB305_95:
	s_or_b64 exec, exec, s[0:1]
	v_mov_b32_e32 v32, 0
.LBB305_96:
	s_and_b64 s[0:1], s[38:39], exec
	s_cselect_b32 s1, 0, s47
	s_cselect_b32 s0, 0, s46
	s_cmp_eq_u64 s[0:1], 0
	v_mov_b64_e32 v[68:69], 0
	s_waitcnt lgkmcnt(0)
	s_barrier
	s_cbranch_scc1 .LBB305_98
; %bb.97:
	v_mov_b32_e32 v31, 0
	global_load_dwordx2 v[68:69], v31, s[0:1]
.LBB305_98:
	v_cmp_eq_u32_e32 vcc, 0, v85
	s_movk_i32 s30, 0x200
	v_mov_b32_e32 v33, 0
	v_cndmask_b32_e64 v31, 1, 2, vcc
	v_cmp_eq_u32_e32 vcc, 0, v84
	v_cmp_ne_u32_e64 s[28:29], 0, v85
	v_cmp_ne_u32_e64 s[26:27], 0, v84
	v_cndmask_b32_e64 v35, 1, 2, vcc
	v_cmp_eq_u32_e32 vcc, 0, v83
	v_and_b32_e32 v31, v35, v31
	v_cmp_ne_u32_e64 s[24:25], 0, v83
	v_cndmask_b32_e64 v35, 1, 2, vcc
	v_cmp_eq_u32_e32 vcc, 0, v82
	v_and_b32_e32 v31, v31, v35
	;; [unrolled: 4-line block ×13, first 2 shown]
	v_cmp_ne_u32_e64 s[0:1], 0, v1
	v_cndmask_b32_e64 v35, 1, 2, vcc
	v_and_b32_e32 v31, v31, v35
	v_cmp_gt_u32_e32 vcc, s30, v30
	s_mov_b64 s[36:37], -1
	v_cmp_gt_i16_e64 s[30:31], 2, v31
	s_cbranch_vccz .LBB305_105
; %bb.99:
	s_and_saveexec_b64 s[36:37], s[30:31]
	s_cbranch_execz .LBB305_104
; %bb.100:
	s_waitcnt vmcnt(0)
	v_lshlrev_b64 v[70:71], 3, v[68:69]
	v_lshl_add_u64 v[70:71], s[40:41], 0, v[70:71]
	v_lshlrev_b64 v[86:87], 3, v[32:33]
	v_lshl_add_u64 v[70:71], v[70:71], 0, v[86:87]
	v_cmp_ne_u16_e32 vcc, 1, v31
	s_mov_b64 s[38:39], 0
	s_and_saveexec_b64 s[30:31], vcc
	s_xor_b64 s[30:31], exec, s[30:31]
	s_cbranch_execnz .LBB305_137
; %bb.101:
	s_andn2_saveexec_b64 s[30:31], s[30:31]
	s_cbranch_execnz .LBB305_153
.LBB305_102:
	s_or_b64 exec, exec, s[30:31]
	s_and_b64 exec, exec, s[38:39]
	s_cbranch_execz .LBB305_104
.LBB305_103:
	v_sub_u32_e32 v86, v38, v32
	v_mov_b32_e32 v87, 0
	v_lshl_add_u64 v[70:71], v[86:87], 3, v[70:71]
	global_store_dwordx2 v[70:71], v[46:47], off
.LBB305_104:
	s_or_b64 exec, exec, s[36:37]
	s_mov_b64 s[36:37], 0
.LBB305_105:
	s_and_b64 vcc, exec, s[36:37]
	s_cbranch_vccz .LBB305_115
; %bb.106:
	v_cmp_gt_i16_e32 vcc, 2, v31
	s_and_saveexec_b64 s[30:31], vcc
	s_cbranch_execz .LBB305_111
; %bb.107:
	v_cmp_ne_u16_e32 vcc, 1, v31
	s_mov_b64 s[38:39], 0
	s_and_saveexec_b64 s[36:37], vcc
	s_xor_b64 s[36:37], exec, s[36:37]
	s_cbranch_execnz .LBB305_154
; %bb.108:
	s_andn2_saveexec_b64 s[0:1], s[36:37]
	s_cbranch_execnz .LBB305_170
.LBB305_109:
	s_or_b64 exec, exec, s[0:1]
	s_and_b64 exec, exec, s[38:39]
	s_cbranch_execz .LBB305_111
.LBB305_110:
	v_sub_u32_e32 v2, v38, v32
	v_lshlrev_b32_e32 v2, 3, v2
	ds_write_b64 v2, v[46:47]
.LBB305_111:
	s_or_b64 exec, exec, s[30:31]
	v_cmp_lt_u32_e32 vcc, v0, v30
	s_waitcnt lgkmcnt(0)
	s_barrier
	s_and_saveexec_b64 s[0:1], vcc
	s_cbranch_execz .LBB305_114
; %bb.112:
	s_waitcnt vmcnt(0)
	v_lshlrev_b64 v[4:5], 3, v[68:69]
	v_lshlrev_b64 v[6:7], 3, v[32:33]
	v_lshl_add_u64 v[4:5], v[4:5], 0, v[6:7]
	v_lshlrev_b32_e32 v2, 3, v0
	v_mov_b32_e32 v3, 0
	v_lshl_add_u64 v[4:5], s[40:41], 0, v[4:5]
	v_lshl_add_u64 v[4:5], v[4:5], 0, v[2:3]
	s_mov_b64 s[2:3], 0
	s_mov_b64 s[4:5], 0x1000
	v_mov_b32_e32 v3, v0
.LBB305_113:                            ; =>This Inner Loop Header: Depth=1
	ds_read_b64 v[6:7], v2
	v_add_u32_e32 v3, 0x200, v3
	v_cmp_ge_u32_e32 vcc, v3, v30
	v_add_u32_e32 v2, 0x1000, v2
	s_or_b64 s[2:3], vcc, s[2:3]
	s_waitcnt lgkmcnt(0)
	global_store_dwordx2 v[4:5], v[6:7], off
	v_lshl_add_u64 v[4:5], v[4:5], 0, s[4:5]
	s_andn2_b64 exec, exec, s[2:3]
	s_cbranch_execnz .LBB305_113
.LBB305_114:
	s_or_b64 exec, exec, s[0:1]
.LBB305_115:
	s_cmpk_lg_i32 s33, 0x1e00
	s_cselect_b64 s[0:1], -1, 0
	v_cndmask_b32_e64 v10, 0, 1, s[50:51]
	s_and_b64 s[0:1], s[48:49], s[0:1]
	v_cmp_eq_u32_e32 vcc, 0, v0
	v_sub_u32_e32 v2, v30, v10
	v_cndmask_b32_e64 v3, 0, 1, s[0:1]
	s_and_b64 s[0:1], vcc, s[50:51]
	v_add_u32_e32 v12, v2, v3
	v_cndmask_b32_e64 v2, v85, 0, s[0:1]
	s_mul_hi_u32 s0, s33, 0x88888889
	s_lshr_b32 s0, s0, 3
	v_mad_i32_i24 v3, v0, -15, s33
	v_cmp_eq_u32_e32 vcc, s0, v0
	v_cmp_ne_u32_e64 s[0:1], 0, v3
	s_and_b64 vcc, s[48:49], vcc
	s_mov_b32 s2, 0
	v_cndmask_b32_e64 v4, 1, v2, s[0:1]
	v_cmp_ne_u32_e64 s[0:1], 1, v3
	v_cndmask_b32_e32 v27, v2, v4, vcc
	s_movk_i32 s30, 0x200
	v_cndmask_b32_e64 v5, 1, v84, s[0:1]
	v_cmp_ne_u32_e64 s[0:1], 2, v3
	v_cndmask_b32_e32 v26, v84, v5, vcc
	s_waitcnt vmcnt(0)
	v_lshlrev_b64 v[4:5], 3, v[68:69]
	v_cndmask_b32_e64 v6, 1, v83, s[0:1]
	v_cmp_ne_u32_e64 s[0:1], 3, v3
	v_cndmask_b32_e32 v25, v83, v6, vcc
	s_mov_b64 s[36:37], -1
	v_cndmask_b32_e64 v7, 1, v82, s[0:1]
	v_cmp_ne_u32_e64 s[0:1], 4, v3
	v_cndmask_b32_e32 v24, v82, v7, vcc
	v_lshlrev_b64 v[6:7], 3, v[32:33]
	v_cndmask_b32_e64 v8, 1, v81, s[0:1]
	v_cmp_ne_u32_e64 s[0:1], 5, v3
	v_cndmask_b32_e32 v23, v81, v8, vcc
	v_cmp_ne_u32_e64 s[28:29], 0, v27
	v_cndmask_b32_e64 v9, 1, v80, s[0:1]
	v_cmp_ne_u32_e64 s[0:1], 6, v3
	v_cndmask_b32_e32 v22, v80, v9, vcc
	v_cmp_ne_u32_e64 s[26:27], 0, v26
	v_cndmask_b32_e64 v11, 1, v79, s[0:1]
	v_cmp_ne_u32_e64 s[0:1], 7, v3
	v_cndmask_b32_e32 v21, v79, v11, vcc
	v_mov_b32_e32 v11, s2
	v_cndmask_b32_e64 v13, 1, v78, s[0:1]
	v_cmp_ne_u32_e64 s[0:1], 8, v3
	v_cndmask_b32_e32 v13, v78, v13, vcc
	v_lshl_add_u64 v[8:9], v[10:11], 0, -1
	v_cndmask_b32_e64 v14, 1, v77, s[0:1]
	v_cmp_ne_u32_e64 s[0:1], 9, v3
	v_cndmask_b32_e32 v14, v77, v14, vcc
	v_cmp_ne_u32_e64 s[14:15], 0, v13
	v_cndmask_b32_e64 v15, 1, v76, s[0:1]
	v_cmp_ne_u32_e64 s[0:1], 10, v3
	v_cndmask_b32_e32 v15, v76, v15, vcc
	v_cmp_ne_u32_e64 s[24:25], 0, v25
	;; [unrolled: 4-line block ×6, first 2 shown]
	v_cndmask_b32_e64 v3, 1, v1, s[0:1]
	v_cndmask_b32_e32 v20, v1, v3, vcc
	v_cmp_eq_u32_e32 vcc, 0, v27
	v_add_u32_e32 v1, v32, v10
	v_lshl_add_u64 v[2:3], s[42:43], 0, v[4:5]
	v_cndmask_b32_e64 v10, 1, 2, vcc
	v_cmp_eq_u32_e32 vcc, 0, v26
	v_lshl_add_u64 v[2:3], v[2:3], 0, v[6:7]
	v_cmp_ne_u32_e64 s[12:13], 0, v14
	v_cndmask_b32_e64 v11, 1, 2, vcc
	v_cmp_eq_u32_e32 vcc, 0, v25
	v_and_b32_e32 v10, v11, v10
	v_cmp_ne_u32_e64 s[10:11], 0, v15
	v_cndmask_b32_e64 v11, 1, 2, vcc
	v_cmp_eq_u32_e32 vcc, 0, v24
	v_and_b32_e32 v10, v10, v11
	v_cmp_ne_u32_e64 s[8:9], 0, v16
	v_cndmask_b32_e64 v11, 1, 2, vcc
	v_cmp_eq_u32_e32 vcc, 0, v23
	v_and_b32_e32 v10, v10, v11
	v_cmp_ne_u32_e64 s[6:7], 0, v17
	v_cndmask_b32_e64 v11, 1, 2, vcc
	v_cmp_eq_u32_e32 vcc, 0, v22
	v_and_b32_e32 v10, v10, v11
	v_cmp_ne_u32_e64 s[4:5], 0, v18
	v_cndmask_b32_e64 v11, 1, 2, vcc
	v_cmp_eq_u32_e32 vcc, 0, v21
	v_and_b32_e32 v10, v10, v11
	v_cmp_ne_u32_e64 s[2:3], 0, v19
	v_cndmask_b32_e64 v11, 1, 2, vcc
	v_cmp_eq_u32_e32 vcc, 0, v13
	v_and_b32_e32 v10, v10, v11
	v_cmp_ne_u32_e64 s[0:1], 0, v20
	v_cndmask_b32_e64 v11, 1, 2, vcc
	v_cmp_eq_u32_e32 vcc, 0, v14
	v_and_b32_e32 v10, v10, v11
	s_nop 0
	v_cndmask_b32_e64 v11, 1, 2, vcc
	v_cmp_eq_u32_e32 vcc, 0, v15
	v_and_b32_e32 v10, v10, v11
	s_barrier
	v_cndmask_b32_e64 v11, 1, 2, vcc
	v_cmp_eq_u32_e32 vcc, 0, v16
	v_and_b32_e32 v10, v10, v11
	s_nop 0
	v_cndmask_b32_e64 v11, 1, 2, vcc
	v_cmp_eq_u32_e32 vcc, 0, v17
	v_and_b32_e32 v10, v10, v11
	s_nop 0
	;; [unrolled: 4-line block ×5, first 2 shown]
	v_cndmask_b32_e64 v11, 1, 2, vcc
	v_and_b32_e32 v13, v10, v11
	v_cmp_gt_u32_e32 vcc, s30, v12
	v_cmp_gt_i16_e64 s[30:31], 2, v13
	s_cbranch_vccz .LBB305_122
; %bb.116:
	s_and_saveexec_b64 s[36:37], s[30:31]
	s_cbranch_execz .LBB305_121
; %bb.117:
	v_lshlrev_b64 v[10:11], 3, v[8:9]
	v_lshl_add_u64 v[10:11], v[2:3], 0, v[10:11]
	v_cmp_ne_u16_e32 vcc, 1, v13
	s_mov_b64 s[38:39], 0
	s_and_saveexec_b64 s[30:31], vcc
	s_xor_b64 s[30:31], exec, s[30:31]
	s_cbranch_execnz .LBB305_171
; %bb.118:
	s_andn2_saveexec_b64 s[30:31], s[30:31]
	s_cbranch_execnz .LBB305_187
.LBB305_119:
	s_or_b64 exec, exec, s[30:31]
	s_and_b64 exec, exec, s[38:39]
	s_cbranch_execz .LBB305_121
.LBB305_120:
	v_mov_b32_e32 v15, 0
	v_sub_u32_e32 v16, v38, v1
	v_mov_b32_e32 v17, v15
	v_mov_b32_e32 v14, v39
	v_lshl_add_u64 v[10:11], v[16:17], 3, v[10:11]
	global_store_dwordx2 v[10:11], v[14:15], off
.LBB305_121:
	s_or_b64 exec, exec, s[36:37]
	s_mov_b64 s[36:37], 0
.LBB305_122:
	s_and_b64 vcc, exec, s[36:37]
	s_cbranch_vccz .LBB305_132
; %bb.123:
	v_cmp_gt_i16_e32 vcc, 2, v13
	s_and_saveexec_b64 s[30:31], vcc
	s_cbranch_execz .LBB305_128
; %bb.124:
	v_cmp_ne_u16_e32 vcc, 1, v13
	s_mov_b64 s[38:39], 0
	s_and_saveexec_b64 s[36:37], vcc
	s_xor_b64 s[36:37], exec, s[36:37]
	s_cbranch_execnz .LBB305_188
; %bb.125:
	s_andn2_saveexec_b64 s[0:1], s[36:37]
	s_cbranch_execnz .LBB305_204
.LBB305_126:
	s_or_b64 exec, exec, s[0:1]
	s_and_b64 exec, exec, s[38:39]
	s_cbranch_execz .LBB305_128
.LBB305_127:
	v_sub_u32_e32 v1, v38, v1
	v_lshlrev_b32_e32 v1, 2, v1
	ds_write_b32 v1, v39
.LBB305_128:
	s_or_b64 exec, exec, s[30:31]
	v_cmp_lt_u32_e32 vcc, v0, v12
	s_waitcnt lgkmcnt(0)
	s_barrier
	s_and_saveexec_b64 s[0:1], vcc
	s_cbranch_execz .LBB305_131
; %bb.129:
	v_lshlrev_b64 v[8:9], 3, v[8:9]
	v_lshl_add_u64 v[4:5], v[4:5], 0, v[8:9]
	v_lshl_add_u64 v[6:7], v[4:5], 0, v[6:7]
	v_lshlrev_b32_e32 v4, 3, v0
	v_mov_b32_e32 v5, 0
	v_lshl_add_u64 v[6:7], s[42:43], 0, v[6:7]
	v_lshlrev_b32_e32 v1, 2, v0
	v_lshl_add_u64 v[6:7], v[6:7], 0, v[4:5]
	s_mov_b64 s[2:3], 0
	s_mov_b64 s[4:5], 0x1000
	v_mov_b32_e32 v8, v0
.LBB305_130:                            ; =>This Inner Loop Header: Depth=1
	ds_read_b32 v4, v1
	v_add_u32_e32 v8, 0x200, v8
	v_cmp_ge_u32_e32 vcc, v8, v12
	v_add_u32_e32 v1, 0x800, v1
	s_or_b64 s[2:3], vcc, s[2:3]
	s_waitcnt lgkmcnt(0)
	global_store_dwordx2 v[6:7], v[4:5], off
	v_lshl_add_u64 v[6:7], v[6:7], 0, s[4:5]
	s_andn2_b64 exec, exec, s[2:3]
	s_cbranch_execnz .LBB305_130
.LBB305_131:
	s_or_b64 exec, exec, s[0:1]
.LBB305_132:
	s_movk_i32 s0, 0x1ff
	v_cmp_eq_u32_e32 vcc, s0, v0
	s_and_b64 s[0:1], vcc, s[48:49]
	s_and_saveexec_b64 s[2:3], s[0:1]
	s_cbranch_execz .LBB305_135
; %bb.133:
	v_mov_b32_e32 v31, 0
	v_lshl_add_u64 v[0:1], v[30:31], 0, v[32:33]
	v_lshl_add_u64 v[0:1], v[0:1], 0, v[68:69]
	s_cmpk_lg_i32 s33, 0x1e00
	global_store_dwordx2 v31, v[0:1], s[34:35]
	s_cbranch_scc1 .LBB305_135
; %bb.134:
	v_lshlrev_b64 v[0:1], 3, v[30:31]
	v_mov_b32_e32 v35, v31
	v_lshl_add_u64 v[0:1], v[2:3], 0, v[0:1]
	global_store_dwordx2 v[0:1], v[34:35], off offset:-8
.LBB305_135:
	s_endpgm
.LBB305_136:
	s_or_b64 exec, exec, s[6:7]
	v_mov_b32_e32 v85, s3
	s_and_saveexec_b64 s[6:7], s[42:43]
	s_cbranch_execnz .LBB305_56
	s_branch .LBB305_57
.LBB305_137:
	s_and_saveexec_b64 s[38:39], s[28:29]
	s_cbranch_execnz .LBB305_205
; %bb.138:
	s_or_b64 exec, exec, s[38:39]
	s_and_saveexec_b64 s[38:39], s[26:27]
	s_cbranch_execnz .LBB305_206
.LBB305_139:
	s_or_b64 exec, exec, s[38:39]
	s_and_saveexec_b64 s[38:39], s[24:25]
	s_cbranch_execnz .LBB305_207
.LBB305_140:
	s_or_b64 exec, exec, s[38:39]
	s_and_saveexec_b64 s[38:39], s[22:23]
	s_cbranch_execnz .LBB305_208
.LBB305_141:
	s_or_b64 exec, exec, s[38:39]
	s_and_saveexec_b64 s[38:39], s[20:21]
	s_cbranch_execnz .LBB305_209
.LBB305_142:
	s_or_b64 exec, exec, s[38:39]
	s_and_saveexec_b64 s[38:39], s[18:19]
	s_cbranch_execnz .LBB305_210
.LBB305_143:
	s_or_b64 exec, exec, s[38:39]
	s_and_saveexec_b64 s[38:39], s[16:17]
	s_cbranch_execnz .LBB305_211
.LBB305_144:
	s_or_b64 exec, exec, s[38:39]
	s_and_saveexec_b64 s[38:39], s[14:15]
	s_cbranch_execnz .LBB305_212
.LBB305_145:
	s_or_b64 exec, exec, s[38:39]
	s_and_saveexec_b64 s[38:39], s[12:13]
	s_cbranch_execnz .LBB305_213
.LBB305_146:
	s_or_b64 exec, exec, s[38:39]
	s_and_saveexec_b64 s[38:39], s[10:11]
	s_cbranch_execnz .LBB305_214
.LBB305_147:
	s_or_b64 exec, exec, s[38:39]
	s_and_saveexec_b64 s[38:39], s[8:9]
	s_cbranch_execnz .LBB305_215
.LBB305_148:
	s_or_b64 exec, exec, s[38:39]
	s_and_saveexec_b64 s[38:39], s[6:7]
	s_cbranch_execnz .LBB305_216
.LBB305_149:
	s_or_b64 exec, exec, s[38:39]
	s_and_saveexec_b64 s[38:39], s[4:5]
	s_cbranch_execnz .LBB305_217
.LBB305_150:
	s_or_b64 exec, exec, s[38:39]
	s_and_saveexec_b64 s[38:39], s[2:3]
	s_cbranch_execz .LBB305_152
.LBB305_151:
	v_sub_u32_e32 v86, v36, v32
	v_mov_b32_e32 v87, 0
	v_lshl_add_u64 v[86:87], v[86:87], 3, v[70:71]
	global_store_dwordx2 v[86:87], v[8:9], off
.LBB305_152:
	s_or_b64 exec, exec, s[38:39]
	s_and_b64 s[38:39], s[0:1], exec
	s_andn2_saveexec_b64 s[30:31], s[30:31]
	s_cbranch_execz .LBB305_102
.LBB305_153:
	v_sub_u32_e32 v86, v66, v32
	v_mov_b32_e32 v87, 0
	v_lshl_add_u64 v[88:89], v[86:87], 3, v[70:71]
	v_sub_u32_e32 v86, v64, v32
	global_store_dwordx2 v[88:89], v[26:27], off
	v_lshl_add_u64 v[88:89], v[86:87], 3, v[70:71]
	v_sub_u32_e32 v86, v62, v32
	global_store_dwordx2 v[88:89], v[28:29], off
	;; [unrolled: 3-line block ×12, first 2 shown]
	v_lshl_add_u64 v[88:89], v[86:87], 3, v[70:71]
	v_sub_u32_e32 v86, v36, v32
	v_lshl_add_u64 v[86:87], v[86:87], 3, v[70:71]
	s_or_b64 s[38:39], s[38:39], exec
	global_store_dwordx2 v[88:89], v[6:7], off
	global_store_dwordx2 v[86:87], v[8:9], off
	s_or_b64 exec, exec, s[30:31]
	s_and_b64 exec, exec, s[38:39]
	s_cbranch_execnz .LBB305_103
	s_branch .LBB305_104
.LBB305_154:
	s_and_saveexec_b64 s[38:39], s[28:29]
	s_cbranch_execnz .LBB305_218
; %bb.155:
	s_or_b64 exec, exec, s[38:39]
	s_and_saveexec_b64 s[28:29], s[26:27]
	s_cbranch_execnz .LBB305_219
.LBB305_156:
	s_or_b64 exec, exec, s[28:29]
	s_and_saveexec_b64 s[26:27], s[24:25]
	s_cbranch_execnz .LBB305_220
.LBB305_157:
	s_or_b64 exec, exec, s[26:27]
	s_and_saveexec_b64 s[24:25], s[22:23]
	s_cbranch_execnz .LBB305_221
.LBB305_158:
	s_or_b64 exec, exec, s[24:25]
	s_and_saveexec_b64 s[22:23], s[20:21]
	s_cbranch_execnz .LBB305_222
.LBB305_159:
	s_or_b64 exec, exec, s[22:23]
	s_and_saveexec_b64 s[20:21], s[18:19]
	s_cbranch_execnz .LBB305_223
.LBB305_160:
	s_or_b64 exec, exec, s[20:21]
	s_and_saveexec_b64 s[18:19], s[16:17]
	s_cbranch_execnz .LBB305_224
.LBB305_161:
	s_or_b64 exec, exec, s[18:19]
	s_and_saveexec_b64 s[16:17], s[14:15]
	s_cbranch_execnz .LBB305_225
.LBB305_162:
	s_or_b64 exec, exec, s[16:17]
	s_and_saveexec_b64 s[14:15], s[12:13]
	s_cbranch_execnz .LBB305_226
.LBB305_163:
	s_or_b64 exec, exec, s[14:15]
	s_and_saveexec_b64 s[12:13], s[10:11]
	s_cbranch_execnz .LBB305_227
.LBB305_164:
	s_or_b64 exec, exec, s[12:13]
	s_and_saveexec_b64 s[10:11], s[8:9]
	s_cbranch_execnz .LBB305_228
.LBB305_165:
	s_or_b64 exec, exec, s[10:11]
	s_and_saveexec_b64 s[8:9], s[6:7]
	s_cbranch_execnz .LBB305_229
.LBB305_166:
	s_or_b64 exec, exec, s[8:9]
	s_and_saveexec_b64 s[6:7], s[4:5]
	s_cbranch_execnz .LBB305_230
.LBB305_167:
	s_or_b64 exec, exec, s[6:7]
	s_and_saveexec_b64 s[4:5], s[2:3]
	s_cbranch_execz .LBB305_169
.LBB305_168:
	v_sub_u32_e32 v2, v36, v32
	v_lshlrev_b32_e32 v2, 3, v2
	ds_write_b64 v2, v[8:9]
.LBB305_169:
	s_or_b64 exec, exec, s[4:5]
	s_and_b64 s[38:39], s[0:1], exec
                                        ; implicit-def: $vgpr8_vgpr9
                                        ; implicit-def: $vgpr4_vgpr5
                                        ; implicit-def: $vgpr12_vgpr13
                                        ; implicit-def: $vgpr16_vgpr17
                                        ; implicit-def: $vgpr20_vgpr21
                                        ; implicit-def: $vgpr24_vgpr25
                                        ; implicit-def: $vgpr28_vgpr29
	s_andn2_saveexec_b64 s[0:1], s[36:37]
	s_cbranch_execz .LBB305_109
.LBB305_170:
	v_sub_u32_e32 v31, v66, v32
	v_lshlrev_b32_e32 v31, 3, v31
	ds_write_b64 v31, v[26:27]
	v_sub_u32_e32 v26, v64, v32
	v_lshlrev_b32_e32 v26, 3, v26
	ds_write_b64 v26, v[28:29]
	;; [unrolled: 3-line block ×13, first 2 shown]
	v_sub_u32_e32 v2, v36, v32
	v_lshlrev_b32_e32 v2, 3, v2
	s_or_b64 s[38:39], s[38:39], exec
	ds_write_b64 v2, v[8:9]
	s_or_b64 exec, exec, s[0:1]
	s_and_b64 exec, exec, s[38:39]
	s_cbranch_execnz .LBB305_110
	s_branch .LBB305_111
.LBB305_171:
	s_and_saveexec_b64 s[38:39], s[28:29]
	s_cbranch_execnz .LBB305_231
; %bb.172:
	s_or_b64 exec, exec, s[38:39]
	s_and_saveexec_b64 s[38:39], s[26:27]
	s_cbranch_execnz .LBB305_232
.LBB305_173:
	s_or_b64 exec, exec, s[38:39]
	s_and_saveexec_b64 s[38:39], s[24:25]
	s_cbranch_execnz .LBB305_233
.LBB305_174:
	s_or_b64 exec, exec, s[38:39]
	s_and_saveexec_b64 s[38:39], s[22:23]
	s_cbranch_execnz .LBB305_234
.LBB305_175:
	s_or_b64 exec, exec, s[38:39]
	s_and_saveexec_b64 s[38:39], s[20:21]
	s_cbranch_execnz .LBB305_235
.LBB305_176:
	s_or_b64 exec, exec, s[38:39]
	s_and_saveexec_b64 s[38:39], s[18:19]
	s_cbranch_execnz .LBB305_236
.LBB305_177:
	s_or_b64 exec, exec, s[38:39]
	s_and_saveexec_b64 s[38:39], s[16:17]
	s_cbranch_execnz .LBB305_237
.LBB305_178:
	s_or_b64 exec, exec, s[38:39]
	s_and_saveexec_b64 s[38:39], s[14:15]
	s_cbranch_execnz .LBB305_238
.LBB305_179:
	s_or_b64 exec, exec, s[38:39]
	s_and_saveexec_b64 s[38:39], s[12:13]
	s_cbranch_execnz .LBB305_239
.LBB305_180:
	s_or_b64 exec, exec, s[38:39]
	s_and_saveexec_b64 s[38:39], s[10:11]
	s_cbranch_execnz .LBB305_240
.LBB305_181:
	s_or_b64 exec, exec, s[38:39]
	s_and_saveexec_b64 s[38:39], s[8:9]
	s_cbranch_execnz .LBB305_241
.LBB305_182:
	s_or_b64 exec, exec, s[38:39]
	s_and_saveexec_b64 s[38:39], s[6:7]
	s_cbranch_execnz .LBB305_242
.LBB305_183:
	s_or_b64 exec, exec, s[38:39]
	s_and_saveexec_b64 s[38:39], s[4:5]
	s_cbranch_execnz .LBB305_243
.LBB305_184:
	s_or_b64 exec, exec, s[38:39]
	s_and_saveexec_b64 s[38:39], s[2:3]
	s_cbranch_execz .LBB305_186
.LBB305_185:
	v_sub_u32_e32 v14, v36, v1
	v_mov_b32_e32 v15, 0
	v_lshl_add_u64 v[16:17], v[14:15], 3, v[10:11]
	v_mov_b32_e32 v14, v37
	global_store_dwordx2 v[16:17], v[14:15], off
.LBB305_186:
	s_or_b64 exec, exec, s[38:39]
	s_and_b64 s[38:39], s[0:1], exec
	s_andn2_saveexec_b64 s[30:31], s[30:31]
	s_cbranch_execz .LBB305_119
.LBB305_187:
	v_mov_b32_e32 v15, 0
	v_sub_u32_e32 v16, v66, v1
	v_mov_b32_e32 v17, v15
	v_mov_b32_e32 v14, v67
	v_lshl_add_u64 v[16:17], v[16:17], 3, v[10:11]
	global_store_dwordx2 v[16:17], v[14:15], off
	v_sub_u32_e32 v16, v64, v1
	v_mov_b32_e32 v17, v15
	v_mov_b32_e32 v14, v65
	v_lshl_add_u64 v[16:17], v[16:17], 3, v[10:11]
	global_store_dwordx2 v[16:17], v[14:15], off
	;; [unrolled: 5-line block ×13, first 2 shown]
	v_sub_u32_e32 v16, v36, v1
	v_mov_b32_e32 v17, v15
	v_mov_b32_e32 v14, v37
	v_lshl_add_u64 v[16:17], v[16:17], 3, v[10:11]
	s_or_b64 s[38:39], s[38:39], exec
	global_store_dwordx2 v[16:17], v[14:15], off
	s_or_b64 exec, exec, s[30:31]
	s_and_b64 exec, exec, s[38:39]
	s_cbranch_execnz .LBB305_120
	s_branch .LBB305_121
.LBB305_188:
	s_and_saveexec_b64 s[38:39], s[28:29]
	s_cbranch_execnz .LBB305_244
; %bb.189:
	s_or_b64 exec, exec, s[38:39]
	s_and_saveexec_b64 s[28:29], s[26:27]
	s_cbranch_execnz .LBB305_245
.LBB305_190:
	s_or_b64 exec, exec, s[28:29]
	s_and_saveexec_b64 s[26:27], s[24:25]
	s_cbranch_execnz .LBB305_246
.LBB305_191:
	s_or_b64 exec, exec, s[26:27]
	s_and_saveexec_b64 s[24:25], s[22:23]
	s_cbranch_execnz .LBB305_247
.LBB305_192:
	s_or_b64 exec, exec, s[24:25]
	s_and_saveexec_b64 s[22:23], s[20:21]
	s_cbranch_execnz .LBB305_248
.LBB305_193:
	s_or_b64 exec, exec, s[22:23]
	s_and_saveexec_b64 s[20:21], s[18:19]
	s_cbranch_execnz .LBB305_249
.LBB305_194:
	s_or_b64 exec, exec, s[20:21]
	s_and_saveexec_b64 s[18:19], s[16:17]
	s_cbranch_execnz .LBB305_250
.LBB305_195:
	s_or_b64 exec, exec, s[18:19]
	s_and_saveexec_b64 s[16:17], s[14:15]
	s_cbranch_execnz .LBB305_251
.LBB305_196:
	s_or_b64 exec, exec, s[16:17]
	s_and_saveexec_b64 s[14:15], s[12:13]
	s_cbranch_execnz .LBB305_252
.LBB305_197:
	s_or_b64 exec, exec, s[14:15]
	s_and_saveexec_b64 s[12:13], s[10:11]
	s_cbranch_execnz .LBB305_253
.LBB305_198:
	s_or_b64 exec, exec, s[12:13]
	s_and_saveexec_b64 s[10:11], s[8:9]
	s_cbranch_execnz .LBB305_254
.LBB305_199:
	s_or_b64 exec, exec, s[10:11]
	s_and_saveexec_b64 s[8:9], s[6:7]
	s_cbranch_execnz .LBB305_255
.LBB305_200:
	s_or_b64 exec, exec, s[8:9]
	s_and_saveexec_b64 s[6:7], s[4:5]
	s_cbranch_execnz .LBB305_256
.LBB305_201:
	s_or_b64 exec, exec, s[6:7]
	s_and_saveexec_b64 s[4:5], s[2:3]
	s_cbranch_execz .LBB305_203
.LBB305_202:
	v_sub_u32_e32 v10, v36, v1
	v_lshlrev_b32_e32 v10, 2, v10
	ds_write_b32 v10, v37
.LBB305_203:
	s_or_b64 exec, exec, s[4:5]
	s_and_b64 s[38:39], s[0:1], exec
                                        ; implicit-def: $vgpr36_vgpr37
                                        ; implicit-def: $vgpr40_vgpr41
                                        ; implicit-def: $vgpr42_vgpr43
                                        ; implicit-def: $vgpr66_vgpr67
                                        ; implicit-def: $vgpr64_vgpr65
                                        ; implicit-def: $vgpr62_vgpr63
                                        ; implicit-def: $vgpr60_vgpr61
                                        ; implicit-def: $vgpr58_vgpr59
                                        ; implicit-def: $vgpr56_vgpr57
                                        ; implicit-def: $vgpr54_vgpr55
                                        ; implicit-def: $vgpr52_vgpr53
                                        ; implicit-def: $vgpr50_vgpr51
                                        ; implicit-def: $vgpr48_vgpr49
                                        ; implicit-def: $vgpr44_vgpr45
	s_andn2_saveexec_b64 s[0:1], s[36:37]
	s_cbranch_execz .LBB305_126
.LBB305_204:
	v_sub_u32_e32 v10, v66, v1
	v_lshlrev_b32_e32 v10, 2, v10
	ds_write_b32 v10, v67
	v_sub_u32_e32 v10, v64, v1
	v_lshlrev_b32_e32 v10, 2, v10
	ds_write_b32 v10, v65
	;; [unrolled: 3-line block ×13, first 2 shown]
	v_sub_u32_e32 v10, v36, v1
	v_lshlrev_b32_e32 v10, 2, v10
	s_or_b64 s[38:39], s[38:39], exec
	ds_write_b32 v10, v37
	s_or_b64 exec, exec, s[0:1]
	s_and_b64 exec, exec, s[38:39]
	s_cbranch_execnz .LBB305_127
	s_branch .LBB305_128
.LBB305_205:
	v_sub_u32_e32 v86, v66, v32
	v_mov_b32_e32 v87, 0
	v_lshl_add_u64 v[86:87], v[86:87], 3, v[70:71]
	global_store_dwordx2 v[86:87], v[26:27], off
	s_or_b64 exec, exec, s[38:39]
	s_and_saveexec_b64 s[38:39], s[26:27]
	s_cbranch_execz .LBB305_139
.LBB305_206:
	v_sub_u32_e32 v86, v64, v32
	v_mov_b32_e32 v87, 0
	v_lshl_add_u64 v[86:87], v[86:87], 3, v[70:71]
	global_store_dwordx2 v[86:87], v[28:29], off
	s_or_b64 exec, exec, s[38:39]
	s_and_saveexec_b64 s[38:39], s[24:25]
	s_cbranch_execz .LBB305_140
.LBB305_207:
	v_sub_u32_e32 v86, v62, v32
	v_mov_b32_e32 v87, 0
	v_lshl_add_u64 v[86:87], v[86:87], 3, v[70:71]
	global_store_dwordx2 v[86:87], v[22:23], off
	s_or_b64 exec, exec, s[38:39]
	s_and_saveexec_b64 s[38:39], s[22:23]
	s_cbranch_execz .LBB305_141
.LBB305_208:
	v_sub_u32_e32 v86, v60, v32
	v_mov_b32_e32 v87, 0
	v_lshl_add_u64 v[86:87], v[86:87], 3, v[70:71]
	global_store_dwordx2 v[86:87], v[24:25], off
	s_or_b64 exec, exec, s[38:39]
	s_and_saveexec_b64 s[38:39], s[20:21]
	s_cbranch_execz .LBB305_142
.LBB305_209:
	v_sub_u32_e32 v86, v58, v32
	v_mov_b32_e32 v87, 0
	v_lshl_add_u64 v[86:87], v[86:87], 3, v[70:71]
	global_store_dwordx2 v[86:87], v[18:19], off
	s_or_b64 exec, exec, s[38:39]
	s_and_saveexec_b64 s[38:39], s[18:19]
	s_cbranch_execz .LBB305_143
.LBB305_210:
	v_sub_u32_e32 v86, v56, v32
	v_mov_b32_e32 v87, 0
	v_lshl_add_u64 v[86:87], v[86:87], 3, v[70:71]
	global_store_dwordx2 v[86:87], v[20:21], off
	s_or_b64 exec, exec, s[38:39]
	s_and_saveexec_b64 s[38:39], s[16:17]
	s_cbranch_execz .LBB305_144
.LBB305_211:
	v_sub_u32_e32 v86, v54, v32
	v_mov_b32_e32 v87, 0
	v_lshl_add_u64 v[86:87], v[86:87], 3, v[70:71]
	global_store_dwordx2 v[86:87], v[14:15], off
	s_or_b64 exec, exec, s[38:39]
	s_and_saveexec_b64 s[38:39], s[14:15]
	s_cbranch_execz .LBB305_145
.LBB305_212:
	v_sub_u32_e32 v86, v52, v32
	v_mov_b32_e32 v87, 0
	v_lshl_add_u64 v[86:87], v[86:87], 3, v[70:71]
	global_store_dwordx2 v[86:87], v[16:17], off
	s_or_b64 exec, exec, s[38:39]
	s_and_saveexec_b64 s[38:39], s[12:13]
	s_cbranch_execz .LBB305_146
.LBB305_213:
	v_sub_u32_e32 v86, v50, v32
	v_mov_b32_e32 v87, 0
	v_lshl_add_u64 v[86:87], v[86:87], 3, v[70:71]
	global_store_dwordx2 v[86:87], v[10:11], off
	s_or_b64 exec, exec, s[38:39]
	s_and_saveexec_b64 s[38:39], s[10:11]
	s_cbranch_execz .LBB305_147
.LBB305_214:
	v_sub_u32_e32 v86, v48, v32
	v_mov_b32_e32 v87, 0
	v_lshl_add_u64 v[86:87], v[86:87], 3, v[70:71]
	global_store_dwordx2 v[86:87], v[12:13], off
	s_or_b64 exec, exec, s[38:39]
	s_and_saveexec_b64 s[38:39], s[8:9]
	s_cbranch_execz .LBB305_148
.LBB305_215:
	v_sub_u32_e32 v86, v44, v32
	v_mov_b32_e32 v87, 0
	v_lshl_add_u64 v[86:87], v[86:87], 3, v[70:71]
	global_store_dwordx2 v[86:87], v[2:3], off
	s_or_b64 exec, exec, s[38:39]
	s_and_saveexec_b64 s[38:39], s[6:7]
	s_cbranch_execz .LBB305_149
.LBB305_216:
	v_sub_u32_e32 v86, v42, v32
	v_mov_b32_e32 v87, 0
	v_lshl_add_u64 v[86:87], v[86:87], 3, v[70:71]
	global_store_dwordx2 v[86:87], v[4:5], off
	s_or_b64 exec, exec, s[38:39]
	s_and_saveexec_b64 s[38:39], s[4:5]
	s_cbranch_execz .LBB305_150
.LBB305_217:
	v_sub_u32_e32 v86, v40, v32
	v_mov_b32_e32 v87, 0
	v_lshl_add_u64 v[86:87], v[86:87], 3, v[70:71]
	global_store_dwordx2 v[86:87], v[6:7], off
	s_or_b64 exec, exec, s[38:39]
	s_and_saveexec_b64 s[38:39], s[2:3]
	s_cbranch_execnz .LBB305_151
	s_branch .LBB305_152
.LBB305_218:
	v_sub_u32_e32 v31, v66, v32
	v_lshlrev_b32_e32 v31, 3, v31
	ds_write_b64 v31, v[26:27]
	s_or_b64 exec, exec, s[38:39]
	s_and_saveexec_b64 s[28:29], s[26:27]
	s_cbranch_execz .LBB305_156
.LBB305_219:
	v_sub_u32_e32 v26, v64, v32
	v_lshlrev_b32_e32 v26, 3, v26
	ds_write_b64 v26, v[28:29]
	s_or_b64 exec, exec, s[28:29]
	s_and_saveexec_b64 s[26:27], s[24:25]
	s_cbranch_execz .LBB305_157
.LBB305_220:
	v_sub_u32_e32 v26, v62, v32
	v_lshlrev_b32_e32 v26, 3, v26
	ds_write_b64 v26, v[22:23]
	s_or_b64 exec, exec, s[26:27]
	s_and_saveexec_b64 s[24:25], s[22:23]
	s_cbranch_execz .LBB305_158
.LBB305_221:
	v_sub_u32_e32 v22, v60, v32
	v_lshlrev_b32_e32 v22, 3, v22
	ds_write_b64 v22, v[24:25]
	s_or_b64 exec, exec, s[24:25]
	s_and_saveexec_b64 s[22:23], s[20:21]
	s_cbranch_execz .LBB305_159
.LBB305_222:
	v_sub_u32_e32 v22, v58, v32
	v_lshlrev_b32_e32 v22, 3, v22
	ds_write_b64 v22, v[18:19]
	s_or_b64 exec, exec, s[22:23]
	s_and_saveexec_b64 s[20:21], s[18:19]
	s_cbranch_execz .LBB305_160
.LBB305_223:
	v_sub_u32_e32 v18, v56, v32
	v_lshlrev_b32_e32 v18, 3, v18
	ds_write_b64 v18, v[20:21]
	s_or_b64 exec, exec, s[20:21]
	s_and_saveexec_b64 s[18:19], s[16:17]
	s_cbranch_execz .LBB305_161
.LBB305_224:
	v_sub_u32_e32 v18, v54, v32
	v_lshlrev_b32_e32 v18, 3, v18
	ds_write_b64 v18, v[14:15]
	s_or_b64 exec, exec, s[18:19]
	s_and_saveexec_b64 s[16:17], s[14:15]
	s_cbranch_execz .LBB305_162
.LBB305_225:
	v_sub_u32_e32 v14, v52, v32
	v_lshlrev_b32_e32 v14, 3, v14
	ds_write_b64 v14, v[16:17]
	s_or_b64 exec, exec, s[16:17]
	s_and_saveexec_b64 s[14:15], s[12:13]
	s_cbranch_execz .LBB305_163
.LBB305_226:
	v_sub_u32_e32 v14, v50, v32
	v_lshlrev_b32_e32 v14, 3, v14
	ds_write_b64 v14, v[10:11]
	s_or_b64 exec, exec, s[14:15]
	s_and_saveexec_b64 s[12:13], s[10:11]
	s_cbranch_execz .LBB305_164
.LBB305_227:
	v_sub_u32_e32 v10, v48, v32
	v_lshlrev_b32_e32 v10, 3, v10
	ds_write_b64 v10, v[12:13]
	s_or_b64 exec, exec, s[12:13]
	s_and_saveexec_b64 s[10:11], s[8:9]
	s_cbranch_execz .LBB305_165
.LBB305_228:
	v_sub_u32_e32 v10, v44, v32
	v_lshlrev_b32_e32 v10, 3, v10
	ds_write_b64 v10, v[2:3]
	s_or_b64 exec, exec, s[10:11]
	s_and_saveexec_b64 s[8:9], s[6:7]
	s_cbranch_execz .LBB305_166
.LBB305_229:
	v_sub_u32_e32 v2, v42, v32
	v_lshlrev_b32_e32 v2, 3, v2
	ds_write_b64 v2, v[4:5]
	s_or_b64 exec, exec, s[8:9]
	s_and_saveexec_b64 s[6:7], s[4:5]
	s_cbranch_execz .LBB305_167
.LBB305_230:
	v_sub_u32_e32 v2, v40, v32
	v_lshlrev_b32_e32 v2, 3, v2
	ds_write_b64 v2, v[6:7]
	s_or_b64 exec, exec, s[6:7]
	s_and_saveexec_b64 s[4:5], s[2:3]
	s_cbranch_execnz .LBB305_168
	s_branch .LBB305_169
.LBB305_231:
	v_sub_u32_e32 v14, v66, v1
	v_mov_b32_e32 v15, 0
	v_lshl_add_u64 v[16:17], v[14:15], 3, v[10:11]
	v_mov_b32_e32 v14, v67
	global_store_dwordx2 v[16:17], v[14:15], off
	s_or_b64 exec, exec, s[38:39]
	s_and_saveexec_b64 s[38:39], s[26:27]
	s_cbranch_execz .LBB305_173
.LBB305_232:
	v_sub_u32_e32 v14, v64, v1
	v_mov_b32_e32 v15, 0
	v_lshl_add_u64 v[16:17], v[14:15], 3, v[10:11]
	v_mov_b32_e32 v14, v65
	global_store_dwordx2 v[16:17], v[14:15], off
	s_or_b64 exec, exec, s[38:39]
	s_and_saveexec_b64 s[38:39], s[24:25]
	s_cbranch_execz .LBB305_174
.LBB305_233:
	v_sub_u32_e32 v14, v62, v1
	v_mov_b32_e32 v15, 0
	v_lshl_add_u64 v[16:17], v[14:15], 3, v[10:11]
	v_mov_b32_e32 v14, v63
	global_store_dwordx2 v[16:17], v[14:15], off
	s_or_b64 exec, exec, s[38:39]
	s_and_saveexec_b64 s[38:39], s[22:23]
	s_cbranch_execz .LBB305_175
.LBB305_234:
	v_sub_u32_e32 v14, v60, v1
	v_mov_b32_e32 v15, 0
	v_lshl_add_u64 v[16:17], v[14:15], 3, v[10:11]
	v_mov_b32_e32 v14, v61
	global_store_dwordx2 v[16:17], v[14:15], off
	s_or_b64 exec, exec, s[38:39]
	s_and_saveexec_b64 s[38:39], s[20:21]
	s_cbranch_execz .LBB305_176
.LBB305_235:
	v_sub_u32_e32 v14, v58, v1
	v_mov_b32_e32 v15, 0
	v_lshl_add_u64 v[16:17], v[14:15], 3, v[10:11]
	v_mov_b32_e32 v14, v59
	global_store_dwordx2 v[16:17], v[14:15], off
	s_or_b64 exec, exec, s[38:39]
	s_and_saveexec_b64 s[38:39], s[18:19]
	s_cbranch_execz .LBB305_177
.LBB305_236:
	v_sub_u32_e32 v14, v56, v1
	v_mov_b32_e32 v15, 0
	v_lshl_add_u64 v[16:17], v[14:15], 3, v[10:11]
	v_mov_b32_e32 v14, v57
	global_store_dwordx2 v[16:17], v[14:15], off
	s_or_b64 exec, exec, s[38:39]
	s_and_saveexec_b64 s[38:39], s[16:17]
	s_cbranch_execz .LBB305_178
.LBB305_237:
	v_sub_u32_e32 v14, v54, v1
	v_mov_b32_e32 v15, 0
	v_lshl_add_u64 v[16:17], v[14:15], 3, v[10:11]
	v_mov_b32_e32 v14, v55
	global_store_dwordx2 v[16:17], v[14:15], off
	s_or_b64 exec, exec, s[38:39]
	s_and_saveexec_b64 s[38:39], s[14:15]
	s_cbranch_execz .LBB305_179
.LBB305_238:
	v_sub_u32_e32 v14, v52, v1
	v_mov_b32_e32 v15, 0
	v_lshl_add_u64 v[16:17], v[14:15], 3, v[10:11]
	v_mov_b32_e32 v14, v53
	global_store_dwordx2 v[16:17], v[14:15], off
	s_or_b64 exec, exec, s[38:39]
	s_and_saveexec_b64 s[38:39], s[12:13]
	s_cbranch_execz .LBB305_180
.LBB305_239:
	v_sub_u32_e32 v14, v50, v1
	v_mov_b32_e32 v15, 0
	v_lshl_add_u64 v[16:17], v[14:15], 3, v[10:11]
	v_mov_b32_e32 v14, v51
	global_store_dwordx2 v[16:17], v[14:15], off
	s_or_b64 exec, exec, s[38:39]
	s_and_saveexec_b64 s[38:39], s[10:11]
	s_cbranch_execz .LBB305_181
.LBB305_240:
	v_sub_u32_e32 v14, v48, v1
	v_mov_b32_e32 v15, 0
	v_lshl_add_u64 v[16:17], v[14:15], 3, v[10:11]
	v_mov_b32_e32 v14, v49
	global_store_dwordx2 v[16:17], v[14:15], off
	s_or_b64 exec, exec, s[38:39]
	s_and_saveexec_b64 s[38:39], s[8:9]
	s_cbranch_execz .LBB305_182
.LBB305_241:
	v_sub_u32_e32 v14, v44, v1
	v_mov_b32_e32 v15, 0
	v_lshl_add_u64 v[16:17], v[14:15], 3, v[10:11]
	v_mov_b32_e32 v14, v45
	global_store_dwordx2 v[16:17], v[14:15], off
	s_or_b64 exec, exec, s[38:39]
	s_and_saveexec_b64 s[38:39], s[6:7]
	s_cbranch_execz .LBB305_183
.LBB305_242:
	v_sub_u32_e32 v14, v42, v1
	v_mov_b32_e32 v15, 0
	v_lshl_add_u64 v[16:17], v[14:15], 3, v[10:11]
	v_mov_b32_e32 v14, v43
	global_store_dwordx2 v[16:17], v[14:15], off
	s_or_b64 exec, exec, s[38:39]
	s_and_saveexec_b64 s[38:39], s[4:5]
	s_cbranch_execz .LBB305_184
.LBB305_243:
	v_sub_u32_e32 v14, v40, v1
	v_mov_b32_e32 v15, 0
	v_lshl_add_u64 v[16:17], v[14:15], 3, v[10:11]
	v_mov_b32_e32 v14, v41
	global_store_dwordx2 v[16:17], v[14:15], off
	s_or_b64 exec, exec, s[38:39]
	s_and_saveexec_b64 s[38:39], s[2:3]
	s_cbranch_execnz .LBB305_185
	s_branch .LBB305_186
.LBB305_244:
	v_sub_u32_e32 v10, v66, v1
	v_lshlrev_b32_e32 v10, 2, v10
	ds_write_b32 v10, v67
	s_or_b64 exec, exec, s[38:39]
	s_and_saveexec_b64 s[28:29], s[26:27]
	s_cbranch_execz .LBB305_190
.LBB305_245:
	v_sub_u32_e32 v10, v64, v1
	v_lshlrev_b32_e32 v10, 2, v10
	ds_write_b32 v10, v65
	s_or_b64 exec, exec, s[28:29]
	s_and_saveexec_b64 s[26:27], s[24:25]
	s_cbranch_execz .LBB305_191
.LBB305_246:
	v_sub_u32_e32 v10, v62, v1
	v_lshlrev_b32_e32 v10, 2, v10
	ds_write_b32 v10, v63
	s_or_b64 exec, exec, s[26:27]
	s_and_saveexec_b64 s[24:25], s[22:23]
	s_cbranch_execz .LBB305_192
.LBB305_247:
	v_sub_u32_e32 v10, v60, v1
	v_lshlrev_b32_e32 v10, 2, v10
	ds_write_b32 v10, v61
	s_or_b64 exec, exec, s[24:25]
	s_and_saveexec_b64 s[22:23], s[20:21]
	s_cbranch_execz .LBB305_193
.LBB305_248:
	v_sub_u32_e32 v10, v58, v1
	v_lshlrev_b32_e32 v10, 2, v10
	ds_write_b32 v10, v59
	s_or_b64 exec, exec, s[22:23]
	s_and_saveexec_b64 s[20:21], s[18:19]
	s_cbranch_execz .LBB305_194
.LBB305_249:
	v_sub_u32_e32 v10, v56, v1
	v_lshlrev_b32_e32 v10, 2, v10
	ds_write_b32 v10, v57
	s_or_b64 exec, exec, s[20:21]
	s_and_saveexec_b64 s[18:19], s[16:17]
	s_cbranch_execz .LBB305_195
.LBB305_250:
	v_sub_u32_e32 v10, v54, v1
	v_lshlrev_b32_e32 v10, 2, v10
	ds_write_b32 v10, v55
	s_or_b64 exec, exec, s[18:19]
	s_and_saveexec_b64 s[16:17], s[14:15]
	s_cbranch_execz .LBB305_196
.LBB305_251:
	v_sub_u32_e32 v10, v52, v1
	v_lshlrev_b32_e32 v10, 2, v10
	ds_write_b32 v10, v53
	s_or_b64 exec, exec, s[16:17]
	s_and_saveexec_b64 s[14:15], s[12:13]
	s_cbranch_execz .LBB305_197
.LBB305_252:
	v_sub_u32_e32 v10, v50, v1
	v_lshlrev_b32_e32 v10, 2, v10
	ds_write_b32 v10, v51
	s_or_b64 exec, exec, s[14:15]
	s_and_saveexec_b64 s[12:13], s[10:11]
	s_cbranch_execz .LBB305_198
.LBB305_253:
	v_sub_u32_e32 v10, v48, v1
	v_lshlrev_b32_e32 v10, 2, v10
	ds_write_b32 v10, v49
	s_or_b64 exec, exec, s[12:13]
	s_and_saveexec_b64 s[10:11], s[8:9]
	s_cbranch_execz .LBB305_199
.LBB305_254:
	v_sub_u32_e32 v10, v44, v1
	v_lshlrev_b32_e32 v10, 2, v10
	ds_write_b32 v10, v45
	s_or_b64 exec, exec, s[10:11]
	s_and_saveexec_b64 s[8:9], s[6:7]
	s_cbranch_execz .LBB305_200
.LBB305_255:
	v_sub_u32_e32 v10, v42, v1
	v_lshlrev_b32_e32 v10, 2, v10
	ds_write_b32 v10, v43
	s_or_b64 exec, exec, s[8:9]
	s_and_saveexec_b64 s[6:7], s[4:5]
	s_cbranch_execz .LBB305_201
.LBB305_256:
	v_sub_u32_e32 v10, v40, v1
	v_lshlrev_b32_e32 v10, 2, v10
	ds_write_b32 v10, v41
	s_or_b64 exec, exec, s[6:7]
	s_and_saveexec_b64 s[4:5], s[2:3]
	s_cbranch_execnz .LBB305_202
	s_branch .LBB305_203
	.section	.rodata,"a",@progbits
	.p2align	6, 0x0
	.amdhsa_kernel _ZN7rocprim17ROCPRIM_400000_NS6detail17trampoline_kernelINS0_14default_configENS1_33run_length_encode_config_selectorIdjNS0_4plusIjEEEEZZNS1_33reduce_by_key_impl_wrapped_configILNS1_25lookback_scan_determinismE0ES3_S7_PKdNS0_17constant_iteratorIjlEEPdPlSF_S6_NS0_8equal_toIdEEEE10hipError_tPvRmT2_T3_mT4_T5_T6_T7_T8_P12ihipStream_tbENKUlT_T0_E_clISt17integral_constantIbLb0EESZ_EEDaSU_SV_EUlSU_E_NS1_11comp_targetILNS1_3genE5ELNS1_11target_archE942ELNS1_3gpuE9ELNS1_3repE0EEENS1_30default_config_static_selectorELNS0_4arch9wavefront6targetE1EEEvT1_
		.amdhsa_group_segment_fixed_size 61440
		.amdhsa_private_segment_fixed_size 0
		.amdhsa_kernarg_size 128
		.amdhsa_user_sgpr_count 2
		.amdhsa_user_sgpr_dispatch_ptr 0
		.amdhsa_user_sgpr_queue_ptr 0
		.amdhsa_user_sgpr_kernarg_segment_ptr 1
		.amdhsa_user_sgpr_dispatch_id 0
		.amdhsa_user_sgpr_kernarg_preload_length 0
		.amdhsa_user_sgpr_kernarg_preload_offset 0
		.amdhsa_user_sgpr_private_segment_size 0
		.amdhsa_uses_dynamic_stack 0
		.amdhsa_enable_private_segment 0
		.amdhsa_system_sgpr_workgroup_id_x 1
		.amdhsa_system_sgpr_workgroup_id_y 0
		.amdhsa_system_sgpr_workgroup_id_z 0
		.amdhsa_system_sgpr_workgroup_info 0
		.amdhsa_system_vgpr_workitem_id 0
		.amdhsa_next_free_vgpr 90
		.amdhsa_next_free_sgpr 64
		.amdhsa_accum_offset 92
		.amdhsa_reserve_vcc 1
		.amdhsa_float_round_mode_32 0
		.amdhsa_float_round_mode_16_64 0
		.amdhsa_float_denorm_mode_32 3
		.amdhsa_float_denorm_mode_16_64 3
		.amdhsa_dx10_clamp 1
		.amdhsa_ieee_mode 1
		.amdhsa_fp16_overflow 0
		.amdhsa_tg_split 0
		.amdhsa_exception_fp_ieee_invalid_op 0
		.amdhsa_exception_fp_denorm_src 0
		.amdhsa_exception_fp_ieee_div_zero 0
		.amdhsa_exception_fp_ieee_overflow 0
		.amdhsa_exception_fp_ieee_underflow 0
		.amdhsa_exception_fp_ieee_inexact 0
		.amdhsa_exception_int_div_zero 0
	.end_amdhsa_kernel
	.section	.text._ZN7rocprim17ROCPRIM_400000_NS6detail17trampoline_kernelINS0_14default_configENS1_33run_length_encode_config_selectorIdjNS0_4plusIjEEEEZZNS1_33reduce_by_key_impl_wrapped_configILNS1_25lookback_scan_determinismE0ES3_S7_PKdNS0_17constant_iteratorIjlEEPdPlSF_S6_NS0_8equal_toIdEEEE10hipError_tPvRmT2_T3_mT4_T5_T6_T7_T8_P12ihipStream_tbENKUlT_T0_E_clISt17integral_constantIbLb0EESZ_EEDaSU_SV_EUlSU_E_NS1_11comp_targetILNS1_3genE5ELNS1_11target_archE942ELNS1_3gpuE9ELNS1_3repE0EEENS1_30default_config_static_selectorELNS0_4arch9wavefront6targetE1EEEvT1_,"axG",@progbits,_ZN7rocprim17ROCPRIM_400000_NS6detail17trampoline_kernelINS0_14default_configENS1_33run_length_encode_config_selectorIdjNS0_4plusIjEEEEZZNS1_33reduce_by_key_impl_wrapped_configILNS1_25lookback_scan_determinismE0ES3_S7_PKdNS0_17constant_iteratorIjlEEPdPlSF_S6_NS0_8equal_toIdEEEE10hipError_tPvRmT2_T3_mT4_T5_T6_T7_T8_P12ihipStream_tbENKUlT_T0_E_clISt17integral_constantIbLb0EESZ_EEDaSU_SV_EUlSU_E_NS1_11comp_targetILNS1_3genE5ELNS1_11target_archE942ELNS1_3gpuE9ELNS1_3repE0EEENS1_30default_config_static_selectorELNS0_4arch9wavefront6targetE1EEEvT1_,comdat
.Lfunc_end305:
	.size	_ZN7rocprim17ROCPRIM_400000_NS6detail17trampoline_kernelINS0_14default_configENS1_33run_length_encode_config_selectorIdjNS0_4plusIjEEEEZZNS1_33reduce_by_key_impl_wrapped_configILNS1_25lookback_scan_determinismE0ES3_S7_PKdNS0_17constant_iteratorIjlEEPdPlSF_S6_NS0_8equal_toIdEEEE10hipError_tPvRmT2_T3_mT4_T5_T6_T7_T8_P12ihipStream_tbENKUlT_T0_E_clISt17integral_constantIbLb0EESZ_EEDaSU_SV_EUlSU_E_NS1_11comp_targetILNS1_3genE5ELNS1_11target_archE942ELNS1_3gpuE9ELNS1_3repE0EEENS1_30default_config_static_selectorELNS0_4arch9wavefront6targetE1EEEvT1_, .Lfunc_end305-_ZN7rocprim17ROCPRIM_400000_NS6detail17trampoline_kernelINS0_14default_configENS1_33run_length_encode_config_selectorIdjNS0_4plusIjEEEEZZNS1_33reduce_by_key_impl_wrapped_configILNS1_25lookback_scan_determinismE0ES3_S7_PKdNS0_17constant_iteratorIjlEEPdPlSF_S6_NS0_8equal_toIdEEEE10hipError_tPvRmT2_T3_mT4_T5_T6_T7_T8_P12ihipStream_tbENKUlT_T0_E_clISt17integral_constantIbLb0EESZ_EEDaSU_SV_EUlSU_E_NS1_11comp_targetILNS1_3genE5ELNS1_11target_archE942ELNS1_3gpuE9ELNS1_3repE0EEENS1_30default_config_static_selectorELNS0_4arch9wavefront6targetE1EEEvT1_
                                        ; -- End function
	.section	.AMDGPU.csdata,"",@progbits
; Kernel info:
; codeLenInByte = 14024
; NumSgprs: 70
; NumVgprs: 90
; NumAgprs: 0
; TotalNumVgprs: 90
; ScratchSize: 0
; MemoryBound: 0
; FloatMode: 240
; IeeeMode: 1
; LDSByteSize: 61440 bytes/workgroup (compile time only)
; SGPRBlocks: 8
; VGPRBlocks: 11
; NumSGPRsForWavesPerEU: 70
; NumVGPRsForWavesPerEU: 90
; AccumOffset: 92
; Occupancy: 2
; WaveLimiterHint : 1
; COMPUTE_PGM_RSRC2:SCRATCH_EN: 0
; COMPUTE_PGM_RSRC2:USER_SGPR: 2
; COMPUTE_PGM_RSRC2:TRAP_HANDLER: 0
; COMPUTE_PGM_RSRC2:TGID_X_EN: 1
; COMPUTE_PGM_RSRC2:TGID_Y_EN: 0
; COMPUTE_PGM_RSRC2:TGID_Z_EN: 0
; COMPUTE_PGM_RSRC2:TIDIG_COMP_CNT: 0
; COMPUTE_PGM_RSRC3_GFX90A:ACCUM_OFFSET: 22
; COMPUTE_PGM_RSRC3_GFX90A:TG_SPLIT: 0
	.section	.text._ZN7rocprim17ROCPRIM_400000_NS6detail17trampoline_kernelINS0_14default_configENS1_33run_length_encode_config_selectorIdjNS0_4plusIjEEEEZZNS1_33reduce_by_key_impl_wrapped_configILNS1_25lookback_scan_determinismE0ES3_S7_PKdNS0_17constant_iteratorIjlEEPdPlSF_S6_NS0_8equal_toIdEEEE10hipError_tPvRmT2_T3_mT4_T5_T6_T7_T8_P12ihipStream_tbENKUlT_T0_E_clISt17integral_constantIbLb0EESZ_EEDaSU_SV_EUlSU_E_NS1_11comp_targetILNS1_3genE4ELNS1_11target_archE910ELNS1_3gpuE8ELNS1_3repE0EEENS1_30default_config_static_selectorELNS0_4arch9wavefront6targetE1EEEvT1_,"axG",@progbits,_ZN7rocprim17ROCPRIM_400000_NS6detail17trampoline_kernelINS0_14default_configENS1_33run_length_encode_config_selectorIdjNS0_4plusIjEEEEZZNS1_33reduce_by_key_impl_wrapped_configILNS1_25lookback_scan_determinismE0ES3_S7_PKdNS0_17constant_iteratorIjlEEPdPlSF_S6_NS0_8equal_toIdEEEE10hipError_tPvRmT2_T3_mT4_T5_T6_T7_T8_P12ihipStream_tbENKUlT_T0_E_clISt17integral_constantIbLb0EESZ_EEDaSU_SV_EUlSU_E_NS1_11comp_targetILNS1_3genE4ELNS1_11target_archE910ELNS1_3gpuE8ELNS1_3repE0EEENS1_30default_config_static_selectorELNS0_4arch9wavefront6targetE1EEEvT1_,comdat
	.protected	_ZN7rocprim17ROCPRIM_400000_NS6detail17trampoline_kernelINS0_14default_configENS1_33run_length_encode_config_selectorIdjNS0_4plusIjEEEEZZNS1_33reduce_by_key_impl_wrapped_configILNS1_25lookback_scan_determinismE0ES3_S7_PKdNS0_17constant_iteratorIjlEEPdPlSF_S6_NS0_8equal_toIdEEEE10hipError_tPvRmT2_T3_mT4_T5_T6_T7_T8_P12ihipStream_tbENKUlT_T0_E_clISt17integral_constantIbLb0EESZ_EEDaSU_SV_EUlSU_E_NS1_11comp_targetILNS1_3genE4ELNS1_11target_archE910ELNS1_3gpuE8ELNS1_3repE0EEENS1_30default_config_static_selectorELNS0_4arch9wavefront6targetE1EEEvT1_ ; -- Begin function _ZN7rocprim17ROCPRIM_400000_NS6detail17trampoline_kernelINS0_14default_configENS1_33run_length_encode_config_selectorIdjNS0_4plusIjEEEEZZNS1_33reduce_by_key_impl_wrapped_configILNS1_25lookback_scan_determinismE0ES3_S7_PKdNS0_17constant_iteratorIjlEEPdPlSF_S6_NS0_8equal_toIdEEEE10hipError_tPvRmT2_T3_mT4_T5_T6_T7_T8_P12ihipStream_tbENKUlT_T0_E_clISt17integral_constantIbLb0EESZ_EEDaSU_SV_EUlSU_E_NS1_11comp_targetILNS1_3genE4ELNS1_11target_archE910ELNS1_3gpuE8ELNS1_3repE0EEENS1_30default_config_static_selectorELNS0_4arch9wavefront6targetE1EEEvT1_
	.globl	_ZN7rocprim17ROCPRIM_400000_NS6detail17trampoline_kernelINS0_14default_configENS1_33run_length_encode_config_selectorIdjNS0_4plusIjEEEEZZNS1_33reduce_by_key_impl_wrapped_configILNS1_25lookback_scan_determinismE0ES3_S7_PKdNS0_17constant_iteratorIjlEEPdPlSF_S6_NS0_8equal_toIdEEEE10hipError_tPvRmT2_T3_mT4_T5_T6_T7_T8_P12ihipStream_tbENKUlT_T0_E_clISt17integral_constantIbLb0EESZ_EEDaSU_SV_EUlSU_E_NS1_11comp_targetILNS1_3genE4ELNS1_11target_archE910ELNS1_3gpuE8ELNS1_3repE0EEENS1_30default_config_static_selectorELNS0_4arch9wavefront6targetE1EEEvT1_
	.p2align	8
	.type	_ZN7rocprim17ROCPRIM_400000_NS6detail17trampoline_kernelINS0_14default_configENS1_33run_length_encode_config_selectorIdjNS0_4plusIjEEEEZZNS1_33reduce_by_key_impl_wrapped_configILNS1_25lookback_scan_determinismE0ES3_S7_PKdNS0_17constant_iteratorIjlEEPdPlSF_S6_NS0_8equal_toIdEEEE10hipError_tPvRmT2_T3_mT4_T5_T6_T7_T8_P12ihipStream_tbENKUlT_T0_E_clISt17integral_constantIbLb0EESZ_EEDaSU_SV_EUlSU_E_NS1_11comp_targetILNS1_3genE4ELNS1_11target_archE910ELNS1_3gpuE8ELNS1_3repE0EEENS1_30default_config_static_selectorELNS0_4arch9wavefront6targetE1EEEvT1_,@function
_ZN7rocprim17ROCPRIM_400000_NS6detail17trampoline_kernelINS0_14default_configENS1_33run_length_encode_config_selectorIdjNS0_4plusIjEEEEZZNS1_33reduce_by_key_impl_wrapped_configILNS1_25lookback_scan_determinismE0ES3_S7_PKdNS0_17constant_iteratorIjlEEPdPlSF_S6_NS0_8equal_toIdEEEE10hipError_tPvRmT2_T3_mT4_T5_T6_T7_T8_P12ihipStream_tbENKUlT_T0_E_clISt17integral_constantIbLb0EESZ_EEDaSU_SV_EUlSU_E_NS1_11comp_targetILNS1_3genE4ELNS1_11target_archE910ELNS1_3gpuE8ELNS1_3repE0EEENS1_30default_config_static_selectorELNS0_4arch9wavefront6targetE1EEEvT1_: ; @_ZN7rocprim17ROCPRIM_400000_NS6detail17trampoline_kernelINS0_14default_configENS1_33run_length_encode_config_selectorIdjNS0_4plusIjEEEEZZNS1_33reduce_by_key_impl_wrapped_configILNS1_25lookback_scan_determinismE0ES3_S7_PKdNS0_17constant_iteratorIjlEEPdPlSF_S6_NS0_8equal_toIdEEEE10hipError_tPvRmT2_T3_mT4_T5_T6_T7_T8_P12ihipStream_tbENKUlT_T0_E_clISt17integral_constantIbLb0EESZ_EEDaSU_SV_EUlSU_E_NS1_11comp_targetILNS1_3genE4ELNS1_11target_archE910ELNS1_3gpuE8ELNS1_3repE0EEENS1_30default_config_static_selectorELNS0_4arch9wavefront6targetE1EEEvT1_
; %bb.0:
	.section	.rodata,"a",@progbits
	.p2align	6, 0x0
	.amdhsa_kernel _ZN7rocprim17ROCPRIM_400000_NS6detail17trampoline_kernelINS0_14default_configENS1_33run_length_encode_config_selectorIdjNS0_4plusIjEEEEZZNS1_33reduce_by_key_impl_wrapped_configILNS1_25lookback_scan_determinismE0ES3_S7_PKdNS0_17constant_iteratorIjlEEPdPlSF_S6_NS0_8equal_toIdEEEE10hipError_tPvRmT2_T3_mT4_T5_T6_T7_T8_P12ihipStream_tbENKUlT_T0_E_clISt17integral_constantIbLb0EESZ_EEDaSU_SV_EUlSU_E_NS1_11comp_targetILNS1_3genE4ELNS1_11target_archE910ELNS1_3gpuE8ELNS1_3repE0EEENS1_30default_config_static_selectorELNS0_4arch9wavefront6targetE1EEEvT1_
		.amdhsa_group_segment_fixed_size 0
		.amdhsa_private_segment_fixed_size 0
		.amdhsa_kernarg_size 128
		.amdhsa_user_sgpr_count 2
		.amdhsa_user_sgpr_dispatch_ptr 0
		.amdhsa_user_sgpr_queue_ptr 0
		.amdhsa_user_sgpr_kernarg_segment_ptr 1
		.amdhsa_user_sgpr_dispatch_id 0
		.amdhsa_user_sgpr_kernarg_preload_length 0
		.amdhsa_user_sgpr_kernarg_preload_offset 0
		.amdhsa_user_sgpr_private_segment_size 0
		.amdhsa_uses_dynamic_stack 0
		.amdhsa_enable_private_segment 0
		.amdhsa_system_sgpr_workgroup_id_x 1
		.amdhsa_system_sgpr_workgroup_id_y 0
		.amdhsa_system_sgpr_workgroup_id_z 0
		.amdhsa_system_sgpr_workgroup_info 0
		.amdhsa_system_vgpr_workitem_id 0
		.amdhsa_next_free_vgpr 1
		.amdhsa_next_free_sgpr 0
		.amdhsa_accum_offset 4
		.amdhsa_reserve_vcc 0
		.amdhsa_float_round_mode_32 0
		.amdhsa_float_round_mode_16_64 0
		.amdhsa_float_denorm_mode_32 3
		.amdhsa_float_denorm_mode_16_64 3
		.amdhsa_dx10_clamp 1
		.amdhsa_ieee_mode 1
		.amdhsa_fp16_overflow 0
		.amdhsa_tg_split 0
		.amdhsa_exception_fp_ieee_invalid_op 0
		.amdhsa_exception_fp_denorm_src 0
		.amdhsa_exception_fp_ieee_div_zero 0
		.amdhsa_exception_fp_ieee_overflow 0
		.amdhsa_exception_fp_ieee_underflow 0
		.amdhsa_exception_fp_ieee_inexact 0
		.amdhsa_exception_int_div_zero 0
	.end_amdhsa_kernel
	.section	.text._ZN7rocprim17ROCPRIM_400000_NS6detail17trampoline_kernelINS0_14default_configENS1_33run_length_encode_config_selectorIdjNS0_4plusIjEEEEZZNS1_33reduce_by_key_impl_wrapped_configILNS1_25lookback_scan_determinismE0ES3_S7_PKdNS0_17constant_iteratorIjlEEPdPlSF_S6_NS0_8equal_toIdEEEE10hipError_tPvRmT2_T3_mT4_T5_T6_T7_T8_P12ihipStream_tbENKUlT_T0_E_clISt17integral_constantIbLb0EESZ_EEDaSU_SV_EUlSU_E_NS1_11comp_targetILNS1_3genE4ELNS1_11target_archE910ELNS1_3gpuE8ELNS1_3repE0EEENS1_30default_config_static_selectorELNS0_4arch9wavefront6targetE1EEEvT1_,"axG",@progbits,_ZN7rocprim17ROCPRIM_400000_NS6detail17trampoline_kernelINS0_14default_configENS1_33run_length_encode_config_selectorIdjNS0_4plusIjEEEEZZNS1_33reduce_by_key_impl_wrapped_configILNS1_25lookback_scan_determinismE0ES3_S7_PKdNS0_17constant_iteratorIjlEEPdPlSF_S6_NS0_8equal_toIdEEEE10hipError_tPvRmT2_T3_mT4_T5_T6_T7_T8_P12ihipStream_tbENKUlT_T0_E_clISt17integral_constantIbLb0EESZ_EEDaSU_SV_EUlSU_E_NS1_11comp_targetILNS1_3genE4ELNS1_11target_archE910ELNS1_3gpuE8ELNS1_3repE0EEENS1_30default_config_static_selectorELNS0_4arch9wavefront6targetE1EEEvT1_,comdat
.Lfunc_end306:
	.size	_ZN7rocprim17ROCPRIM_400000_NS6detail17trampoline_kernelINS0_14default_configENS1_33run_length_encode_config_selectorIdjNS0_4plusIjEEEEZZNS1_33reduce_by_key_impl_wrapped_configILNS1_25lookback_scan_determinismE0ES3_S7_PKdNS0_17constant_iteratorIjlEEPdPlSF_S6_NS0_8equal_toIdEEEE10hipError_tPvRmT2_T3_mT4_T5_T6_T7_T8_P12ihipStream_tbENKUlT_T0_E_clISt17integral_constantIbLb0EESZ_EEDaSU_SV_EUlSU_E_NS1_11comp_targetILNS1_3genE4ELNS1_11target_archE910ELNS1_3gpuE8ELNS1_3repE0EEENS1_30default_config_static_selectorELNS0_4arch9wavefront6targetE1EEEvT1_, .Lfunc_end306-_ZN7rocprim17ROCPRIM_400000_NS6detail17trampoline_kernelINS0_14default_configENS1_33run_length_encode_config_selectorIdjNS0_4plusIjEEEEZZNS1_33reduce_by_key_impl_wrapped_configILNS1_25lookback_scan_determinismE0ES3_S7_PKdNS0_17constant_iteratorIjlEEPdPlSF_S6_NS0_8equal_toIdEEEE10hipError_tPvRmT2_T3_mT4_T5_T6_T7_T8_P12ihipStream_tbENKUlT_T0_E_clISt17integral_constantIbLb0EESZ_EEDaSU_SV_EUlSU_E_NS1_11comp_targetILNS1_3genE4ELNS1_11target_archE910ELNS1_3gpuE8ELNS1_3repE0EEENS1_30default_config_static_selectorELNS0_4arch9wavefront6targetE1EEEvT1_
                                        ; -- End function
	.section	.AMDGPU.csdata,"",@progbits
; Kernel info:
; codeLenInByte = 0
; NumSgprs: 6
; NumVgprs: 0
; NumAgprs: 0
; TotalNumVgprs: 0
; ScratchSize: 0
; MemoryBound: 0
; FloatMode: 240
; IeeeMode: 1
; LDSByteSize: 0 bytes/workgroup (compile time only)
; SGPRBlocks: 0
; VGPRBlocks: 0
; NumSGPRsForWavesPerEU: 6
; NumVGPRsForWavesPerEU: 1
; AccumOffset: 4
; Occupancy: 8
; WaveLimiterHint : 0
; COMPUTE_PGM_RSRC2:SCRATCH_EN: 0
; COMPUTE_PGM_RSRC2:USER_SGPR: 2
; COMPUTE_PGM_RSRC2:TRAP_HANDLER: 0
; COMPUTE_PGM_RSRC2:TGID_X_EN: 1
; COMPUTE_PGM_RSRC2:TGID_Y_EN: 0
; COMPUTE_PGM_RSRC2:TGID_Z_EN: 0
; COMPUTE_PGM_RSRC2:TIDIG_COMP_CNT: 0
; COMPUTE_PGM_RSRC3_GFX90A:ACCUM_OFFSET: 0
; COMPUTE_PGM_RSRC3_GFX90A:TG_SPLIT: 0
	.section	.text._ZN7rocprim17ROCPRIM_400000_NS6detail17trampoline_kernelINS0_14default_configENS1_33run_length_encode_config_selectorIdjNS0_4plusIjEEEEZZNS1_33reduce_by_key_impl_wrapped_configILNS1_25lookback_scan_determinismE0ES3_S7_PKdNS0_17constant_iteratorIjlEEPdPlSF_S6_NS0_8equal_toIdEEEE10hipError_tPvRmT2_T3_mT4_T5_T6_T7_T8_P12ihipStream_tbENKUlT_T0_E_clISt17integral_constantIbLb0EESZ_EEDaSU_SV_EUlSU_E_NS1_11comp_targetILNS1_3genE3ELNS1_11target_archE908ELNS1_3gpuE7ELNS1_3repE0EEENS1_30default_config_static_selectorELNS0_4arch9wavefront6targetE1EEEvT1_,"axG",@progbits,_ZN7rocprim17ROCPRIM_400000_NS6detail17trampoline_kernelINS0_14default_configENS1_33run_length_encode_config_selectorIdjNS0_4plusIjEEEEZZNS1_33reduce_by_key_impl_wrapped_configILNS1_25lookback_scan_determinismE0ES3_S7_PKdNS0_17constant_iteratorIjlEEPdPlSF_S6_NS0_8equal_toIdEEEE10hipError_tPvRmT2_T3_mT4_T5_T6_T7_T8_P12ihipStream_tbENKUlT_T0_E_clISt17integral_constantIbLb0EESZ_EEDaSU_SV_EUlSU_E_NS1_11comp_targetILNS1_3genE3ELNS1_11target_archE908ELNS1_3gpuE7ELNS1_3repE0EEENS1_30default_config_static_selectorELNS0_4arch9wavefront6targetE1EEEvT1_,comdat
	.protected	_ZN7rocprim17ROCPRIM_400000_NS6detail17trampoline_kernelINS0_14default_configENS1_33run_length_encode_config_selectorIdjNS0_4plusIjEEEEZZNS1_33reduce_by_key_impl_wrapped_configILNS1_25lookback_scan_determinismE0ES3_S7_PKdNS0_17constant_iteratorIjlEEPdPlSF_S6_NS0_8equal_toIdEEEE10hipError_tPvRmT2_T3_mT4_T5_T6_T7_T8_P12ihipStream_tbENKUlT_T0_E_clISt17integral_constantIbLb0EESZ_EEDaSU_SV_EUlSU_E_NS1_11comp_targetILNS1_3genE3ELNS1_11target_archE908ELNS1_3gpuE7ELNS1_3repE0EEENS1_30default_config_static_selectorELNS0_4arch9wavefront6targetE1EEEvT1_ ; -- Begin function _ZN7rocprim17ROCPRIM_400000_NS6detail17trampoline_kernelINS0_14default_configENS1_33run_length_encode_config_selectorIdjNS0_4plusIjEEEEZZNS1_33reduce_by_key_impl_wrapped_configILNS1_25lookback_scan_determinismE0ES3_S7_PKdNS0_17constant_iteratorIjlEEPdPlSF_S6_NS0_8equal_toIdEEEE10hipError_tPvRmT2_T3_mT4_T5_T6_T7_T8_P12ihipStream_tbENKUlT_T0_E_clISt17integral_constantIbLb0EESZ_EEDaSU_SV_EUlSU_E_NS1_11comp_targetILNS1_3genE3ELNS1_11target_archE908ELNS1_3gpuE7ELNS1_3repE0EEENS1_30default_config_static_selectorELNS0_4arch9wavefront6targetE1EEEvT1_
	.globl	_ZN7rocprim17ROCPRIM_400000_NS6detail17trampoline_kernelINS0_14default_configENS1_33run_length_encode_config_selectorIdjNS0_4plusIjEEEEZZNS1_33reduce_by_key_impl_wrapped_configILNS1_25lookback_scan_determinismE0ES3_S7_PKdNS0_17constant_iteratorIjlEEPdPlSF_S6_NS0_8equal_toIdEEEE10hipError_tPvRmT2_T3_mT4_T5_T6_T7_T8_P12ihipStream_tbENKUlT_T0_E_clISt17integral_constantIbLb0EESZ_EEDaSU_SV_EUlSU_E_NS1_11comp_targetILNS1_3genE3ELNS1_11target_archE908ELNS1_3gpuE7ELNS1_3repE0EEENS1_30default_config_static_selectorELNS0_4arch9wavefront6targetE1EEEvT1_
	.p2align	8
	.type	_ZN7rocprim17ROCPRIM_400000_NS6detail17trampoline_kernelINS0_14default_configENS1_33run_length_encode_config_selectorIdjNS0_4plusIjEEEEZZNS1_33reduce_by_key_impl_wrapped_configILNS1_25lookback_scan_determinismE0ES3_S7_PKdNS0_17constant_iteratorIjlEEPdPlSF_S6_NS0_8equal_toIdEEEE10hipError_tPvRmT2_T3_mT4_T5_T6_T7_T8_P12ihipStream_tbENKUlT_T0_E_clISt17integral_constantIbLb0EESZ_EEDaSU_SV_EUlSU_E_NS1_11comp_targetILNS1_3genE3ELNS1_11target_archE908ELNS1_3gpuE7ELNS1_3repE0EEENS1_30default_config_static_selectorELNS0_4arch9wavefront6targetE1EEEvT1_,@function
_ZN7rocprim17ROCPRIM_400000_NS6detail17trampoline_kernelINS0_14default_configENS1_33run_length_encode_config_selectorIdjNS0_4plusIjEEEEZZNS1_33reduce_by_key_impl_wrapped_configILNS1_25lookback_scan_determinismE0ES3_S7_PKdNS0_17constant_iteratorIjlEEPdPlSF_S6_NS0_8equal_toIdEEEE10hipError_tPvRmT2_T3_mT4_T5_T6_T7_T8_P12ihipStream_tbENKUlT_T0_E_clISt17integral_constantIbLb0EESZ_EEDaSU_SV_EUlSU_E_NS1_11comp_targetILNS1_3genE3ELNS1_11target_archE908ELNS1_3gpuE7ELNS1_3repE0EEENS1_30default_config_static_selectorELNS0_4arch9wavefront6targetE1EEEvT1_: ; @_ZN7rocprim17ROCPRIM_400000_NS6detail17trampoline_kernelINS0_14default_configENS1_33run_length_encode_config_selectorIdjNS0_4plusIjEEEEZZNS1_33reduce_by_key_impl_wrapped_configILNS1_25lookback_scan_determinismE0ES3_S7_PKdNS0_17constant_iteratorIjlEEPdPlSF_S6_NS0_8equal_toIdEEEE10hipError_tPvRmT2_T3_mT4_T5_T6_T7_T8_P12ihipStream_tbENKUlT_T0_E_clISt17integral_constantIbLb0EESZ_EEDaSU_SV_EUlSU_E_NS1_11comp_targetILNS1_3genE3ELNS1_11target_archE908ELNS1_3gpuE7ELNS1_3repE0EEENS1_30default_config_static_selectorELNS0_4arch9wavefront6targetE1EEEvT1_
; %bb.0:
	.section	.rodata,"a",@progbits
	.p2align	6, 0x0
	.amdhsa_kernel _ZN7rocprim17ROCPRIM_400000_NS6detail17trampoline_kernelINS0_14default_configENS1_33run_length_encode_config_selectorIdjNS0_4plusIjEEEEZZNS1_33reduce_by_key_impl_wrapped_configILNS1_25lookback_scan_determinismE0ES3_S7_PKdNS0_17constant_iteratorIjlEEPdPlSF_S6_NS0_8equal_toIdEEEE10hipError_tPvRmT2_T3_mT4_T5_T6_T7_T8_P12ihipStream_tbENKUlT_T0_E_clISt17integral_constantIbLb0EESZ_EEDaSU_SV_EUlSU_E_NS1_11comp_targetILNS1_3genE3ELNS1_11target_archE908ELNS1_3gpuE7ELNS1_3repE0EEENS1_30default_config_static_selectorELNS0_4arch9wavefront6targetE1EEEvT1_
		.amdhsa_group_segment_fixed_size 0
		.amdhsa_private_segment_fixed_size 0
		.amdhsa_kernarg_size 128
		.amdhsa_user_sgpr_count 2
		.amdhsa_user_sgpr_dispatch_ptr 0
		.amdhsa_user_sgpr_queue_ptr 0
		.amdhsa_user_sgpr_kernarg_segment_ptr 1
		.amdhsa_user_sgpr_dispatch_id 0
		.amdhsa_user_sgpr_kernarg_preload_length 0
		.amdhsa_user_sgpr_kernarg_preload_offset 0
		.amdhsa_user_sgpr_private_segment_size 0
		.amdhsa_uses_dynamic_stack 0
		.amdhsa_enable_private_segment 0
		.amdhsa_system_sgpr_workgroup_id_x 1
		.amdhsa_system_sgpr_workgroup_id_y 0
		.amdhsa_system_sgpr_workgroup_id_z 0
		.amdhsa_system_sgpr_workgroup_info 0
		.amdhsa_system_vgpr_workitem_id 0
		.amdhsa_next_free_vgpr 1
		.amdhsa_next_free_sgpr 0
		.amdhsa_accum_offset 4
		.amdhsa_reserve_vcc 0
		.amdhsa_float_round_mode_32 0
		.amdhsa_float_round_mode_16_64 0
		.amdhsa_float_denorm_mode_32 3
		.amdhsa_float_denorm_mode_16_64 3
		.amdhsa_dx10_clamp 1
		.amdhsa_ieee_mode 1
		.amdhsa_fp16_overflow 0
		.amdhsa_tg_split 0
		.amdhsa_exception_fp_ieee_invalid_op 0
		.amdhsa_exception_fp_denorm_src 0
		.amdhsa_exception_fp_ieee_div_zero 0
		.amdhsa_exception_fp_ieee_overflow 0
		.amdhsa_exception_fp_ieee_underflow 0
		.amdhsa_exception_fp_ieee_inexact 0
		.amdhsa_exception_int_div_zero 0
	.end_amdhsa_kernel
	.section	.text._ZN7rocprim17ROCPRIM_400000_NS6detail17trampoline_kernelINS0_14default_configENS1_33run_length_encode_config_selectorIdjNS0_4plusIjEEEEZZNS1_33reduce_by_key_impl_wrapped_configILNS1_25lookback_scan_determinismE0ES3_S7_PKdNS0_17constant_iteratorIjlEEPdPlSF_S6_NS0_8equal_toIdEEEE10hipError_tPvRmT2_T3_mT4_T5_T6_T7_T8_P12ihipStream_tbENKUlT_T0_E_clISt17integral_constantIbLb0EESZ_EEDaSU_SV_EUlSU_E_NS1_11comp_targetILNS1_3genE3ELNS1_11target_archE908ELNS1_3gpuE7ELNS1_3repE0EEENS1_30default_config_static_selectorELNS0_4arch9wavefront6targetE1EEEvT1_,"axG",@progbits,_ZN7rocprim17ROCPRIM_400000_NS6detail17trampoline_kernelINS0_14default_configENS1_33run_length_encode_config_selectorIdjNS0_4plusIjEEEEZZNS1_33reduce_by_key_impl_wrapped_configILNS1_25lookback_scan_determinismE0ES3_S7_PKdNS0_17constant_iteratorIjlEEPdPlSF_S6_NS0_8equal_toIdEEEE10hipError_tPvRmT2_T3_mT4_T5_T6_T7_T8_P12ihipStream_tbENKUlT_T0_E_clISt17integral_constantIbLb0EESZ_EEDaSU_SV_EUlSU_E_NS1_11comp_targetILNS1_3genE3ELNS1_11target_archE908ELNS1_3gpuE7ELNS1_3repE0EEENS1_30default_config_static_selectorELNS0_4arch9wavefront6targetE1EEEvT1_,comdat
.Lfunc_end307:
	.size	_ZN7rocprim17ROCPRIM_400000_NS6detail17trampoline_kernelINS0_14default_configENS1_33run_length_encode_config_selectorIdjNS0_4plusIjEEEEZZNS1_33reduce_by_key_impl_wrapped_configILNS1_25lookback_scan_determinismE0ES3_S7_PKdNS0_17constant_iteratorIjlEEPdPlSF_S6_NS0_8equal_toIdEEEE10hipError_tPvRmT2_T3_mT4_T5_T6_T7_T8_P12ihipStream_tbENKUlT_T0_E_clISt17integral_constantIbLb0EESZ_EEDaSU_SV_EUlSU_E_NS1_11comp_targetILNS1_3genE3ELNS1_11target_archE908ELNS1_3gpuE7ELNS1_3repE0EEENS1_30default_config_static_selectorELNS0_4arch9wavefront6targetE1EEEvT1_, .Lfunc_end307-_ZN7rocprim17ROCPRIM_400000_NS6detail17trampoline_kernelINS0_14default_configENS1_33run_length_encode_config_selectorIdjNS0_4plusIjEEEEZZNS1_33reduce_by_key_impl_wrapped_configILNS1_25lookback_scan_determinismE0ES3_S7_PKdNS0_17constant_iteratorIjlEEPdPlSF_S6_NS0_8equal_toIdEEEE10hipError_tPvRmT2_T3_mT4_T5_T6_T7_T8_P12ihipStream_tbENKUlT_T0_E_clISt17integral_constantIbLb0EESZ_EEDaSU_SV_EUlSU_E_NS1_11comp_targetILNS1_3genE3ELNS1_11target_archE908ELNS1_3gpuE7ELNS1_3repE0EEENS1_30default_config_static_selectorELNS0_4arch9wavefront6targetE1EEEvT1_
                                        ; -- End function
	.section	.AMDGPU.csdata,"",@progbits
; Kernel info:
; codeLenInByte = 0
; NumSgprs: 6
; NumVgprs: 0
; NumAgprs: 0
; TotalNumVgprs: 0
; ScratchSize: 0
; MemoryBound: 0
; FloatMode: 240
; IeeeMode: 1
; LDSByteSize: 0 bytes/workgroup (compile time only)
; SGPRBlocks: 0
; VGPRBlocks: 0
; NumSGPRsForWavesPerEU: 6
; NumVGPRsForWavesPerEU: 1
; AccumOffset: 4
; Occupancy: 8
; WaveLimiterHint : 0
; COMPUTE_PGM_RSRC2:SCRATCH_EN: 0
; COMPUTE_PGM_RSRC2:USER_SGPR: 2
; COMPUTE_PGM_RSRC2:TRAP_HANDLER: 0
; COMPUTE_PGM_RSRC2:TGID_X_EN: 1
; COMPUTE_PGM_RSRC2:TGID_Y_EN: 0
; COMPUTE_PGM_RSRC2:TGID_Z_EN: 0
; COMPUTE_PGM_RSRC2:TIDIG_COMP_CNT: 0
; COMPUTE_PGM_RSRC3_GFX90A:ACCUM_OFFSET: 0
; COMPUTE_PGM_RSRC3_GFX90A:TG_SPLIT: 0
	.section	.text._ZN7rocprim17ROCPRIM_400000_NS6detail17trampoline_kernelINS0_14default_configENS1_33run_length_encode_config_selectorIdjNS0_4plusIjEEEEZZNS1_33reduce_by_key_impl_wrapped_configILNS1_25lookback_scan_determinismE0ES3_S7_PKdNS0_17constant_iteratorIjlEEPdPlSF_S6_NS0_8equal_toIdEEEE10hipError_tPvRmT2_T3_mT4_T5_T6_T7_T8_P12ihipStream_tbENKUlT_T0_E_clISt17integral_constantIbLb0EESZ_EEDaSU_SV_EUlSU_E_NS1_11comp_targetILNS1_3genE2ELNS1_11target_archE906ELNS1_3gpuE6ELNS1_3repE0EEENS1_30default_config_static_selectorELNS0_4arch9wavefront6targetE1EEEvT1_,"axG",@progbits,_ZN7rocprim17ROCPRIM_400000_NS6detail17trampoline_kernelINS0_14default_configENS1_33run_length_encode_config_selectorIdjNS0_4plusIjEEEEZZNS1_33reduce_by_key_impl_wrapped_configILNS1_25lookback_scan_determinismE0ES3_S7_PKdNS0_17constant_iteratorIjlEEPdPlSF_S6_NS0_8equal_toIdEEEE10hipError_tPvRmT2_T3_mT4_T5_T6_T7_T8_P12ihipStream_tbENKUlT_T0_E_clISt17integral_constantIbLb0EESZ_EEDaSU_SV_EUlSU_E_NS1_11comp_targetILNS1_3genE2ELNS1_11target_archE906ELNS1_3gpuE6ELNS1_3repE0EEENS1_30default_config_static_selectorELNS0_4arch9wavefront6targetE1EEEvT1_,comdat
	.protected	_ZN7rocprim17ROCPRIM_400000_NS6detail17trampoline_kernelINS0_14default_configENS1_33run_length_encode_config_selectorIdjNS0_4plusIjEEEEZZNS1_33reduce_by_key_impl_wrapped_configILNS1_25lookback_scan_determinismE0ES3_S7_PKdNS0_17constant_iteratorIjlEEPdPlSF_S6_NS0_8equal_toIdEEEE10hipError_tPvRmT2_T3_mT4_T5_T6_T7_T8_P12ihipStream_tbENKUlT_T0_E_clISt17integral_constantIbLb0EESZ_EEDaSU_SV_EUlSU_E_NS1_11comp_targetILNS1_3genE2ELNS1_11target_archE906ELNS1_3gpuE6ELNS1_3repE0EEENS1_30default_config_static_selectorELNS0_4arch9wavefront6targetE1EEEvT1_ ; -- Begin function _ZN7rocprim17ROCPRIM_400000_NS6detail17trampoline_kernelINS0_14default_configENS1_33run_length_encode_config_selectorIdjNS0_4plusIjEEEEZZNS1_33reduce_by_key_impl_wrapped_configILNS1_25lookback_scan_determinismE0ES3_S7_PKdNS0_17constant_iteratorIjlEEPdPlSF_S6_NS0_8equal_toIdEEEE10hipError_tPvRmT2_T3_mT4_T5_T6_T7_T8_P12ihipStream_tbENKUlT_T0_E_clISt17integral_constantIbLb0EESZ_EEDaSU_SV_EUlSU_E_NS1_11comp_targetILNS1_3genE2ELNS1_11target_archE906ELNS1_3gpuE6ELNS1_3repE0EEENS1_30default_config_static_selectorELNS0_4arch9wavefront6targetE1EEEvT1_
	.globl	_ZN7rocprim17ROCPRIM_400000_NS6detail17trampoline_kernelINS0_14default_configENS1_33run_length_encode_config_selectorIdjNS0_4plusIjEEEEZZNS1_33reduce_by_key_impl_wrapped_configILNS1_25lookback_scan_determinismE0ES3_S7_PKdNS0_17constant_iteratorIjlEEPdPlSF_S6_NS0_8equal_toIdEEEE10hipError_tPvRmT2_T3_mT4_T5_T6_T7_T8_P12ihipStream_tbENKUlT_T0_E_clISt17integral_constantIbLb0EESZ_EEDaSU_SV_EUlSU_E_NS1_11comp_targetILNS1_3genE2ELNS1_11target_archE906ELNS1_3gpuE6ELNS1_3repE0EEENS1_30default_config_static_selectorELNS0_4arch9wavefront6targetE1EEEvT1_
	.p2align	8
	.type	_ZN7rocprim17ROCPRIM_400000_NS6detail17trampoline_kernelINS0_14default_configENS1_33run_length_encode_config_selectorIdjNS0_4plusIjEEEEZZNS1_33reduce_by_key_impl_wrapped_configILNS1_25lookback_scan_determinismE0ES3_S7_PKdNS0_17constant_iteratorIjlEEPdPlSF_S6_NS0_8equal_toIdEEEE10hipError_tPvRmT2_T3_mT4_T5_T6_T7_T8_P12ihipStream_tbENKUlT_T0_E_clISt17integral_constantIbLb0EESZ_EEDaSU_SV_EUlSU_E_NS1_11comp_targetILNS1_3genE2ELNS1_11target_archE906ELNS1_3gpuE6ELNS1_3repE0EEENS1_30default_config_static_selectorELNS0_4arch9wavefront6targetE1EEEvT1_,@function
_ZN7rocprim17ROCPRIM_400000_NS6detail17trampoline_kernelINS0_14default_configENS1_33run_length_encode_config_selectorIdjNS0_4plusIjEEEEZZNS1_33reduce_by_key_impl_wrapped_configILNS1_25lookback_scan_determinismE0ES3_S7_PKdNS0_17constant_iteratorIjlEEPdPlSF_S6_NS0_8equal_toIdEEEE10hipError_tPvRmT2_T3_mT4_T5_T6_T7_T8_P12ihipStream_tbENKUlT_T0_E_clISt17integral_constantIbLb0EESZ_EEDaSU_SV_EUlSU_E_NS1_11comp_targetILNS1_3genE2ELNS1_11target_archE906ELNS1_3gpuE6ELNS1_3repE0EEENS1_30default_config_static_selectorELNS0_4arch9wavefront6targetE1EEEvT1_: ; @_ZN7rocprim17ROCPRIM_400000_NS6detail17trampoline_kernelINS0_14default_configENS1_33run_length_encode_config_selectorIdjNS0_4plusIjEEEEZZNS1_33reduce_by_key_impl_wrapped_configILNS1_25lookback_scan_determinismE0ES3_S7_PKdNS0_17constant_iteratorIjlEEPdPlSF_S6_NS0_8equal_toIdEEEE10hipError_tPvRmT2_T3_mT4_T5_T6_T7_T8_P12ihipStream_tbENKUlT_T0_E_clISt17integral_constantIbLb0EESZ_EEDaSU_SV_EUlSU_E_NS1_11comp_targetILNS1_3genE2ELNS1_11target_archE906ELNS1_3gpuE6ELNS1_3repE0EEENS1_30default_config_static_selectorELNS0_4arch9wavefront6targetE1EEEvT1_
; %bb.0:
	.section	.rodata,"a",@progbits
	.p2align	6, 0x0
	.amdhsa_kernel _ZN7rocprim17ROCPRIM_400000_NS6detail17trampoline_kernelINS0_14default_configENS1_33run_length_encode_config_selectorIdjNS0_4plusIjEEEEZZNS1_33reduce_by_key_impl_wrapped_configILNS1_25lookback_scan_determinismE0ES3_S7_PKdNS0_17constant_iteratorIjlEEPdPlSF_S6_NS0_8equal_toIdEEEE10hipError_tPvRmT2_T3_mT4_T5_T6_T7_T8_P12ihipStream_tbENKUlT_T0_E_clISt17integral_constantIbLb0EESZ_EEDaSU_SV_EUlSU_E_NS1_11comp_targetILNS1_3genE2ELNS1_11target_archE906ELNS1_3gpuE6ELNS1_3repE0EEENS1_30default_config_static_selectorELNS0_4arch9wavefront6targetE1EEEvT1_
		.amdhsa_group_segment_fixed_size 0
		.amdhsa_private_segment_fixed_size 0
		.amdhsa_kernarg_size 128
		.amdhsa_user_sgpr_count 2
		.amdhsa_user_sgpr_dispatch_ptr 0
		.amdhsa_user_sgpr_queue_ptr 0
		.amdhsa_user_sgpr_kernarg_segment_ptr 1
		.amdhsa_user_sgpr_dispatch_id 0
		.amdhsa_user_sgpr_kernarg_preload_length 0
		.amdhsa_user_sgpr_kernarg_preload_offset 0
		.amdhsa_user_sgpr_private_segment_size 0
		.amdhsa_uses_dynamic_stack 0
		.amdhsa_enable_private_segment 0
		.amdhsa_system_sgpr_workgroup_id_x 1
		.amdhsa_system_sgpr_workgroup_id_y 0
		.amdhsa_system_sgpr_workgroup_id_z 0
		.amdhsa_system_sgpr_workgroup_info 0
		.amdhsa_system_vgpr_workitem_id 0
		.amdhsa_next_free_vgpr 1
		.amdhsa_next_free_sgpr 0
		.amdhsa_accum_offset 4
		.amdhsa_reserve_vcc 0
		.amdhsa_float_round_mode_32 0
		.amdhsa_float_round_mode_16_64 0
		.amdhsa_float_denorm_mode_32 3
		.amdhsa_float_denorm_mode_16_64 3
		.amdhsa_dx10_clamp 1
		.amdhsa_ieee_mode 1
		.amdhsa_fp16_overflow 0
		.amdhsa_tg_split 0
		.amdhsa_exception_fp_ieee_invalid_op 0
		.amdhsa_exception_fp_denorm_src 0
		.amdhsa_exception_fp_ieee_div_zero 0
		.amdhsa_exception_fp_ieee_overflow 0
		.amdhsa_exception_fp_ieee_underflow 0
		.amdhsa_exception_fp_ieee_inexact 0
		.amdhsa_exception_int_div_zero 0
	.end_amdhsa_kernel
	.section	.text._ZN7rocprim17ROCPRIM_400000_NS6detail17trampoline_kernelINS0_14default_configENS1_33run_length_encode_config_selectorIdjNS0_4plusIjEEEEZZNS1_33reduce_by_key_impl_wrapped_configILNS1_25lookback_scan_determinismE0ES3_S7_PKdNS0_17constant_iteratorIjlEEPdPlSF_S6_NS0_8equal_toIdEEEE10hipError_tPvRmT2_T3_mT4_T5_T6_T7_T8_P12ihipStream_tbENKUlT_T0_E_clISt17integral_constantIbLb0EESZ_EEDaSU_SV_EUlSU_E_NS1_11comp_targetILNS1_3genE2ELNS1_11target_archE906ELNS1_3gpuE6ELNS1_3repE0EEENS1_30default_config_static_selectorELNS0_4arch9wavefront6targetE1EEEvT1_,"axG",@progbits,_ZN7rocprim17ROCPRIM_400000_NS6detail17trampoline_kernelINS0_14default_configENS1_33run_length_encode_config_selectorIdjNS0_4plusIjEEEEZZNS1_33reduce_by_key_impl_wrapped_configILNS1_25lookback_scan_determinismE0ES3_S7_PKdNS0_17constant_iteratorIjlEEPdPlSF_S6_NS0_8equal_toIdEEEE10hipError_tPvRmT2_T3_mT4_T5_T6_T7_T8_P12ihipStream_tbENKUlT_T0_E_clISt17integral_constantIbLb0EESZ_EEDaSU_SV_EUlSU_E_NS1_11comp_targetILNS1_3genE2ELNS1_11target_archE906ELNS1_3gpuE6ELNS1_3repE0EEENS1_30default_config_static_selectorELNS0_4arch9wavefront6targetE1EEEvT1_,comdat
.Lfunc_end308:
	.size	_ZN7rocprim17ROCPRIM_400000_NS6detail17trampoline_kernelINS0_14default_configENS1_33run_length_encode_config_selectorIdjNS0_4plusIjEEEEZZNS1_33reduce_by_key_impl_wrapped_configILNS1_25lookback_scan_determinismE0ES3_S7_PKdNS0_17constant_iteratorIjlEEPdPlSF_S6_NS0_8equal_toIdEEEE10hipError_tPvRmT2_T3_mT4_T5_T6_T7_T8_P12ihipStream_tbENKUlT_T0_E_clISt17integral_constantIbLb0EESZ_EEDaSU_SV_EUlSU_E_NS1_11comp_targetILNS1_3genE2ELNS1_11target_archE906ELNS1_3gpuE6ELNS1_3repE0EEENS1_30default_config_static_selectorELNS0_4arch9wavefront6targetE1EEEvT1_, .Lfunc_end308-_ZN7rocprim17ROCPRIM_400000_NS6detail17trampoline_kernelINS0_14default_configENS1_33run_length_encode_config_selectorIdjNS0_4plusIjEEEEZZNS1_33reduce_by_key_impl_wrapped_configILNS1_25lookback_scan_determinismE0ES3_S7_PKdNS0_17constant_iteratorIjlEEPdPlSF_S6_NS0_8equal_toIdEEEE10hipError_tPvRmT2_T3_mT4_T5_T6_T7_T8_P12ihipStream_tbENKUlT_T0_E_clISt17integral_constantIbLb0EESZ_EEDaSU_SV_EUlSU_E_NS1_11comp_targetILNS1_3genE2ELNS1_11target_archE906ELNS1_3gpuE6ELNS1_3repE0EEENS1_30default_config_static_selectorELNS0_4arch9wavefront6targetE1EEEvT1_
                                        ; -- End function
	.section	.AMDGPU.csdata,"",@progbits
; Kernel info:
; codeLenInByte = 0
; NumSgprs: 6
; NumVgprs: 0
; NumAgprs: 0
; TotalNumVgprs: 0
; ScratchSize: 0
; MemoryBound: 0
; FloatMode: 240
; IeeeMode: 1
; LDSByteSize: 0 bytes/workgroup (compile time only)
; SGPRBlocks: 0
; VGPRBlocks: 0
; NumSGPRsForWavesPerEU: 6
; NumVGPRsForWavesPerEU: 1
; AccumOffset: 4
; Occupancy: 8
; WaveLimiterHint : 0
; COMPUTE_PGM_RSRC2:SCRATCH_EN: 0
; COMPUTE_PGM_RSRC2:USER_SGPR: 2
; COMPUTE_PGM_RSRC2:TRAP_HANDLER: 0
; COMPUTE_PGM_RSRC2:TGID_X_EN: 1
; COMPUTE_PGM_RSRC2:TGID_Y_EN: 0
; COMPUTE_PGM_RSRC2:TGID_Z_EN: 0
; COMPUTE_PGM_RSRC2:TIDIG_COMP_CNT: 0
; COMPUTE_PGM_RSRC3_GFX90A:ACCUM_OFFSET: 0
; COMPUTE_PGM_RSRC3_GFX90A:TG_SPLIT: 0
	.section	.text._ZN7rocprim17ROCPRIM_400000_NS6detail17trampoline_kernelINS0_14default_configENS1_33run_length_encode_config_selectorIdjNS0_4plusIjEEEEZZNS1_33reduce_by_key_impl_wrapped_configILNS1_25lookback_scan_determinismE0ES3_S7_PKdNS0_17constant_iteratorIjlEEPdPlSF_S6_NS0_8equal_toIdEEEE10hipError_tPvRmT2_T3_mT4_T5_T6_T7_T8_P12ihipStream_tbENKUlT_T0_E_clISt17integral_constantIbLb0EESZ_EEDaSU_SV_EUlSU_E_NS1_11comp_targetILNS1_3genE10ELNS1_11target_archE1201ELNS1_3gpuE5ELNS1_3repE0EEENS1_30default_config_static_selectorELNS0_4arch9wavefront6targetE1EEEvT1_,"axG",@progbits,_ZN7rocprim17ROCPRIM_400000_NS6detail17trampoline_kernelINS0_14default_configENS1_33run_length_encode_config_selectorIdjNS0_4plusIjEEEEZZNS1_33reduce_by_key_impl_wrapped_configILNS1_25lookback_scan_determinismE0ES3_S7_PKdNS0_17constant_iteratorIjlEEPdPlSF_S6_NS0_8equal_toIdEEEE10hipError_tPvRmT2_T3_mT4_T5_T6_T7_T8_P12ihipStream_tbENKUlT_T0_E_clISt17integral_constantIbLb0EESZ_EEDaSU_SV_EUlSU_E_NS1_11comp_targetILNS1_3genE10ELNS1_11target_archE1201ELNS1_3gpuE5ELNS1_3repE0EEENS1_30default_config_static_selectorELNS0_4arch9wavefront6targetE1EEEvT1_,comdat
	.protected	_ZN7rocprim17ROCPRIM_400000_NS6detail17trampoline_kernelINS0_14default_configENS1_33run_length_encode_config_selectorIdjNS0_4plusIjEEEEZZNS1_33reduce_by_key_impl_wrapped_configILNS1_25lookback_scan_determinismE0ES3_S7_PKdNS0_17constant_iteratorIjlEEPdPlSF_S6_NS0_8equal_toIdEEEE10hipError_tPvRmT2_T3_mT4_T5_T6_T7_T8_P12ihipStream_tbENKUlT_T0_E_clISt17integral_constantIbLb0EESZ_EEDaSU_SV_EUlSU_E_NS1_11comp_targetILNS1_3genE10ELNS1_11target_archE1201ELNS1_3gpuE5ELNS1_3repE0EEENS1_30default_config_static_selectorELNS0_4arch9wavefront6targetE1EEEvT1_ ; -- Begin function _ZN7rocprim17ROCPRIM_400000_NS6detail17trampoline_kernelINS0_14default_configENS1_33run_length_encode_config_selectorIdjNS0_4plusIjEEEEZZNS1_33reduce_by_key_impl_wrapped_configILNS1_25lookback_scan_determinismE0ES3_S7_PKdNS0_17constant_iteratorIjlEEPdPlSF_S6_NS0_8equal_toIdEEEE10hipError_tPvRmT2_T3_mT4_T5_T6_T7_T8_P12ihipStream_tbENKUlT_T0_E_clISt17integral_constantIbLb0EESZ_EEDaSU_SV_EUlSU_E_NS1_11comp_targetILNS1_3genE10ELNS1_11target_archE1201ELNS1_3gpuE5ELNS1_3repE0EEENS1_30default_config_static_selectorELNS0_4arch9wavefront6targetE1EEEvT1_
	.globl	_ZN7rocprim17ROCPRIM_400000_NS6detail17trampoline_kernelINS0_14default_configENS1_33run_length_encode_config_selectorIdjNS0_4plusIjEEEEZZNS1_33reduce_by_key_impl_wrapped_configILNS1_25lookback_scan_determinismE0ES3_S7_PKdNS0_17constant_iteratorIjlEEPdPlSF_S6_NS0_8equal_toIdEEEE10hipError_tPvRmT2_T3_mT4_T5_T6_T7_T8_P12ihipStream_tbENKUlT_T0_E_clISt17integral_constantIbLb0EESZ_EEDaSU_SV_EUlSU_E_NS1_11comp_targetILNS1_3genE10ELNS1_11target_archE1201ELNS1_3gpuE5ELNS1_3repE0EEENS1_30default_config_static_selectorELNS0_4arch9wavefront6targetE1EEEvT1_
	.p2align	8
	.type	_ZN7rocprim17ROCPRIM_400000_NS6detail17trampoline_kernelINS0_14default_configENS1_33run_length_encode_config_selectorIdjNS0_4plusIjEEEEZZNS1_33reduce_by_key_impl_wrapped_configILNS1_25lookback_scan_determinismE0ES3_S7_PKdNS0_17constant_iteratorIjlEEPdPlSF_S6_NS0_8equal_toIdEEEE10hipError_tPvRmT2_T3_mT4_T5_T6_T7_T8_P12ihipStream_tbENKUlT_T0_E_clISt17integral_constantIbLb0EESZ_EEDaSU_SV_EUlSU_E_NS1_11comp_targetILNS1_3genE10ELNS1_11target_archE1201ELNS1_3gpuE5ELNS1_3repE0EEENS1_30default_config_static_selectorELNS0_4arch9wavefront6targetE1EEEvT1_,@function
_ZN7rocprim17ROCPRIM_400000_NS6detail17trampoline_kernelINS0_14default_configENS1_33run_length_encode_config_selectorIdjNS0_4plusIjEEEEZZNS1_33reduce_by_key_impl_wrapped_configILNS1_25lookback_scan_determinismE0ES3_S7_PKdNS0_17constant_iteratorIjlEEPdPlSF_S6_NS0_8equal_toIdEEEE10hipError_tPvRmT2_T3_mT4_T5_T6_T7_T8_P12ihipStream_tbENKUlT_T0_E_clISt17integral_constantIbLb0EESZ_EEDaSU_SV_EUlSU_E_NS1_11comp_targetILNS1_3genE10ELNS1_11target_archE1201ELNS1_3gpuE5ELNS1_3repE0EEENS1_30default_config_static_selectorELNS0_4arch9wavefront6targetE1EEEvT1_: ; @_ZN7rocprim17ROCPRIM_400000_NS6detail17trampoline_kernelINS0_14default_configENS1_33run_length_encode_config_selectorIdjNS0_4plusIjEEEEZZNS1_33reduce_by_key_impl_wrapped_configILNS1_25lookback_scan_determinismE0ES3_S7_PKdNS0_17constant_iteratorIjlEEPdPlSF_S6_NS0_8equal_toIdEEEE10hipError_tPvRmT2_T3_mT4_T5_T6_T7_T8_P12ihipStream_tbENKUlT_T0_E_clISt17integral_constantIbLb0EESZ_EEDaSU_SV_EUlSU_E_NS1_11comp_targetILNS1_3genE10ELNS1_11target_archE1201ELNS1_3gpuE5ELNS1_3repE0EEENS1_30default_config_static_selectorELNS0_4arch9wavefront6targetE1EEEvT1_
; %bb.0:
	.section	.rodata,"a",@progbits
	.p2align	6, 0x0
	.amdhsa_kernel _ZN7rocprim17ROCPRIM_400000_NS6detail17trampoline_kernelINS0_14default_configENS1_33run_length_encode_config_selectorIdjNS0_4plusIjEEEEZZNS1_33reduce_by_key_impl_wrapped_configILNS1_25lookback_scan_determinismE0ES3_S7_PKdNS0_17constant_iteratorIjlEEPdPlSF_S6_NS0_8equal_toIdEEEE10hipError_tPvRmT2_T3_mT4_T5_T6_T7_T8_P12ihipStream_tbENKUlT_T0_E_clISt17integral_constantIbLb0EESZ_EEDaSU_SV_EUlSU_E_NS1_11comp_targetILNS1_3genE10ELNS1_11target_archE1201ELNS1_3gpuE5ELNS1_3repE0EEENS1_30default_config_static_selectorELNS0_4arch9wavefront6targetE1EEEvT1_
		.amdhsa_group_segment_fixed_size 0
		.amdhsa_private_segment_fixed_size 0
		.amdhsa_kernarg_size 128
		.amdhsa_user_sgpr_count 2
		.amdhsa_user_sgpr_dispatch_ptr 0
		.amdhsa_user_sgpr_queue_ptr 0
		.amdhsa_user_sgpr_kernarg_segment_ptr 1
		.amdhsa_user_sgpr_dispatch_id 0
		.amdhsa_user_sgpr_kernarg_preload_length 0
		.amdhsa_user_sgpr_kernarg_preload_offset 0
		.amdhsa_user_sgpr_private_segment_size 0
		.amdhsa_uses_dynamic_stack 0
		.amdhsa_enable_private_segment 0
		.amdhsa_system_sgpr_workgroup_id_x 1
		.amdhsa_system_sgpr_workgroup_id_y 0
		.amdhsa_system_sgpr_workgroup_id_z 0
		.amdhsa_system_sgpr_workgroup_info 0
		.amdhsa_system_vgpr_workitem_id 0
		.amdhsa_next_free_vgpr 1
		.amdhsa_next_free_sgpr 0
		.amdhsa_accum_offset 4
		.amdhsa_reserve_vcc 0
		.amdhsa_float_round_mode_32 0
		.amdhsa_float_round_mode_16_64 0
		.amdhsa_float_denorm_mode_32 3
		.amdhsa_float_denorm_mode_16_64 3
		.amdhsa_dx10_clamp 1
		.amdhsa_ieee_mode 1
		.amdhsa_fp16_overflow 0
		.amdhsa_tg_split 0
		.amdhsa_exception_fp_ieee_invalid_op 0
		.amdhsa_exception_fp_denorm_src 0
		.amdhsa_exception_fp_ieee_div_zero 0
		.amdhsa_exception_fp_ieee_overflow 0
		.amdhsa_exception_fp_ieee_underflow 0
		.amdhsa_exception_fp_ieee_inexact 0
		.amdhsa_exception_int_div_zero 0
	.end_amdhsa_kernel
	.section	.text._ZN7rocprim17ROCPRIM_400000_NS6detail17trampoline_kernelINS0_14default_configENS1_33run_length_encode_config_selectorIdjNS0_4plusIjEEEEZZNS1_33reduce_by_key_impl_wrapped_configILNS1_25lookback_scan_determinismE0ES3_S7_PKdNS0_17constant_iteratorIjlEEPdPlSF_S6_NS0_8equal_toIdEEEE10hipError_tPvRmT2_T3_mT4_T5_T6_T7_T8_P12ihipStream_tbENKUlT_T0_E_clISt17integral_constantIbLb0EESZ_EEDaSU_SV_EUlSU_E_NS1_11comp_targetILNS1_3genE10ELNS1_11target_archE1201ELNS1_3gpuE5ELNS1_3repE0EEENS1_30default_config_static_selectorELNS0_4arch9wavefront6targetE1EEEvT1_,"axG",@progbits,_ZN7rocprim17ROCPRIM_400000_NS6detail17trampoline_kernelINS0_14default_configENS1_33run_length_encode_config_selectorIdjNS0_4plusIjEEEEZZNS1_33reduce_by_key_impl_wrapped_configILNS1_25lookback_scan_determinismE0ES3_S7_PKdNS0_17constant_iteratorIjlEEPdPlSF_S6_NS0_8equal_toIdEEEE10hipError_tPvRmT2_T3_mT4_T5_T6_T7_T8_P12ihipStream_tbENKUlT_T0_E_clISt17integral_constantIbLb0EESZ_EEDaSU_SV_EUlSU_E_NS1_11comp_targetILNS1_3genE10ELNS1_11target_archE1201ELNS1_3gpuE5ELNS1_3repE0EEENS1_30default_config_static_selectorELNS0_4arch9wavefront6targetE1EEEvT1_,comdat
.Lfunc_end309:
	.size	_ZN7rocprim17ROCPRIM_400000_NS6detail17trampoline_kernelINS0_14default_configENS1_33run_length_encode_config_selectorIdjNS0_4plusIjEEEEZZNS1_33reduce_by_key_impl_wrapped_configILNS1_25lookback_scan_determinismE0ES3_S7_PKdNS0_17constant_iteratorIjlEEPdPlSF_S6_NS0_8equal_toIdEEEE10hipError_tPvRmT2_T3_mT4_T5_T6_T7_T8_P12ihipStream_tbENKUlT_T0_E_clISt17integral_constantIbLb0EESZ_EEDaSU_SV_EUlSU_E_NS1_11comp_targetILNS1_3genE10ELNS1_11target_archE1201ELNS1_3gpuE5ELNS1_3repE0EEENS1_30default_config_static_selectorELNS0_4arch9wavefront6targetE1EEEvT1_, .Lfunc_end309-_ZN7rocprim17ROCPRIM_400000_NS6detail17trampoline_kernelINS0_14default_configENS1_33run_length_encode_config_selectorIdjNS0_4plusIjEEEEZZNS1_33reduce_by_key_impl_wrapped_configILNS1_25lookback_scan_determinismE0ES3_S7_PKdNS0_17constant_iteratorIjlEEPdPlSF_S6_NS0_8equal_toIdEEEE10hipError_tPvRmT2_T3_mT4_T5_T6_T7_T8_P12ihipStream_tbENKUlT_T0_E_clISt17integral_constantIbLb0EESZ_EEDaSU_SV_EUlSU_E_NS1_11comp_targetILNS1_3genE10ELNS1_11target_archE1201ELNS1_3gpuE5ELNS1_3repE0EEENS1_30default_config_static_selectorELNS0_4arch9wavefront6targetE1EEEvT1_
                                        ; -- End function
	.section	.AMDGPU.csdata,"",@progbits
; Kernel info:
; codeLenInByte = 0
; NumSgprs: 6
; NumVgprs: 0
; NumAgprs: 0
; TotalNumVgprs: 0
; ScratchSize: 0
; MemoryBound: 0
; FloatMode: 240
; IeeeMode: 1
; LDSByteSize: 0 bytes/workgroup (compile time only)
; SGPRBlocks: 0
; VGPRBlocks: 0
; NumSGPRsForWavesPerEU: 6
; NumVGPRsForWavesPerEU: 1
; AccumOffset: 4
; Occupancy: 8
; WaveLimiterHint : 0
; COMPUTE_PGM_RSRC2:SCRATCH_EN: 0
; COMPUTE_PGM_RSRC2:USER_SGPR: 2
; COMPUTE_PGM_RSRC2:TRAP_HANDLER: 0
; COMPUTE_PGM_RSRC2:TGID_X_EN: 1
; COMPUTE_PGM_RSRC2:TGID_Y_EN: 0
; COMPUTE_PGM_RSRC2:TGID_Z_EN: 0
; COMPUTE_PGM_RSRC2:TIDIG_COMP_CNT: 0
; COMPUTE_PGM_RSRC3_GFX90A:ACCUM_OFFSET: 0
; COMPUTE_PGM_RSRC3_GFX90A:TG_SPLIT: 0
	.section	.text._ZN7rocprim17ROCPRIM_400000_NS6detail17trampoline_kernelINS0_14default_configENS1_33run_length_encode_config_selectorIdjNS0_4plusIjEEEEZZNS1_33reduce_by_key_impl_wrapped_configILNS1_25lookback_scan_determinismE0ES3_S7_PKdNS0_17constant_iteratorIjlEEPdPlSF_S6_NS0_8equal_toIdEEEE10hipError_tPvRmT2_T3_mT4_T5_T6_T7_T8_P12ihipStream_tbENKUlT_T0_E_clISt17integral_constantIbLb0EESZ_EEDaSU_SV_EUlSU_E_NS1_11comp_targetILNS1_3genE10ELNS1_11target_archE1200ELNS1_3gpuE4ELNS1_3repE0EEENS1_30default_config_static_selectorELNS0_4arch9wavefront6targetE1EEEvT1_,"axG",@progbits,_ZN7rocprim17ROCPRIM_400000_NS6detail17trampoline_kernelINS0_14default_configENS1_33run_length_encode_config_selectorIdjNS0_4plusIjEEEEZZNS1_33reduce_by_key_impl_wrapped_configILNS1_25lookback_scan_determinismE0ES3_S7_PKdNS0_17constant_iteratorIjlEEPdPlSF_S6_NS0_8equal_toIdEEEE10hipError_tPvRmT2_T3_mT4_T5_T6_T7_T8_P12ihipStream_tbENKUlT_T0_E_clISt17integral_constantIbLb0EESZ_EEDaSU_SV_EUlSU_E_NS1_11comp_targetILNS1_3genE10ELNS1_11target_archE1200ELNS1_3gpuE4ELNS1_3repE0EEENS1_30default_config_static_selectorELNS0_4arch9wavefront6targetE1EEEvT1_,comdat
	.protected	_ZN7rocprim17ROCPRIM_400000_NS6detail17trampoline_kernelINS0_14default_configENS1_33run_length_encode_config_selectorIdjNS0_4plusIjEEEEZZNS1_33reduce_by_key_impl_wrapped_configILNS1_25lookback_scan_determinismE0ES3_S7_PKdNS0_17constant_iteratorIjlEEPdPlSF_S6_NS0_8equal_toIdEEEE10hipError_tPvRmT2_T3_mT4_T5_T6_T7_T8_P12ihipStream_tbENKUlT_T0_E_clISt17integral_constantIbLb0EESZ_EEDaSU_SV_EUlSU_E_NS1_11comp_targetILNS1_3genE10ELNS1_11target_archE1200ELNS1_3gpuE4ELNS1_3repE0EEENS1_30default_config_static_selectorELNS0_4arch9wavefront6targetE1EEEvT1_ ; -- Begin function _ZN7rocprim17ROCPRIM_400000_NS6detail17trampoline_kernelINS0_14default_configENS1_33run_length_encode_config_selectorIdjNS0_4plusIjEEEEZZNS1_33reduce_by_key_impl_wrapped_configILNS1_25lookback_scan_determinismE0ES3_S7_PKdNS0_17constant_iteratorIjlEEPdPlSF_S6_NS0_8equal_toIdEEEE10hipError_tPvRmT2_T3_mT4_T5_T6_T7_T8_P12ihipStream_tbENKUlT_T0_E_clISt17integral_constantIbLb0EESZ_EEDaSU_SV_EUlSU_E_NS1_11comp_targetILNS1_3genE10ELNS1_11target_archE1200ELNS1_3gpuE4ELNS1_3repE0EEENS1_30default_config_static_selectorELNS0_4arch9wavefront6targetE1EEEvT1_
	.globl	_ZN7rocprim17ROCPRIM_400000_NS6detail17trampoline_kernelINS0_14default_configENS1_33run_length_encode_config_selectorIdjNS0_4plusIjEEEEZZNS1_33reduce_by_key_impl_wrapped_configILNS1_25lookback_scan_determinismE0ES3_S7_PKdNS0_17constant_iteratorIjlEEPdPlSF_S6_NS0_8equal_toIdEEEE10hipError_tPvRmT2_T3_mT4_T5_T6_T7_T8_P12ihipStream_tbENKUlT_T0_E_clISt17integral_constantIbLb0EESZ_EEDaSU_SV_EUlSU_E_NS1_11comp_targetILNS1_3genE10ELNS1_11target_archE1200ELNS1_3gpuE4ELNS1_3repE0EEENS1_30default_config_static_selectorELNS0_4arch9wavefront6targetE1EEEvT1_
	.p2align	8
	.type	_ZN7rocprim17ROCPRIM_400000_NS6detail17trampoline_kernelINS0_14default_configENS1_33run_length_encode_config_selectorIdjNS0_4plusIjEEEEZZNS1_33reduce_by_key_impl_wrapped_configILNS1_25lookback_scan_determinismE0ES3_S7_PKdNS0_17constant_iteratorIjlEEPdPlSF_S6_NS0_8equal_toIdEEEE10hipError_tPvRmT2_T3_mT4_T5_T6_T7_T8_P12ihipStream_tbENKUlT_T0_E_clISt17integral_constantIbLb0EESZ_EEDaSU_SV_EUlSU_E_NS1_11comp_targetILNS1_3genE10ELNS1_11target_archE1200ELNS1_3gpuE4ELNS1_3repE0EEENS1_30default_config_static_selectorELNS0_4arch9wavefront6targetE1EEEvT1_,@function
_ZN7rocprim17ROCPRIM_400000_NS6detail17trampoline_kernelINS0_14default_configENS1_33run_length_encode_config_selectorIdjNS0_4plusIjEEEEZZNS1_33reduce_by_key_impl_wrapped_configILNS1_25lookback_scan_determinismE0ES3_S7_PKdNS0_17constant_iteratorIjlEEPdPlSF_S6_NS0_8equal_toIdEEEE10hipError_tPvRmT2_T3_mT4_T5_T6_T7_T8_P12ihipStream_tbENKUlT_T0_E_clISt17integral_constantIbLb0EESZ_EEDaSU_SV_EUlSU_E_NS1_11comp_targetILNS1_3genE10ELNS1_11target_archE1200ELNS1_3gpuE4ELNS1_3repE0EEENS1_30default_config_static_selectorELNS0_4arch9wavefront6targetE1EEEvT1_: ; @_ZN7rocprim17ROCPRIM_400000_NS6detail17trampoline_kernelINS0_14default_configENS1_33run_length_encode_config_selectorIdjNS0_4plusIjEEEEZZNS1_33reduce_by_key_impl_wrapped_configILNS1_25lookback_scan_determinismE0ES3_S7_PKdNS0_17constant_iteratorIjlEEPdPlSF_S6_NS0_8equal_toIdEEEE10hipError_tPvRmT2_T3_mT4_T5_T6_T7_T8_P12ihipStream_tbENKUlT_T0_E_clISt17integral_constantIbLb0EESZ_EEDaSU_SV_EUlSU_E_NS1_11comp_targetILNS1_3genE10ELNS1_11target_archE1200ELNS1_3gpuE4ELNS1_3repE0EEENS1_30default_config_static_selectorELNS0_4arch9wavefront6targetE1EEEvT1_
; %bb.0:
	.section	.rodata,"a",@progbits
	.p2align	6, 0x0
	.amdhsa_kernel _ZN7rocprim17ROCPRIM_400000_NS6detail17trampoline_kernelINS0_14default_configENS1_33run_length_encode_config_selectorIdjNS0_4plusIjEEEEZZNS1_33reduce_by_key_impl_wrapped_configILNS1_25lookback_scan_determinismE0ES3_S7_PKdNS0_17constant_iteratorIjlEEPdPlSF_S6_NS0_8equal_toIdEEEE10hipError_tPvRmT2_T3_mT4_T5_T6_T7_T8_P12ihipStream_tbENKUlT_T0_E_clISt17integral_constantIbLb0EESZ_EEDaSU_SV_EUlSU_E_NS1_11comp_targetILNS1_3genE10ELNS1_11target_archE1200ELNS1_3gpuE4ELNS1_3repE0EEENS1_30default_config_static_selectorELNS0_4arch9wavefront6targetE1EEEvT1_
		.amdhsa_group_segment_fixed_size 0
		.amdhsa_private_segment_fixed_size 0
		.amdhsa_kernarg_size 128
		.amdhsa_user_sgpr_count 2
		.amdhsa_user_sgpr_dispatch_ptr 0
		.amdhsa_user_sgpr_queue_ptr 0
		.amdhsa_user_sgpr_kernarg_segment_ptr 1
		.amdhsa_user_sgpr_dispatch_id 0
		.amdhsa_user_sgpr_kernarg_preload_length 0
		.amdhsa_user_sgpr_kernarg_preload_offset 0
		.amdhsa_user_sgpr_private_segment_size 0
		.amdhsa_uses_dynamic_stack 0
		.amdhsa_enable_private_segment 0
		.amdhsa_system_sgpr_workgroup_id_x 1
		.amdhsa_system_sgpr_workgroup_id_y 0
		.amdhsa_system_sgpr_workgroup_id_z 0
		.amdhsa_system_sgpr_workgroup_info 0
		.amdhsa_system_vgpr_workitem_id 0
		.amdhsa_next_free_vgpr 1
		.amdhsa_next_free_sgpr 0
		.amdhsa_accum_offset 4
		.amdhsa_reserve_vcc 0
		.amdhsa_float_round_mode_32 0
		.amdhsa_float_round_mode_16_64 0
		.amdhsa_float_denorm_mode_32 3
		.amdhsa_float_denorm_mode_16_64 3
		.amdhsa_dx10_clamp 1
		.amdhsa_ieee_mode 1
		.amdhsa_fp16_overflow 0
		.amdhsa_tg_split 0
		.amdhsa_exception_fp_ieee_invalid_op 0
		.amdhsa_exception_fp_denorm_src 0
		.amdhsa_exception_fp_ieee_div_zero 0
		.amdhsa_exception_fp_ieee_overflow 0
		.amdhsa_exception_fp_ieee_underflow 0
		.amdhsa_exception_fp_ieee_inexact 0
		.amdhsa_exception_int_div_zero 0
	.end_amdhsa_kernel
	.section	.text._ZN7rocprim17ROCPRIM_400000_NS6detail17trampoline_kernelINS0_14default_configENS1_33run_length_encode_config_selectorIdjNS0_4plusIjEEEEZZNS1_33reduce_by_key_impl_wrapped_configILNS1_25lookback_scan_determinismE0ES3_S7_PKdNS0_17constant_iteratorIjlEEPdPlSF_S6_NS0_8equal_toIdEEEE10hipError_tPvRmT2_T3_mT4_T5_T6_T7_T8_P12ihipStream_tbENKUlT_T0_E_clISt17integral_constantIbLb0EESZ_EEDaSU_SV_EUlSU_E_NS1_11comp_targetILNS1_3genE10ELNS1_11target_archE1200ELNS1_3gpuE4ELNS1_3repE0EEENS1_30default_config_static_selectorELNS0_4arch9wavefront6targetE1EEEvT1_,"axG",@progbits,_ZN7rocprim17ROCPRIM_400000_NS6detail17trampoline_kernelINS0_14default_configENS1_33run_length_encode_config_selectorIdjNS0_4plusIjEEEEZZNS1_33reduce_by_key_impl_wrapped_configILNS1_25lookback_scan_determinismE0ES3_S7_PKdNS0_17constant_iteratorIjlEEPdPlSF_S6_NS0_8equal_toIdEEEE10hipError_tPvRmT2_T3_mT4_T5_T6_T7_T8_P12ihipStream_tbENKUlT_T0_E_clISt17integral_constantIbLb0EESZ_EEDaSU_SV_EUlSU_E_NS1_11comp_targetILNS1_3genE10ELNS1_11target_archE1200ELNS1_3gpuE4ELNS1_3repE0EEENS1_30default_config_static_selectorELNS0_4arch9wavefront6targetE1EEEvT1_,comdat
.Lfunc_end310:
	.size	_ZN7rocprim17ROCPRIM_400000_NS6detail17trampoline_kernelINS0_14default_configENS1_33run_length_encode_config_selectorIdjNS0_4plusIjEEEEZZNS1_33reduce_by_key_impl_wrapped_configILNS1_25lookback_scan_determinismE0ES3_S7_PKdNS0_17constant_iteratorIjlEEPdPlSF_S6_NS0_8equal_toIdEEEE10hipError_tPvRmT2_T3_mT4_T5_T6_T7_T8_P12ihipStream_tbENKUlT_T0_E_clISt17integral_constantIbLb0EESZ_EEDaSU_SV_EUlSU_E_NS1_11comp_targetILNS1_3genE10ELNS1_11target_archE1200ELNS1_3gpuE4ELNS1_3repE0EEENS1_30default_config_static_selectorELNS0_4arch9wavefront6targetE1EEEvT1_, .Lfunc_end310-_ZN7rocprim17ROCPRIM_400000_NS6detail17trampoline_kernelINS0_14default_configENS1_33run_length_encode_config_selectorIdjNS0_4plusIjEEEEZZNS1_33reduce_by_key_impl_wrapped_configILNS1_25lookback_scan_determinismE0ES3_S7_PKdNS0_17constant_iteratorIjlEEPdPlSF_S6_NS0_8equal_toIdEEEE10hipError_tPvRmT2_T3_mT4_T5_T6_T7_T8_P12ihipStream_tbENKUlT_T0_E_clISt17integral_constantIbLb0EESZ_EEDaSU_SV_EUlSU_E_NS1_11comp_targetILNS1_3genE10ELNS1_11target_archE1200ELNS1_3gpuE4ELNS1_3repE0EEENS1_30default_config_static_selectorELNS0_4arch9wavefront6targetE1EEEvT1_
                                        ; -- End function
	.section	.AMDGPU.csdata,"",@progbits
; Kernel info:
; codeLenInByte = 0
; NumSgprs: 6
; NumVgprs: 0
; NumAgprs: 0
; TotalNumVgprs: 0
; ScratchSize: 0
; MemoryBound: 0
; FloatMode: 240
; IeeeMode: 1
; LDSByteSize: 0 bytes/workgroup (compile time only)
; SGPRBlocks: 0
; VGPRBlocks: 0
; NumSGPRsForWavesPerEU: 6
; NumVGPRsForWavesPerEU: 1
; AccumOffset: 4
; Occupancy: 8
; WaveLimiterHint : 0
; COMPUTE_PGM_RSRC2:SCRATCH_EN: 0
; COMPUTE_PGM_RSRC2:USER_SGPR: 2
; COMPUTE_PGM_RSRC2:TRAP_HANDLER: 0
; COMPUTE_PGM_RSRC2:TGID_X_EN: 1
; COMPUTE_PGM_RSRC2:TGID_Y_EN: 0
; COMPUTE_PGM_RSRC2:TGID_Z_EN: 0
; COMPUTE_PGM_RSRC2:TIDIG_COMP_CNT: 0
; COMPUTE_PGM_RSRC3_GFX90A:ACCUM_OFFSET: 0
; COMPUTE_PGM_RSRC3_GFX90A:TG_SPLIT: 0
	.section	.text._ZN7rocprim17ROCPRIM_400000_NS6detail17trampoline_kernelINS0_14default_configENS1_33run_length_encode_config_selectorIdjNS0_4plusIjEEEEZZNS1_33reduce_by_key_impl_wrapped_configILNS1_25lookback_scan_determinismE0ES3_S7_PKdNS0_17constant_iteratorIjlEEPdPlSF_S6_NS0_8equal_toIdEEEE10hipError_tPvRmT2_T3_mT4_T5_T6_T7_T8_P12ihipStream_tbENKUlT_T0_E_clISt17integral_constantIbLb0EESZ_EEDaSU_SV_EUlSU_E_NS1_11comp_targetILNS1_3genE9ELNS1_11target_archE1100ELNS1_3gpuE3ELNS1_3repE0EEENS1_30default_config_static_selectorELNS0_4arch9wavefront6targetE1EEEvT1_,"axG",@progbits,_ZN7rocprim17ROCPRIM_400000_NS6detail17trampoline_kernelINS0_14default_configENS1_33run_length_encode_config_selectorIdjNS0_4plusIjEEEEZZNS1_33reduce_by_key_impl_wrapped_configILNS1_25lookback_scan_determinismE0ES3_S7_PKdNS0_17constant_iteratorIjlEEPdPlSF_S6_NS0_8equal_toIdEEEE10hipError_tPvRmT2_T3_mT4_T5_T6_T7_T8_P12ihipStream_tbENKUlT_T0_E_clISt17integral_constantIbLb0EESZ_EEDaSU_SV_EUlSU_E_NS1_11comp_targetILNS1_3genE9ELNS1_11target_archE1100ELNS1_3gpuE3ELNS1_3repE0EEENS1_30default_config_static_selectorELNS0_4arch9wavefront6targetE1EEEvT1_,comdat
	.protected	_ZN7rocprim17ROCPRIM_400000_NS6detail17trampoline_kernelINS0_14default_configENS1_33run_length_encode_config_selectorIdjNS0_4plusIjEEEEZZNS1_33reduce_by_key_impl_wrapped_configILNS1_25lookback_scan_determinismE0ES3_S7_PKdNS0_17constant_iteratorIjlEEPdPlSF_S6_NS0_8equal_toIdEEEE10hipError_tPvRmT2_T3_mT4_T5_T6_T7_T8_P12ihipStream_tbENKUlT_T0_E_clISt17integral_constantIbLb0EESZ_EEDaSU_SV_EUlSU_E_NS1_11comp_targetILNS1_3genE9ELNS1_11target_archE1100ELNS1_3gpuE3ELNS1_3repE0EEENS1_30default_config_static_selectorELNS0_4arch9wavefront6targetE1EEEvT1_ ; -- Begin function _ZN7rocprim17ROCPRIM_400000_NS6detail17trampoline_kernelINS0_14default_configENS1_33run_length_encode_config_selectorIdjNS0_4plusIjEEEEZZNS1_33reduce_by_key_impl_wrapped_configILNS1_25lookback_scan_determinismE0ES3_S7_PKdNS0_17constant_iteratorIjlEEPdPlSF_S6_NS0_8equal_toIdEEEE10hipError_tPvRmT2_T3_mT4_T5_T6_T7_T8_P12ihipStream_tbENKUlT_T0_E_clISt17integral_constantIbLb0EESZ_EEDaSU_SV_EUlSU_E_NS1_11comp_targetILNS1_3genE9ELNS1_11target_archE1100ELNS1_3gpuE3ELNS1_3repE0EEENS1_30default_config_static_selectorELNS0_4arch9wavefront6targetE1EEEvT1_
	.globl	_ZN7rocprim17ROCPRIM_400000_NS6detail17trampoline_kernelINS0_14default_configENS1_33run_length_encode_config_selectorIdjNS0_4plusIjEEEEZZNS1_33reduce_by_key_impl_wrapped_configILNS1_25lookback_scan_determinismE0ES3_S7_PKdNS0_17constant_iteratorIjlEEPdPlSF_S6_NS0_8equal_toIdEEEE10hipError_tPvRmT2_T3_mT4_T5_T6_T7_T8_P12ihipStream_tbENKUlT_T0_E_clISt17integral_constantIbLb0EESZ_EEDaSU_SV_EUlSU_E_NS1_11comp_targetILNS1_3genE9ELNS1_11target_archE1100ELNS1_3gpuE3ELNS1_3repE0EEENS1_30default_config_static_selectorELNS0_4arch9wavefront6targetE1EEEvT1_
	.p2align	8
	.type	_ZN7rocprim17ROCPRIM_400000_NS6detail17trampoline_kernelINS0_14default_configENS1_33run_length_encode_config_selectorIdjNS0_4plusIjEEEEZZNS1_33reduce_by_key_impl_wrapped_configILNS1_25lookback_scan_determinismE0ES3_S7_PKdNS0_17constant_iteratorIjlEEPdPlSF_S6_NS0_8equal_toIdEEEE10hipError_tPvRmT2_T3_mT4_T5_T6_T7_T8_P12ihipStream_tbENKUlT_T0_E_clISt17integral_constantIbLb0EESZ_EEDaSU_SV_EUlSU_E_NS1_11comp_targetILNS1_3genE9ELNS1_11target_archE1100ELNS1_3gpuE3ELNS1_3repE0EEENS1_30default_config_static_selectorELNS0_4arch9wavefront6targetE1EEEvT1_,@function
_ZN7rocprim17ROCPRIM_400000_NS6detail17trampoline_kernelINS0_14default_configENS1_33run_length_encode_config_selectorIdjNS0_4plusIjEEEEZZNS1_33reduce_by_key_impl_wrapped_configILNS1_25lookback_scan_determinismE0ES3_S7_PKdNS0_17constant_iteratorIjlEEPdPlSF_S6_NS0_8equal_toIdEEEE10hipError_tPvRmT2_T3_mT4_T5_T6_T7_T8_P12ihipStream_tbENKUlT_T0_E_clISt17integral_constantIbLb0EESZ_EEDaSU_SV_EUlSU_E_NS1_11comp_targetILNS1_3genE9ELNS1_11target_archE1100ELNS1_3gpuE3ELNS1_3repE0EEENS1_30default_config_static_selectorELNS0_4arch9wavefront6targetE1EEEvT1_: ; @_ZN7rocprim17ROCPRIM_400000_NS6detail17trampoline_kernelINS0_14default_configENS1_33run_length_encode_config_selectorIdjNS0_4plusIjEEEEZZNS1_33reduce_by_key_impl_wrapped_configILNS1_25lookback_scan_determinismE0ES3_S7_PKdNS0_17constant_iteratorIjlEEPdPlSF_S6_NS0_8equal_toIdEEEE10hipError_tPvRmT2_T3_mT4_T5_T6_T7_T8_P12ihipStream_tbENKUlT_T0_E_clISt17integral_constantIbLb0EESZ_EEDaSU_SV_EUlSU_E_NS1_11comp_targetILNS1_3genE9ELNS1_11target_archE1100ELNS1_3gpuE3ELNS1_3repE0EEENS1_30default_config_static_selectorELNS0_4arch9wavefront6targetE1EEEvT1_
; %bb.0:
	.section	.rodata,"a",@progbits
	.p2align	6, 0x0
	.amdhsa_kernel _ZN7rocprim17ROCPRIM_400000_NS6detail17trampoline_kernelINS0_14default_configENS1_33run_length_encode_config_selectorIdjNS0_4plusIjEEEEZZNS1_33reduce_by_key_impl_wrapped_configILNS1_25lookback_scan_determinismE0ES3_S7_PKdNS0_17constant_iteratorIjlEEPdPlSF_S6_NS0_8equal_toIdEEEE10hipError_tPvRmT2_T3_mT4_T5_T6_T7_T8_P12ihipStream_tbENKUlT_T0_E_clISt17integral_constantIbLb0EESZ_EEDaSU_SV_EUlSU_E_NS1_11comp_targetILNS1_3genE9ELNS1_11target_archE1100ELNS1_3gpuE3ELNS1_3repE0EEENS1_30default_config_static_selectorELNS0_4arch9wavefront6targetE1EEEvT1_
		.amdhsa_group_segment_fixed_size 0
		.amdhsa_private_segment_fixed_size 0
		.amdhsa_kernarg_size 128
		.amdhsa_user_sgpr_count 2
		.amdhsa_user_sgpr_dispatch_ptr 0
		.amdhsa_user_sgpr_queue_ptr 0
		.amdhsa_user_sgpr_kernarg_segment_ptr 1
		.amdhsa_user_sgpr_dispatch_id 0
		.amdhsa_user_sgpr_kernarg_preload_length 0
		.amdhsa_user_sgpr_kernarg_preload_offset 0
		.amdhsa_user_sgpr_private_segment_size 0
		.amdhsa_uses_dynamic_stack 0
		.amdhsa_enable_private_segment 0
		.amdhsa_system_sgpr_workgroup_id_x 1
		.amdhsa_system_sgpr_workgroup_id_y 0
		.amdhsa_system_sgpr_workgroup_id_z 0
		.amdhsa_system_sgpr_workgroup_info 0
		.amdhsa_system_vgpr_workitem_id 0
		.amdhsa_next_free_vgpr 1
		.amdhsa_next_free_sgpr 0
		.amdhsa_accum_offset 4
		.amdhsa_reserve_vcc 0
		.amdhsa_float_round_mode_32 0
		.amdhsa_float_round_mode_16_64 0
		.amdhsa_float_denorm_mode_32 3
		.amdhsa_float_denorm_mode_16_64 3
		.amdhsa_dx10_clamp 1
		.amdhsa_ieee_mode 1
		.amdhsa_fp16_overflow 0
		.amdhsa_tg_split 0
		.amdhsa_exception_fp_ieee_invalid_op 0
		.amdhsa_exception_fp_denorm_src 0
		.amdhsa_exception_fp_ieee_div_zero 0
		.amdhsa_exception_fp_ieee_overflow 0
		.amdhsa_exception_fp_ieee_underflow 0
		.amdhsa_exception_fp_ieee_inexact 0
		.amdhsa_exception_int_div_zero 0
	.end_amdhsa_kernel
	.section	.text._ZN7rocprim17ROCPRIM_400000_NS6detail17trampoline_kernelINS0_14default_configENS1_33run_length_encode_config_selectorIdjNS0_4plusIjEEEEZZNS1_33reduce_by_key_impl_wrapped_configILNS1_25lookback_scan_determinismE0ES3_S7_PKdNS0_17constant_iteratorIjlEEPdPlSF_S6_NS0_8equal_toIdEEEE10hipError_tPvRmT2_T3_mT4_T5_T6_T7_T8_P12ihipStream_tbENKUlT_T0_E_clISt17integral_constantIbLb0EESZ_EEDaSU_SV_EUlSU_E_NS1_11comp_targetILNS1_3genE9ELNS1_11target_archE1100ELNS1_3gpuE3ELNS1_3repE0EEENS1_30default_config_static_selectorELNS0_4arch9wavefront6targetE1EEEvT1_,"axG",@progbits,_ZN7rocprim17ROCPRIM_400000_NS6detail17trampoline_kernelINS0_14default_configENS1_33run_length_encode_config_selectorIdjNS0_4plusIjEEEEZZNS1_33reduce_by_key_impl_wrapped_configILNS1_25lookback_scan_determinismE0ES3_S7_PKdNS0_17constant_iteratorIjlEEPdPlSF_S6_NS0_8equal_toIdEEEE10hipError_tPvRmT2_T3_mT4_T5_T6_T7_T8_P12ihipStream_tbENKUlT_T0_E_clISt17integral_constantIbLb0EESZ_EEDaSU_SV_EUlSU_E_NS1_11comp_targetILNS1_3genE9ELNS1_11target_archE1100ELNS1_3gpuE3ELNS1_3repE0EEENS1_30default_config_static_selectorELNS0_4arch9wavefront6targetE1EEEvT1_,comdat
.Lfunc_end311:
	.size	_ZN7rocprim17ROCPRIM_400000_NS6detail17trampoline_kernelINS0_14default_configENS1_33run_length_encode_config_selectorIdjNS0_4plusIjEEEEZZNS1_33reduce_by_key_impl_wrapped_configILNS1_25lookback_scan_determinismE0ES3_S7_PKdNS0_17constant_iteratorIjlEEPdPlSF_S6_NS0_8equal_toIdEEEE10hipError_tPvRmT2_T3_mT4_T5_T6_T7_T8_P12ihipStream_tbENKUlT_T0_E_clISt17integral_constantIbLb0EESZ_EEDaSU_SV_EUlSU_E_NS1_11comp_targetILNS1_3genE9ELNS1_11target_archE1100ELNS1_3gpuE3ELNS1_3repE0EEENS1_30default_config_static_selectorELNS0_4arch9wavefront6targetE1EEEvT1_, .Lfunc_end311-_ZN7rocprim17ROCPRIM_400000_NS6detail17trampoline_kernelINS0_14default_configENS1_33run_length_encode_config_selectorIdjNS0_4plusIjEEEEZZNS1_33reduce_by_key_impl_wrapped_configILNS1_25lookback_scan_determinismE0ES3_S7_PKdNS0_17constant_iteratorIjlEEPdPlSF_S6_NS0_8equal_toIdEEEE10hipError_tPvRmT2_T3_mT4_T5_T6_T7_T8_P12ihipStream_tbENKUlT_T0_E_clISt17integral_constantIbLb0EESZ_EEDaSU_SV_EUlSU_E_NS1_11comp_targetILNS1_3genE9ELNS1_11target_archE1100ELNS1_3gpuE3ELNS1_3repE0EEENS1_30default_config_static_selectorELNS0_4arch9wavefront6targetE1EEEvT1_
                                        ; -- End function
	.section	.AMDGPU.csdata,"",@progbits
; Kernel info:
; codeLenInByte = 0
; NumSgprs: 6
; NumVgprs: 0
; NumAgprs: 0
; TotalNumVgprs: 0
; ScratchSize: 0
; MemoryBound: 0
; FloatMode: 240
; IeeeMode: 1
; LDSByteSize: 0 bytes/workgroup (compile time only)
; SGPRBlocks: 0
; VGPRBlocks: 0
; NumSGPRsForWavesPerEU: 6
; NumVGPRsForWavesPerEU: 1
; AccumOffset: 4
; Occupancy: 8
; WaveLimiterHint : 0
; COMPUTE_PGM_RSRC2:SCRATCH_EN: 0
; COMPUTE_PGM_RSRC2:USER_SGPR: 2
; COMPUTE_PGM_RSRC2:TRAP_HANDLER: 0
; COMPUTE_PGM_RSRC2:TGID_X_EN: 1
; COMPUTE_PGM_RSRC2:TGID_Y_EN: 0
; COMPUTE_PGM_RSRC2:TGID_Z_EN: 0
; COMPUTE_PGM_RSRC2:TIDIG_COMP_CNT: 0
; COMPUTE_PGM_RSRC3_GFX90A:ACCUM_OFFSET: 0
; COMPUTE_PGM_RSRC3_GFX90A:TG_SPLIT: 0
	.section	.text._ZN7rocprim17ROCPRIM_400000_NS6detail17trampoline_kernelINS0_14default_configENS1_33run_length_encode_config_selectorIdjNS0_4plusIjEEEEZZNS1_33reduce_by_key_impl_wrapped_configILNS1_25lookback_scan_determinismE0ES3_S7_PKdNS0_17constant_iteratorIjlEEPdPlSF_S6_NS0_8equal_toIdEEEE10hipError_tPvRmT2_T3_mT4_T5_T6_T7_T8_P12ihipStream_tbENKUlT_T0_E_clISt17integral_constantIbLb0EESZ_EEDaSU_SV_EUlSU_E_NS1_11comp_targetILNS1_3genE8ELNS1_11target_archE1030ELNS1_3gpuE2ELNS1_3repE0EEENS1_30default_config_static_selectorELNS0_4arch9wavefront6targetE1EEEvT1_,"axG",@progbits,_ZN7rocprim17ROCPRIM_400000_NS6detail17trampoline_kernelINS0_14default_configENS1_33run_length_encode_config_selectorIdjNS0_4plusIjEEEEZZNS1_33reduce_by_key_impl_wrapped_configILNS1_25lookback_scan_determinismE0ES3_S7_PKdNS0_17constant_iteratorIjlEEPdPlSF_S6_NS0_8equal_toIdEEEE10hipError_tPvRmT2_T3_mT4_T5_T6_T7_T8_P12ihipStream_tbENKUlT_T0_E_clISt17integral_constantIbLb0EESZ_EEDaSU_SV_EUlSU_E_NS1_11comp_targetILNS1_3genE8ELNS1_11target_archE1030ELNS1_3gpuE2ELNS1_3repE0EEENS1_30default_config_static_selectorELNS0_4arch9wavefront6targetE1EEEvT1_,comdat
	.protected	_ZN7rocprim17ROCPRIM_400000_NS6detail17trampoline_kernelINS0_14default_configENS1_33run_length_encode_config_selectorIdjNS0_4plusIjEEEEZZNS1_33reduce_by_key_impl_wrapped_configILNS1_25lookback_scan_determinismE0ES3_S7_PKdNS0_17constant_iteratorIjlEEPdPlSF_S6_NS0_8equal_toIdEEEE10hipError_tPvRmT2_T3_mT4_T5_T6_T7_T8_P12ihipStream_tbENKUlT_T0_E_clISt17integral_constantIbLb0EESZ_EEDaSU_SV_EUlSU_E_NS1_11comp_targetILNS1_3genE8ELNS1_11target_archE1030ELNS1_3gpuE2ELNS1_3repE0EEENS1_30default_config_static_selectorELNS0_4arch9wavefront6targetE1EEEvT1_ ; -- Begin function _ZN7rocprim17ROCPRIM_400000_NS6detail17trampoline_kernelINS0_14default_configENS1_33run_length_encode_config_selectorIdjNS0_4plusIjEEEEZZNS1_33reduce_by_key_impl_wrapped_configILNS1_25lookback_scan_determinismE0ES3_S7_PKdNS0_17constant_iteratorIjlEEPdPlSF_S6_NS0_8equal_toIdEEEE10hipError_tPvRmT2_T3_mT4_T5_T6_T7_T8_P12ihipStream_tbENKUlT_T0_E_clISt17integral_constantIbLb0EESZ_EEDaSU_SV_EUlSU_E_NS1_11comp_targetILNS1_3genE8ELNS1_11target_archE1030ELNS1_3gpuE2ELNS1_3repE0EEENS1_30default_config_static_selectorELNS0_4arch9wavefront6targetE1EEEvT1_
	.globl	_ZN7rocprim17ROCPRIM_400000_NS6detail17trampoline_kernelINS0_14default_configENS1_33run_length_encode_config_selectorIdjNS0_4plusIjEEEEZZNS1_33reduce_by_key_impl_wrapped_configILNS1_25lookback_scan_determinismE0ES3_S7_PKdNS0_17constant_iteratorIjlEEPdPlSF_S6_NS0_8equal_toIdEEEE10hipError_tPvRmT2_T3_mT4_T5_T6_T7_T8_P12ihipStream_tbENKUlT_T0_E_clISt17integral_constantIbLb0EESZ_EEDaSU_SV_EUlSU_E_NS1_11comp_targetILNS1_3genE8ELNS1_11target_archE1030ELNS1_3gpuE2ELNS1_3repE0EEENS1_30default_config_static_selectorELNS0_4arch9wavefront6targetE1EEEvT1_
	.p2align	8
	.type	_ZN7rocprim17ROCPRIM_400000_NS6detail17trampoline_kernelINS0_14default_configENS1_33run_length_encode_config_selectorIdjNS0_4plusIjEEEEZZNS1_33reduce_by_key_impl_wrapped_configILNS1_25lookback_scan_determinismE0ES3_S7_PKdNS0_17constant_iteratorIjlEEPdPlSF_S6_NS0_8equal_toIdEEEE10hipError_tPvRmT2_T3_mT4_T5_T6_T7_T8_P12ihipStream_tbENKUlT_T0_E_clISt17integral_constantIbLb0EESZ_EEDaSU_SV_EUlSU_E_NS1_11comp_targetILNS1_3genE8ELNS1_11target_archE1030ELNS1_3gpuE2ELNS1_3repE0EEENS1_30default_config_static_selectorELNS0_4arch9wavefront6targetE1EEEvT1_,@function
_ZN7rocprim17ROCPRIM_400000_NS6detail17trampoline_kernelINS0_14default_configENS1_33run_length_encode_config_selectorIdjNS0_4plusIjEEEEZZNS1_33reduce_by_key_impl_wrapped_configILNS1_25lookback_scan_determinismE0ES3_S7_PKdNS0_17constant_iteratorIjlEEPdPlSF_S6_NS0_8equal_toIdEEEE10hipError_tPvRmT2_T3_mT4_T5_T6_T7_T8_P12ihipStream_tbENKUlT_T0_E_clISt17integral_constantIbLb0EESZ_EEDaSU_SV_EUlSU_E_NS1_11comp_targetILNS1_3genE8ELNS1_11target_archE1030ELNS1_3gpuE2ELNS1_3repE0EEENS1_30default_config_static_selectorELNS0_4arch9wavefront6targetE1EEEvT1_: ; @_ZN7rocprim17ROCPRIM_400000_NS6detail17trampoline_kernelINS0_14default_configENS1_33run_length_encode_config_selectorIdjNS0_4plusIjEEEEZZNS1_33reduce_by_key_impl_wrapped_configILNS1_25lookback_scan_determinismE0ES3_S7_PKdNS0_17constant_iteratorIjlEEPdPlSF_S6_NS0_8equal_toIdEEEE10hipError_tPvRmT2_T3_mT4_T5_T6_T7_T8_P12ihipStream_tbENKUlT_T0_E_clISt17integral_constantIbLb0EESZ_EEDaSU_SV_EUlSU_E_NS1_11comp_targetILNS1_3genE8ELNS1_11target_archE1030ELNS1_3gpuE2ELNS1_3repE0EEENS1_30default_config_static_selectorELNS0_4arch9wavefront6targetE1EEEvT1_
; %bb.0:
	.section	.rodata,"a",@progbits
	.p2align	6, 0x0
	.amdhsa_kernel _ZN7rocprim17ROCPRIM_400000_NS6detail17trampoline_kernelINS0_14default_configENS1_33run_length_encode_config_selectorIdjNS0_4plusIjEEEEZZNS1_33reduce_by_key_impl_wrapped_configILNS1_25lookback_scan_determinismE0ES3_S7_PKdNS0_17constant_iteratorIjlEEPdPlSF_S6_NS0_8equal_toIdEEEE10hipError_tPvRmT2_T3_mT4_T5_T6_T7_T8_P12ihipStream_tbENKUlT_T0_E_clISt17integral_constantIbLb0EESZ_EEDaSU_SV_EUlSU_E_NS1_11comp_targetILNS1_3genE8ELNS1_11target_archE1030ELNS1_3gpuE2ELNS1_3repE0EEENS1_30default_config_static_selectorELNS0_4arch9wavefront6targetE1EEEvT1_
		.amdhsa_group_segment_fixed_size 0
		.amdhsa_private_segment_fixed_size 0
		.amdhsa_kernarg_size 128
		.amdhsa_user_sgpr_count 2
		.amdhsa_user_sgpr_dispatch_ptr 0
		.amdhsa_user_sgpr_queue_ptr 0
		.amdhsa_user_sgpr_kernarg_segment_ptr 1
		.amdhsa_user_sgpr_dispatch_id 0
		.amdhsa_user_sgpr_kernarg_preload_length 0
		.amdhsa_user_sgpr_kernarg_preload_offset 0
		.amdhsa_user_sgpr_private_segment_size 0
		.amdhsa_uses_dynamic_stack 0
		.amdhsa_enable_private_segment 0
		.amdhsa_system_sgpr_workgroup_id_x 1
		.amdhsa_system_sgpr_workgroup_id_y 0
		.amdhsa_system_sgpr_workgroup_id_z 0
		.amdhsa_system_sgpr_workgroup_info 0
		.amdhsa_system_vgpr_workitem_id 0
		.amdhsa_next_free_vgpr 1
		.amdhsa_next_free_sgpr 0
		.amdhsa_accum_offset 4
		.amdhsa_reserve_vcc 0
		.amdhsa_float_round_mode_32 0
		.amdhsa_float_round_mode_16_64 0
		.amdhsa_float_denorm_mode_32 3
		.amdhsa_float_denorm_mode_16_64 3
		.amdhsa_dx10_clamp 1
		.amdhsa_ieee_mode 1
		.amdhsa_fp16_overflow 0
		.amdhsa_tg_split 0
		.amdhsa_exception_fp_ieee_invalid_op 0
		.amdhsa_exception_fp_denorm_src 0
		.amdhsa_exception_fp_ieee_div_zero 0
		.amdhsa_exception_fp_ieee_overflow 0
		.amdhsa_exception_fp_ieee_underflow 0
		.amdhsa_exception_fp_ieee_inexact 0
		.amdhsa_exception_int_div_zero 0
	.end_amdhsa_kernel
	.section	.text._ZN7rocprim17ROCPRIM_400000_NS6detail17trampoline_kernelINS0_14default_configENS1_33run_length_encode_config_selectorIdjNS0_4plusIjEEEEZZNS1_33reduce_by_key_impl_wrapped_configILNS1_25lookback_scan_determinismE0ES3_S7_PKdNS0_17constant_iteratorIjlEEPdPlSF_S6_NS0_8equal_toIdEEEE10hipError_tPvRmT2_T3_mT4_T5_T6_T7_T8_P12ihipStream_tbENKUlT_T0_E_clISt17integral_constantIbLb0EESZ_EEDaSU_SV_EUlSU_E_NS1_11comp_targetILNS1_3genE8ELNS1_11target_archE1030ELNS1_3gpuE2ELNS1_3repE0EEENS1_30default_config_static_selectorELNS0_4arch9wavefront6targetE1EEEvT1_,"axG",@progbits,_ZN7rocprim17ROCPRIM_400000_NS6detail17trampoline_kernelINS0_14default_configENS1_33run_length_encode_config_selectorIdjNS0_4plusIjEEEEZZNS1_33reduce_by_key_impl_wrapped_configILNS1_25lookback_scan_determinismE0ES3_S7_PKdNS0_17constant_iteratorIjlEEPdPlSF_S6_NS0_8equal_toIdEEEE10hipError_tPvRmT2_T3_mT4_T5_T6_T7_T8_P12ihipStream_tbENKUlT_T0_E_clISt17integral_constantIbLb0EESZ_EEDaSU_SV_EUlSU_E_NS1_11comp_targetILNS1_3genE8ELNS1_11target_archE1030ELNS1_3gpuE2ELNS1_3repE0EEENS1_30default_config_static_selectorELNS0_4arch9wavefront6targetE1EEEvT1_,comdat
.Lfunc_end312:
	.size	_ZN7rocprim17ROCPRIM_400000_NS6detail17trampoline_kernelINS0_14default_configENS1_33run_length_encode_config_selectorIdjNS0_4plusIjEEEEZZNS1_33reduce_by_key_impl_wrapped_configILNS1_25lookback_scan_determinismE0ES3_S7_PKdNS0_17constant_iteratorIjlEEPdPlSF_S6_NS0_8equal_toIdEEEE10hipError_tPvRmT2_T3_mT4_T5_T6_T7_T8_P12ihipStream_tbENKUlT_T0_E_clISt17integral_constantIbLb0EESZ_EEDaSU_SV_EUlSU_E_NS1_11comp_targetILNS1_3genE8ELNS1_11target_archE1030ELNS1_3gpuE2ELNS1_3repE0EEENS1_30default_config_static_selectorELNS0_4arch9wavefront6targetE1EEEvT1_, .Lfunc_end312-_ZN7rocprim17ROCPRIM_400000_NS6detail17trampoline_kernelINS0_14default_configENS1_33run_length_encode_config_selectorIdjNS0_4plusIjEEEEZZNS1_33reduce_by_key_impl_wrapped_configILNS1_25lookback_scan_determinismE0ES3_S7_PKdNS0_17constant_iteratorIjlEEPdPlSF_S6_NS0_8equal_toIdEEEE10hipError_tPvRmT2_T3_mT4_T5_T6_T7_T8_P12ihipStream_tbENKUlT_T0_E_clISt17integral_constantIbLb0EESZ_EEDaSU_SV_EUlSU_E_NS1_11comp_targetILNS1_3genE8ELNS1_11target_archE1030ELNS1_3gpuE2ELNS1_3repE0EEENS1_30default_config_static_selectorELNS0_4arch9wavefront6targetE1EEEvT1_
                                        ; -- End function
	.section	.AMDGPU.csdata,"",@progbits
; Kernel info:
; codeLenInByte = 0
; NumSgprs: 6
; NumVgprs: 0
; NumAgprs: 0
; TotalNumVgprs: 0
; ScratchSize: 0
; MemoryBound: 0
; FloatMode: 240
; IeeeMode: 1
; LDSByteSize: 0 bytes/workgroup (compile time only)
; SGPRBlocks: 0
; VGPRBlocks: 0
; NumSGPRsForWavesPerEU: 6
; NumVGPRsForWavesPerEU: 1
; AccumOffset: 4
; Occupancy: 8
; WaveLimiterHint : 0
; COMPUTE_PGM_RSRC2:SCRATCH_EN: 0
; COMPUTE_PGM_RSRC2:USER_SGPR: 2
; COMPUTE_PGM_RSRC2:TRAP_HANDLER: 0
; COMPUTE_PGM_RSRC2:TGID_X_EN: 1
; COMPUTE_PGM_RSRC2:TGID_Y_EN: 0
; COMPUTE_PGM_RSRC2:TGID_Z_EN: 0
; COMPUTE_PGM_RSRC2:TIDIG_COMP_CNT: 0
; COMPUTE_PGM_RSRC3_GFX90A:ACCUM_OFFSET: 0
; COMPUTE_PGM_RSRC3_GFX90A:TG_SPLIT: 0
	.section	.text._ZN7rocprim17ROCPRIM_400000_NS6detail17trampoline_kernelINS0_14default_configENS1_33run_length_encode_config_selectorIdjNS0_4plusIjEEEEZZNS1_33reduce_by_key_impl_wrapped_configILNS1_25lookback_scan_determinismE0ES3_S7_PKdNS0_17constant_iteratorIjlEEPdPlSF_S6_NS0_8equal_toIdEEEE10hipError_tPvRmT2_T3_mT4_T5_T6_T7_T8_P12ihipStream_tbENKUlT_T0_E_clISt17integral_constantIbLb1EESZ_EEDaSU_SV_EUlSU_E_NS1_11comp_targetILNS1_3genE0ELNS1_11target_archE4294967295ELNS1_3gpuE0ELNS1_3repE0EEENS1_30default_config_static_selectorELNS0_4arch9wavefront6targetE1EEEvT1_,"axG",@progbits,_ZN7rocprim17ROCPRIM_400000_NS6detail17trampoline_kernelINS0_14default_configENS1_33run_length_encode_config_selectorIdjNS0_4plusIjEEEEZZNS1_33reduce_by_key_impl_wrapped_configILNS1_25lookback_scan_determinismE0ES3_S7_PKdNS0_17constant_iteratorIjlEEPdPlSF_S6_NS0_8equal_toIdEEEE10hipError_tPvRmT2_T3_mT4_T5_T6_T7_T8_P12ihipStream_tbENKUlT_T0_E_clISt17integral_constantIbLb1EESZ_EEDaSU_SV_EUlSU_E_NS1_11comp_targetILNS1_3genE0ELNS1_11target_archE4294967295ELNS1_3gpuE0ELNS1_3repE0EEENS1_30default_config_static_selectorELNS0_4arch9wavefront6targetE1EEEvT1_,comdat
	.protected	_ZN7rocprim17ROCPRIM_400000_NS6detail17trampoline_kernelINS0_14default_configENS1_33run_length_encode_config_selectorIdjNS0_4plusIjEEEEZZNS1_33reduce_by_key_impl_wrapped_configILNS1_25lookback_scan_determinismE0ES3_S7_PKdNS0_17constant_iteratorIjlEEPdPlSF_S6_NS0_8equal_toIdEEEE10hipError_tPvRmT2_T3_mT4_T5_T6_T7_T8_P12ihipStream_tbENKUlT_T0_E_clISt17integral_constantIbLb1EESZ_EEDaSU_SV_EUlSU_E_NS1_11comp_targetILNS1_3genE0ELNS1_11target_archE4294967295ELNS1_3gpuE0ELNS1_3repE0EEENS1_30default_config_static_selectorELNS0_4arch9wavefront6targetE1EEEvT1_ ; -- Begin function _ZN7rocprim17ROCPRIM_400000_NS6detail17trampoline_kernelINS0_14default_configENS1_33run_length_encode_config_selectorIdjNS0_4plusIjEEEEZZNS1_33reduce_by_key_impl_wrapped_configILNS1_25lookback_scan_determinismE0ES3_S7_PKdNS0_17constant_iteratorIjlEEPdPlSF_S6_NS0_8equal_toIdEEEE10hipError_tPvRmT2_T3_mT4_T5_T6_T7_T8_P12ihipStream_tbENKUlT_T0_E_clISt17integral_constantIbLb1EESZ_EEDaSU_SV_EUlSU_E_NS1_11comp_targetILNS1_3genE0ELNS1_11target_archE4294967295ELNS1_3gpuE0ELNS1_3repE0EEENS1_30default_config_static_selectorELNS0_4arch9wavefront6targetE1EEEvT1_
	.globl	_ZN7rocprim17ROCPRIM_400000_NS6detail17trampoline_kernelINS0_14default_configENS1_33run_length_encode_config_selectorIdjNS0_4plusIjEEEEZZNS1_33reduce_by_key_impl_wrapped_configILNS1_25lookback_scan_determinismE0ES3_S7_PKdNS0_17constant_iteratorIjlEEPdPlSF_S6_NS0_8equal_toIdEEEE10hipError_tPvRmT2_T3_mT4_T5_T6_T7_T8_P12ihipStream_tbENKUlT_T0_E_clISt17integral_constantIbLb1EESZ_EEDaSU_SV_EUlSU_E_NS1_11comp_targetILNS1_3genE0ELNS1_11target_archE4294967295ELNS1_3gpuE0ELNS1_3repE0EEENS1_30default_config_static_selectorELNS0_4arch9wavefront6targetE1EEEvT1_
	.p2align	8
	.type	_ZN7rocprim17ROCPRIM_400000_NS6detail17trampoline_kernelINS0_14default_configENS1_33run_length_encode_config_selectorIdjNS0_4plusIjEEEEZZNS1_33reduce_by_key_impl_wrapped_configILNS1_25lookback_scan_determinismE0ES3_S7_PKdNS0_17constant_iteratorIjlEEPdPlSF_S6_NS0_8equal_toIdEEEE10hipError_tPvRmT2_T3_mT4_T5_T6_T7_T8_P12ihipStream_tbENKUlT_T0_E_clISt17integral_constantIbLb1EESZ_EEDaSU_SV_EUlSU_E_NS1_11comp_targetILNS1_3genE0ELNS1_11target_archE4294967295ELNS1_3gpuE0ELNS1_3repE0EEENS1_30default_config_static_selectorELNS0_4arch9wavefront6targetE1EEEvT1_,@function
_ZN7rocprim17ROCPRIM_400000_NS6detail17trampoline_kernelINS0_14default_configENS1_33run_length_encode_config_selectorIdjNS0_4plusIjEEEEZZNS1_33reduce_by_key_impl_wrapped_configILNS1_25lookback_scan_determinismE0ES3_S7_PKdNS0_17constant_iteratorIjlEEPdPlSF_S6_NS0_8equal_toIdEEEE10hipError_tPvRmT2_T3_mT4_T5_T6_T7_T8_P12ihipStream_tbENKUlT_T0_E_clISt17integral_constantIbLb1EESZ_EEDaSU_SV_EUlSU_E_NS1_11comp_targetILNS1_3genE0ELNS1_11target_archE4294967295ELNS1_3gpuE0ELNS1_3repE0EEENS1_30default_config_static_selectorELNS0_4arch9wavefront6targetE1EEEvT1_: ; @_ZN7rocprim17ROCPRIM_400000_NS6detail17trampoline_kernelINS0_14default_configENS1_33run_length_encode_config_selectorIdjNS0_4plusIjEEEEZZNS1_33reduce_by_key_impl_wrapped_configILNS1_25lookback_scan_determinismE0ES3_S7_PKdNS0_17constant_iteratorIjlEEPdPlSF_S6_NS0_8equal_toIdEEEE10hipError_tPvRmT2_T3_mT4_T5_T6_T7_T8_P12ihipStream_tbENKUlT_T0_E_clISt17integral_constantIbLb1EESZ_EEDaSU_SV_EUlSU_E_NS1_11comp_targetILNS1_3genE0ELNS1_11target_archE4294967295ELNS1_3gpuE0ELNS1_3repE0EEENS1_30default_config_static_selectorELNS0_4arch9wavefront6targetE1EEEvT1_
; %bb.0:
	.section	.rodata,"a",@progbits
	.p2align	6, 0x0
	.amdhsa_kernel _ZN7rocprim17ROCPRIM_400000_NS6detail17trampoline_kernelINS0_14default_configENS1_33run_length_encode_config_selectorIdjNS0_4plusIjEEEEZZNS1_33reduce_by_key_impl_wrapped_configILNS1_25lookback_scan_determinismE0ES3_S7_PKdNS0_17constant_iteratorIjlEEPdPlSF_S6_NS0_8equal_toIdEEEE10hipError_tPvRmT2_T3_mT4_T5_T6_T7_T8_P12ihipStream_tbENKUlT_T0_E_clISt17integral_constantIbLb1EESZ_EEDaSU_SV_EUlSU_E_NS1_11comp_targetILNS1_3genE0ELNS1_11target_archE4294967295ELNS1_3gpuE0ELNS1_3repE0EEENS1_30default_config_static_selectorELNS0_4arch9wavefront6targetE1EEEvT1_
		.amdhsa_group_segment_fixed_size 0
		.amdhsa_private_segment_fixed_size 0
		.amdhsa_kernarg_size 128
		.amdhsa_user_sgpr_count 2
		.amdhsa_user_sgpr_dispatch_ptr 0
		.amdhsa_user_sgpr_queue_ptr 0
		.amdhsa_user_sgpr_kernarg_segment_ptr 1
		.amdhsa_user_sgpr_dispatch_id 0
		.amdhsa_user_sgpr_kernarg_preload_length 0
		.amdhsa_user_sgpr_kernarg_preload_offset 0
		.amdhsa_user_sgpr_private_segment_size 0
		.amdhsa_uses_dynamic_stack 0
		.amdhsa_enable_private_segment 0
		.amdhsa_system_sgpr_workgroup_id_x 1
		.amdhsa_system_sgpr_workgroup_id_y 0
		.amdhsa_system_sgpr_workgroup_id_z 0
		.amdhsa_system_sgpr_workgroup_info 0
		.amdhsa_system_vgpr_workitem_id 0
		.amdhsa_next_free_vgpr 1
		.amdhsa_next_free_sgpr 0
		.amdhsa_accum_offset 4
		.amdhsa_reserve_vcc 0
		.amdhsa_float_round_mode_32 0
		.amdhsa_float_round_mode_16_64 0
		.amdhsa_float_denorm_mode_32 3
		.amdhsa_float_denorm_mode_16_64 3
		.amdhsa_dx10_clamp 1
		.amdhsa_ieee_mode 1
		.amdhsa_fp16_overflow 0
		.amdhsa_tg_split 0
		.amdhsa_exception_fp_ieee_invalid_op 0
		.amdhsa_exception_fp_denorm_src 0
		.amdhsa_exception_fp_ieee_div_zero 0
		.amdhsa_exception_fp_ieee_overflow 0
		.amdhsa_exception_fp_ieee_underflow 0
		.amdhsa_exception_fp_ieee_inexact 0
		.amdhsa_exception_int_div_zero 0
	.end_amdhsa_kernel
	.section	.text._ZN7rocprim17ROCPRIM_400000_NS6detail17trampoline_kernelINS0_14default_configENS1_33run_length_encode_config_selectorIdjNS0_4plusIjEEEEZZNS1_33reduce_by_key_impl_wrapped_configILNS1_25lookback_scan_determinismE0ES3_S7_PKdNS0_17constant_iteratorIjlEEPdPlSF_S6_NS0_8equal_toIdEEEE10hipError_tPvRmT2_T3_mT4_T5_T6_T7_T8_P12ihipStream_tbENKUlT_T0_E_clISt17integral_constantIbLb1EESZ_EEDaSU_SV_EUlSU_E_NS1_11comp_targetILNS1_3genE0ELNS1_11target_archE4294967295ELNS1_3gpuE0ELNS1_3repE0EEENS1_30default_config_static_selectorELNS0_4arch9wavefront6targetE1EEEvT1_,"axG",@progbits,_ZN7rocprim17ROCPRIM_400000_NS6detail17trampoline_kernelINS0_14default_configENS1_33run_length_encode_config_selectorIdjNS0_4plusIjEEEEZZNS1_33reduce_by_key_impl_wrapped_configILNS1_25lookback_scan_determinismE0ES3_S7_PKdNS0_17constant_iteratorIjlEEPdPlSF_S6_NS0_8equal_toIdEEEE10hipError_tPvRmT2_T3_mT4_T5_T6_T7_T8_P12ihipStream_tbENKUlT_T0_E_clISt17integral_constantIbLb1EESZ_EEDaSU_SV_EUlSU_E_NS1_11comp_targetILNS1_3genE0ELNS1_11target_archE4294967295ELNS1_3gpuE0ELNS1_3repE0EEENS1_30default_config_static_selectorELNS0_4arch9wavefront6targetE1EEEvT1_,comdat
.Lfunc_end313:
	.size	_ZN7rocprim17ROCPRIM_400000_NS6detail17trampoline_kernelINS0_14default_configENS1_33run_length_encode_config_selectorIdjNS0_4plusIjEEEEZZNS1_33reduce_by_key_impl_wrapped_configILNS1_25lookback_scan_determinismE0ES3_S7_PKdNS0_17constant_iteratorIjlEEPdPlSF_S6_NS0_8equal_toIdEEEE10hipError_tPvRmT2_T3_mT4_T5_T6_T7_T8_P12ihipStream_tbENKUlT_T0_E_clISt17integral_constantIbLb1EESZ_EEDaSU_SV_EUlSU_E_NS1_11comp_targetILNS1_3genE0ELNS1_11target_archE4294967295ELNS1_3gpuE0ELNS1_3repE0EEENS1_30default_config_static_selectorELNS0_4arch9wavefront6targetE1EEEvT1_, .Lfunc_end313-_ZN7rocprim17ROCPRIM_400000_NS6detail17trampoline_kernelINS0_14default_configENS1_33run_length_encode_config_selectorIdjNS0_4plusIjEEEEZZNS1_33reduce_by_key_impl_wrapped_configILNS1_25lookback_scan_determinismE0ES3_S7_PKdNS0_17constant_iteratorIjlEEPdPlSF_S6_NS0_8equal_toIdEEEE10hipError_tPvRmT2_T3_mT4_T5_T6_T7_T8_P12ihipStream_tbENKUlT_T0_E_clISt17integral_constantIbLb1EESZ_EEDaSU_SV_EUlSU_E_NS1_11comp_targetILNS1_3genE0ELNS1_11target_archE4294967295ELNS1_3gpuE0ELNS1_3repE0EEENS1_30default_config_static_selectorELNS0_4arch9wavefront6targetE1EEEvT1_
                                        ; -- End function
	.section	.AMDGPU.csdata,"",@progbits
; Kernel info:
; codeLenInByte = 0
; NumSgprs: 6
; NumVgprs: 0
; NumAgprs: 0
; TotalNumVgprs: 0
; ScratchSize: 0
; MemoryBound: 0
; FloatMode: 240
; IeeeMode: 1
; LDSByteSize: 0 bytes/workgroup (compile time only)
; SGPRBlocks: 0
; VGPRBlocks: 0
; NumSGPRsForWavesPerEU: 6
; NumVGPRsForWavesPerEU: 1
; AccumOffset: 4
; Occupancy: 8
; WaveLimiterHint : 0
; COMPUTE_PGM_RSRC2:SCRATCH_EN: 0
; COMPUTE_PGM_RSRC2:USER_SGPR: 2
; COMPUTE_PGM_RSRC2:TRAP_HANDLER: 0
; COMPUTE_PGM_RSRC2:TGID_X_EN: 1
; COMPUTE_PGM_RSRC2:TGID_Y_EN: 0
; COMPUTE_PGM_RSRC2:TGID_Z_EN: 0
; COMPUTE_PGM_RSRC2:TIDIG_COMP_CNT: 0
; COMPUTE_PGM_RSRC3_GFX90A:ACCUM_OFFSET: 0
; COMPUTE_PGM_RSRC3_GFX90A:TG_SPLIT: 0
	.section	.text._ZN7rocprim17ROCPRIM_400000_NS6detail17trampoline_kernelINS0_14default_configENS1_33run_length_encode_config_selectorIdjNS0_4plusIjEEEEZZNS1_33reduce_by_key_impl_wrapped_configILNS1_25lookback_scan_determinismE0ES3_S7_PKdNS0_17constant_iteratorIjlEEPdPlSF_S6_NS0_8equal_toIdEEEE10hipError_tPvRmT2_T3_mT4_T5_T6_T7_T8_P12ihipStream_tbENKUlT_T0_E_clISt17integral_constantIbLb1EESZ_EEDaSU_SV_EUlSU_E_NS1_11comp_targetILNS1_3genE5ELNS1_11target_archE942ELNS1_3gpuE9ELNS1_3repE0EEENS1_30default_config_static_selectorELNS0_4arch9wavefront6targetE1EEEvT1_,"axG",@progbits,_ZN7rocprim17ROCPRIM_400000_NS6detail17trampoline_kernelINS0_14default_configENS1_33run_length_encode_config_selectorIdjNS0_4plusIjEEEEZZNS1_33reduce_by_key_impl_wrapped_configILNS1_25lookback_scan_determinismE0ES3_S7_PKdNS0_17constant_iteratorIjlEEPdPlSF_S6_NS0_8equal_toIdEEEE10hipError_tPvRmT2_T3_mT4_T5_T6_T7_T8_P12ihipStream_tbENKUlT_T0_E_clISt17integral_constantIbLb1EESZ_EEDaSU_SV_EUlSU_E_NS1_11comp_targetILNS1_3genE5ELNS1_11target_archE942ELNS1_3gpuE9ELNS1_3repE0EEENS1_30default_config_static_selectorELNS0_4arch9wavefront6targetE1EEEvT1_,comdat
	.protected	_ZN7rocprim17ROCPRIM_400000_NS6detail17trampoline_kernelINS0_14default_configENS1_33run_length_encode_config_selectorIdjNS0_4plusIjEEEEZZNS1_33reduce_by_key_impl_wrapped_configILNS1_25lookback_scan_determinismE0ES3_S7_PKdNS0_17constant_iteratorIjlEEPdPlSF_S6_NS0_8equal_toIdEEEE10hipError_tPvRmT2_T3_mT4_T5_T6_T7_T8_P12ihipStream_tbENKUlT_T0_E_clISt17integral_constantIbLb1EESZ_EEDaSU_SV_EUlSU_E_NS1_11comp_targetILNS1_3genE5ELNS1_11target_archE942ELNS1_3gpuE9ELNS1_3repE0EEENS1_30default_config_static_selectorELNS0_4arch9wavefront6targetE1EEEvT1_ ; -- Begin function _ZN7rocprim17ROCPRIM_400000_NS6detail17trampoline_kernelINS0_14default_configENS1_33run_length_encode_config_selectorIdjNS0_4plusIjEEEEZZNS1_33reduce_by_key_impl_wrapped_configILNS1_25lookback_scan_determinismE0ES3_S7_PKdNS0_17constant_iteratorIjlEEPdPlSF_S6_NS0_8equal_toIdEEEE10hipError_tPvRmT2_T3_mT4_T5_T6_T7_T8_P12ihipStream_tbENKUlT_T0_E_clISt17integral_constantIbLb1EESZ_EEDaSU_SV_EUlSU_E_NS1_11comp_targetILNS1_3genE5ELNS1_11target_archE942ELNS1_3gpuE9ELNS1_3repE0EEENS1_30default_config_static_selectorELNS0_4arch9wavefront6targetE1EEEvT1_
	.globl	_ZN7rocprim17ROCPRIM_400000_NS6detail17trampoline_kernelINS0_14default_configENS1_33run_length_encode_config_selectorIdjNS0_4plusIjEEEEZZNS1_33reduce_by_key_impl_wrapped_configILNS1_25lookback_scan_determinismE0ES3_S7_PKdNS0_17constant_iteratorIjlEEPdPlSF_S6_NS0_8equal_toIdEEEE10hipError_tPvRmT2_T3_mT4_T5_T6_T7_T8_P12ihipStream_tbENKUlT_T0_E_clISt17integral_constantIbLb1EESZ_EEDaSU_SV_EUlSU_E_NS1_11comp_targetILNS1_3genE5ELNS1_11target_archE942ELNS1_3gpuE9ELNS1_3repE0EEENS1_30default_config_static_selectorELNS0_4arch9wavefront6targetE1EEEvT1_
	.p2align	8
	.type	_ZN7rocprim17ROCPRIM_400000_NS6detail17trampoline_kernelINS0_14default_configENS1_33run_length_encode_config_selectorIdjNS0_4plusIjEEEEZZNS1_33reduce_by_key_impl_wrapped_configILNS1_25lookback_scan_determinismE0ES3_S7_PKdNS0_17constant_iteratorIjlEEPdPlSF_S6_NS0_8equal_toIdEEEE10hipError_tPvRmT2_T3_mT4_T5_T6_T7_T8_P12ihipStream_tbENKUlT_T0_E_clISt17integral_constantIbLb1EESZ_EEDaSU_SV_EUlSU_E_NS1_11comp_targetILNS1_3genE5ELNS1_11target_archE942ELNS1_3gpuE9ELNS1_3repE0EEENS1_30default_config_static_selectorELNS0_4arch9wavefront6targetE1EEEvT1_,@function
_ZN7rocprim17ROCPRIM_400000_NS6detail17trampoline_kernelINS0_14default_configENS1_33run_length_encode_config_selectorIdjNS0_4plusIjEEEEZZNS1_33reduce_by_key_impl_wrapped_configILNS1_25lookback_scan_determinismE0ES3_S7_PKdNS0_17constant_iteratorIjlEEPdPlSF_S6_NS0_8equal_toIdEEEE10hipError_tPvRmT2_T3_mT4_T5_T6_T7_T8_P12ihipStream_tbENKUlT_T0_E_clISt17integral_constantIbLb1EESZ_EEDaSU_SV_EUlSU_E_NS1_11comp_targetILNS1_3genE5ELNS1_11target_archE942ELNS1_3gpuE9ELNS1_3repE0EEENS1_30default_config_static_selectorELNS0_4arch9wavefront6targetE1EEEvT1_: ; @_ZN7rocprim17ROCPRIM_400000_NS6detail17trampoline_kernelINS0_14default_configENS1_33run_length_encode_config_selectorIdjNS0_4plusIjEEEEZZNS1_33reduce_by_key_impl_wrapped_configILNS1_25lookback_scan_determinismE0ES3_S7_PKdNS0_17constant_iteratorIjlEEPdPlSF_S6_NS0_8equal_toIdEEEE10hipError_tPvRmT2_T3_mT4_T5_T6_T7_T8_P12ihipStream_tbENKUlT_T0_E_clISt17integral_constantIbLb1EESZ_EEDaSU_SV_EUlSU_E_NS1_11comp_targetILNS1_3genE5ELNS1_11target_archE942ELNS1_3gpuE9ELNS1_3repE0EEENS1_30default_config_static_selectorELNS0_4arch9wavefront6targetE1EEEvT1_
; %bb.0:
	s_load_dword s10, s[0:1], 0x10
	s_load_dwordx4 s[44:47], s[0:1], 0x20
	s_load_dwordx2 s[48:49], s[0:1], 0x30
	s_load_dwordx2 s[50:51], s[0:1], 0x70
	s_load_dwordx4 s[28:31], s[0:1], 0x60
	s_load_dwordx8 s[36:43], s[0:1], 0x40
	v_cmp_ne_u32_e64 s[2:3], 0, v0
	v_cmp_eq_u32_e64 s[34:35], 0, v0
	s_and_saveexec_b64 s[4:5], s[34:35]
	s_cbranch_execz .LBB314_4
; %bb.1:
	s_mov_b64 s[8:9], exec
	v_mbcnt_lo_u32_b32 v1, s8, 0
	v_mbcnt_hi_u32_b32 v1, s9, v1
	v_cmp_eq_u32_e32 vcc, 0, v1
                                        ; implicit-def: $vgpr2
	s_and_saveexec_b64 s[6:7], vcc
	s_cbranch_execz .LBB314_3
; %bb.2:
	s_load_dwordx2 s[12:13], s[0:1], 0x78
	s_bcnt1_i32_b64 s8, s[8:9]
	v_mov_b32_e32 v2, 0
	v_mov_b32_e32 v3, s8
	s_waitcnt lgkmcnt(0)
	global_atomic_add v2, v2, v3, s[12:13] sc0
.LBB314_3:
	s_or_b64 exec, exec, s[6:7]
	s_waitcnt vmcnt(0)
	v_readfirstlane_b32 s6, v2
	v_mov_b32_e32 v2, 0
	s_nop 0
	v_add_u32_e32 v1, s6, v1
	ds_write_b32 v2, v1
.LBB314_4:
	s_or_b64 exec, exec, s[4:5]
	s_load_dwordx4 s[4:7], s[0:1], 0x0
	v_mov_b32_e32 v3, 0
	s_waitcnt lgkmcnt(0)
	s_barrier
	ds_read_b32 v1, v3
	s_mul_i32 s0, s40, s39
	s_mul_hi_u32 s1, s40, s38
	s_add_i32 s0, s1, s0
	s_mul_i32 s1, s41, s38
	s_add_i32 s8, s0, s1
	s_lshl_b64 s[0:1], s[6:7], 3
	s_add_u32 s0, s4, s0
	s_mul_i32 s9, s40, s38
	s_addc_u32 s1, s5, s1
	s_waitcnt lgkmcnt(0)
	v_readfirstlane_b32 s58, v1
	s_add_u32 s52, s9, s58
	s_movk_i32 s4, 0x1e00
	s_addc_u32 s53, s8, 0
	v_mul_lo_u32 v2, v1, s4
	s_add_u32 s4, s42, -1
	s_addc_u32 s5, s43, -1
	s_cmp_eq_u64 s[52:53], s[4:5]
	v_lshlrev_b64 v[4:5], 3, v[2:3]
	s_cselect_b64 s[40:41], -1, 0
	s_cmp_lg_u64 s[52:53], s[4:5]
	v_lshl_add_u64 v[48:49], s[0:1], 0, v[4:5]
	s_mov_b64 s[6:7], -1
	s_cselect_b64 s[0:1], -1, 0
	s_mul_i32 s33, s4, 0xffffe200
	s_and_b64 vcc, exec, s[40:41]
	s_barrier
	s_cbranch_vccnz .LBB314_6
; %bb.5:
	v_lshlrev_b32_e32 v2, 3, v0
	v_lshl_add_u64 v[4:5], v[48:49], 0, v[2:3]
	v_add_co_u32_e32 v8, vcc, 0x1000, v4
	v_readfirstlane_b32 s4, v48
	s_nop 0
	v_addc_co_u32_e32 v9, vcc, 0, v5, vcc
	v_add_co_u32_e32 v10, vcc, 0x2000, v4
	v_readfirstlane_b32 s5, v49
	s_nop 0
	v_addc_co_u32_e32 v11, vcc, 0, v5, vcc
	v_add_co_u32_e32 v12, vcc, 0x3000, v4
	s_nop 1
	v_addc_co_u32_e32 v13, vcc, 0, v5, vcc
	v_add_co_u32_e32 v14, vcc, 0x4000, v4
	global_load_dwordx2 v[6:7], v2, s[4:5]
	s_nop 0
	v_addc_co_u32_e32 v15, vcc, 0, v5, vcc
	global_load_dwordx2 v[16:17], v[8:9], off
	global_load_dwordx2 v[18:19], v[10:11], off
	;; [unrolled: 1-line block ×4, first 2 shown]
	v_add_co_u32_e32 v8, vcc, 0x5000, v4
	s_movk_i32 s4, 0x70
	s_nop 0
	v_addc_co_u32_e32 v9, vcc, 0, v5, vcc
	v_add_co_u32_e32 v10, vcc, 0x6000, v4
	v_mad_u32_u24 v1, v0, s4, v2
	s_nop 0
	v_addc_co_u32_e32 v11, vcc, 0, v5, vcc
	v_add_co_u32_e32 v12, vcc, 0x7000, v4
	s_mov_b64 s[4:5], -1
	s_nop 0
	v_addc_co_u32_e32 v13, vcc, 0, v5, vcc
	v_add_co_u32_e32 v14, vcc, 0x8000, v4
	s_nop 1
	v_addc_co_u32_e32 v15, vcc, 0, v5, vcc
	global_load_dwordx2 v[24:25], v[8:9], off
	global_load_dwordx2 v[26:27], v[10:11], off
	;; [unrolled: 1-line block ×4, first 2 shown]
	v_add_co_u32_e32 v8, vcc, 0x9000, v4
	s_nop 1
	v_addc_co_u32_e32 v9, vcc, 0, v5, vcc
	v_add_co_u32_e32 v10, vcc, 0xa000, v4
	s_nop 1
	v_addc_co_u32_e32 v11, vcc, 0, v5, vcc
	v_add_co_u32_e32 v12, vcc, 0xb000, v4
	s_nop 1
	v_addc_co_u32_e32 v13, vcc, 0, v5, vcc
	v_add_co_u32_e32 v14, vcc, 0xc000, v4
	s_nop 1
	v_addc_co_u32_e32 v15, vcc, 0, v5, vcc
	global_load_dwordx2 v[32:33], v[8:9], off
	global_load_dwordx2 v[34:35], v[10:11], off
	;; [unrolled: 1-line block ×4, first 2 shown]
	v_add_co_u32_e32 v8, vcc, 0xd000, v4
	s_nop 1
	v_addc_co_u32_e32 v9, vcc, 0, v5, vcc
	v_add_co_u32_e32 v4, vcc, 0xe000, v4
	global_load_dwordx2 v[8:9], v[8:9], off
	s_nop 0
	v_addc_co_u32_e32 v5, vcc, 0, v5, vcc
	global_load_dwordx2 v[4:5], v[4:5], off
	s_waitcnt vmcnt(13)
	ds_write2st64_b64 v2, v[6:7], v[16:17] offset1:8
	s_waitcnt vmcnt(11)
	ds_write2st64_b64 v2, v[18:19], v[20:21] offset0:16 offset1:24
	s_waitcnt vmcnt(9)
	ds_write2st64_b64 v2, v[22:23], v[24:25] offset0:32 offset1:40
	;; [unrolled: 2-line block ×6, first 2 shown]
	s_waitcnt vmcnt(0)
	ds_write_b64 v2, v[4:5] offset:57344
	s_waitcnt lgkmcnt(0)
	s_barrier
	ds_read2_b64 v[26:29], v1 offset1:1
	ds_read2_b64 v[22:25], v1 offset0:2 offset1:3
	ds_read2_b64 v[18:21], v1 offset0:4 offset1:5
	;; [unrolled: 1-line block ×6, first 2 shown]
	ds_read_b64 v[46:47], v1 offset:112
	s_waitcnt lgkmcnt(7)
	v_mov_b32_e32 v30, v26
	v_mov_b32_e32 v31, v27
	s_waitcnt lgkmcnt(6)
	v_mov_b32_e32 v32, v22
	v_mov_b32_e32 v33, v23
	;; [unrolled: 3-line block ×7, first 2 shown]
	s_add_i32 s33, s33, s28
	s_cbranch_execz .LBB314_7
	s_branch .LBB314_38
.LBB314_6:
	s_mov_b64 s[4:5], 0
                                        ; implicit-def: $vgpr46_vgpr47
                                        ; implicit-def: $vgpr6_vgpr7
                                        ; implicit-def: $vgpr2_vgpr3
                                        ; implicit-def: $vgpr10_vgpr11
                                        ; implicit-def: $vgpr14_vgpr15
                                        ; implicit-def: $vgpr18_vgpr19
                                        ; implicit-def: $vgpr22_vgpr23
                                        ; implicit-def: $vgpr26_vgpr27
                                        ; implicit-def: $vgpr38_vgpr39_vgpr40_vgpr41
                                        ; implicit-def: $vgpr34_vgpr35_vgpr36_vgpr37
                                        ; implicit-def: $vgpr30_vgpr31_vgpr32_vgpr33
                                        ; implicit-def: $vgpr42_vgpr43_vgpr44_vgpr45
	s_add_i32 s33, s33, s28
	s_andn2_b64 vcc, exec, s[6:7]
	s_cbranch_vccnz .LBB314_38
.LBB314_7:
	v_cmp_gt_u32_e32 vcc, s33, v0
                                        ; implicit-def: $vgpr2_vgpr3
	s_and_saveexec_b64 s[4:5], vcc
	s_cbranch_execz .LBB314_9
; %bb.8:
	v_lshlrev_b32_e32 v1, 3, v0
	v_readfirstlane_b32 s6, v48
	v_readfirstlane_b32 s7, v49
	s_nop 4
	global_load_dwordx2 v[2:3], v1, s[6:7]
.LBB314_9:
	s_or_b64 exec, exec, s[4:5]
	v_or_b32_e32 v1, 0x200, v0
	v_cmp_gt_u32_e32 vcc, s33, v1
                                        ; implicit-def: $vgpr4_vgpr5
	s_and_saveexec_b64 s[4:5], vcc
	s_cbranch_execz .LBB314_11
; %bb.10:
	v_lshlrev_b32_e32 v1, 3, v1
	v_readfirstlane_b32 s6, v48
	v_readfirstlane_b32 s7, v49
	s_nop 4
	global_load_dwordx2 v[4:5], v1, s[6:7]
.LBB314_11:
	s_or_b64 exec, exec, s[4:5]
	v_or_b32_e32 v1, 0x400, v0
	v_cmp_gt_u32_e32 vcc, s33, v1
                                        ; implicit-def: $vgpr6_vgpr7
	s_and_saveexec_b64 s[4:5], vcc
	s_cbranch_execz .LBB314_13
; %bb.12:
	v_lshlrev_b32_e32 v1, 3, v1
	v_readfirstlane_b32 s6, v48
	v_readfirstlane_b32 s7, v49
	s_nop 4
	global_load_dwordx2 v[6:7], v1, s[6:7]
.LBB314_13:
	s_or_b64 exec, exec, s[4:5]
	v_or_b32_e32 v1, 0x600, v0
	v_cmp_gt_u32_e32 vcc, s33, v1
                                        ; implicit-def: $vgpr8_vgpr9
	s_and_saveexec_b64 s[4:5], vcc
	s_cbranch_execz .LBB314_15
; %bb.14:
	v_lshlrev_b32_e32 v1, 3, v1
	v_readfirstlane_b32 s6, v48
	v_readfirstlane_b32 s7, v49
	s_nop 4
	global_load_dwordx2 v[8:9], v1, s[6:7]
.LBB314_15:
	s_or_b64 exec, exec, s[4:5]
	v_or_b32_e32 v1, 0x800, v0
	v_cmp_gt_u32_e32 vcc, s33, v1
                                        ; implicit-def: $vgpr10_vgpr11
	s_and_saveexec_b64 s[4:5], vcc
	s_cbranch_execz .LBB314_17
; %bb.16:
	v_lshlrev_b32_e32 v1, 3, v1
	v_readfirstlane_b32 s6, v48
	v_readfirstlane_b32 s7, v49
	s_nop 4
	global_load_dwordx2 v[10:11], v1, s[6:7]
.LBB314_17:
	s_or_b64 exec, exec, s[4:5]
	v_or_b32_e32 v1, 0xa00, v0
	v_cmp_gt_u32_e32 vcc, s33, v1
                                        ; implicit-def: $vgpr12_vgpr13
	s_and_saveexec_b64 s[4:5], vcc
	s_cbranch_execz .LBB314_19
; %bb.18:
	v_lshlrev_b32_e32 v1, 3, v1
	v_readfirstlane_b32 s6, v48
	v_readfirstlane_b32 s7, v49
	s_nop 4
	global_load_dwordx2 v[12:13], v1, s[6:7]
.LBB314_19:
	s_or_b64 exec, exec, s[4:5]
	v_or_b32_e32 v1, 0xc00, v0
	v_cmp_gt_u32_e32 vcc, s33, v1
                                        ; implicit-def: $vgpr14_vgpr15
	s_and_saveexec_b64 s[4:5], vcc
	s_cbranch_execz .LBB314_21
; %bb.20:
	v_lshlrev_b32_e32 v1, 3, v1
	v_readfirstlane_b32 s6, v48
	v_readfirstlane_b32 s7, v49
	s_nop 4
	global_load_dwordx2 v[14:15], v1, s[6:7]
.LBB314_21:
	s_or_b64 exec, exec, s[4:5]
	v_or_b32_e32 v1, 0xe00, v0
	v_cmp_gt_u32_e32 vcc, s33, v1
                                        ; implicit-def: $vgpr16_vgpr17
	s_and_saveexec_b64 s[4:5], vcc
	s_cbranch_execz .LBB314_23
; %bb.22:
	v_lshlrev_b32_e32 v1, 3, v1
	v_readfirstlane_b32 s6, v48
	v_readfirstlane_b32 s7, v49
	s_nop 4
	global_load_dwordx2 v[16:17], v1, s[6:7]
.LBB314_23:
	s_or_b64 exec, exec, s[4:5]
	v_or_b32_e32 v1, 0x1000, v0
	v_cmp_gt_u32_e32 vcc, s33, v1
                                        ; implicit-def: $vgpr18_vgpr19
	s_and_saveexec_b64 s[4:5], vcc
	s_cbranch_execz .LBB314_25
; %bb.24:
	v_lshlrev_b32_e32 v1, 3, v1
	v_readfirstlane_b32 s6, v48
	v_readfirstlane_b32 s7, v49
	s_nop 4
	global_load_dwordx2 v[18:19], v1, s[6:7]
.LBB314_25:
	s_or_b64 exec, exec, s[4:5]
	v_or_b32_e32 v1, 0x1200, v0
	v_cmp_gt_u32_e32 vcc, s33, v1
                                        ; implicit-def: $vgpr20_vgpr21
	s_and_saveexec_b64 s[4:5], vcc
	s_cbranch_execz .LBB314_27
; %bb.26:
	v_lshlrev_b32_e32 v1, 3, v1
	v_readfirstlane_b32 s6, v48
	v_readfirstlane_b32 s7, v49
	s_nop 4
	global_load_dwordx2 v[20:21], v1, s[6:7]
.LBB314_27:
	s_or_b64 exec, exec, s[4:5]
	v_or_b32_e32 v1, 0x1400, v0
	v_cmp_gt_u32_e32 vcc, s33, v1
                                        ; implicit-def: $vgpr22_vgpr23
	s_and_saveexec_b64 s[4:5], vcc
	s_cbranch_execz .LBB314_29
; %bb.28:
	v_lshlrev_b32_e32 v1, 3, v1
	v_readfirstlane_b32 s6, v48
	v_readfirstlane_b32 s7, v49
	s_nop 4
	global_load_dwordx2 v[22:23], v1, s[6:7]
.LBB314_29:
	s_or_b64 exec, exec, s[4:5]
	v_or_b32_e32 v1, 0x1600, v0
	v_cmp_gt_u32_e32 vcc, s33, v1
                                        ; implicit-def: $vgpr24_vgpr25
	s_and_saveexec_b64 s[4:5], vcc
	s_cbranch_execz .LBB314_31
; %bb.30:
	v_lshlrev_b32_e32 v1, 3, v1
	v_readfirstlane_b32 s6, v48
	v_readfirstlane_b32 s7, v49
	s_nop 4
	global_load_dwordx2 v[24:25], v1, s[6:7]
.LBB314_31:
	s_or_b64 exec, exec, s[4:5]
	v_or_b32_e32 v1, 0x1800, v0
	v_cmp_gt_u32_e32 vcc, s33, v1
                                        ; implicit-def: $vgpr26_vgpr27
	s_and_saveexec_b64 s[4:5], vcc
	s_cbranch_execz .LBB314_33
; %bb.32:
	v_lshlrev_b32_e32 v1, 3, v1
	v_readfirstlane_b32 s6, v48
	v_readfirstlane_b32 s7, v49
	s_nop 4
	global_load_dwordx2 v[26:27], v1, s[6:7]
.LBB314_33:
	s_or_b64 exec, exec, s[4:5]
	v_or_b32_e32 v1, 0x1a00, v0
	v_cmp_gt_u32_e32 vcc, s33, v1
                                        ; implicit-def: $vgpr28_vgpr29
	s_and_saveexec_b64 s[4:5], vcc
	s_cbranch_execz .LBB314_35
; %bb.34:
	v_lshlrev_b32_e32 v1, 3, v1
	v_readfirstlane_b32 s6, v48
	v_readfirstlane_b32 s7, v49
	s_nop 4
	global_load_dwordx2 v[28:29], v1, s[6:7]
.LBB314_35:
	s_or_b64 exec, exec, s[4:5]
	v_or_b32_e32 v1, 0x1c00, v0
	v_cmp_gt_u32_e32 vcc, s33, v1
                                        ; implicit-def: $vgpr30_vgpr31
	s_and_saveexec_b64 s[4:5], vcc
	s_cbranch_execz .LBB314_37
; %bb.36:
	v_lshlrev_b32_e32 v1, 3, v1
	v_readfirstlane_b32 s6, v48
	v_readfirstlane_b32 s7, v49
	s_nop 4
	global_load_dwordx2 v[30:31], v1, s[6:7]
.LBB314_37:
	s_or_b64 exec, exec, s[4:5]
	v_lshlrev_b32_e32 v1, 3, v0
	s_movk_i32 s4, 0x70
	s_waitcnt vmcnt(0)
	ds_write2st64_b64 v1, v[2:3], v[4:5] offset1:8
	ds_write2st64_b64 v1, v[6:7], v[8:9] offset0:16 offset1:24
	ds_write2st64_b64 v1, v[10:11], v[12:13] offset0:32 offset1:40
	;; [unrolled: 1-line block ×6, first 2 shown]
	ds_write_b64 v1, v[30:31] offset:57344
	v_mad_u32_u24 v1, v0, s4, v1
	s_waitcnt lgkmcnt(0)
	s_barrier
	ds_read2_b64 v[26:29], v1 offset1:1
	ds_read2_b64 v[22:25], v1 offset0:2 offset1:3
	ds_read2_b64 v[18:21], v1 offset0:4 offset1:5
	;; [unrolled: 1-line block ×6, first 2 shown]
	ds_read_b64 v[46:47], v1 offset:112
	v_mad_u32_u24 v30, v0, 15, 14
	v_cmp_gt_u32_e64 s[4:5], s33, v30
	s_waitcnt lgkmcnt(7)
	v_mov_b32_e32 v30, v26
	v_mov_b32_e32 v31, v27
	s_waitcnt lgkmcnt(6)
	v_mov_b32_e32 v32, v22
	v_mov_b32_e32 v33, v23
	;; [unrolled: 3-line block ×7, first 2 shown]
.LBB314_38:
	v_mov_b32_e32 v68, s10
                                        ; implicit-def: $vgpr69
	s_and_saveexec_b64 s[6:7], s[4:5]
; %bb.39:
	v_mov_b32_e32 v69, s10
; %bb.40:
	s_or_b64 exec, exec, s[6:7]
	s_cmp_eq_u64 s[52:53], 0
	s_cselect_b64 s[42:43], -1, 0
	s_cmp_lg_u64 s[52:53], 0
	s_mov_b64 s[4:5], 0
	s_cselect_b64 s[54:55], -1, 0
	s_and_b64 vcc, exec, s[0:1]
	s_waitcnt lgkmcnt(0)
	s_barrier
	s_cbranch_vccz .LBB314_46
; %bb.41:
	s_and_b64 vcc, exec, s[54:55]
	s_cbranch_vccz .LBB314_47
; %bb.42:
	global_load_dwordx2 v[44:45], v[48:49], off offset:-8
	v_lshlrev_b32_e32 v1, 3, v0
	v_cmp_neq_f64_e32 vcc, v[8:9], v[46:47]
	v_cmp_neq_f64_e64 s[0:1], v[6:7], v[8:9]
	v_cmp_neq_f64_e64 s[4:5], v[4:5], v[6:7]
	;; [unrolled: 1-line block ×13, first 2 shown]
	ds_write_b64 v1, v[46:47]
	s_waitcnt lgkmcnt(0)
	s_barrier
	s_and_saveexec_b64 s[56:57], s[2:3]
	s_cbranch_execz .LBB314_44
; %bb.43:
	v_add_u32_e32 v1, -8, v1
	s_waitcnt vmcnt(0)
	ds_read_b64 v[44:45], v1
.LBB314_44:
	s_or_b64 exec, exec, s[56:57]
	v_cndmask_b32_e64 v1, 0, 1, vcc
	v_cndmask_b32_e64 v72, 0, 1, s[0:1]
	v_cndmask_b32_e64 v73, 0, 1, s[4:5]
	;; [unrolled: 1-line block ×13, first 2 shown]
	s_waitcnt vmcnt(0) lgkmcnt(0)
	v_cmp_neq_f64_e64 s[0:1], v[44:45], v[26:27]
	s_mov_b64 s[4:5], -1
.LBB314_45:
                                        ; implicit-def: $sgpr10
	s_branch .LBB314_59
.LBB314_46:
                                        ; implicit-def: $sgpr0_sgpr1
                                        ; implicit-def: $vgpr1
                                        ; implicit-def: $vgpr72
                                        ; implicit-def: $vgpr73
                                        ; implicit-def: $vgpr74
                                        ; implicit-def: $vgpr75
                                        ; implicit-def: $vgpr76
                                        ; implicit-def: $vgpr77
                                        ; implicit-def: $vgpr78
                                        ; implicit-def: $vgpr79
                                        ; implicit-def: $vgpr80
                                        ; implicit-def: $vgpr81
                                        ; implicit-def: $vgpr82
                                        ; implicit-def: $vgpr83
                                        ; implicit-def: $vgpr84
                                        ; implicit-def: $sgpr10
	s_cbranch_execnz .LBB314_51
	s_branch .LBB314_59
.LBB314_47:
                                        ; implicit-def: $sgpr0_sgpr1
                                        ; implicit-def: $vgpr1
                                        ; implicit-def: $vgpr72
                                        ; implicit-def: $vgpr73
                                        ; implicit-def: $vgpr74
                                        ; implicit-def: $vgpr75
                                        ; implicit-def: $vgpr76
                                        ; implicit-def: $vgpr77
                                        ; implicit-def: $vgpr78
                                        ; implicit-def: $vgpr79
                                        ; implicit-def: $vgpr80
                                        ; implicit-def: $vgpr81
                                        ; implicit-def: $vgpr82
                                        ; implicit-def: $vgpr83
                                        ; implicit-def: $vgpr84
	s_cbranch_execz .LBB314_45
; %bb.48:
	v_cmp_neq_f64_e32 vcc, v[28:29], v[30:31]
	v_lshlrev_b32_e32 v44, 3, v0
	ds_write_b64 v44, v[46:47]
	v_cndmask_b32_e64 v84, 0, 1, vcc
	v_cmp_neq_f64_e32 vcc, v[28:29], v[32:33]
	s_waitcnt lgkmcnt(0)
	s_barrier
	v_cndmask_b32_e64 v83, 0, 1, vcc
	v_cmp_neq_f64_e32 vcc, v[32:33], v[24:25]
	s_waitcnt lgkmcnt(0)
                                        ; implicit-def: $sgpr0_sgpr1
	s_nop 0
	v_cndmask_b32_e64 v82, 0, 1, vcc
	v_cmp_neq_f64_e32 vcc, v[34:35], v[24:25]
	s_nop 1
	v_cndmask_b32_e64 v81, 0, 1, vcc
	v_cmp_neq_f64_e32 vcc, v[20:21], v[34:35]
	;; [unrolled: 3-line block ×11, first 2 shown]
	s_nop 1
	v_cndmask_b32_e64 v1, 0, 1, vcc
	s_and_saveexec_b64 s[6:7], s[2:3]
	s_xor_b64 s[6:7], exec, s[6:7]
	s_cbranch_execz .LBB314_50
; %bb.49:
	v_add_u32_e32 v30, -8, v44
	ds_read_b64 v[30:31], v30
	s_or_b64 s[4:5], s[4:5], exec
	s_waitcnt lgkmcnt(0)
	v_cmp_neq_f64_e32 vcc, v[30:31], v[26:27]
	s_and_b64 s[0:1], vcc, exec
.LBB314_50:
	s_or_b64 exec, exec, s[6:7]
	s_mov_b32 s10, 1
	s_branch .LBB314_59
.LBB314_51:
	s_mul_hi_u32 s1, s52, 0xffffe200
	s_mul_i32 s0, s53, 0xffffe200
	s_sub_i32 s1, s1, s52
	s_add_i32 s1, s1, s0
	s_mul_i32 s0, s52, 0xffffe200
	s_add_u32 s6, s0, s28
	s_addc_u32 s7, s1, s29
	s_and_b64 vcc, exec, s[54:55]
	s_cbranch_vccz .LBB314_56
; %bb.52:
	global_load_dwordx2 v[30:31], v[48:49], off offset:-8
	v_mad_u32_u24 v34, v0, 15, 14
	v_mov_b32_e32 v35, 0
	v_cmp_gt_u64_e32 vcc, s[6:7], v[34:35]
	v_cmp_neq_f64_e64 s[0:1], v[8:9], v[46:47]
	v_mad_u32_u24 v34, v0, 15, 13
	s_and_b64 s[4:5], vcc, s[0:1]
	v_cmp_gt_u64_e32 vcc, s[6:7], v[34:35]
	v_cmp_neq_f64_e64 s[0:1], v[6:7], v[8:9]
	v_mad_u32_u24 v34, v0, 15, 12
	s_and_b64 s[8:9], vcc, s[0:1]
	;; [unrolled: 4-line block ×13, first 2 shown]
	v_cmp_gt_u64_e32 vcc, s[6:7], v[34:35]
	v_cmp_neq_f64_e64 s[0:1], v[26:27], v[28:29]
	v_lshlrev_b32_e32 v1, 3, v0
	v_mul_u32_u24_e32 v32, 15, v0
	s_and_b64 s[0:1], vcc, s[0:1]
	ds_write_b64 v1, v[46:47]
	s_waitcnt lgkmcnt(0)
	s_barrier
	s_and_saveexec_b64 s[54:55], s[2:3]
	s_cbranch_execz .LBB314_54
; %bb.53:
	v_add_u32_e32 v1, -8, v1
	s_waitcnt vmcnt(0)
	ds_read_b64 v[30:31], v1
.LBB314_54:
	s_or_b64 exec, exec, s[54:55]
	v_mov_b32_e32 v33, v35
	v_cndmask_b32_e64 v84, 0, 1, s[0:1]
	v_cmp_gt_u64_e32 vcc, s[6:7], v[32:33]
	s_waitcnt vmcnt(0) lgkmcnt(0)
	v_cmp_neq_f64_e64 s[0:1], v[30:31], v[26:27]
	v_cndmask_b32_e64 v1, 0, 1, s[4:5]
	v_cndmask_b32_e64 v72, 0, 1, s[8:9]
	;; [unrolled: 1-line block ×13, first 2 shown]
	s_and_b64 s[0:1], vcc, s[0:1]
	s_mov_b64 s[4:5], -1
.LBB314_55:
                                        ; implicit-def: $sgpr10
	v_mov_b32_e32 v85, s10
	s_and_saveexec_b64 s[2:3], s[4:5]
	s_cbranch_execnz .LBB314_60
	s_branch .LBB314_61
.LBB314_56:
                                        ; implicit-def: $sgpr0_sgpr1
                                        ; implicit-def: $vgpr1
                                        ; implicit-def: $vgpr72
                                        ; implicit-def: $vgpr73
                                        ; implicit-def: $vgpr74
                                        ; implicit-def: $vgpr75
                                        ; implicit-def: $vgpr76
                                        ; implicit-def: $vgpr77
                                        ; implicit-def: $vgpr78
                                        ; implicit-def: $vgpr79
                                        ; implicit-def: $vgpr80
                                        ; implicit-def: $vgpr81
                                        ; implicit-def: $vgpr82
                                        ; implicit-def: $vgpr83
                                        ; implicit-def: $vgpr84
	s_cbranch_execz .LBB314_55
; %bb.57:
	v_mad_u32_u24 v30, v0, 15, 14
	v_mov_b32_e32 v31, 0
	v_cmp_gt_u64_e32 vcc, s[6:7], v[30:31]
	v_cmp_neq_f64_e64 s[0:1], v[8:9], v[46:47]
	s_and_b64 s[0:1], vcc, s[0:1]
	v_mad_u32_u24 v30, v0, 15, 13
	v_cndmask_b32_e64 v1, 0, 1, s[0:1]
	v_cmp_gt_u64_e32 vcc, s[6:7], v[30:31]
	v_cmp_neq_f64_e64 s[0:1], v[6:7], v[8:9]
	s_and_b64 s[0:1], vcc, s[0:1]
	v_mad_u32_u24 v30, v0, 15, 12
	v_cndmask_b32_e64 v72, 0, 1, s[0:1]
	;; [unrolled: 5-line block ×13, first 2 shown]
	v_cmp_gt_u64_e32 vcc, s[6:7], v[30:31]
	v_cmp_neq_f64_e64 s[0:1], v[26:27], v[28:29]
	s_and_b64 s[0:1], vcc, s[0:1]
	v_lshlrev_b32_e32 v32, 3, v0
	s_mov_b32 s10, 1
	v_cndmask_b32_e64 v84, 0, 1, s[0:1]
	ds_write_b64 v32, v[46:47]
	s_waitcnt lgkmcnt(0)
	s_barrier
	s_waitcnt lgkmcnt(0)
                                        ; implicit-def: $sgpr0_sgpr1
	s_and_saveexec_b64 s[8:9], s[2:3]
	s_cbranch_execz .LBB314_144
; %bb.58:
	v_add_u32_e32 v30, -8, v32
	ds_read_b64 v[32:33], v30
	v_mul_u32_u24_e32 v30, 15, v0
	v_cmp_gt_u64_e32 vcc, s[6:7], v[30:31]
	s_or_b64 s[4:5], s[4:5], exec
	s_waitcnt lgkmcnt(0)
	v_cmp_neq_f64_e64 s[0:1], v[32:33], v[26:27]
	s_and_b64 s[0:1], vcc, s[0:1]
	s_and_b64 s[0:1], s[0:1], exec
	s_or_b64 exec, exec, s[8:9]
.LBB314_59:
	v_mov_b32_e32 v85, s10
	s_and_saveexec_b64 s[2:3], s[4:5]
.LBB314_60:
	v_cndmask_b32_e64 v85, 0, 1, s[0:1]
.LBB314_61:
	s_or_b64 exec, exec, s[2:3]
	s_cmp_eq_u64 s[38:39], 0
	v_add3_u32 v30, v84, v85, v83
	s_cselect_b64 s[38:39], -1, 0
	s_cmp_lg_u32 s58, 0
	v_cmp_eq_u32_e64 s[26:27], 0, v84
	v_cmp_eq_u32_e64 s[24:25], 0, v83
	;; [unrolled: 1-line block ×3, first 2 shown]
	v_add3_u32 v87, v30, v82, v81
	v_cmp_eq_u32_e64 s[20:21], 0, v81
	v_cmp_eq_u32_e64 s[18:19], 0, v80
	;; [unrolled: 1-line block ×10, first 2 shown]
	v_cmp_eq_u32_e32 vcc, 0, v1
	v_mbcnt_lo_u32_b32 v86, -1, 0
	v_lshrrev_b32_e32 v70, 6, v0
	v_or_b32_e32 v71, 63, v0
	s_cbranch_scc0 .LBB314_92
; %bb.62:
	v_cndmask_b32_e64 v30, 0, v68, s[26:27]
	v_add_u32_e32 v30, v30, v68
	v_cndmask_b32_e64 v30, 0, v30, s[24:25]
	v_add_u32_e32 v30, v30, v68
	;; [unrolled: 2-line block ×11, first 2 shown]
	v_cndmask_b32_e64 v30, 0, v30, s[4:5]
	v_add3_u32 v31, v87, v80, v79
	v_add_u32_e32 v30, v30, v68
	v_add3_u32 v31, v31, v78, v77
	v_cndmask_b32_e64 v30, 0, v30, s[2:3]
	v_add3_u32 v31, v31, v76, v75
	v_add_u32_e32 v30, v30, v68
	v_add3_u32 v31, v31, v74, v73
	v_cndmask_b32_e32 v30, 0, v30, vcc
	v_add3_u32 v31, v31, v72, v1
	v_add_u32_e32 v30, v30, v69
	v_mbcnt_hi_u32_b32 v39, -1, v86
	v_and_b32_e32 v32, 15, v39
	v_mov_b32_dpp v34, v30 row_shr:1 row_mask:0xf bank_mask:0xf
	v_cmp_eq_u32_e32 vcc, 0, v31
	v_mov_b32_dpp v33, v31 row_shr:1 row_mask:0xf bank_mask:0xf
	v_cmp_lt_u32_e64 s[0:1], 1, v32
	v_cndmask_b32_e32 v34, 0, v34, vcc
	v_cmp_eq_u32_e32 vcc, 0, v32
	s_nop 1
	v_cndmask_b32_e64 v33, v33, 0, vcc
	v_add_u32_e32 v31, v33, v31
	v_cndmask_b32_e64 v33, v34, 0, vcc
	v_add_u32_e32 v30, v33, v30
	v_cmp_eq_u32_e32 vcc, 0, v31
	v_mov_b32_dpp v33, v31 row_shr:2 row_mask:0xf bank_mask:0xf
	v_mov_b32_dpp v34, v30 row_shr:2 row_mask:0xf bank_mask:0xf
	v_cndmask_b32_e64 v33, 0, v33, s[0:1]
	s_and_b64 vcc, s[0:1], vcc
	v_cndmask_b32_e32 v34, 0, v34, vcc
	v_add_u32_e32 v31, v31, v33
	v_add_u32_e32 v30, v34, v30
	v_cmp_eq_u32_e32 vcc, 0, v31
	v_mov_b32_dpp v33, v31 row_shr:4 row_mask:0xf bank_mask:0xf
	v_cmp_lt_u32_e64 s[0:1], 3, v32
	v_mov_b32_dpp v34, v30 row_shr:4 row_mask:0xf bank_mask:0xf
	s_and_b64 vcc, s[0:1], vcc
	v_cndmask_b32_e64 v33, 0, v33, s[0:1]
	v_cndmask_b32_e32 v34, 0, v34, vcc
	v_add_u32_e32 v31, v33, v31
	v_add_u32_e32 v30, v30, v34
	v_cmp_eq_u32_e32 vcc, 0, v31
	v_cmp_lt_u32_e64 s[0:1], 7, v32
	v_mov_b32_dpp v33, v31 row_shr:8 row_mask:0xf bank_mask:0xf
	v_mov_b32_dpp v34, v30 row_shr:8 row_mask:0xf bank_mask:0xf
	s_and_b64 vcc, s[0:1], vcc
	v_cndmask_b32_e64 v32, 0, v33, s[0:1]
	v_cndmask_b32_e32 v33, 0, v34, vcc
	v_add_u32_e32 v30, v33, v30
	v_add_u32_e32 v31, v32, v31
	v_bfe_i32 v34, v39, 4, 1
	v_mov_b32_dpp v33, v30 row_bcast:15 row_mask:0xf bank_mask:0xf
	v_mov_b32_dpp v32, v31 row_bcast:15 row_mask:0xf bank_mask:0xf
	v_cmp_eq_u32_e32 vcc, 0, v31
	v_and_b32_e32 v32, v34, v32
	v_add_u32_e32 v31, v32, v31
	v_cndmask_b32_e32 v33, 0, v33, vcc
	v_and_b32_e32 v32, v34, v33
	v_add_u32_e32 v32, v32, v30
	v_mov_b32_dpp v30, v31 row_bcast:31 row_mask:0xf bank_mask:0xf
	v_cmp_eq_u32_e32 vcc, 0, v31
	v_cmp_lt_u32_e64 s[0:1], 31, v39
	v_mov_b32_dpp v33, v32 row_bcast:31 row_mask:0xf bank_mask:0xf
	s_and_b64 vcc, s[0:1], vcc
	v_cndmask_b32_e64 v30, 0, v30, s[0:1]
	v_add_u32_e32 v30, v30, v31
	v_cndmask_b32_e32 v31, 0, v33, vcc
	v_add_u32_e32 v31, v31, v32
	v_cmp_eq_u32_e32 vcc, v71, v0
	v_lshlrev_b32_e32 v32, 3, v70
	s_and_saveexec_b64 s[0:1], vcc
	s_cbranch_execz .LBB314_64
; %bb.63:
	ds_write_b64 v32, v[30:31] offset:8208
.LBB314_64:
	s_or_b64 exec, exec, s[0:1]
	v_cmp_gt_u32_e32 vcc, 8, v0
	s_waitcnt lgkmcnt(0)
	s_barrier
	s_and_saveexec_b64 s[28:29], vcc
	s_cbranch_execz .LBB314_66
; %bb.65:
	v_lshlrev_b32_e32 v33, 3, v0
	ds_read_b64 v[34:35], v33 offset:8208
	v_and_b32_e32 v36, 7, v39
	v_cmp_lt_u32_e64 s[0:1], 1, v36
	s_waitcnt lgkmcnt(0)
	v_mov_b32_dpp v38, v35 row_shr:1 row_mask:0xf bank_mask:0xf
	v_cmp_eq_u32_e32 vcc, 0, v34
	v_mov_b32_dpp v37, v34 row_shr:1 row_mask:0xf bank_mask:0xf
	s_nop 0
	v_cndmask_b32_e32 v38, 0, v38, vcc
	v_cmp_eq_u32_e32 vcc, 0, v36
	s_nop 1
	v_cndmask_b32_e64 v37, v37, 0, vcc
	v_add_u32_e32 v34, v37, v34
	v_cndmask_b32_e64 v37, v38, 0, vcc
	v_add_u32_e32 v35, v37, v35
	v_cmp_eq_u32_e32 vcc, 0, v34
	v_mov_b32_dpp v37, v34 row_shr:2 row_mask:0xf bank_mask:0xf
	v_mov_b32_dpp v38, v35 row_shr:2 row_mask:0xf bank_mask:0xf
	v_cndmask_b32_e64 v37, 0, v37, s[0:1]
	s_and_b64 vcc, s[0:1], vcc
	v_cndmask_b32_e32 v38, 0, v38, vcc
	v_add_u32_e32 v34, v37, v34
	v_add_u32_e32 v35, v38, v35
	v_cmp_eq_u32_e32 vcc, 0, v34
	v_mov_b32_dpp v37, v34 row_shr:4 row_mask:0xf bank_mask:0xf
	v_cmp_lt_u32_e64 s[0:1], 3, v36
	v_mov_b32_dpp v38, v35 row_shr:4 row_mask:0xf bank_mask:0xf
	s_and_b64 vcc, s[0:1], vcc
	v_cndmask_b32_e64 v36, 0, v37, s[0:1]
	v_add_u32_e32 v34, v36, v34
	v_cndmask_b32_e32 v36, 0, v38, vcc
	v_add_u32_e32 v35, v36, v35
	ds_write_b64 v33, v[34:35] offset:8208
.LBB314_66:
	s_or_b64 exec, exec, s[28:29]
	v_cmp_gt_u32_e32 vcc, 64, v0
	v_cmp_lt_u32_e64 s[0:1], 63, v0
	v_mov_b32_e32 v36, 0
	v_mov_b32_e32 v37, 0
	s_waitcnt lgkmcnt(0)
	s_barrier
	s_and_saveexec_b64 s[28:29], s[0:1]
	s_cbranch_execz .LBB314_68
; %bb.67:
	ds_read_b64 v[36:37], v32 offset:8200
	v_cmp_eq_u32_e64 s[0:1], 0, v30
	s_waitcnt lgkmcnt(0)
	v_add_u32_e32 v32, v36, v30
	v_cndmask_b32_e64 v30, 0, v37, s[0:1]
	v_add_u32_e32 v31, v30, v31
	v_mov_b32_e32 v30, v32
.LBB314_68:
	s_or_b64 exec, exec, s[28:29]
	v_add_u32_e32 v32, -1, v39
	v_and_b32_e32 v33, 64, v39
	v_cmp_lt_i32_e64 s[0:1], v32, v33
	v_cmp_eq_u32_e64 s[28:29], 0, v39
	s_nop 0
	v_cndmask_b32_e64 v32, v32, v39, s[0:1]
	v_lshlrev_b32_e32 v32, 2, v32
	ds_bpermute_b32 v44, v32, v30
	ds_bpermute_b32 v45, v32, v31
	s_and_saveexec_b64 s[52:53], vcc
	s_cbranch_execz .LBB314_91
; %bb.69:
	v_mov_b32_e32 v35, 0
	ds_read_b64 v[30:31], v35 offset:8264
	s_waitcnt lgkmcnt(0)
	v_readfirstlane_b32 s56, v30
	v_readfirstlane_b32 s57, v31
	s_and_saveexec_b64 s[0:1], s[28:29]
	s_cbranch_execz .LBB314_71
; %bb.70:
	s_add_i32 s54, s58, 64
	s_mov_b32 s55, 0
	s_lshl_b64 s[60:61], s[54:55], 4
	s_add_u32 s60, s36, s60
	s_addc_u32 s61, s37, s61
	s_and_b32 s63, s57, 0xff000000
	s_mov_b32 s62, s55
	s_and_b32 s65, s57, 0xff0000
	s_mov_b32 s64, s55
	s_or_b64 s[62:63], s[64:65], s[62:63]
	s_and_b32 s65, s57, 0xff00
	s_or_b64 s[62:63], s[62:63], s[64:65]
	s_and_b32 s65, s57, 0xff
	s_or_b64 s[54:55], s[62:63], s[64:65]
	v_mov_b32_e32 v32, s56
	v_mov_b32_e32 v33, s55
	;; [unrolled: 1-line block ×3, first 2 shown]
	v_mov_b64_e32 v[30:31], s[60:61]
	;;#ASMSTART
	global_store_dwordx4 v[30:31], v[32:35] off sc1	
s_waitcnt vmcnt(0)
	;;#ASMEND
.LBB314_71:
	s_or_b64 exec, exec, s[0:1]
	v_xad_u32 v38, v39, -1, s58
	v_add_u32_e32 v34, 64, v38
	v_lshl_add_u64 v[40:41], v[34:35], 4, s[36:37]
	;;#ASMSTART
	global_load_dwordx4 v[30:33], v[40:41] off sc1	
s_waitcnt vmcnt(0)
	;;#ASMEND
	s_nop 0
	v_and_b32_e32 v33, 0xff, v31
	v_and_b32_e32 v34, 0xff00, v31
	v_or3_b32 v30, v30, 0, 0
	v_and_b32_e32 v42, 0xff000000, v31
	v_or3_b32 v33, 0, v33, v34
	;; [unrolled: 2-line block ×3, first 2 shown]
	v_or3_b32 v30, v30, 0, 0
	v_cmp_eq_u16_sdwa s[54:55], v32, v35 src0_sel:BYTE_0 src1_sel:DWORD
	s_and_saveexec_b64 s[0:1], s[54:55]
	s_cbranch_execz .LBB314_77
; %bb.72:
	s_mov_b32 s59, 1
	s_mov_b64 s[54:55], 0
	v_mov_b32_e32 v34, 0
.LBB314_73:                             ; =>This Loop Header: Depth=1
                                        ;     Child Loop BB314_74 Depth 2
	s_max_u32 s60, s59, 1
.LBB314_74:                             ;   Parent Loop BB314_73 Depth=1
                                        ; =>  This Inner Loop Header: Depth=2
	s_add_i32 s60, s60, -1
	s_cmp_eq_u32 s60, 0
	s_sleep 1
	s_cbranch_scc0 .LBB314_74
; %bb.75:                               ;   in Loop: Header=BB314_73 Depth=1
	s_cmp_lt_u32 s59, 32
	s_cselect_b64 s[60:61], -1, 0
	s_cmp_lg_u64 s[60:61], 0
	s_addc_u32 s59, s59, 0
	;;#ASMSTART
	global_load_dwordx4 v[30:33], v[40:41] off sc1	
s_waitcnt vmcnt(0)
	;;#ASMEND
	s_nop 0
	v_cmp_ne_u16_sdwa s[60:61], v32, v34 src0_sel:BYTE_0 src1_sel:DWORD
	s_or_b64 s[54:55], s[60:61], s[54:55]
	s_andn2_b64 exec, exec, s[54:55]
	s_cbranch_execnz .LBB314_73
; %bb.76:
	s_or_b64 exec, exec, s[54:55]
.LBB314_77:
	s_or_b64 exec, exec, s[0:1]
	v_mov_b32_e32 v48, 2
	v_cmp_eq_u16_sdwa s[0:1], v32, v48 src0_sel:BYTE_0 src1_sel:DWORD
	v_lshlrev_b64 v[40:41], v39, -1
	v_and_b32_e32 v49, 63, v39
	v_and_b32_e32 v33, s1, v41
	v_or_b32_e32 v33, 0x80000000, v33
	v_cmp_ne_u32_e32 vcc, 63, v49
	v_and_b32_e32 v34, s0, v40
	v_ffbl_b32_e32 v33, v33
	v_addc_co_u32_e32 v35, vcc, 0, v39, vcc
	v_add_u32_e32 v33, 32, v33
	v_ffbl_b32_e32 v34, v34
	v_lshlrev_b32_e32 v50, 2, v35
	v_min_u32_e32 v33, v34, v33
	ds_bpermute_b32 v34, v50, v31
	v_cmp_eq_u32_e32 vcc, 0, v30
	v_cmp_lt_u32_e64 s[0:1], v49, v33
	ds_bpermute_b32 v35, v50, v30
	s_and_b64 vcc, s[0:1], vcc
	s_waitcnt lgkmcnt(1)
	v_cndmask_b32_e32 v34, 0, v34, vcc
	v_cmp_gt_u32_e32 vcc, 62, v49
	v_add_u32_e32 v31, v34, v31
	s_waitcnt lgkmcnt(0)
	v_cndmask_b32_e64 v35, 0, v35, s[0:1]
	v_cndmask_b32_e64 v34, 0, 1, vcc
	v_lshlrev_b32_e32 v34, 1, v34
	v_add_lshl_u32 v51, v34, v39, 2
	ds_bpermute_b32 v34, v51, v31
	v_add_u32_e32 v30, v35, v30
	ds_bpermute_b32 v35, v51, v30
	v_add_u32_e32 v52, 2, v49
	v_cmp_eq_u32_e32 vcc, 0, v30
	v_add_u32_e32 v54, 4, v49
	v_add_u32_e32 v56, 8, v49
	s_waitcnt lgkmcnt(1)
	v_cndmask_b32_e32 v34, 0, v34, vcc
	v_cmp_gt_u32_e32 vcc, v52, v33
	v_add_u32_e32 v58, 16, v49
	v_add_u32_e32 v60, 32, v49
	v_cndmask_b32_e64 v34, v34, 0, vcc
	v_add_u32_e32 v31, v34, v31
	s_waitcnt lgkmcnt(0)
	v_cndmask_b32_e64 v34, v35, 0, vcc
	v_cmp_gt_u32_e32 vcc, 60, v49
	v_add_u32_e32 v30, v30, v34
	s_nop 0
	v_cndmask_b32_e64 v35, 0, 1, vcc
	v_lshlrev_b32_e32 v35, 2, v35
	v_add_lshl_u32 v53, v35, v39, 2
	ds_bpermute_b32 v35, v53, v31
	ds_bpermute_b32 v34, v53, v30
	v_cmp_eq_u32_e32 vcc, 0, v30
	s_waitcnt lgkmcnt(1)
	s_nop 0
	v_cndmask_b32_e32 v35, 0, v35, vcc
	v_cmp_gt_u32_e32 vcc, v54, v33
	s_nop 1
	v_cndmask_b32_e64 v35, v35, 0, vcc
	s_waitcnt lgkmcnt(0)
	v_cndmask_b32_e64 v34, v34, 0, vcc
	v_cmp_gt_u32_e32 vcc, 56, v49
	v_add_u32_e32 v31, v31, v35
	v_add_u32_e32 v30, v30, v34
	v_cndmask_b32_e64 v35, 0, 1, vcc
	v_lshlrev_b32_e32 v35, 3, v35
	v_add_lshl_u32 v55, v35, v39, 2
	ds_bpermute_b32 v35, v55, v31
	ds_bpermute_b32 v34, v55, v30
	v_cmp_eq_u32_e32 vcc, 0, v30
	s_waitcnt lgkmcnt(1)
	s_nop 0
	v_cndmask_b32_e32 v35, 0, v35, vcc
	v_cmp_gt_u32_e32 vcc, v56, v33
	s_nop 1
	v_cndmask_b32_e64 v35, v35, 0, vcc
	s_waitcnt lgkmcnt(0)
	v_cndmask_b32_e64 v34, v34, 0, vcc
	v_cmp_gt_u32_e32 vcc, 48, v49
	v_add_u32_e32 v31, v31, v35
	v_add_u32_e32 v30, v30, v34
	;; [unrolled: 17-line block ×3, first 2 shown]
	v_cndmask_b32_e64 v35, 0, 1, vcc
	v_lshlrev_b32_e32 v35, 5, v35
	v_add_lshl_u32 v59, v35, v39, 2
	ds_bpermute_b32 v35, v59, v31
	ds_bpermute_b32 v34, v59, v30
	v_cmp_eq_u32_e32 vcc, 0, v30
	v_mov_b32_e32 v39, 0
	s_waitcnt lgkmcnt(1)
	v_cndmask_b32_e32 v35, 0, v35, vcc
	v_cmp_gt_u32_e32 vcc, v60, v33
	s_nop 1
	v_cndmask_b32_e64 v33, v35, 0, vcc
	v_add_u32_e32 v31, v33, v31
	s_waitcnt lgkmcnt(0)
	v_cndmask_b32_e64 v33, v34, 0, vcc
	v_add_u32_e32 v30, v33, v30
	s_branch .LBB314_79
.LBB314_78:                             ;   in Loop: Header=BB314_79 Depth=1
	s_or_b64 exec, exec, s[0:1]
	v_cmp_eq_u16_sdwa s[0:1], v32, v48 src0_sel:BYTE_0 src1_sel:DWORD
	v_cmp_eq_u32_e32 vcc, 0, v30
	ds_bpermute_b32 v43, v50, v30
	v_and_b32_e32 v33, s1, v41
	v_or_b32_e32 v33, 0x80000000, v33
	v_and_b32_e32 v42, s0, v40
	v_ffbl_b32_e32 v33, v33
	v_add_u32_e32 v33, 32, v33
	v_ffbl_b32_e32 v42, v42
	v_min_u32_e32 v33, v42, v33
	ds_bpermute_b32 v42, v50, v31
	v_cmp_lt_u32_e64 s[0:1], v49, v33
	s_and_b64 vcc, s[0:1], vcc
	v_subrev_u32_e32 v38, 64, v38
	s_waitcnt lgkmcnt(1)
	v_cndmask_b32_e64 v43, 0, v43, s[0:1]
	s_waitcnt lgkmcnt(0)
	v_cndmask_b32_e32 v42, 0, v42, vcc
	v_add_u32_e32 v31, v42, v31
	ds_bpermute_b32 v42, v51, v31
	v_add_u32_e32 v30, v43, v30
	v_cmp_eq_u32_e32 vcc, 0, v30
	ds_bpermute_b32 v43, v51, v30
	s_waitcnt lgkmcnt(1)
	v_cndmask_b32_e32 v42, 0, v42, vcc
	v_cmp_gt_u32_e32 vcc, v52, v33
	s_nop 1
	v_cndmask_b32_e64 v42, v42, 0, vcc
	v_add_u32_e32 v31, v42, v31
	ds_bpermute_b32 v42, v53, v31
	s_waitcnt lgkmcnt(1)
	v_cndmask_b32_e64 v43, v43, 0, vcc
	v_add_u32_e32 v30, v30, v43
	v_cmp_eq_u32_e32 vcc, 0, v30
	ds_bpermute_b32 v43, v53, v30
	s_waitcnt lgkmcnt(1)
	v_cndmask_b32_e32 v42, 0, v42, vcc
	v_cmp_gt_u32_e32 vcc, v54, v33
	s_nop 1
	v_cndmask_b32_e64 v42, v42, 0, vcc
	v_add_u32_e32 v31, v31, v42
	ds_bpermute_b32 v42, v55, v31
	s_waitcnt lgkmcnt(1)
	v_cndmask_b32_e64 v43, v43, 0, vcc
	v_add_u32_e32 v30, v30, v43
	ds_bpermute_b32 v43, v55, v30
	v_cmp_eq_u32_e32 vcc, 0, v30
	s_waitcnt lgkmcnt(1)
	s_nop 0
	v_cndmask_b32_e32 v42, 0, v42, vcc
	v_cmp_gt_u32_e32 vcc, v56, v33
	s_nop 1
	v_cndmask_b32_e64 v42, v42, 0, vcc
	v_add_u32_e32 v31, v31, v42
	ds_bpermute_b32 v42, v57, v31
	s_waitcnt lgkmcnt(1)
	v_cndmask_b32_e64 v43, v43, 0, vcc
	v_add_u32_e32 v30, v30, v43
	ds_bpermute_b32 v43, v57, v30
	v_cmp_eq_u32_e32 vcc, 0, v30
	s_waitcnt lgkmcnt(1)
	s_nop 0
	;; [unrolled: 13-line block ×3, first 2 shown]
	v_cndmask_b32_e32 v42, 0, v42, vcc
	v_cmp_gt_u32_e32 vcc, v60, v33
	s_nop 1
	v_cndmask_b32_e64 v33, v42, 0, vcc
	v_add_u32_e32 v31, v33, v31
	s_waitcnt lgkmcnt(0)
	v_cndmask_b32_e64 v33, v43, 0, vcc
	v_cmp_eq_u32_e32 vcc, 0, v34
	v_add3_u32 v30, v30, v34, v33
	s_nop 0
	v_cndmask_b32_e32 v31, 0, v31, vcc
	v_add_u32_e32 v31, v31, v35
.LBB314_79:                             ; =>This Loop Header: Depth=1
                                        ;     Child Loop BB314_82 Depth 2
                                        ;       Child Loop BB314_83 Depth 3
	v_cmp_ne_u16_sdwa s[0:1], v32, v48 src0_sel:BYTE_0 src1_sel:DWORD
	v_mov_b32_e32 v35, v31
	v_mov_b32_e32 v34, v30
	v_cndmask_b32_e64 v31, 0, 1, s[0:1]
	;;#ASMSTART
	;;#ASMEND
	s_nop 0
	v_cmp_ne_u32_e32 vcc, 0, v31
	s_cmp_lg_u64 vcc, exec
	s_cbranch_scc1 .LBB314_86
; %bb.80:                               ;   in Loop: Header=BB314_79 Depth=1
	v_lshl_add_u64 v[42:43], v[38:39], 4, s[36:37]
	;;#ASMSTART
	global_load_dwordx4 v[30:33], v[42:43] off sc1	
s_waitcnt vmcnt(0)
	;;#ASMEND
	s_nop 0
	v_and_b32_e32 v33, 0xff, v31
	v_and_b32_e32 v61, 0xff00, v31
	v_or3_b32 v30, v30, 0, 0
	v_and_b32_e32 v62, 0xff000000, v31
	v_or3_b32 v33, 0, v33, v61
	;; [unrolled: 2-line block ×3, first 2 shown]
	v_or3_b32 v30, v30, 0, 0
	v_cmp_eq_u16_sdwa s[54:55], v32, v39 src0_sel:BYTE_0 src1_sel:DWORD
	s_and_saveexec_b64 s[0:1], s[54:55]
	s_cbranch_execz .LBB314_78
; %bb.81:                               ;   in Loop: Header=BB314_79 Depth=1
	s_mov_b32 s59, 1
	s_mov_b64 s[54:55], 0
.LBB314_82:                             ;   Parent Loop BB314_79 Depth=1
                                        ; =>  This Loop Header: Depth=2
                                        ;       Child Loop BB314_83 Depth 3
	s_max_u32 s60, s59, 1
.LBB314_83:                             ;   Parent Loop BB314_79 Depth=1
                                        ;     Parent Loop BB314_82 Depth=2
                                        ; =>    This Inner Loop Header: Depth=3
	s_add_i32 s60, s60, -1
	s_cmp_eq_u32 s60, 0
	s_sleep 1
	s_cbranch_scc0 .LBB314_83
; %bb.84:                               ;   in Loop: Header=BB314_82 Depth=2
	s_cmp_lt_u32 s59, 32
	s_cselect_b64 s[60:61], -1, 0
	s_cmp_lg_u64 s[60:61], 0
	s_addc_u32 s59, s59, 0
	;;#ASMSTART
	global_load_dwordx4 v[30:33], v[42:43] off sc1	
s_waitcnt vmcnt(0)
	;;#ASMEND
	s_nop 0
	v_cmp_ne_u16_sdwa s[60:61], v32, v39 src0_sel:BYTE_0 src1_sel:DWORD
	s_or_b64 s[54:55], s[60:61], s[54:55]
	s_andn2_b64 exec, exec, s[54:55]
	s_cbranch_execnz .LBB314_82
; %bb.85:                               ;   in Loop: Header=BB314_79 Depth=1
	s_or_b64 exec, exec, s[54:55]
	s_branch .LBB314_78
.LBB314_86:                             ;   in Loop: Header=BB314_79 Depth=1
                                        ; implicit-def: $vgpr31
                                        ; implicit-def: $vgpr30
                                        ; implicit-def: $vgpr32
	s_cbranch_execz .LBB314_79
; %bb.87:
	s_and_saveexec_b64 s[0:1], s[28:29]
	s_cbranch_execz .LBB314_89
; %bb.88:
	s_cmp_eq_u32 s56, 0
	s_cselect_b64 vcc, -1, 0
	s_mov_b32 s55, 0
	v_cndmask_b32_e32 v30, 0, v35, vcc
	s_add_i32 s54, s58, 64
	v_add_u32_e32 v30, s57, v30
	s_lshl_b64 s[54:55], s[54:55], 4
	s_add_u32 s54, s36, s54
	v_and_b32_e32 v31, 0xff000000, v30
	v_and_b32_e32 v32, 0xff0000, v30
	s_addc_u32 s55, s37, s55
	v_or_b32_e32 v31, v32, v31
	v_and_b32_e32 v32, 0xff00, v30
	v_and_b32_e32 v30, 0xff, v30
	v_add_u32_e32 v38, s56, v34
	v_mov_b32_e32 v41, 0
	v_or3_b32 v39, v31, v32, v30
	v_mov_b32_e32 v40, 2
	v_mov_b64_e32 v[30:31], s[54:55]
	;;#ASMSTART
	global_store_dwordx4 v[30:31], v[38:41] off sc1	
s_waitcnt vmcnt(0)
	;;#ASMEND
	v_mov_b32_e32 v32, s56
	v_mov_b32_e32 v33, s57
	ds_write_b128 v41, v[32:35] offset:8192
.LBB314_89:
	s_or_b64 exec, exec, s[0:1]
	s_and_b64 exec, exec, s[34:35]
	s_cbranch_execz .LBB314_91
; %bb.90:
	v_mov_b32_e32 v30, 0
	ds_write_b64 v30, v[34:35] offset:8264
.LBB314_91:
	s_or_b64 exec, exec, s[52:53]
	v_mov_b32_e32 v32, 0
	s_waitcnt lgkmcnt(0)
	s_barrier
	ds_read_b64 v[30:31], v32 offset:8264
	v_cndmask_b32_e64 v34, v44, v36, s[28:29]
	v_cmp_eq_u32_e32 vcc, 0, v34
	v_cndmask_b32_e64 v33, v45, v37, s[28:29]
	s_waitcnt lgkmcnt(0)
	v_cndmask_b32_e32 v35, 0, v31, vcc
	v_add_u32_e32 v33, v35, v33
	v_cndmask_b32_e64 v67, v33, v31, s[34:35]
	v_cndmask_b32_e64 v31, v34, 0, s[34:35]
	v_cmp_eq_u32_e32 vcc, 0, v85
	v_add_u32_e32 v66, v30, v31
	v_add_u32_e32 v64, v66, v85
	v_cndmask_b32_e32 v30, 0, v67, vcc
	v_add_u32_e32 v65, v30, v68
	v_cndmask_b32_e64 v30, 0, v65, s[26:27]
	v_add_u32_e32 v63, v30, v68
	v_cndmask_b32_e64 v30, 0, v63, s[24:25]
	;; [unrolled: 2-line block ×8, first 2 shown]
	v_add_u32_e32 v49, v30, v68
	v_add_u32_e32 v62, v64, v84
	v_cndmask_b32_e64 v30, 0, v49, s[10:11]
	v_add_u32_e32 v60, v62, v83
	v_add_u32_e32 v45, v30, v68
	v_add_u32_e32 v58, v60, v82
	v_cndmask_b32_e64 v30, 0, v45, s[8:9]
	v_add_u32_e32 v56, v58, v81
	v_add_u32_e32 v43, v30, v68
	v_add_u32_e32 v54, v56, v80
	v_cndmask_b32_e64 v30, 0, v43, s[6:7]
	v_add_u32_e32 v52, v54, v79
	v_add_u32_e32 v41, v30, v68
	s_barrier
	ds_read_b128 v[30:33], v32 offset:8192
	v_add_u32_e32 v50, v52, v78
	v_add_u32_e32 v48, v50, v77
	;; [unrolled: 1-line block ×4, first 2 shown]
	v_cndmask_b32_e64 v34, 0, v41, s[4:5]
	v_add_u32_e32 v40, v42, v74
	v_add_u32_e32 v37, v34, v68
	s_waitcnt lgkmcnt(0)
	v_cmp_eq_u32_e32 vcc, 0, v30
	v_add_u32_e32 v36, v40, v73
	v_cndmask_b32_e64 v34, 0, v37, s[2:3]
	v_cndmask_b32_e32 v33, 0, v33, vcc
	v_add_u32_e32 v38, v36, v72
	v_add_u32_e32 v39, v34, v68
	;; [unrolled: 1-line block ×3, first 2 shown]
	s_branch .LBB314_104
.LBB314_92:
                                        ; implicit-def: $vgpr30
                                        ; implicit-def: $vgpr34
                                        ; implicit-def: $vgpr38_vgpr39
                                        ; implicit-def: $vgpr36_vgpr37
                                        ; implicit-def: $vgpr40_vgpr41
                                        ; implicit-def: $vgpr42_vgpr43
                                        ; implicit-def: $vgpr66_vgpr67
                                        ; implicit-def: $vgpr64_vgpr65
                                        ; implicit-def: $vgpr62_vgpr63
                                        ; implicit-def: $vgpr60_vgpr61
                                        ; implicit-def: $vgpr58_vgpr59
                                        ; implicit-def: $vgpr56_vgpr57
                                        ; implicit-def: $vgpr54_vgpr55
                                        ; implicit-def: $vgpr52_vgpr53
                                        ; implicit-def: $vgpr50_vgpr51
                                        ; implicit-def: $vgpr48_vgpr49
                                        ; implicit-def: $vgpr44_vgpr45
	s_cbranch_execz .LBB314_104
; %bb.93:
	s_and_b64 s[0:1], s[38:39], exec
	s_cselect_b32 s1, 0, s51
	s_cselect_b32 s0, 0, s50
	s_cmp_eq_u64 s[0:1], 0
	v_mov_b32_e32 v34, v68
	s_cbranch_scc1 .LBB314_95
; %bb.94:
	v_mov_b32_e32 v30, 0
	global_load_dword v34, v30, s[0:1]
.LBB314_95:
	v_cmp_eq_u32_e64 s[2:3], 0, v84
	v_cmp_eq_u32_e64 s[4:5], 0, v83
	v_cmp_eq_u32_e64 s[6:7], 0, v82
	v_cndmask_b32_e64 v30, 0, v68, s[2:3]
	v_add_u32_e32 v30, v30, v68
	v_cndmask_b32_e64 v30, 0, v30, s[4:5]
	v_add_u32_e32 v30, v30, v68
	v_cndmask_b32_e64 v30, 0, v30, s[6:7]
	v_add_u32_e32 v30, v30, v68
	v_cmp_eq_u32_e64 s[8:9], 0, v81
	v_cmp_eq_u32_e64 s[10:11], 0, v80
	v_cmp_eq_u32_e64 s[12:13], 0, v79
	v_cndmask_b32_e64 v30, 0, v30, s[8:9]
	v_add_u32_e32 v30, v30, v68
	v_cndmask_b32_e64 v30, 0, v30, s[10:11]
	v_add_u32_e32 v30, v30, v68
	v_cndmask_b32_e64 v30, 0, v30, s[12:13]
	v_add_u32_e32 v30, v30, v68
	;; [unrolled: 9-line block ×3, first 2 shown]
	v_cmp_eq_u32_e64 s[20:21], 0, v75
	v_cmp_eq_u32_e64 s[22:23], 0, v74
	;; [unrolled: 1-line block ×3, first 2 shown]
	v_cndmask_b32_e64 v30, 0, v30, s[20:21]
	v_add_u32_e32 v30, v30, v68
	v_cndmask_b32_e64 v30, 0, v30, s[22:23]
	v_add_u32_e32 v30, v30, v68
	v_cndmask_b32_e64 v30, 0, v30, s[24:25]
	v_add3_u32 v31, v87, v80, v79
	v_add_u32_e32 v30, v30, v68
	v_cmp_eq_u32_e32 vcc, 0, v72
	v_add3_u32 v31, v31, v78, v77
	v_add3_u32 v31, v31, v76, v75
	v_cndmask_b32_e32 v30, 0, v30, vcc
	v_add_u32_e32 v30, v30, v68
	v_cmp_eq_u32_e64 s[0:1], 0, v1
	v_add3_u32 v31, v31, v74, v73
	v_add3_u32 v31, v31, v72, v1
	v_cndmask_b32_e64 v30, 0, v30, s[0:1]
	v_add_u32_e32 v30, v30, v69
	v_mbcnt_hi_u32_b32 v35, -1, v86
	v_and_b32_e32 v32, 15, v35
	v_mov_b32_dpp v36, v30 row_shr:1 row_mask:0xf bank_mask:0xf
	v_cmp_eq_u32_e64 s[0:1], 0, v31
	v_mov_b32_dpp v33, v31 row_shr:1 row_mask:0xf bank_mask:0xf
	v_cmp_lt_u32_e64 s[26:27], 1, v32
	v_cndmask_b32_e64 v36, 0, v36, s[0:1]
	v_cmp_eq_u32_e64 s[0:1], 0, v32
	s_nop 1
	v_cndmask_b32_e64 v33, v33, 0, s[0:1]
	v_add_u32_e32 v31, v33, v31
	v_cndmask_b32_e64 v33, v36, 0, s[0:1]
	v_add_u32_e32 v30, v33, v30
	v_cmp_eq_u32_e64 s[0:1], 0, v31
	v_mov_b32_dpp v33, v31 row_shr:2 row_mask:0xf bank_mask:0xf
	v_mov_b32_dpp v36, v30 row_shr:2 row_mask:0xf bank_mask:0xf
	v_cndmask_b32_e64 v33, 0, v33, s[26:27]
	s_and_b64 s[0:1], s[26:27], s[0:1]
	v_cndmask_b32_e64 v36, 0, v36, s[0:1]
	v_add_u32_e32 v31, v31, v33
	v_add_u32_e32 v30, v36, v30
	v_cmp_eq_u32_e64 s[0:1], 0, v31
	v_mov_b32_dpp v33, v31 row_shr:4 row_mask:0xf bank_mask:0xf
	v_cmp_lt_u32_e64 s[26:27], 3, v32
	v_mov_b32_dpp v36, v30 row_shr:4 row_mask:0xf bank_mask:0xf
	s_and_b64 s[0:1], s[26:27], s[0:1]
	v_cndmask_b32_e64 v33, 0, v33, s[26:27]
	v_cndmask_b32_e64 v36, 0, v36, s[0:1]
	v_add_u32_e32 v31, v33, v31
	v_add_u32_e32 v30, v30, v36
	v_cmp_eq_u32_e64 s[0:1], 0, v31
	v_cmp_lt_u32_e64 s[26:27], 7, v32
	v_mov_b32_dpp v33, v31 row_shr:8 row_mask:0xf bank_mask:0xf
	v_mov_b32_dpp v36, v30 row_shr:8 row_mask:0xf bank_mask:0xf
	s_and_b64 s[0:1], s[26:27], s[0:1]
	v_cndmask_b32_e64 v32, 0, v33, s[26:27]
	v_cndmask_b32_e64 v33, 0, v36, s[0:1]
	v_add_u32_e32 v30, v33, v30
	v_add_u32_e32 v31, v32, v31
	v_bfe_i32 v36, v35, 4, 1
	v_mov_b32_dpp v33, v30 row_bcast:15 row_mask:0xf bank_mask:0xf
	v_mov_b32_dpp v32, v31 row_bcast:15 row_mask:0xf bank_mask:0xf
	v_cmp_eq_u32_e64 s[0:1], 0, v31
	v_and_b32_e32 v32, v36, v32
	v_add_u32_e32 v31, v32, v31
	v_cndmask_b32_e64 v33, 0, v33, s[0:1]
	v_and_b32_e32 v32, v36, v33
	v_add_u32_e32 v32, v32, v30
	v_mov_b32_dpp v30, v31 row_bcast:31 row_mask:0xf bank_mask:0xf
	v_cmp_eq_u32_e64 s[0:1], 0, v31
	v_cmp_lt_u32_e64 s[26:27], 31, v35
	v_mov_b32_dpp v33, v32 row_bcast:31 row_mask:0xf bank_mask:0xf
	s_and_b64 s[0:1], s[26:27], s[0:1]
	v_cndmask_b32_e64 v30, 0, v30, s[26:27]
	v_add_u32_e32 v30, v30, v31
	v_cndmask_b32_e64 v31, 0, v33, s[0:1]
	v_add_u32_e32 v31, v31, v32
	v_cmp_eq_u32_e64 s[0:1], v71, v0
	s_and_saveexec_b64 s[26:27], s[0:1]
	s_cbranch_execz .LBB314_97
; %bb.96:
	v_lshlrev_b32_e32 v32, 3, v70
	ds_write_b64 v32, v[30:31] offset:8208
.LBB314_97:
	s_or_b64 exec, exec, s[26:27]
	v_cmp_gt_u32_e64 s[0:1], 8, v0
	s_waitcnt lgkmcnt(0)
	s_barrier
	s_and_saveexec_b64 s[28:29], s[0:1]
	s_cbranch_execz .LBB314_99
; %bb.98:
	v_lshlrev_b32_e32 v36, 3, v0
	ds_read_b64 v[32:33], v36 offset:8208
	v_and_b32_e32 v37, 7, v35
	v_cmp_lt_u32_e64 s[26:27], 1, v37
	s_waitcnt lgkmcnt(0)
	v_mov_b32_dpp v39, v33 row_shr:1 row_mask:0xf bank_mask:0xf
	v_cmp_eq_u32_e64 s[0:1], 0, v32
	v_mov_b32_dpp v38, v32 row_shr:1 row_mask:0xf bank_mask:0xf
	s_nop 0
	v_cndmask_b32_e64 v39, 0, v39, s[0:1]
	v_cmp_eq_u32_e64 s[0:1], 0, v37
	s_nop 1
	v_cndmask_b32_e64 v38, v38, 0, s[0:1]
	v_add_u32_e32 v32, v38, v32
	v_cndmask_b32_e64 v38, v39, 0, s[0:1]
	v_add_u32_e32 v33, v38, v33
	v_cmp_eq_u32_e64 s[0:1], 0, v32
	v_mov_b32_dpp v38, v32 row_shr:2 row_mask:0xf bank_mask:0xf
	v_mov_b32_dpp v39, v33 row_shr:2 row_mask:0xf bank_mask:0xf
	v_cndmask_b32_e64 v38, 0, v38, s[26:27]
	s_and_b64 s[0:1], s[26:27], s[0:1]
	v_cndmask_b32_e64 v39, 0, v39, s[0:1]
	v_add_u32_e32 v32, v38, v32
	v_add_u32_e32 v33, v39, v33
	v_cmp_eq_u32_e64 s[0:1], 0, v32
	v_mov_b32_dpp v38, v32 row_shr:4 row_mask:0xf bank_mask:0xf
	v_cmp_lt_u32_e64 s[26:27], 3, v37
	v_mov_b32_dpp v39, v33 row_shr:4 row_mask:0xf bank_mask:0xf
	s_and_b64 s[0:1], s[26:27], s[0:1]
	v_cndmask_b32_e64 v37, 0, v38, s[26:27]
	v_add_u32_e32 v32, v37, v32
	v_cndmask_b32_e64 v37, 0, v39, s[0:1]
	v_add_u32_e32 v33, v37, v33
	ds_write_b64 v36, v[32:33] offset:8208
.LBB314_99:
	s_or_b64 exec, exec, s[28:29]
	v_cmp_lt_u32_e64 s[0:1], 63, v0
	v_mov_b32_e32 v37, 0
	v_mov_b32_e32 v32, 0
	s_waitcnt vmcnt(0)
	v_mov_b32_e32 v33, v34
	s_waitcnt lgkmcnt(0)
	s_barrier
	s_and_saveexec_b64 s[26:27], s[0:1]
	s_cbranch_execz .LBB314_101
; %bb.100:
	v_lshlrev_b32_e32 v32, 3, v70
	ds_read_b64 v[32:33], v32 offset:8200
	s_waitcnt lgkmcnt(0)
	v_cmp_eq_u32_e64 s[0:1], 0, v32
	s_nop 1
	v_cndmask_b32_e64 v36, 0, v34, s[0:1]
	v_add_u32_e32 v33, v36, v33
.LBB314_101:
	s_or_b64 exec, exec, s[26:27]
	v_cmp_eq_u32_e64 s[0:1], 0, v30
	v_add_u32_e32 v36, v32, v30
	v_and_b32_e32 v38, 64, v35
	v_cndmask_b32_e64 v30, 0, v33, s[0:1]
	v_add_u32_e32 v30, v30, v31
	v_add_u32_e32 v31, -1, v35
	v_cmp_lt_i32_e64 s[0:1], v31, v38
	s_nop 1
	v_cndmask_b32_e64 v31, v31, v35, s[0:1]
	v_lshlrev_b32_e32 v31, 2, v31
	ds_bpermute_b32 v30, v31, v30
	ds_bpermute_b32 v36, v31, v36
	v_cmp_eq_u32_e64 s[0:1], 0, v35
	s_waitcnt lgkmcnt(1)
	s_nop 0
	v_cndmask_b32_e64 v30, v30, v33, s[0:1]
	s_waitcnt lgkmcnt(0)
	v_cndmask_b32_e64 v31, v36, v32, s[0:1]
	v_cndmask_b32_e64 v67, v30, v34, s[34:35]
	v_cmp_eq_u32_e64 s[0:1], 0, v85
	v_cndmask_b32_e64 v66, v31, 0, s[34:35]
	v_add_u32_e32 v64, v66, v85
	v_cndmask_b32_e64 v30, 0, v67, s[0:1]
	v_add_u32_e32 v65, v30, v68
	;; [unrolled: 2-line block ×10, first 2 shown]
	v_add_u32_e32 v62, v64, v84
	v_cndmask_b32_e64 v30, 0, v49, s[18:19]
	v_add_u32_e32 v60, v62, v83
	v_add_u32_e32 v45, v30, v68
	v_add_u32_e32 v58, v60, v82
	v_cndmask_b32_e64 v30, 0, v45, s[20:21]
	v_add_u32_e32 v56, v58, v81
	v_add_u32_e32 v43, v30, v68
	;; [unrolled: 4-line block ×3, first 2 shown]
	ds_read_b64 v[30:31], v37 offset:8264
	v_add_u32_e32 v50, v52, v78
	v_add_u32_e32 v48, v50, v77
	v_add_u32_e32 v44, v48, v76
	v_cndmask_b32_e64 v32, 0, v41, s[24:25]
	v_add_u32_e32 v42, v44, v75
	v_add_u32_e32 v37, v32, v68
	v_add_u32_e32 v40, v42, v74
	v_cndmask_b32_e32 v32, 0, v37, vcc
	s_waitcnt lgkmcnt(0)
	v_cmp_eq_u32_e32 vcc, 0, v30
	v_add_u32_e32 v36, v40, v73
	v_add_u32_e32 v39, v32, v68
	v_cndmask_b32_e32 v32, 0, v34, vcc
	v_add_u32_e32 v38, v36, v72
	v_add_u32_e32 v34, v32, v31
	s_and_saveexec_b64 s[0:1], s[34:35]
	s_cbranch_execz .LBB314_103
; %bb.102:
	s_add_u32 s2, s36, 0x400
	v_and_b32_e32 v31, 0xff000000, v34
	v_and_b32_e32 v32, 0xff0000, v34
	s_addc_u32 s3, s37, 0
	v_or_b32_e32 v31, v32, v31
	v_and_b32_e32 v32, 0xff00, v34
	v_and_b32_e32 v35, 0xff, v34
	v_mov_b32_e32 v33, 0
	v_or3_b32 v31, v31, v32, v35
	v_mov_b32_e32 v32, 2
	v_mov_b64_e32 v[68:69], s[2:3]
	;;#ASMSTART
	global_store_dwordx4 v[68:69], v[30:33] off sc1	
s_waitcnt vmcnt(0)
	;;#ASMEND
.LBB314_103:
	s_or_b64 exec, exec, s[0:1]
	v_mov_b32_e32 v32, 0
.LBB314_104:
	s_and_b64 s[0:1], s[38:39], exec
	s_cselect_b32 s1, 0, s31
	s_cselect_b32 s0, 0, s30
	s_cmp_eq_u64 s[0:1], 0
	v_mov_b64_e32 v[68:69], 0
	s_barrier
	s_cbranch_scc1 .LBB314_106
; %bb.105:
	v_mov_b32_e32 v31, 0
	global_load_dwordx2 v[68:69], v31, s[0:1]
.LBB314_106:
	v_cmp_eq_u32_e32 vcc, 0, v85
	s_movk_i32 s0, 0x200
	v_mov_b32_e32 v33, 0
	v_cndmask_b32_e64 v31, 1, 2, vcc
	v_cmp_eq_u32_e32 vcc, 0, v84
	v_cmp_ne_u32_e64 s[30:31], 0, v85
	v_cmp_ne_u32_e64 s[28:29], 0, v84
	v_cndmask_b32_e64 v35, 1, 2, vcc
	v_cmp_eq_u32_e32 vcc, 0, v83
	v_and_b32_e32 v31, v35, v31
	v_cmp_ne_u32_e64 s[26:27], 0, v83
	v_cndmask_b32_e64 v35, 1, 2, vcc
	v_cmp_eq_u32_e32 vcc, 0, v82
	v_and_b32_e32 v31, v31, v35
	;; [unrolled: 4-line block ×13, first 2 shown]
	v_cmp_ne_u32_e64 s[2:3], 0, v1
	v_cndmask_b32_e64 v35, 1, 2, vcc
	v_and_b32_e32 v31, v31, v35
	v_cmp_gt_u32_e32 vcc, s0, v30
	s_mov_b64 s[36:37], -1
	v_cmp_gt_i16_e64 s[0:1], 2, v31
	s_cbranch_vccz .LBB314_113
; %bb.107:
	s_and_saveexec_b64 s[36:37], s[0:1]
	s_cbranch_execz .LBB314_112
; %bb.108:
	s_waitcnt vmcnt(0)
	v_lshlrev_b64 v[70:71], 3, v[68:69]
	v_lshl_add_u64 v[70:71], s[44:45], 0, v[70:71]
	v_lshlrev_b64 v[86:87], 3, v[32:33]
	v_lshl_add_u64 v[70:71], v[70:71], 0, v[86:87]
	v_cmp_ne_u16_e32 vcc, 1, v31
	s_mov_b64 s[38:39], 0
	s_and_saveexec_b64 s[0:1], vcc
	s_xor_b64 s[0:1], exec, s[0:1]
	s_cbranch_execnz .LBB314_145
; %bb.109:
	s_andn2_saveexec_b64 s[0:1], s[0:1]
	s_cbranch_execnz .LBB314_161
.LBB314_110:
	s_or_b64 exec, exec, s[0:1]
	s_and_b64 exec, exec, s[38:39]
	s_cbranch_execz .LBB314_112
.LBB314_111:
	v_sub_u32_e32 v86, v38, v32
	v_mov_b32_e32 v87, 0
	v_lshl_add_u64 v[70:71], v[86:87], 3, v[70:71]
	global_store_dwordx2 v[70:71], v[46:47], off
.LBB314_112:
	s_or_b64 exec, exec, s[36:37]
	s_mov_b64 s[36:37], 0
.LBB314_113:
	s_and_b64 vcc, exec, s[36:37]
	s_cbranch_vccz .LBB314_123
; %bb.114:
	v_cmp_gt_i16_e32 vcc, 2, v31
	s_and_saveexec_b64 s[0:1], vcc
	s_cbranch_execz .LBB314_119
; %bb.115:
	v_cmp_ne_u16_e32 vcc, 1, v31
	s_mov_b64 s[38:39], 0
	s_and_saveexec_b64 s[36:37], vcc
	s_xor_b64 s[36:37], exec, s[36:37]
	s_cbranch_execnz .LBB314_162
; %bb.116:
	s_andn2_saveexec_b64 s[2:3], s[36:37]
	s_cbranch_execnz .LBB314_178
.LBB314_117:
	s_or_b64 exec, exec, s[2:3]
	s_and_b64 exec, exec, s[38:39]
	s_cbranch_execz .LBB314_119
.LBB314_118:
	v_sub_u32_e32 v2, v38, v32
	v_lshlrev_b32_e32 v2, 3, v2
	ds_write_b64 v2, v[46:47]
.LBB314_119:
	s_or_b64 exec, exec, s[0:1]
	v_cmp_lt_u32_e32 vcc, v0, v30
	s_waitcnt lgkmcnt(0)
	s_barrier
	s_and_saveexec_b64 s[0:1], vcc
	s_cbranch_execz .LBB314_122
; %bb.120:
	s_waitcnt vmcnt(0)
	v_lshlrev_b64 v[4:5], 3, v[68:69]
	v_lshlrev_b64 v[6:7], 3, v[32:33]
	v_lshl_add_u64 v[4:5], v[4:5], 0, v[6:7]
	v_lshlrev_b32_e32 v2, 3, v0
	v_mov_b32_e32 v3, 0
	v_lshl_add_u64 v[4:5], s[44:45], 0, v[4:5]
	v_lshl_add_u64 v[4:5], v[4:5], 0, v[2:3]
	s_mov_b64 s[2:3], 0
	s_mov_b64 s[4:5], 0x1000
	v_mov_b32_e32 v3, v0
.LBB314_121:                            ; =>This Inner Loop Header: Depth=1
	ds_read_b64 v[6:7], v2
	v_add_u32_e32 v3, 0x200, v3
	v_cmp_ge_u32_e32 vcc, v3, v30
	v_add_u32_e32 v2, 0x1000, v2
	s_or_b64 s[2:3], vcc, s[2:3]
	s_waitcnt lgkmcnt(0)
	global_store_dwordx2 v[4:5], v[6:7], off
	v_lshl_add_u64 v[4:5], v[4:5], 0, s[4:5]
	s_andn2_b64 exec, exec, s[2:3]
	s_cbranch_execnz .LBB314_121
.LBB314_122:
	s_or_b64 exec, exec, s[0:1]
.LBB314_123:
	s_cmpk_lg_i32 s33, 0x1e00
	s_cselect_b64 s[0:1], -1, 0
	v_cndmask_b32_e64 v10, 0, 1, s[42:43]
	s_and_b64 s[0:1], s[0:1], s[40:41]
	v_sub_u32_e32 v2, v30, v10
	v_cndmask_b32_e64 v3, 0, 1, s[0:1]
	s_and_b64 s[0:1], s[34:35], s[42:43]
	v_add_u32_e32 v12, v2, v3
	v_cndmask_b32_e64 v2, v85, 0, s[0:1]
	s_mul_hi_u32 s0, s33, 0x88888889
	s_lshr_b32 s0, s0, 3
	v_mad_i32_i24 v3, v0, -15, s33
	v_cmp_eq_u32_e32 vcc, s0, v0
	v_cmp_ne_u32_e64 s[0:1], 0, v3
	s_and_b64 vcc, vcc, s[40:41]
	s_mov_b32 s2, 0
	v_cndmask_b32_e64 v4, 1, v2, s[0:1]
	v_cmp_ne_u32_e64 s[0:1], 1, v3
	v_cndmask_b32_e32 v27, v2, v4, vcc
	s_movk_i32 s30, 0x200
	v_cndmask_b32_e64 v5, 1, v84, s[0:1]
	v_cmp_ne_u32_e64 s[0:1], 2, v3
	v_cndmask_b32_e32 v26, v84, v5, vcc
	s_waitcnt vmcnt(0)
	v_lshlrev_b64 v[4:5], 3, v[68:69]
	v_cndmask_b32_e64 v6, 1, v83, s[0:1]
	v_cmp_ne_u32_e64 s[0:1], 3, v3
	v_cndmask_b32_e32 v25, v83, v6, vcc
	s_mov_b64 s[34:35], -1
	v_cndmask_b32_e64 v7, 1, v82, s[0:1]
	v_cmp_ne_u32_e64 s[0:1], 4, v3
	v_cndmask_b32_e32 v24, v82, v7, vcc
	v_lshlrev_b64 v[6:7], 3, v[32:33]
	v_cndmask_b32_e64 v8, 1, v81, s[0:1]
	v_cmp_ne_u32_e64 s[0:1], 5, v3
	v_cndmask_b32_e32 v23, v81, v8, vcc
	v_cmp_ne_u32_e64 s[28:29], 0, v27
	v_cndmask_b32_e64 v9, 1, v80, s[0:1]
	v_cmp_ne_u32_e64 s[0:1], 6, v3
	v_cndmask_b32_e32 v22, v80, v9, vcc
	v_cmp_ne_u32_e64 s[26:27], 0, v26
	v_cndmask_b32_e64 v11, 1, v79, s[0:1]
	v_cmp_ne_u32_e64 s[0:1], 7, v3
	v_cndmask_b32_e32 v21, v79, v11, vcc
	v_mov_b32_e32 v11, s2
	v_cndmask_b32_e64 v13, 1, v78, s[0:1]
	v_cmp_ne_u32_e64 s[0:1], 8, v3
	v_cndmask_b32_e32 v13, v78, v13, vcc
	v_lshl_add_u64 v[8:9], v[10:11], 0, -1
	v_cndmask_b32_e64 v14, 1, v77, s[0:1]
	v_cmp_ne_u32_e64 s[0:1], 9, v3
	v_cndmask_b32_e32 v14, v77, v14, vcc
	v_cmp_ne_u32_e64 s[14:15], 0, v13
	v_cndmask_b32_e64 v15, 1, v76, s[0:1]
	v_cmp_ne_u32_e64 s[0:1], 10, v3
	v_cndmask_b32_e32 v15, v76, v15, vcc
	v_cmp_ne_u32_e64 s[24:25], 0, v25
	;; [unrolled: 4-line block ×6, first 2 shown]
	v_cndmask_b32_e64 v3, 1, v1, s[0:1]
	v_cndmask_b32_e32 v20, v1, v3, vcc
	v_cmp_eq_u32_e32 vcc, 0, v27
	v_add_u32_e32 v1, v32, v10
	v_lshl_add_u64 v[2:3], s[46:47], 0, v[4:5]
	v_cndmask_b32_e64 v10, 1, 2, vcc
	v_cmp_eq_u32_e32 vcc, 0, v26
	v_lshl_add_u64 v[2:3], v[2:3], 0, v[6:7]
	v_cmp_ne_u32_e64 s[12:13], 0, v14
	v_cndmask_b32_e64 v11, 1, 2, vcc
	v_cmp_eq_u32_e32 vcc, 0, v25
	v_and_b32_e32 v10, v11, v10
	v_cmp_ne_u32_e64 s[10:11], 0, v15
	v_cndmask_b32_e64 v11, 1, 2, vcc
	v_cmp_eq_u32_e32 vcc, 0, v24
	v_and_b32_e32 v10, v10, v11
	;; [unrolled: 4-line block ×7, first 2 shown]
	s_nop 0
	v_cndmask_b32_e64 v11, 1, 2, vcc
	v_cmp_eq_u32_e32 vcc, 0, v15
	v_and_b32_e32 v10, v10, v11
	s_barrier
	v_cndmask_b32_e64 v11, 1, 2, vcc
	v_cmp_eq_u32_e32 vcc, 0, v16
	v_and_b32_e32 v10, v10, v11
	s_nop 0
	v_cndmask_b32_e64 v11, 1, 2, vcc
	v_cmp_eq_u32_e32 vcc, 0, v17
	v_and_b32_e32 v10, v10, v11
	s_nop 0
	;; [unrolled: 4-line block ×5, first 2 shown]
	v_cndmask_b32_e64 v11, 1, 2, vcc
	v_and_b32_e32 v13, v10, v11
	v_cmp_gt_u32_e32 vcc, s30, v12
	v_cmp_gt_i16_e64 s[30:31], 2, v13
	s_cbranch_vccz .LBB314_130
; %bb.124:
	s_and_saveexec_b64 s[34:35], s[30:31]
	s_cbranch_execz .LBB314_129
; %bb.125:
	v_lshlrev_b64 v[10:11], 3, v[8:9]
	v_lshl_add_u64 v[10:11], v[2:3], 0, v[10:11]
	v_cmp_ne_u16_e32 vcc, 1, v13
	s_mov_b64 s[36:37], 0
	s_and_saveexec_b64 s[30:31], vcc
	s_xor_b64 s[30:31], exec, s[30:31]
	s_cbranch_execnz .LBB314_179
; %bb.126:
	s_andn2_saveexec_b64 s[30:31], s[30:31]
	s_cbranch_execnz .LBB314_195
.LBB314_127:
	s_or_b64 exec, exec, s[30:31]
	s_and_b64 exec, exec, s[36:37]
	s_cbranch_execz .LBB314_129
.LBB314_128:
	v_mov_b32_e32 v15, 0
	v_sub_u32_e32 v16, v38, v1
	v_mov_b32_e32 v17, v15
	v_mov_b32_e32 v14, v39
	v_lshl_add_u64 v[10:11], v[16:17], 3, v[10:11]
	global_store_dwordx2 v[10:11], v[14:15], off
.LBB314_129:
	s_or_b64 exec, exec, s[34:35]
	s_mov_b64 s[34:35], 0
.LBB314_130:
	s_and_b64 vcc, exec, s[34:35]
	s_cbranch_vccz .LBB314_140
; %bb.131:
	v_cmp_gt_i16_e32 vcc, 2, v13
	s_and_saveexec_b64 s[30:31], vcc
	s_cbranch_execz .LBB314_136
; %bb.132:
	v_cmp_ne_u16_e32 vcc, 1, v13
	s_mov_b64 s[36:37], 0
	s_and_saveexec_b64 s[34:35], vcc
	s_xor_b64 s[34:35], exec, s[34:35]
	s_cbranch_execnz .LBB314_196
; %bb.133:
	s_andn2_saveexec_b64 s[0:1], s[34:35]
	s_cbranch_execnz .LBB314_212
.LBB314_134:
	s_or_b64 exec, exec, s[0:1]
	s_and_b64 exec, exec, s[36:37]
	s_cbranch_execz .LBB314_136
.LBB314_135:
	v_sub_u32_e32 v1, v38, v1
	v_lshlrev_b32_e32 v1, 2, v1
	ds_write_b32 v1, v39
.LBB314_136:
	s_or_b64 exec, exec, s[30:31]
	v_cmp_lt_u32_e32 vcc, v0, v12
	s_waitcnt lgkmcnt(0)
	s_barrier
	s_and_saveexec_b64 s[0:1], vcc
	s_cbranch_execz .LBB314_139
; %bb.137:
	v_lshlrev_b64 v[8:9], 3, v[8:9]
	v_lshl_add_u64 v[4:5], v[4:5], 0, v[8:9]
	v_lshl_add_u64 v[6:7], v[4:5], 0, v[6:7]
	v_lshlrev_b32_e32 v4, 3, v0
	v_mov_b32_e32 v5, 0
	v_lshl_add_u64 v[6:7], s[46:47], 0, v[6:7]
	v_lshlrev_b32_e32 v1, 2, v0
	v_lshl_add_u64 v[6:7], v[6:7], 0, v[4:5]
	s_mov_b64 s[2:3], 0
	s_mov_b64 s[4:5], 0x1000
	v_mov_b32_e32 v8, v0
.LBB314_138:                            ; =>This Inner Loop Header: Depth=1
	ds_read_b32 v4, v1
	v_add_u32_e32 v8, 0x200, v8
	v_cmp_ge_u32_e32 vcc, v8, v12
	v_add_u32_e32 v1, 0x800, v1
	s_or_b64 s[2:3], vcc, s[2:3]
	s_waitcnt lgkmcnt(0)
	global_store_dwordx2 v[6:7], v[4:5], off
	v_lshl_add_u64 v[6:7], v[6:7], 0, s[4:5]
	s_andn2_b64 exec, exec, s[2:3]
	s_cbranch_execnz .LBB314_138
.LBB314_139:
	s_or_b64 exec, exec, s[0:1]
.LBB314_140:
	s_movk_i32 s0, 0x1ff
	v_cmp_eq_u32_e32 vcc, s0, v0
	s_and_b64 s[0:1], vcc, s[40:41]
	s_and_saveexec_b64 s[2:3], s[0:1]
	s_cbranch_execz .LBB314_143
; %bb.141:
	v_mov_b32_e32 v31, 0
	v_lshl_add_u64 v[0:1], v[30:31], 0, v[32:33]
	v_lshl_add_u64 v[0:1], v[0:1], 0, v[68:69]
	s_cmpk_lg_i32 s33, 0x1e00
	global_store_dwordx2 v31, v[0:1], s[48:49]
	s_cbranch_scc1 .LBB314_143
; %bb.142:
	v_lshlrev_b64 v[0:1], 3, v[30:31]
	v_mov_b32_e32 v35, v31
	v_lshl_add_u64 v[0:1], v[2:3], 0, v[0:1]
	global_store_dwordx2 v[0:1], v[34:35], off offset:-8
.LBB314_143:
	s_endpgm
.LBB314_144:
	s_or_b64 exec, exec, s[8:9]
	v_mov_b32_e32 v85, s10
	s_and_saveexec_b64 s[2:3], s[4:5]
	s_cbranch_execnz .LBB314_60
	s_branch .LBB314_61
.LBB314_145:
	s_and_saveexec_b64 s[38:39], s[30:31]
	s_cbranch_execnz .LBB314_213
; %bb.146:
	s_or_b64 exec, exec, s[38:39]
	s_and_saveexec_b64 s[38:39], s[28:29]
	s_cbranch_execnz .LBB314_214
.LBB314_147:
	s_or_b64 exec, exec, s[38:39]
	s_and_saveexec_b64 s[38:39], s[26:27]
	s_cbranch_execnz .LBB314_215
.LBB314_148:
	s_or_b64 exec, exec, s[38:39]
	s_and_saveexec_b64 s[38:39], s[24:25]
	s_cbranch_execnz .LBB314_216
.LBB314_149:
	s_or_b64 exec, exec, s[38:39]
	s_and_saveexec_b64 s[38:39], s[22:23]
	s_cbranch_execnz .LBB314_217
.LBB314_150:
	s_or_b64 exec, exec, s[38:39]
	s_and_saveexec_b64 s[38:39], s[20:21]
	s_cbranch_execnz .LBB314_218
.LBB314_151:
	s_or_b64 exec, exec, s[38:39]
	s_and_saveexec_b64 s[38:39], s[18:19]
	s_cbranch_execnz .LBB314_219
.LBB314_152:
	s_or_b64 exec, exec, s[38:39]
	s_and_saveexec_b64 s[38:39], s[16:17]
	s_cbranch_execnz .LBB314_220
.LBB314_153:
	s_or_b64 exec, exec, s[38:39]
	s_and_saveexec_b64 s[38:39], s[14:15]
	s_cbranch_execnz .LBB314_221
.LBB314_154:
	s_or_b64 exec, exec, s[38:39]
	s_and_saveexec_b64 s[38:39], s[12:13]
	s_cbranch_execnz .LBB314_222
.LBB314_155:
	s_or_b64 exec, exec, s[38:39]
	s_and_saveexec_b64 s[38:39], s[10:11]
	s_cbranch_execnz .LBB314_223
.LBB314_156:
	s_or_b64 exec, exec, s[38:39]
	s_and_saveexec_b64 s[38:39], s[8:9]
	s_cbranch_execnz .LBB314_224
.LBB314_157:
	s_or_b64 exec, exec, s[38:39]
	s_and_saveexec_b64 s[38:39], s[6:7]
	s_cbranch_execnz .LBB314_225
.LBB314_158:
	s_or_b64 exec, exec, s[38:39]
	s_and_saveexec_b64 s[38:39], s[4:5]
	s_cbranch_execz .LBB314_160
.LBB314_159:
	v_sub_u32_e32 v86, v36, v32
	v_mov_b32_e32 v87, 0
	v_lshl_add_u64 v[86:87], v[86:87], 3, v[70:71]
	global_store_dwordx2 v[86:87], v[8:9], off
.LBB314_160:
	s_or_b64 exec, exec, s[38:39]
	s_and_b64 s[38:39], s[2:3], exec
	s_andn2_saveexec_b64 s[0:1], s[0:1]
	s_cbranch_execz .LBB314_110
.LBB314_161:
	v_sub_u32_e32 v86, v66, v32
	v_mov_b32_e32 v87, 0
	v_lshl_add_u64 v[88:89], v[86:87], 3, v[70:71]
	v_sub_u32_e32 v86, v64, v32
	global_store_dwordx2 v[88:89], v[26:27], off
	v_lshl_add_u64 v[88:89], v[86:87], 3, v[70:71]
	v_sub_u32_e32 v86, v62, v32
	global_store_dwordx2 v[88:89], v[28:29], off
	;; [unrolled: 3-line block ×12, first 2 shown]
	v_lshl_add_u64 v[88:89], v[86:87], 3, v[70:71]
	v_sub_u32_e32 v86, v36, v32
	v_lshl_add_u64 v[86:87], v[86:87], 3, v[70:71]
	s_or_b64 s[38:39], s[38:39], exec
	global_store_dwordx2 v[88:89], v[6:7], off
	global_store_dwordx2 v[86:87], v[8:9], off
	s_or_b64 exec, exec, s[0:1]
	s_and_b64 exec, exec, s[38:39]
	s_cbranch_execnz .LBB314_111
	s_branch .LBB314_112
.LBB314_162:
	s_and_saveexec_b64 s[38:39], s[30:31]
	s_cbranch_execnz .LBB314_226
; %bb.163:
	s_or_b64 exec, exec, s[38:39]
	s_and_saveexec_b64 s[30:31], s[28:29]
	s_cbranch_execnz .LBB314_227
.LBB314_164:
	s_or_b64 exec, exec, s[30:31]
	s_and_saveexec_b64 s[28:29], s[26:27]
	s_cbranch_execnz .LBB314_228
.LBB314_165:
	s_or_b64 exec, exec, s[28:29]
	s_and_saveexec_b64 s[26:27], s[24:25]
	s_cbranch_execnz .LBB314_229
.LBB314_166:
	s_or_b64 exec, exec, s[26:27]
	s_and_saveexec_b64 s[24:25], s[22:23]
	s_cbranch_execnz .LBB314_230
.LBB314_167:
	s_or_b64 exec, exec, s[24:25]
	s_and_saveexec_b64 s[22:23], s[20:21]
	s_cbranch_execnz .LBB314_231
.LBB314_168:
	s_or_b64 exec, exec, s[22:23]
	s_and_saveexec_b64 s[20:21], s[18:19]
	s_cbranch_execnz .LBB314_232
.LBB314_169:
	s_or_b64 exec, exec, s[20:21]
	s_and_saveexec_b64 s[18:19], s[16:17]
	s_cbranch_execnz .LBB314_233
.LBB314_170:
	s_or_b64 exec, exec, s[18:19]
	s_and_saveexec_b64 s[16:17], s[14:15]
	s_cbranch_execnz .LBB314_234
.LBB314_171:
	s_or_b64 exec, exec, s[16:17]
	s_and_saveexec_b64 s[14:15], s[12:13]
	s_cbranch_execnz .LBB314_235
.LBB314_172:
	s_or_b64 exec, exec, s[14:15]
	s_and_saveexec_b64 s[12:13], s[10:11]
	s_cbranch_execnz .LBB314_236
.LBB314_173:
	s_or_b64 exec, exec, s[12:13]
	s_and_saveexec_b64 s[10:11], s[8:9]
	s_cbranch_execnz .LBB314_237
.LBB314_174:
	s_or_b64 exec, exec, s[10:11]
	s_and_saveexec_b64 s[8:9], s[6:7]
	s_cbranch_execnz .LBB314_238
.LBB314_175:
	s_or_b64 exec, exec, s[8:9]
	s_and_saveexec_b64 s[6:7], s[4:5]
	s_cbranch_execz .LBB314_177
.LBB314_176:
	v_sub_u32_e32 v2, v36, v32
	v_lshlrev_b32_e32 v2, 3, v2
	ds_write_b64 v2, v[8:9]
.LBB314_177:
	s_or_b64 exec, exec, s[6:7]
	s_and_b64 s[38:39], s[2:3], exec
                                        ; implicit-def: $vgpr8_vgpr9
                                        ; implicit-def: $vgpr4_vgpr5
                                        ; implicit-def: $vgpr12_vgpr13
                                        ; implicit-def: $vgpr16_vgpr17
                                        ; implicit-def: $vgpr20_vgpr21
                                        ; implicit-def: $vgpr24_vgpr25
                                        ; implicit-def: $vgpr28_vgpr29
	s_andn2_saveexec_b64 s[2:3], s[36:37]
	s_cbranch_execz .LBB314_117
.LBB314_178:
	v_sub_u32_e32 v31, v66, v32
	v_lshlrev_b32_e32 v31, 3, v31
	ds_write_b64 v31, v[26:27]
	v_sub_u32_e32 v26, v64, v32
	v_lshlrev_b32_e32 v26, 3, v26
	ds_write_b64 v26, v[28:29]
	;; [unrolled: 3-line block ×13, first 2 shown]
	v_sub_u32_e32 v2, v36, v32
	v_lshlrev_b32_e32 v2, 3, v2
	s_or_b64 s[38:39], s[38:39], exec
	ds_write_b64 v2, v[8:9]
	s_or_b64 exec, exec, s[2:3]
	s_and_b64 exec, exec, s[38:39]
	s_cbranch_execnz .LBB314_118
	s_branch .LBB314_119
.LBB314_179:
	s_and_saveexec_b64 s[36:37], s[28:29]
	s_cbranch_execnz .LBB314_239
; %bb.180:
	s_or_b64 exec, exec, s[36:37]
	s_and_saveexec_b64 s[36:37], s[26:27]
	s_cbranch_execnz .LBB314_240
.LBB314_181:
	s_or_b64 exec, exec, s[36:37]
	s_and_saveexec_b64 s[36:37], s[24:25]
	s_cbranch_execnz .LBB314_241
.LBB314_182:
	s_or_b64 exec, exec, s[36:37]
	s_and_saveexec_b64 s[36:37], s[22:23]
	s_cbranch_execnz .LBB314_242
.LBB314_183:
	s_or_b64 exec, exec, s[36:37]
	s_and_saveexec_b64 s[36:37], s[20:21]
	s_cbranch_execnz .LBB314_243
.LBB314_184:
	s_or_b64 exec, exec, s[36:37]
	s_and_saveexec_b64 s[36:37], s[18:19]
	s_cbranch_execnz .LBB314_244
.LBB314_185:
	s_or_b64 exec, exec, s[36:37]
	s_and_saveexec_b64 s[36:37], s[16:17]
	s_cbranch_execnz .LBB314_245
.LBB314_186:
	s_or_b64 exec, exec, s[36:37]
	s_and_saveexec_b64 s[36:37], s[14:15]
	s_cbranch_execnz .LBB314_246
.LBB314_187:
	s_or_b64 exec, exec, s[36:37]
	s_and_saveexec_b64 s[36:37], s[12:13]
	s_cbranch_execnz .LBB314_247
.LBB314_188:
	s_or_b64 exec, exec, s[36:37]
	s_and_saveexec_b64 s[36:37], s[10:11]
	s_cbranch_execnz .LBB314_248
.LBB314_189:
	s_or_b64 exec, exec, s[36:37]
	s_and_saveexec_b64 s[36:37], s[8:9]
	s_cbranch_execnz .LBB314_249
.LBB314_190:
	s_or_b64 exec, exec, s[36:37]
	s_and_saveexec_b64 s[36:37], s[6:7]
	s_cbranch_execnz .LBB314_250
.LBB314_191:
	s_or_b64 exec, exec, s[36:37]
	s_and_saveexec_b64 s[36:37], s[4:5]
	s_cbranch_execnz .LBB314_251
.LBB314_192:
	s_or_b64 exec, exec, s[36:37]
	s_and_saveexec_b64 s[36:37], s[2:3]
	s_cbranch_execz .LBB314_194
.LBB314_193:
	v_sub_u32_e32 v14, v36, v1
	v_mov_b32_e32 v15, 0
	v_lshl_add_u64 v[16:17], v[14:15], 3, v[10:11]
	v_mov_b32_e32 v14, v37
	global_store_dwordx2 v[16:17], v[14:15], off
.LBB314_194:
	s_or_b64 exec, exec, s[36:37]
	s_and_b64 s[36:37], s[0:1], exec
	s_andn2_saveexec_b64 s[30:31], s[30:31]
	s_cbranch_execz .LBB314_127
.LBB314_195:
	v_mov_b32_e32 v15, 0
	v_sub_u32_e32 v16, v66, v1
	v_mov_b32_e32 v17, v15
	v_mov_b32_e32 v14, v67
	v_lshl_add_u64 v[16:17], v[16:17], 3, v[10:11]
	global_store_dwordx2 v[16:17], v[14:15], off
	v_sub_u32_e32 v16, v64, v1
	v_mov_b32_e32 v17, v15
	v_mov_b32_e32 v14, v65
	v_lshl_add_u64 v[16:17], v[16:17], 3, v[10:11]
	global_store_dwordx2 v[16:17], v[14:15], off
	;; [unrolled: 5-line block ×13, first 2 shown]
	v_sub_u32_e32 v16, v36, v1
	v_mov_b32_e32 v17, v15
	v_mov_b32_e32 v14, v37
	v_lshl_add_u64 v[16:17], v[16:17], 3, v[10:11]
	s_or_b64 s[36:37], s[36:37], exec
	global_store_dwordx2 v[16:17], v[14:15], off
	s_or_b64 exec, exec, s[30:31]
	s_and_b64 exec, exec, s[36:37]
	s_cbranch_execnz .LBB314_128
	s_branch .LBB314_129
.LBB314_196:
	s_and_saveexec_b64 s[36:37], s[28:29]
	s_cbranch_execnz .LBB314_252
; %bb.197:
	s_or_b64 exec, exec, s[36:37]
	s_and_saveexec_b64 s[28:29], s[26:27]
	s_cbranch_execnz .LBB314_253
.LBB314_198:
	s_or_b64 exec, exec, s[28:29]
	s_and_saveexec_b64 s[26:27], s[24:25]
	s_cbranch_execnz .LBB314_254
.LBB314_199:
	s_or_b64 exec, exec, s[26:27]
	s_and_saveexec_b64 s[24:25], s[22:23]
	s_cbranch_execnz .LBB314_255
.LBB314_200:
	s_or_b64 exec, exec, s[24:25]
	s_and_saveexec_b64 s[22:23], s[20:21]
	s_cbranch_execnz .LBB314_256
.LBB314_201:
	s_or_b64 exec, exec, s[22:23]
	s_and_saveexec_b64 s[20:21], s[18:19]
	s_cbranch_execnz .LBB314_257
.LBB314_202:
	s_or_b64 exec, exec, s[20:21]
	s_and_saveexec_b64 s[18:19], s[16:17]
	s_cbranch_execnz .LBB314_258
.LBB314_203:
	s_or_b64 exec, exec, s[18:19]
	s_and_saveexec_b64 s[16:17], s[14:15]
	s_cbranch_execnz .LBB314_259
.LBB314_204:
	s_or_b64 exec, exec, s[16:17]
	s_and_saveexec_b64 s[14:15], s[12:13]
	s_cbranch_execnz .LBB314_260
.LBB314_205:
	s_or_b64 exec, exec, s[14:15]
	s_and_saveexec_b64 s[12:13], s[10:11]
	s_cbranch_execnz .LBB314_261
.LBB314_206:
	s_or_b64 exec, exec, s[12:13]
	s_and_saveexec_b64 s[10:11], s[8:9]
	s_cbranch_execnz .LBB314_262
.LBB314_207:
	s_or_b64 exec, exec, s[10:11]
	s_and_saveexec_b64 s[8:9], s[6:7]
	s_cbranch_execnz .LBB314_263
.LBB314_208:
	s_or_b64 exec, exec, s[8:9]
	s_and_saveexec_b64 s[6:7], s[4:5]
	s_cbranch_execnz .LBB314_264
.LBB314_209:
	s_or_b64 exec, exec, s[6:7]
	s_and_saveexec_b64 s[4:5], s[2:3]
	s_cbranch_execz .LBB314_211
.LBB314_210:
	v_sub_u32_e32 v10, v36, v1
	v_lshlrev_b32_e32 v10, 2, v10
	ds_write_b32 v10, v37
.LBB314_211:
	s_or_b64 exec, exec, s[4:5]
	s_and_b64 s[36:37], s[0:1], exec
                                        ; implicit-def: $vgpr36_vgpr37
                                        ; implicit-def: $vgpr40_vgpr41
                                        ; implicit-def: $vgpr42_vgpr43
                                        ; implicit-def: $vgpr66_vgpr67
                                        ; implicit-def: $vgpr64_vgpr65
                                        ; implicit-def: $vgpr62_vgpr63
                                        ; implicit-def: $vgpr60_vgpr61
                                        ; implicit-def: $vgpr58_vgpr59
                                        ; implicit-def: $vgpr56_vgpr57
                                        ; implicit-def: $vgpr54_vgpr55
                                        ; implicit-def: $vgpr52_vgpr53
                                        ; implicit-def: $vgpr50_vgpr51
                                        ; implicit-def: $vgpr48_vgpr49
                                        ; implicit-def: $vgpr44_vgpr45
	s_andn2_saveexec_b64 s[0:1], s[34:35]
	s_cbranch_execz .LBB314_134
.LBB314_212:
	v_sub_u32_e32 v10, v66, v1
	v_lshlrev_b32_e32 v10, 2, v10
	ds_write_b32 v10, v67
	v_sub_u32_e32 v10, v64, v1
	v_lshlrev_b32_e32 v10, 2, v10
	ds_write_b32 v10, v65
	;; [unrolled: 3-line block ×13, first 2 shown]
	v_sub_u32_e32 v10, v36, v1
	v_lshlrev_b32_e32 v10, 2, v10
	s_or_b64 s[36:37], s[36:37], exec
	ds_write_b32 v10, v37
	s_or_b64 exec, exec, s[0:1]
	s_and_b64 exec, exec, s[36:37]
	s_cbranch_execnz .LBB314_135
	s_branch .LBB314_136
.LBB314_213:
	v_sub_u32_e32 v86, v66, v32
	v_mov_b32_e32 v87, 0
	v_lshl_add_u64 v[86:87], v[86:87], 3, v[70:71]
	global_store_dwordx2 v[86:87], v[26:27], off
	s_or_b64 exec, exec, s[38:39]
	s_and_saveexec_b64 s[38:39], s[28:29]
	s_cbranch_execz .LBB314_147
.LBB314_214:
	v_sub_u32_e32 v86, v64, v32
	v_mov_b32_e32 v87, 0
	v_lshl_add_u64 v[86:87], v[86:87], 3, v[70:71]
	global_store_dwordx2 v[86:87], v[28:29], off
	s_or_b64 exec, exec, s[38:39]
	s_and_saveexec_b64 s[38:39], s[26:27]
	s_cbranch_execz .LBB314_148
.LBB314_215:
	v_sub_u32_e32 v86, v62, v32
	v_mov_b32_e32 v87, 0
	v_lshl_add_u64 v[86:87], v[86:87], 3, v[70:71]
	global_store_dwordx2 v[86:87], v[22:23], off
	s_or_b64 exec, exec, s[38:39]
	s_and_saveexec_b64 s[38:39], s[24:25]
	s_cbranch_execz .LBB314_149
.LBB314_216:
	v_sub_u32_e32 v86, v60, v32
	v_mov_b32_e32 v87, 0
	v_lshl_add_u64 v[86:87], v[86:87], 3, v[70:71]
	global_store_dwordx2 v[86:87], v[24:25], off
	s_or_b64 exec, exec, s[38:39]
	s_and_saveexec_b64 s[38:39], s[22:23]
	s_cbranch_execz .LBB314_150
.LBB314_217:
	v_sub_u32_e32 v86, v58, v32
	v_mov_b32_e32 v87, 0
	v_lshl_add_u64 v[86:87], v[86:87], 3, v[70:71]
	global_store_dwordx2 v[86:87], v[18:19], off
	s_or_b64 exec, exec, s[38:39]
	s_and_saveexec_b64 s[38:39], s[20:21]
	s_cbranch_execz .LBB314_151
.LBB314_218:
	v_sub_u32_e32 v86, v56, v32
	v_mov_b32_e32 v87, 0
	v_lshl_add_u64 v[86:87], v[86:87], 3, v[70:71]
	global_store_dwordx2 v[86:87], v[20:21], off
	s_or_b64 exec, exec, s[38:39]
	s_and_saveexec_b64 s[38:39], s[18:19]
	s_cbranch_execz .LBB314_152
.LBB314_219:
	v_sub_u32_e32 v86, v54, v32
	v_mov_b32_e32 v87, 0
	v_lshl_add_u64 v[86:87], v[86:87], 3, v[70:71]
	global_store_dwordx2 v[86:87], v[14:15], off
	s_or_b64 exec, exec, s[38:39]
	s_and_saveexec_b64 s[38:39], s[16:17]
	s_cbranch_execz .LBB314_153
.LBB314_220:
	v_sub_u32_e32 v86, v52, v32
	v_mov_b32_e32 v87, 0
	v_lshl_add_u64 v[86:87], v[86:87], 3, v[70:71]
	global_store_dwordx2 v[86:87], v[16:17], off
	s_or_b64 exec, exec, s[38:39]
	s_and_saveexec_b64 s[38:39], s[14:15]
	s_cbranch_execz .LBB314_154
.LBB314_221:
	v_sub_u32_e32 v86, v50, v32
	v_mov_b32_e32 v87, 0
	v_lshl_add_u64 v[86:87], v[86:87], 3, v[70:71]
	global_store_dwordx2 v[86:87], v[10:11], off
	s_or_b64 exec, exec, s[38:39]
	s_and_saveexec_b64 s[38:39], s[12:13]
	s_cbranch_execz .LBB314_155
.LBB314_222:
	v_sub_u32_e32 v86, v48, v32
	v_mov_b32_e32 v87, 0
	v_lshl_add_u64 v[86:87], v[86:87], 3, v[70:71]
	global_store_dwordx2 v[86:87], v[12:13], off
	s_or_b64 exec, exec, s[38:39]
	s_and_saveexec_b64 s[38:39], s[10:11]
	s_cbranch_execz .LBB314_156
.LBB314_223:
	v_sub_u32_e32 v86, v44, v32
	v_mov_b32_e32 v87, 0
	v_lshl_add_u64 v[86:87], v[86:87], 3, v[70:71]
	global_store_dwordx2 v[86:87], v[2:3], off
	s_or_b64 exec, exec, s[38:39]
	s_and_saveexec_b64 s[38:39], s[8:9]
	s_cbranch_execz .LBB314_157
.LBB314_224:
	v_sub_u32_e32 v86, v42, v32
	v_mov_b32_e32 v87, 0
	v_lshl_add_u64 v[86:87], v[86:87], 3, v[70:71]
	global_store_dwordx2 v[86:87], v[4:5], off
	s_or_b64 exec, exec, s[38:39]
	s_and_saveexec_b64 s[38:39], s[6:7]
	s_cbranch_execz .LBB314_158
.LBB314_225:
	v_sub_u32_e32 v86, v40, v32
	v_mov_b32_e32 v87, 0
	v_lshl_add_u64 v[86:87], v[86:87], 3, v[70:71]
	global_store_dwordx2 v[86:87], v[6:7], off
	s_or_b64 exec, exec, s[38:39]
	s_and_saveexec_b64 s[38:39], s[4:5]
	s_cbranch_execnz .LBB314_159
	s_branch .LBB314_160
.LBB314_226:
	v_sub_u32_e32 v31, v66, v32
	v_lshlrev_b32_e32 v31, 3, v31
	ds_write_b64 v31, v[26:27]
	s_or_b64 exec, exec, s[38:39]
	s_and_saveexec_b64 s[30:31], s[28:29]
	s_cbranch_execz .LBB314_164
.LBB314_227:
	v_sub_u32_e32 v26, v64, v32
	v_lshlrev_b32_e32 v26, 3, v26
	ds_write_b64 v26, v[28:29]
	s_or_b64 exec, exec, s[30:31]
	s_and_saveexec_b64 s[28:29], s[26:27]
	s_cbranch_execz .LBB314_165
.LBB314_228:
	v_sub_u32_e32 v26, v62, v32
	v_lshlrev_b32_e32 v26, 3, v26
	ds_write_b64 v26, v[22:23]
	s_or_b64 exec, exec, s[28:29]
	s_and_saveexec_b64 s[26:27], s[24:25]
	s_cbranch_execz .LBB314_166
.LBB314_229:
	v_sub_u32_e32 v22, v60, v32
	v_lshlrev_b32_e32 v22, 3, v22
	ds_write_b64 v22, v[24:25]
	s_or_b64 exec, exec, s[26:27]
	s_and_saveexec_b64 s[24:25], s[22:23]
	s_cbranch_execz .LBB314_167
.LBB314_230:
	v_sub_u32_e32 v22, v58, v32
	v_lshlrev_b32_e32 v22, 3, v22
	ds_write_b64 v22, v[18:19]
	s_or_b64 exec, exec, s[24:25]
	s_and_saveexec_b64 s[22:23], s[20:21]
	s_cbranch_execz .LBB314_168
.LBB314_231:
	v_sub_u32_e32 v18, v56, v32
	v_lshlrev_b32_e32 v18, 3, v18
	ds_write_b64 v18, v[20:21]
	s_or_b64 exec, exec, s[22:23]
	s_and_saveexec_b64 s[20:21], s[18:19]
	s_cbranch_execz .LBB314_169
.LBB314_232:
	v_sub_u32_e32 v18, v54, v32
	v_lshlrev_b32_e32 v18, 3, v18
	ds_write_b64 v18, v[14:15]
	s_or_b64 exec, exec, s[20:21]
	s_and_saveexec_b64 s[18:19], s[16:17]
	s_cbranch_execz .LBB314_170
.LBB314_233:
	v_sub_u32_e32 v14, v52, v32
	v_lshlrev_b32_e32 v14, 3, v14
	ds_write_b64 v14, v[16:17]
	s_or_b64 exec, exec, s[18:19]
	s_and_saveexec_b64 s[16:17], s[14:15]
	s_cbranch_execz .LBB314_171
.LBB314_234:
	v_sub_u32_e32 v14, v50, v32
	v_lshlrev_b32_e32 v14, 3, v14
	ds_write_b64 v14, v[10:11]
	s_or_b64 exec, exec, s[16:17]
	s_and_saveexec_b64 s[14:15], s[12:13]
	s_cbranch_execz .LBB314_172
.LBB314_235:
	v_sub_u32_e32 v10, v48, v32
	v_lshlrev_b32_e32 v10, 3, v10
	ds_write_b64 v10, v[12:13]
	s_or_b64 exec, exec, s[14:15]
	s_and_saveexec_b64 s[12:13], s[10:11]
	s_cbranch_execz .LBB314_173
.LBB314_236:
	v_sub_u32_e32 v10, v44, v32
	v_lshlrev_b32_e32 v10, 3, v10
	ds_write_b64 v10, v[2:3]
	s_or_b64 exec, exec, s[12:13]
	s_and_saveexec_b64 s[10:11], s[8:9]
	s_cbranch_execz .LBB314_174
.LBB314_237:
	v_sub_u32_e32 v2, v42, v32
	v_lshlrev_b32_e32 v2, 3, v2
	ds_write_b64 v2, v[4:5]
	s_or_b64 exec, exec, s[10:11]
	s_and_saveexec_b64 s[8:9], s[6:7]
	s_cbranch_execz .LBB314_175
.LBB314_238:
	v_sub_u32_e32 v2, v40, v32
	v_lshlrev_b32_e32 v2, 3, v2
	ds_write_b64 v2, v[6:7]
	s_or_b64 exec, exec, s[8:9]
	s_and_saveexec_b64 s[6:7], s[4:5]
	s_cbranch_execnz .LBB314_176
	s_branch .LBB314_177
.LBB314_239:
	v_sub_u32_e32 v14, v66, v1
	v_mov_b32_e32 v15, 0
	v_lshl_add_u64 v[16:17], v[14:15], 3, v[10:11]
	v_mov_b32_e32 v14, v67
	global_store_dwordx2 v[16:17], v[14:15], off
	s_or_b64 exec, exec, s[36:37]
	s_and_saveexec_b64 s[36:37], s[26:27]
	s_cbranch_execz .LBB314_181
.LBB314_240:
	v_sub_u32_e32 v14, v64, v1
	v_mov_b32_e32 v15, 0
	v_lshl_add_u64 v[16:17], v[14:15], 3, v[10:11]
	v_mov_b32_e32 v14, v65
	global_store_dwordx2 v[16:17], v[14:15], off
	s_or_b64 exec, exec, s[36:37]
	s_and_saveexec_b64 s[36:37], s[24:25]
	s_cbranch_execz .LBB314_182
.LBB314_241:
	v_sub_u32_e32 v14, v62, v1
	v_mov_b32_e32 v15, 0
	v_lshl_add_u64 v[16:17], v[14:15], 3, v[10:11]
	v_mov_b32_e32 v14, v63
	global_store_dwordx2 v[16:17], v[14:15], off
	s_or_b64 exec, exec, s[36:37]
	s_and_saveexec_b64 s[36:37], s[22:23]
	s_cbranch_execz .LBB314_183
.LBB314_242:
	v_sub_u32_e32 v14, v60, v1
	v_mov_b32_e32 v15, 0
	v_lshl_add_u64 v[16:17], v[14:15], 3, v[10:11]
	v_mov_b32_e32 v14, v61
	global_store_dwordx2 v[16:17], v[14:15], off
	s_or_b64 exec, exec, s[36:37]
	s_and_saveexec_b64 s[36:37], s[20:21]
	s_cbranch_execz .LBB314_184
.LBB314_243:
	v_sub_u32_e32 v14, v58, v1
	v_mov_b32_e32 v15, 0
	v_lshl_add_u64 v[16:17], v[14:15], 3, v[10:11]
	v_mov_b32_e32 v14, v59
	global_store_dwordx2 v[16:17], v[14:15], off
	s_or_b64 exec, exec, s[36:37]
	s_and_saveexec_b64 s[36:37], s[18:19]
	s_cbranch_execz .LBB314_185
.LBB314_244:
	v_sub_u32_e32 v14, v56, v1
	v_mov_b32_e32 v15, 0
	v_lshl_add_u64 v[16:17], v[14:15], 3, v[10:11]
	v_mov_b32_e32 v14, v57
	global_store_dwordx2 v[16:17], v[14:15], off
	s_or_b64 exec, exec, s[36:37]
	s_and_saveexec_b64 s[36:37], s[16:17]
	s_cbranch_execz .LBB314_186
.LBB314_245:
	v_sub_u32_e32 v14, v54, v1
	v_mov_b32_e32 v15, 0
	v_lshl_add_u64 v[16:17], v[14:15], 3, v[10:11]
	v_mov_b32_e32 v14, v55
	global_store_dwordx2 v[16:17], v[14:15], off
	s_or_b64 exec, exec, s[36:37]
	s_and_saveexec_b64 s[36:37], s[14:15]
	s_cbranch_execz .LBB314_187
.LBB314_246:
	v_sub_u32_e32 v14, v52, v1
	v_mov_b32_e32 v15, 0
	v_lshl_add_u64 v[16:17], v[14:15], 3, v[10:11]
	v_mov_b32_e32 v14, v53
	global_store_dwordx2 v[16:17], v[14:15], off
	s_or_b64 exec, exec, s[36:37]
	s_and_saveexec_b64 s[36:37], s[12:13]
	s_cbranch_execz .LBB314_188
.LBB314_247:
	v_sub_u32_e32 v14, v50, v1
	v_mov_b32_e32 v15, 0
	v_lshl_add_u64 v[16:17], v[14:15], 3, v[10:11]
	v_mov_b32_e32 v14, v51
	global_store_dwordx2 v[16:17], v[14:15], off
	s_or_b64 exec, exec, s[36:37]
	s_and_saveexec_b64 s[36:37], s[10:11]
	s_cbranch_execz .LBB314_189
.LBB314_248:
	v_sub_u32_e32 v14, v48, v1
	v_mov_b32_e32 v15, 0
	v_lshl_add_u64 v[16:17], v[14:15], 3, v[10:11]
	v_mov_b32_e32 v14, v49
	global_store_dwordx2 v[16:17], v[14:15], off
	s_or_b64 exec, exec, s[36:37]
	s_and_saveexec_b64 s[36:37], s[8:9]
	s_cbranch_execz .LBB314_190
.LBB314_249:
	v_sub_u32_e32 v14, v44, v1
	v_mov_b32_e32 v15, 0
	v_lshl_add_u64 v[16:17], v[14:15], 3, v[10:11]
	v_mov_b32_e32 v14, v45
	global_store_dwordx2 v[16:17], v[14:15], off
	s_or_b64 exec, exec, s[36:37]
	s_and_saveexec_b64 s[36:37], s[6:7]
	s_cbranch_execz .LBB314_191
.LBB314_250:
	v_sub_u32_e32 v14, v42, v1
	v_mov_b32_e32 v15, 0
	v_lshl_add_u64 v[16:17], v[14:15], 3, v[10:11]
	v_mov_b32_e32 v14, v43
	global_store_dwordx2 v[16:17], v[14:15], off
	s_or_b64 exec, exec, s[36:37]
	s_and_saveexec_b64 s[36:37], s[4:5]
	s_cbranch_execz .LBB314_192
.LBB314_251:
	v_sub_u32_e32 v14, v40, v1
	v_mov_b32_e32 v15, 0
	v_lshl_add_u64 v[16:17], v[14:15], 3, v[10:11]
	v_mov_b32_e32 v14, v41
	global_store_dwordx2 v[16:17], v[14:15], off
	s_or_b64 exec, exec, s[36:37]
	s_and_saveexec_b64 s[36:37], s[2:3]
	s_cbranch_execnz .LBB314_193
	s_branch .LBB314_194
.LBB314_252:
	v_sub_u32_e32 v10, v66, v1
	v_lshlrev_b32_e32 v10, 2, v10
	ds_write_b32 v10, v67
	s_or_b64 exec, exec, s[36:37]
	s_and_saveexec_b64 s[28:29], s[26:27]
	s_cbranch_execz .LBB314_198
.LBB314_253:
	v_sub_u32_e32 v10, v64, v1
	v_lshlrev_b32_e32 v10, 2, v10
	ds_write_b32 v10, v65
	s_or_b64 exec, exec, s[28:29]
	s_and_saveexec_b64 s[26:27], s[24:25]
	s_cbranch_execz .LBB314_199
.LBB314_254:
	v_sub_u32_e32 v10, v62, v1
	v_lshlrev_b32_e32 v10, 2, v10
	ds_write_b32 v10, v63
	s_or_b64 exec, exec, s[26:27]
	s_and_saveexec_b64 s[24:25], s[22:23]
	s_cbranch_execz .LBB314_200
.LBB314_255:
	v_sub_u32_e32 v10, v60, v1
	v_lshlrev_b32_e32 v10, 2, v10
	ds_write_b32 v10, v61
	s_or_b64 exec, exec, s[24:25]
	s_and_saveexec_b64 s[22:23], s[20:21]
	s_cbranch_execz .LBB314_201
.LBB314_256:
	v_sub_u32_e32 v10, v58, v1
	v_lshlrev_b32_e32 v10, 2, v10
	ds_write_b32 v10, v59
	s_or_b64 exec, exec, s[22:23]
	s_and_saveexec_b64 s[20:21], s[18:19]
	s_cbranch_execz .LBB314_202
.LBB314_257:
	v_sub_u32_e32 v10, v56, v1
	v_lshlrev_b32_e32 v10, 2, v10
	ds_write_b32 v10, v57
	s_or_b64 exec, exec, s[20:21]
	s_and_saveexec_b64 s[18:19], s[16:17]
	s_cbranch_execz .LBB314_203
.LBB314_258:
	v_sub_u32_e32 v10, v54, v1
	v_lshlrev_b32_e32 v10, 2, v10
	ds_write_b32 v10, v55
	s_or_b64 exec, exec, s[18:19]
	s_and_saveexec_b64 s[16:17], s[14:15]
	s_cbranch_execz .LBB314_204
.LBB314_259:
	v_sub_u32_e32 v10, v52, v1
	v_lshlrev_b32_e32 v10, 2, v10
	ds_write_b32 v10, v53
	s_or_b64 exec, exec, s[16:17]
	s_and_saveexec_b64 s[14:15], s[12:13]
	s_cbranch_execz .LBB314_205
.LBB314_260:
	v_sub_u32_e32 v10, v50, v1
	v_lshlrev_b32_e32 v10, 2, v10
	ds_write_b32 v10, v51
	s_or_b64 exec, exec, s[14:15]
	s_and_saveexec_b64 s[12:13], s[10:11]
	s_cbranch_execz .LBB314_206
.LBB314_261:
	v_sub_u32_e32 v10, v48, v1
	v_lshlrev_b32_e32 v10, 2, v10
	ds_write_b32 v10, v49
	s_or_b64 exec, exec, s[12:13]
	s_and_saveexec_b64 s[10:11], s[8:9]
	s_cbranch_execz .LBB314_207
.LBB314_262:
	v_sub_u32_e32 v10, v44, v1
	v_lshlrev_b32_e32 v10, 2, v10
	ds_write_b32 v10, v45
	s_or_b64 exec, exec, s[10:11]
	s_and_saveexec_b64 s[8:9], s[6:7]
	s_cbranch_execz .LBB314_208
.LBB314_263:
	v_sub_u32_e32 v10, v42, v1
	v_lshlrev_b32_e32 v10, 2, v10
	ds_write_b32 v10, v43
	s_or_b64 exec, exec, s[8:9]
	s_and_saveexec_b64 s[6:7], s[4:5]
	s_cbranch_execz .LBB314_209
.LBB314_264:
	v_sub_u32_e32 v10, v40, v1
	v_lshlrev_b32_e32 v10, 2, v10
	ds_write_b32 v10, v41
	s_or_b64 exec, exec, s[6:7]
	s_and_saveexec_b64 s[4:5], s[2:3]
	s_cbranch_execnz .LBB314_210
	s_branch .LBB314_211
	.section	.rodata,"a",@progbits
	.p2align	6, 0x0
	.amdhsa_kernel _ZN7rocprim17ROCPRIM_400000_NS6detail17trampoline_kernelINS0_14default_configENS1_33run_length_encode_config_selectorIdjNS0_4plusIjEEEEZZNS1_33reduce_by_key_impl_wrapped_configILNS1_25lookback_scan_determinismE0ES3_S7_PKdNS0_17constant_iteratorIjlEEPdPlSF_S6_NS0_8equal_toIdEEEE10hipError_tPvRmT2_T3_mT4_T5_T6_T7_T8_P12ihipStream_tbENKUlT_T0_E_clISt17integral_constantIbLb1EESZ_EEDaSU_SV_EUlSU_E_NS1_11comp_targetILNS1_3genE5ELNS1_11target_archE942ELNS1_3gpuE9ELNS1_3repE0EEENS1_30default_config_static_selectorELNS0_4arch9wavefront6targetE1EEEvT1_
		.amdhsa_group_segment_fixed_size 61440
		.amdhsa_private_segment_fixed_size 0
		.amdhsa_kernarg_size 128
		.amdhsa_user_sgpr_count 2
		.amdhsa_user_sgpr_dispatch_ptr 0
		.amdhsa_user_sgpr_queue_ptr 0
		.amdhsa_user_sgpr_kernarg_segment_ptr 1
		.amdhsa_user_sgpr_dispatch_id 0
		.amdhsa_user_sgpr_kernarg_preload_length 0
		.amdhsa_user_sgpr_kernarg_preload_offset 0
		.amdhsa_user_sgpr_private_segment_size 0
		.amdhsa_uses_dynamic_stack 0
		.amdhsa_enable_private_segment 0
		.amdhsa_system_sgpr_workgroup_id_x 1
		.amdhsa_system_sgpr_workgroup_id_y 0
		.amdhsa_system_sgpr_workgroup_id_z 0
		.amdhsa_system_sgpr_workgroup_info 0
		.amdhsa_system_vgpr_workitem_id 0
		.amdhsa_next_free_vgpr 90
		.amdhsa_next_free_sgpr 66
		.amdhsa_accum_offset 92
		.amdhsa_reserve_vcc 1
		.amdhsa_float_round_mode_32 0
		.amdhsa_float_round_mode_16_64 0
		.amdhsa_float_denorm_mode_32 3
		.amdhsa_float_denorm_mode_16_64 3
		.amdhsa_dx10_clamp 1
		.amdhsa_ieee_mode 1
		.amdhsa_fp16_overflow 0
		.amdhsa_tg_split 0
		.amdhsa_exception_fp_ieee_invalid_op 0
		.amdhsa_exception_fp_denorm_src 0
		.amdhsa_exception_fp_ieee_div_zero 0
		.amdhsa_exception_fp_ieee_overflow 0
		.amdhsa_exception_fp_ieee_underflow 0
		.amdhsa_exception_fp_ieee_inexact 0
		.amdhsa_exception_int_div_zero 0
	.end_amdhsa_kernel
	.section	.text._ZN7rocprim17ROCPRIM_400000_NS6detail17trampoline_kernelINS0_14default_configENS1_33run_length_encode_config_selectorIdjNS0_4plusIjEEEEZZNS1_33reduce_by_key_impl_wrapped_configILNS1_25lookback_scan_determinismE0ES3_S7_PKdNS0_17constant_iteratorIjlEEPdPlSF_S6_NS0_8equal_toIdEEEE10hipError_tPvRmT2_T3_mT4_T5_T6_T7_T8_P12ihipStream_tbENKUlT_T0_E_clISt17integral_constantIbLb1EESZ_EEDaSU_SV_EUlSU_E_NS1_11comp_targetILNS1_3genE5ELNS1_11target_archE942ELNS1_3gpuE9ELNS1_3repE0EEENS1_30default_config_static_selectorELNS0_4arch9wavefront6targetE1EEEvT1_,"axG",@progbits,_ZN7rocprim17ROCPRIM_400000_NS6detail17trampoline_kernelINS0_14default_configENS1_33run_length_encode_config_selectorIdjNS0_4plusIjEEEEZZNS1_33reduce_by_key_impl_wrapped_configILNS1_25lookback_scan_determinismE0ES3_S7_PKdNS0_17constant_iteratorIjlEEPdPlSF_S6_NS0_8equal_toIdEEEE10hipError_tPvRmT2_T3_mT4_T5_T6_T7_T8_P12ihipStream_tbENKUlT_T0_E_clISt17integral_constantIbLb1EESZ_EEDaSU_SV_EUlSU_E_NS1_11comp_targetILNS1_3genE5ELNS1_11target_archE942ELNS1_3gpuE9ELNS1_3repE0EEENS1_30default_config_static_selectorELNS0_4arch9wavefront6targetE1EEEvT1_,comdat
.Lfunc_end314:
	.size	_ZN7rocprim17ROCPRIM_400000_NS6detail17trampoline_kernelINS0_14default_configENS1_33run_length_encode_config_selectorIdjNS0_4plusIjEEEEZZNS1_33reduce_by_key_impl_wrapped_configILNS1_25lookback_scan_determinismE0ES3_S7_PKdNS0_17constant_iteratorIjlEEPdPlSF_S6_NS0_8equal_toIdEEEE10hipError_tPvRmT2_T3_mT4_T5_T6_T7_T8_P12ihipStream_tbENKUlT_T0_E_clISt17integral_constantIbLb1EESZ_EEDaSU_SV_EUlSU_E_NS1_11comp_targetILNS1_3genE5ELNS1_11target_archE942ELNS1_3gpuE9ELNS1_3repE0EEENS1_30default_config_static_selectorELNS0_4arch9wavefront6targetE1EEEvT1_, .Lfunc_end314-_ZN7rocprim17ROCPRIM_400000_NS6detail17trampoline_kernelINS0_14default_configENS1_33run_length_encode_config_selectorIdjNS0_4plusIjEEEEZZNS1_33reduce_by_key_impl_wrapped_configILNS1_25lookback_scan_determinismE0ES3_S7_PKdNS0_17constant_iteratorIjlEEPdPlSF_S6_NS0_8equal_toIdEEEE10hipError_tPvRmT2_T3_mT4_T5_T6_T7_T8_P12ihipStream_tbENKUlT_T0_E_clISt17integral_constantIbLb1EESZ_EEDaSU_SV_EUlSU_E_NS1_11comp_targetILNS1_3genE5ELNS1_11target_archE942ELNS1_3gpuE9ELNS1_3repE0EEENS1_30default_config_static_selectorELNS0_4arch9wavefront6targetE1EEEvT1_
                                        ; -- End function
	.section	.AMDGPU.csdata,"",@progbits
; Kernel info:
; codeLenInByte = 14380
; NumSgprs: 72
; NumVgprs: 90
; NumAgprs: 0
; TotalNumVgprs: 90
; ScratchSize: 0
; MemoryBound: 0
; FloatMode: 240
; IeeeMode: 1
; LDSByteSize: 61440 bytes/workgroup (compile time only)
; SGPRBlocks: 8
; VGPRBlocks: 11
; NumSGPRsForWavesPerEU: 72
; NumVGPRsForWavesPerEU: 90
; AccumOffset: 92
; Occupancy: 2
; WaveLimiterHint : 1
; COMPUTE_PGM_RSRC2:SCRATCH_EN: 0
; COMPUTE_PGM_RSRC2:USER_SGPR: 2
; COMPUTE_PGM_RSRC2:TRAP_HANDLER: 0
; COMPUTE_PGM_RSRC2:TGID_X_EN: 1
; COMPUTE_PGM_RSRC2:TGID_Y_EN: 0
; COMPUTE_PGM_RSRC2:TGID_Z_EN: 0
; COMPUTE_PGM_RSRC2:TIDIG_COMP_CNT: 0
; COMPUTE_PGM_RSRC3_GFX90A:ACCUM_OFFSET: 22
; COMPUTE_PGM_RSRC3_GFX90A:TG_SPLIT: 0
	.section	.text._ZN7rocprim17ROCPRIM_400000_NS6detail17trampoline_kernelINS0_14default_configENS1_33run_length_encode_config_selectorIdjNS0_4plusIjEEEEZZNS1_33reduce_by_key_impl_wrapped_configILNS1_25lookback_scan_determinismE0ES3_S7_PKdNS0_17constant_iteratorIjlEEPdPlSF_S6_NS0_8equal_toIdEEEE10hipError_tPvRmT2_T3_mT4_T5_T6_T7_T8_P12ihipStream_tbENKUlT_T0_E_clISt17integral_constantIbLb1EESZ_EEDaSU_SV_EUlSU_E_NS1_11comp_targetILNS1_3genE4ELNS1_11target_archE910ELNS1_3gpuE8ELNS1_3repE0EEENS1_30default_config_static_selectorELNS0_4arch9wavefront6targetE1EEEvT1_,"axG",@progbits,_ZN7rocprim17ROCPRIM_400000_NS6detail17trampoline_kernelINS0_14default_configENS1_33run_length_encode_config_selectorIdjNS0_4plusIjEEEEZZNS1_33reduce_by_key_impl_wrapped_configILNS1_25lookback_scan_determinismE0ES3_S7_PKdNS0_17constant_iteratorIjlEEPdPlSF_S6_NS0_8equal_toIdEEEE10hipError_tPvRmT2_T3_mT4_T5_T6_T7_T8_P12ihipStream_tbENKUlT_T0_E_clISt17integral_constantIbLb1EESZ_EEDaSU_SV_EUlSU_E_NS1_11comp_targetILNS1_3genE4ELNS1_11target_archE910ELNS1_3gpuE8ELNS1_3repE0EEENS1_30default_config_static_selectorELNS0_4arch9wavefront6targetE1EEEvT1_,comdat
	.protected	_ZN7rocprim17ROCPRIM_400000_NS6detail17trampoline_kernelINS0_14default_configENS1_33run_length_encode_config_selectorIdjNS0_4plusIjEEEEZZNS1_33reduce_by_key_impl_wrapped_configILNS1_25lookback_scan_determinismE0ES3_S7_PKdNS0_17constant_iteratorIjlEEPdPlSF_S6_NS0_8equal_toIdEEEE10hipError_tPvRmT2_T3_mT4_T5_T6_T7_T8_P12ihipStream_tbENKUlT_T0_E_clISt17integral_constantIbLb1EESZ_EEDaSU_SV_EUlSU_E_NS1_11comp_targetILNS1_3genE4ELNS1_11target_archE910ELNS1_3gpuE8ELNS1_3repE0EEENS1_30default_config_static_selectorELNS0_4arch9wavefront6targetE1EEEvT1_ ; -- Begin function _ZN7rocprim17ROCPRIM_400000_NS6detail17trampoline_kernelINS0_14default_configENS1_33run_length_encode_config_selectorIdjNS0_4plusIjEEEEZZNS1_33reduce_by_key_impl_wrapped_configILNS1_25lookback_scan_determinismE0ES3_S7_PKdNS0_17constant_iteratorIjlEEPdPlSF_S6_NS0_8equal_toIdEEEE10hipError_tPvRmT2_T3_mT4_T5_T6_T7_T8_P12ihipStream_tbENKUlT_T0_E_clISt17integral_constantIbLb1EESZ_EEDaSU_SV_EUlSU_E_NS1_11comp_targetILNS1_3genE4ELNS1_11target_archE910ELNS1_3gpuE8ELNS1_3repE0EEENS1_30default_config_static_selectorELNS0_4arch9wavefront6targetE1EEEvT1_
	.globl	_ZN7rocprim17ROCPRIM_400000_NS6detail17trampoline_kernelINS0_14default_configENS1_33run_length_encode_config_selectorIdjNS0_4plusIjEEEEZZNS1_33reduce_by_key_impl_wrapped_configILNS1_25lookback_scan_determinismE0ES3_S7_PKdNS0_17constant_iteratorIjlEEPdPlSF_S6_NS0_8equal_toIdEEEE10hipError_tPvRmT2_T3_mT4_T5_T6_T7_T8_P12ihipStream_tbENKUlT_T0_E_clISt17integral_constantIbLb1EESZ_EEDaSU_SV_EUlSU_E_NS1_11comp_targetILNS1_3genE4ELNS1_11target_archE910ELNS1_3gpuE8ELNS1_3repE0EEENS1_30default_config_static_selectorELNS0_4arch9wavefront6targetE1EEEvT1_
	.p2align	8
	.type	_ZN7rocprim17ROCPRIM_400000_NS6detail17trampoline_kernelINS0_14default_configENS1_33run_length_encode_config_selectorIdjNS0_4plusIjEEEEZZNS1_33reduce_by_key_impl_wrapped_configILNS1_25lookback_scan_determinismE0ES3_S7_PKdNS0_17constant_iteratorIjlEEPdPlSF_S6_NS0_8equal_toIdEEEE10hipError_tPvRmT2_T3_mT4_T5_T6_T7_T8_P12ihipStream_tbENKUlT_T0_E_clISt17integral_constantIbLb1EESZ_EEDaSU_SV_EUlSU_E_NS1_11comp_targetILNS1_3genE4ELNS1_11target_archE910ELNS1_3gpuE8ELNS1_3repE0EEENS1_30default_config_static_selectorELNS0_4arch9wavefront6targetE1EEEvT1_,@function
_ZN7rocprim17ROCPRIM_400000_NS6detail17trampoline_kernelINS0_14default_configENS1_33run_length_encode_config_selectorIdjNS0_4plusIjEEEEZZNS1_33reduce_by_key_impl_wrapped_configILNS1_25lookback_scan_determinismE0ES3_S7_PKdNS0_17constant_iteratorIjlEEPdPlSF_S6_NS0_8equal_toIdEEEE10hipError_tPvRmT2_T3_mT4_T5_T6_T7_T8_P12ihipStream_tbENKUlT_T0_E_clISt17integral_constantIbLb1EESZ_EEDaSU_SV_EUlSU_E_NS1_11comp_targetILNS1_3genE4ELNS1_11target_archE910ELNS1_3gpuE8ELNS1_3repE0EEENS1_30default_config_static_selectorELNS0_4arch9wavefront6targetE1EEEvT1_: ; @_ZN7rocprim17ROCPRIM_400000_NS6detail17trampoline_kernelINS0_14default_configENS1_33run_length_encode_config_selectorIdjNS0_4plusIjEEEEZZNS1_33reduce_by_key_impl_wrapped_configILNS1_25lookback_scan_determinismE0ES3_S7_PKdNS0_17constant_iteratorIjlEEPdPlSF_S6_NS0_8equal_toIdEEEE10hipError_tPvRmT2_T3_mT4_T5_T6_T7_T8_P12ihipStream_tbENKUlT_T0_E_clISt17integral_constantIbLb1EESZ_EEDaSU_SV_EUlSU_E_NS1_11comp_targetILNS1_3genE4ELNS1_11target_archE910ELNS1_3gpuE8ELNS1_3repE0EEENS1_30default_config_static_selectorELNS0_4arch9wavefront6targetE1EEEvT1_
; %bb.0:
	.section	.rodata,"a",@progbits
	.p2align	6, 0x0
	.amdhsa_kernel _ZN7rocprim17ROCPRIM_400000_NS6detail17trampoline_kernelINS0_14default_configENS1_33run_length_encode_config_selectorIdjNS0_4plusIjEEEEZZNS1_33reduce_by_key_impl_wrapped_configILNS1_25lookback_scan_determinismE0ES3_S7_PKdNS0_17constant_iteratorIjlEEPdPlSF_S6_NS0_8equal_toIdEEEE10hipError_tPvRmT2_T3_mT4_T5_T6_T7_T8_P12ihipStream_tbENKUlT_T0_E_clISt17integral_constantIbLb1EESZ_EEDaSU_SV_EUlSU_E_NS1_11comp_targetILNS1_3genE4ELNS1_11target_archE910ELNS1_3gpuE8ELNS1_3repE0EEENS1_30default_config_static_selectorELNS0_4arch9wavefront6targetE1EEEvT1_
		.amdhsa_group_segment_fixed_size 0
		.amdhsa_private_segment_fixed_size 0
		.amdhsa_kernarg_size 128
		.amdhsa_user_sgpr_count 2
		.amdhsa_user_sgpr_dispatch_ptr 0
		.amdhsa_user_sgpr_queue_ptr 0
		.amdhsa_user_sgpr_kernarg_segment_ptr 1
		.amdhsa_user_sgpr_dispatch_id 0
		.amdhsa_user_sgpr_kernarg_preload_length 0
		.amdhsa_user_sgpr_kernarg_preload_offset 0
		.amdhsa_user_sgpr_private_segment_size 0
		.amdhsa_uses_dynamic_stack 0
		.amdhsa_enable_private_segment 0
		.amdhsa_system_sgpr_workgroup_id_x 1
		.amdhsa_system_sgpr_workgroup_id_y 0
		.amdhsa_system_sgpr_workgroup_id_z 0
		.amdhsa_system_sgpr_workgroup_info 0
		.amdhsa_system_vgpr_workitem_id 0
		.amdhsa_next_free_vgpr 1
		.amdhsa_next_free_sgpr 0
		.amdhsa_accum_offset 4
		.amdhsa_reserve_vcc 0
		.amdhsa_float_round_mode_32 0
		.amdhsa_float_round_mode_16_64 0
		.amdhsa_float_denorm_mode_32 3
		.amdhsa_float_denorm_mode_16_64 3
		.amdhsa_dx10_clamp 1
		.amdhsa_ieee_mode 1
		.amdhsa_fp16_overflow 0
		.amdhsa_tg_split 0
		.amdhsa_exception_fp_ieee_invalid_op 0
		.amdhsa_exception_fp_denorm_src 0
		.amdhsa_exception_fp_ieee_div_zero 0
		.amdhsa_exception_fp_ieee_overflow 0
		.amdhsa_exception_fp_ieee_underflow 0
		.amdhsa_exception_fp_ieee_inexact 0
		.amdhsa_exception_int_div_zero 0
	.end_amdhsa_kernel
	.section	.text._ZN7rocprim17ROCPRIM_400000_NS6detail17trampoline_kernelINS0_14default_configENS1_33run_length_encode_config_selectorIdjNS0_4plusIjEEEEZZNS1_33reduce_by_key_impl_wrapped_configILNS1_25lookback_scan_determinismE0ES3_S7_PKdNS0_17constant_iteratorIjlEEPdPlSF_S6_NS0_8equal_toIdEEEE10hipError_tPvRmT2_T3_mT4_T5_T6_T7_T8_P12ihipStream_tbENKUlT_T0_E_clISt17integral_constantIbLb1EESZ_EEDaSU_SV_EUlSU_E_NS1_11comp_targetILNS1_3genE4ELNS1_11target_archE910ELNS1_3gpuE8ELNS1_3repE0EEENS1_30default_config_static_selectorELNS0_4arch9wavefront6targetE1EEEvT1_,"axG",@progbits,_ZN7rocprim17ROCPRIM_400000_NS6detail17trampoline_kernelINS0_14default_configENS1_33run_length_encode_config_selectorIdjNS0_4plusIjEEEEZZNS1_33reduce_by_key_impl_wrapped_configILNS1_25lookback_scan_determinismE0ES3_S7_PKdNS0_17constant_iteratorIjlEEPdPlSF_S6_NS0_8equal_toIdEEEE10hipError_tPvRmT2_T3_mT4_T5_T6_T7_T8_P12ihipStream_tbENKUlT_T0_E_clISt17integral_constantIbLb1EESZ_EEDaSU_SV_EUlSU_E_NS1_11comp_targetILNS1_3genE4ELNS1_11target_archE910ELNS1_3gpuE8ELNS1_3repE0EEENS1_30default_config_static_selectorELNS0_4arch9wavefront6targetE1EEEvT1_,comdat
.Lfunc_end315:
	.size	_ZN7rocprim17ROCPRIM_400000_NS6detail17trampoline_kernelINS0_14default_configENS1_33run_length_encode_config_selectorIdjNS0_4plusIjEEEEZZNS1_33reduce_by_key_impl_wrapped_configILNS1_25lookback_scan_determinismE0ES3_S7_PKdNS0_17constant_iteratorIjlEEPdPlSF_S6_NS0_8equal_toIdEEEE10hipError_tPvRmT2_T3_mT4_T5_T6_T7_T8_P12ihipStream_tbENKUlT_T0_E_clISt17integral_constantIbLb1EESZ_EEDaSU_SV_EUlSU_E_NS1_11comp_targetILNS1_3genE4ELNS1_11target_archE910ELNS1_3gpuE8ELNS1_3repE0EEENS1_30default_config_static_selectorELNS0_4arch9wavefront6targetE1EEEvT1_, .Lfunc_end315-_ZN7rocprim17ROCPRIM_400000_NS6detail17trampoline_kernelINS0_14default_configENS1_33run_length_encode_config_selectorIdjNS0_4plusIjEEEEZZNS1_33reduce_by_key_impl_wrapped_configILNS1_25lookback_scan_determinismE0ES3_S7_PKdNS0_17constant_iteratorIjlEEPdPlSF_S6_NS0_8equal_toIdEEEE10hipError_tPvRmT2_T3_mT4_T5_T6_T7_T8_P12ihipStream_tbENKUlT_T0_E_clISt17integral_constantIbLb1EESZ_EEDaSU_SV_EUlSU_E_NS1_11comp_targetILNS1_3genE4ELNS1_11target_archE910ELNS1_3gpuE8ELNS1_3repE0EEENS1_30default_config_static_selectorELNS0_4arch9wavefront6targetE1EEEvT1_
                                        ; -- End function
	.section	.AMDGPU.csdata,"",@progbits
; Kernel info:
; codeLenInByte = 0
; NumSgprs: 6
; NumVgprs: 0
; NumAgprs: 0
; TotalNumVgprs: 0
; ScratchSize: 0
; MemoryBound: 0
; FloatMode: 240
; IeeeMode: 1
; LDSByteSize: 0 bytes/workgroup (compile time only)
; SGPRBlocks: 0
; VGPRBlocks: 0
; NumSGPRsForWavesPerEU: 6
; NumVGPRsForWavesPerEU: 1
; AccumOffset: 4
; Occupancy: 8
; WaveLimiterHint : 0
; COMPUTE_PGM_RSRC2:SCRATCH_EN: 0
; COMPUTE_PGM_RSRC2:USER_SGPR: 2
; COMPUTE_PGM_RSRC2:TRAP_HANDLER: 0
; COMPUTE_PGM_RSRC2:TGID_X_EN: 1
; COMPUTE_PGM_RSRC2:TGID_Y_EN: 0
; COMPUTE_PGM_RSRC2:TGID_Z_EN: 0
; COMPUTE_PGM_RSRC2:TIDIG_COMP_CNT: 0
; COMPUTE_PGM_RSRC3_GFX90A:ACCUM_OFFSET: 0
; COMPUTE_PGM_RSRC3_GFX90A:TG_SPLIT: 0
	.section	.text._ZN7rocprim17ROCPRIM_400000_NS6detail17trampoline_kernelINS0_14default_configENS1_33run_length_encode_config_selectorIdjNS0_4plusIjEEEEZZNS1_33reduce_by_key_impl_wrapped_configILNS1_25lookback_scan_determinismE0ES3_S7_PKdNS0_17constant_iteratorIjlEEPdPlSF_S6_NS0_8equal_toIdEEEE10hipError_tPvRmT2_T3_mT4_T5_T6_T7_T8_P12ihipStream_tbENKUlT_T0_E_clISt17integral_constantIbLb1EESZ_EEDaSU_SV_EUlSU_E_NS1_11comp_targetILNS1_3genE3ELNS1_11target_archE908ELNS1_3gpuE7ELNS1_3repE0EEENS1_30default_config_static_selectorELNS0_4arch9wavefront6targetE1EEEvT1_,"axG",@progbits,_ZN7rocprim17ROCPRIM_400000_NS6detail17trampoline_kernelINS0_14default_configENS1_33run_length_encode_config_selectorIdjNS0_4plusIjEEEEZZNS1_33reduce_by_key_impl_wrapped_configILNS1_25lookback_scan_determinismE0ES3_S7_PKdNS0_17constant_iteratorIjlEEPdPlSF_S6_NS0_8equal_toIdEEEE10hipError_tPvRmT2_T3_mT4_T5_T6_T7_T8_P12ihipStream_tbENKUlT_T0_E_clISt17integral_constantIbLb1EESZ_EEDaSU_SV_EUlSU_E_NS1_11comp_targetILNS1_3genE3ELNS1_11target_archE908ELNS1_3gpuE7ELNS1_3repE0EEENS1_30default_config_static_selectorELNS0_4arch9wavefront6targetE1EEEvT1_,comdat
	.protected	_ZN7rocprim17ROCPRIM_400000_NS6detail17trampoline_kernelINS0_14default_configENS1_33run_length_encode_config_selectorIdjNS0_4plusIjEEEEZZNS1_33reduce_by_key_impl_wrapped_configILNS1_25lookback_scan_determinismE0ES3_S7_PKdNS0_17constant_iteratorIjlEEPdPlSF_S6_NS0_8equal_toIdEEEE10hipError_tPvRmT2_T3_mT4_T5_T6_T7_T8_P12ihipStream_tbENKUlT_T0_E_clISt17integral_constantIbLb1EESZ_EEDaSU_SV_EUlSU_E_NS1_11comp_targetILNS1_3genE3ELNS1_11target_archE908ELNS1_3gpuE7ELNS1_3repE0EEENS1_30default_config_static_selectorELNS0_4arch9wavefront6targetE1EEEvT1_ ; -- Begin function _ZN7rocprim17ROCPRIM_400000_NS6detail17trampoline_kernelINS0_14default_configENS1_33run_length_encode_config_selectorIdjNS0_4plusIjEEEEZZNS1_33reduce_by_key_impl_wrapped_configILNS1_25lookback_scan_determinismE0ES3_S7_PKdNS0_17constant_iteratorIjlEEPdPlSF_S6_NS0_8equal_toIdEEEE10hipError_tPvRmT2_T3_mT4_T5_T6_T7_T8_P12ihipStream_tbENKUlT_T0_E_clISt17integral_constantIbLb1EESZ_EEDaSU_SV_EUlSU_E_NS1_11comp_targetILNS1_3genE3ELNS1_11target_archE908ELNS1_3gpuE7ELNS1_3repE0EEENS1_30default_config_static_selectorELNS0_4arch9wavefront6targetE1EEEvT1_
	.globl	_ZN7rocprim17ROCPRIM_400000_NS6detail17trampoline_kernelINS0_14default_configENS1_33run_length_encode_config_selectorIdjNS0_4plusIjEEEEZZNS1_33reduce_by_key_impl_wrapped_configILNS1_25lookback_scan_determinismE0ES3_S7_PKdNS0_17constant_iteratorIjlEEPdPlSF_S6_NS0_8equal_toIdEEEE10hipError_tPvRmT2_T3_mT4_T5_T6_T7_T8_P12ihipStream_tbENKUlT_T0_E_clISt17integral_constantIbLb1EESZ_EEDaSU_SV_EUlSU_E_NS1_11comp_targetILNS1_3genE3ELNS1_11target_archE908ELNS1_3gpuE7ELNS1_3repE0EEENS1_30default_config_static_selectorELNS0_4arch9wavefront6targetE1EEEvT1_
	.p2align	8
	.type	_ZN7rocprim17ROCPRIM_400000_NS6detail17trampoline_kernelINS0_14default_configENS1_33run_length_encode_config_selectorIdjNS0_4plusIjEEEEZZNS1_33reduce_by_key_impl_wrapped_configILNS1_25lookback_scan_determinismE0ES3_S7_PKdNS0_17constant_iteratorIjlEEPdPlSF_S6_NS0_8equal_toIdEEEE10hipError_tPvRmT2_T3_mT4_T5_T6_T7_T8_P12ihipStream_tbENKUlT_T0_E_clISt17integral_constantIbLb1EESZ_EEDaSU_SV_EUlSU_E_NS1_11comp_targetILNS1_3genE3ELNS1_11target_archE908ELNS1_3gpuE7ELNS1_3repE0EEENS1_30default_config_static_selectorELNS0_4arch9wavefront6targetE1EEEvT1_,@function
_ZN7rocprim17ROCPRIM_400000_NS6detail17trampoline_kernelINS0_14default_configENS1_33run_length_encode_config_selectorIdjNS0_4plusIjEEEEZZNS1_33reduce_by_key_impl_wrapped_configILNS1_25lookback_scan_determinismE0ES3_S7_PKdNS0_17constant_iteratorIjlEEPdPlSF_S6_NS0_8equal_toIdEEEE10hipError_tPvRmT2_T3_mT4_T5_T6_T7_T8_P12ihipStream_tbENKUlT_T0_E_clISt17integral_constantIbLb1EESZ_EEDaSU_SV_EUlSU_E_NS1_11comp_targetILNS1_3genE3ELNS1_11target_archE908ELNS1_3gpuE7ELNS1_3repE0EEENS1_30default_config_static_selectorELNS0_4arch9wavefront6targetE1EEEvT1_: ; @_ZN7rocprim17ROCPRIM_400000_NS6detail17trampoline_kernelINS0_14default_configENS1_33run_length_encode_config_selectorIdjNS0_4plusIjEEEEZZNS1_33reduce_by_key_impl_wrapped_configILNS1_25lookback_scan_determinismE0ES3_S7_PKdNS0_17constant_iteratorIjlEEPdPlSF_S6_NS0_8equal_toIdEEEE10hipError_tPvRmT2_T3_mT4_T5_T6_T7_T8_P12ihipStream_tbENKUlT_T0_E_clISt17integral_constantIbLb1EESZ_EEDaSU_SV_EUlSU_E_NS1_11comp_targetILNS1_3genE3ELNS1_11target_archE908ELNS1_3gpuE7ELNS1_3repE0EEENS1_30default_config_static_selectorELNS0_4arch9wavefront6targetE1EEEvT1_
; %bb.0:
	.section	.rodata,"a",@progbits
	.p2align	6, 0x0
	.amdhsa_kernel _ZN7rocprim17ROCPRIM_400000_NS6detail17trampoline_kernelINS0_14default_configENS1_33run_length_encode_config_selectorIdjNS0_4plusIjEEEEZZNS1_33reduce_by_key_impl_wrapped_configILNS1_25lookback_scan_determinismE0ES3_S7_PKdNS0_17constant_iteratorIjlEEPdPlSF_S6_NS0_8equal_toIdEEEE10hipError_tPvRmT2_T3_mT4_T5_T6_T7_T8_P12ihipStream_tbENKUlT_T0_E_clISt17integral_constantIbLb1EESZ_EEDaSU_SV_EUlSU_E_NS1_11comp_targetILNS1_3genE3ELNS1_11target_archE908ELNS1_3gpuE7ELNS1_3repE0EEENS1_30default_config_static_selectorELNS0_4arch9wavefront6targetE1EEEvT1_
		.amdhsa_group_segment_fixed_size 0
		.amdhsa_private_segment_fixed_size 0
		.amdhsa_kernarg_size 128
		.amdhsa_user_sgpr_count 2
		.amdhsa_user_sgpr_dispatch_ptr 0
		.amdhsa_user_sgpr_queue_ptr 0
		.amdhsa_user_sgpr_kernarg_segment_ptr 1
		.amdhsa_user_sgpr_dispatch_id 0
		.amdhsa_user_sgpr_kernarg_preload_length 0
		.amdhsa_user_sgpr_kernarg_preload_offset 0
		.amdhsa_user_sgpr_private_segment_size 0
		.amdhsa_uses_dynamic_stack 0
		.amdhsa_enable_private_segment 0
		.amdhsa_system_sgpr_workgroup_id_x 1
		.amdhsa_system_sgpr_workgroup_id_y 0
		.amdhsa_system_sgpr_workgroup_id_z 0
		.amdhsa_system_sgpr_workgroup_info 0
		.amdhsa_system_vgpr_workitem_id 0
		.amdhsa_next_free_vgpr 1
		.amdhsa_next_free_sgpr 0
		.amdhsa_accum_offset 4
		.amdhsa_reserve_vcc 0
		.amdhsa_float_round_mode_32 0
		.amdhsa_float_round_mode_16_64 0
		.amdhsa_float_denorm_mode_32 3
		.amdhsa_float_denorm_mode_16_64 3
		.amdhsa_dx10_clamp 1
		.amdhsa_ieee_mode 1
		.amdhsa_fp16_overflow 0
		.amdhsa_tg_split 0
		.amdhsa_exception_fp_ieee_invalid_op 0
		.amdhsa_exception_fp_denorm_src 0
		.amdhsa_exception_fp_ieee_div_zero 0
		.amdhsa_exception_fp_ieee_overflow 0
		.amdhsa_exception_fp_ieee_underflow 0
		.amdhsa_exception_fp_ieee_inexact 0
		.amdhsa_exception_int_div_zero 0
	.end_amdhsa_kernel
	.section	.text._ZN7rocprim17ROCPRIM_400000_NS6detail17trampoline_kernelINS0_14default_configENS1_33run_length_encode_config_selectorIdjNS0_4plusIjEEEEZZNS1_33reduce_by_key_impl_wrapped_configILNS1_25lookback_scan_determinismE0ES3_S7_PKdNS0_17constant_iteratorIjlEEPdPlSF_S6_NS0_8equal_toIdEEEE10hipError_tPvRmT2_T3_mT4_T5_T6_T7_T8_P12ihipStream_tbENKUlT_T0_E_clISt17integral_constantIbLb1EESZ_EEDaSU_SV_EUlSU_E_NS1_11comp_targetILNS1_3genE3ELNS1_11target_archE908ELNS1_3gpuE7ELNS1_3repE0EEENS1_30default_config_static_selectorELNS0_4arch9wavefront6targetE1EEEvT1_,"axG",@progbits,_ZN7rocprim17ROCPRIM_400000_NS6detail17trampoline_kernelINS0_14default_configENS1_33run_length_encode_config_selectorIdjNS0_4plusIjEEEEZZNS1_33reduce_by_key_impl_wrapped_configILNS1_25lookback_scan_determinismE0ES3_S7_PKdNS0_17constant_iteratorIjlEEPdPlSF_S6_NS0_8equal_toIdEEEE10hipError_tPvRmT2_T3_mT4_T5_T6_T7_T8_P12ihipStream_tbENKUlT_T0_E_clISt17integral_constantIbLb1EESZ_EEDaSU_SV_EUlSU_E_NS1_11comp_targetILNS1_3genE3ELNS1_11target_archE908ELNS1_3gpuE7ELNS1_3repE0EEENS1_30default_config_static_selectorELNS0_4arch9wavefront6targetE1EEEvT1_,comdat
.Lfunc_end316:
	.size	_ZN7rocprim17ROCPRIM_400000_NS6detail17trampoline_kernelINS0_14default_configENS1_33run_length_encode_config_selectorIdjNS0_4plusIjEEEEZZNS1_33reduce_by_key_impl_wrapped_configILNS1_25lookback_scan_determinismE0ES3_S7_PKdNS0_17constant_iteratorIjlEEPdPlSF_S6_NS0_8equal_toIdEEEE10hipError_tPvRmT2_T3_mT4_T5_T6_T7_T8_P12ihipStream_tbENKUlT_T0_E_clISt17integral_constantIbLb1EESZ_EEDaSU_SV_EUlSU_E_NS1_11comp_targetILNS1_3genE3ELNS1_11target_archE908ELNS1_3gpuE7ELNS1_3repE0EEENS1_30default_config_static_selectorELNS0_4arch9wavefront6targetE1EEEvT1_, .Lfunc_end316-_ZN7rocprim17ROCPRIM_400000_NS6detail17trampoline_kernelINS0_14default_configENS1_33run_length_encode_config_selectorIdjNS0_4plusIjEEEEZZNS1_33reduce_by_key_impl_wrapped_configILNS1_25lookback_scan_determinismE0ES3_S7_PKdNS0_17constant_iteratorIjlEEPdPlSF_S6_NS0_8equal_toIdEEEE10hipError_tPvRmT2_T3_mT4_T5_T6_T7_T8_P12ihipStream_tbENKUlT_T0_E_clISt17integral_constantIbLb1EESZ_EEDaSU_SV_EUlSU_E_NS1_11comp_targetILNS1_3genE3ELNS1_11target_archE908ELNS1_3gpuE7ELNS1_3repE0EEENS1_30default_config_static_selectorELNS0_4arch9wavefront6targetE1EEEvT1_
                                        ; -- End function
	.section	.AMDGPU.csdata,"",@progbits
; Kernel info:
; codeLenInByte = 0
; NumSgprs: 6
; NumVgprs: 0
; NumAgprs: 0
; TotalNumVgprs: 0
; ScratchSize: 0
; MemoryBound: 0
; FloatMode: 240
; IeeeMode: 1
; LDSByteSize: 0 bytes/workgroup (compile time only)
; SGPRBlocks: 0
; VGPRBlocks: 0
; NumSGPRsForWavesPerEU: 6
; NumVGPRsForWavesPerEU: 1
; AccumOffset: 4
; Occupancy: 8
; WaveLimiterHint : 0
; COMPUTE_PGM_RSRC2:SCRATCH_EN: 0
; COMPUTE_PGM_RSRC2:USER_SGPR: 2
; COMPUTE_PGM_RSRC2:TRAP_HANDLER: 0
; COMPUTE_PGM_RSRC2:TGID_X_EN: 1
; COMPUTE_PGM_RSRC2:TGID_Y_EN: 0
; COMPUTE_PGM_RSRC2:TGID_Z_EN: 0
; COMPUTE_PGM_RSRC2:TIDIG_COMP_CNT: 0
; COMPUTE_PGM_RSRC3_GFX90A:ACCUM_OFFSET: 0
; COMPUTE_PGM_RSRC3_GFX90A:TG_SPLIT: 0
	.section	.text._ZN7rocprim17ROCPRIM_400000_NS6detail17trampoline_kernelINS0_14default_configENS1_33run_length_encode_config_selectorIdjNS0_4plusIjEEEEZZNS1_33reduce_by_key_impl_wrapped_configILNS1_25lookback_scan_determinismE0ES3_S7_PKdNS0_17constant_iteratorIjlEEPdPlSF_S6_NS0_8equal_toIdEEEE10hipError_tPvRmT2_T3_mT4_T5_T6_T7_T8_P12ihipStream_tbENKUlT_T0_E_clISt17integral_constantIbLb1EESZ_EEDaSU_SV_EUlSU_E_NS1_11comp_targetILNS1_3genE2ELNS1_11target_archE906ELNS1_3gpuE6ELNS1_3repE0EEENS1_30default_config_static_selectorELNS0_4arch9wavefront6targetE1EEEvT1_,"axG",@progbits,_ZN7rocprim17ROCPRIM_400000_NS6detail17trampoline_kernelINS0_14default_configENS1_33run_length_encode_config_selectorIdjNS0_4plusIjEEEEZZNS1_33reduce_by_key_impl_wrapped_configILNS1_25lookback_scan_determinismE0ES3_S7_PKdNS0_17constant_iteratorIjlEEPdPlSF_S6_NS0_8equal_toIdEEEE10hipError_tPvRmT2_T3_mT4_T5_T6_T7_T8_P12ihipStream_tbENKUlT_T0_E_clISt17integral_constantIbLb1EESZ_EEDaSU_SV_EUlSU_E_NS1_11comp_targetILNS1_3genE2ELNS1_11target_archE906ELNS1_3gpuE6ELNS1_3repE0EEENS1_30default_config_static_selectorELNS0_4arch9wavefront6targetE1EEEvT1_,comdat
	.protected	_ZN7rocprim17ROCPRIM_400000_NS6detail17trampoline_kernelINS0_14default_configENS1_33run_length_encode_config_selectorIdjNS0_4plusIjEEEEZZNS1_33reduce_by_key_impl_wrapped_configILNS1_25lookback_scan_determinismE0ES3_S7_PKdNS0_17constant_iteratorIjlEEPdPlSF_S6_NS0_8equal_toIdEEEE10hipError_tPvRmT2_T3_mT4_T5_T6_T7_T8_P12ihipStream_tbENKUlT_T0_E_clISt17integral_constantIbLb1EESZ_EEDaSU_SV_EUlSU_E_NS1_11comp_targetILNS1_3genE2ELNS1_11target_archE906ELNS1_3gpuE6ELNS1_3repE0EEENS1_30default_config_static_selectorELNS0_4arch9wavefront6targetE1EEEvT1_ ; -- Begin function _ZN7rocprim17ROCPRIM_400000_NS6detail17trampoline_kernelINS0_14default_configENS1_33run_length_encode_config_selectorIdjNS0_4plusIjEEEEZZNS1_33reduce_by_key_impl_wrapped_configILNS1_25lookback_scan_determinismE0ES3_S7_PKdNS0_17constant_iteratorIjlEEPdPlSF_S6_NS0_8equal_toIdEEEE10hipError_tPvRmT2_T3_mT4_T5_T6_T7_T8_P12ihipStream_tbENKUlT_T0_E_clISt17integral_constantIbLb1EESZ_EEDaSU_SV_EUlSU_E_NS1_11comp_targetILNS1_3genE2ELNS1_11target_archE906ELNS1_3gpuE6ELNS1_3repE0EEENS1_30default_config_static_selectorELNS0_4arch9wavefront6targetE1EEEvT1_
	.globl	_ZN7rocprim17ROCPRIM_400000_NS6detail17trampoline_kernelINS0_14default_configENS1_33run_length_encode_config_selectorIdjNS0_4plusIjEEEEZZNS1_33reduce_by_key_impl_wrapped_configILNS1_25lookback_scan_determinismE0ES3_S7_PKdNS0_17constant_iteratorIjlEEPdPlSF_S6_NS0_8equal_toIdEEEE10hipError_tPvRmT2_T3_mT4_T5_T6_T7_T8_P12ihipStream_tbENKUlT_T0_E_clISt17integral_constantIbLb1EESZ_EEDaSU_SV_EUlSU_E_NS1_11comp_targetILNS1_3genE2ELNS1_11target_archE906ELNS1_3gpuE6ELNS1_3repE0EEENS1_30default_config_static_selectorELNS0_4arch9wavefront6targetE1EEEvT1_
	.p2align	8
	.type	_ZN7rocprim17ROCPRIM_400000_NS6detail17trampoline_kernelINS0_14default_configENS1_33run_length_encode_config_selectorIdjNS0_4plusIjEEEEZZNS1_33reduce_by_key_impl_wrapped_configILNS1_25lookback_scan_determinismE0ES3_S7_PKdNS0_17constant_iteratorIjlEEPdPlSF_S6_NS0_8equal_toIdEEEE10hipError_tPvRmT2_T3_mT4_T5_T6_T7_T8_P12ihipStream_tbENKUlT_T0_E_clISt17integral_constantIbLb1EESZ_EEDaSU_SV_EUlSU_E_NS1_11comp_targetILNS1_3genE2ELNS1_11target_archE906ELNS1_3gpuE6ELNS1_3repE0EEENS1_30default_config_static_selectorELNS0_4arch9wavefront6targetE1EEEvT1_,@function
_ZN7rocprim17ROCPRIM_400000_NS6detail17trampoline_kernelINS0_14default_configENS1_33run_length_encode_config_selectorIdjNS0_4plusIjEEEEZZNS1_33reduce_by_key_impl_wrapped_configILNS1_25lookback_scan_determinismE0ES3_S7_PKdNS0_17constant_iteratorIjlEEPdPlSF_S6_NS0_8equal_toIdEEEE10hipError_tPvRmT2_T3_mT4_T5_T6_T7_T8_P12ihipStream_tbENKUlT_T0_E_clISt17integral_constantIbLb1EESZ_EEDaSU_SV_EUlSU_E_NS1_11comp_targetILNS1_3genE2ELNS1_11target_archE906ELNS1_3gpuE6ELNS1_3repE0EEENS1_30default_config_static_selectorELNS0_4arch9wavefront6targetE1EEEvT1_: ; @_ZN7rocprim17ROCPRIM_400000_NS6detail17trampoline_kernelINS0_14default_configENS1_33run_length_encode_config_selectorIdjNS0_4plusIjEEEEZZNS1_33reduce_by_key_impl_wrapped_configILNS1_25lookback_scan_determinismE0ES3_S7_PKdNS0_17constant_iteratorIjlEEPdPlSF_S6_NS0_8equal_toIdEEEE10hipError_tPvRmT2_T3_mT4_T5_T6_T7_T8_P12ihipStream_tbENKUlT_T0_E_clISt17integral_constantIbLb1EESZ_EEDaSU_SV_EUlSU_E_NS1_11comp_targetILNS1_3genE2ELNS1_11target_archE906ELNS1_3gpuE6ELNS1_3repE0EEENS1_30default_config_static_selectorELNS0_4arch9wavefront6targetE1EEEvT1_
; %bb.0:
	.section	.rodata,"a",@progbits
	.p2align	6, 0x0
	.amdhsa_kernel _ZN7rocprim17ROCPRIM_400000_NS6detail17trampoline_kernelINS0_14default_configENS1_33run_length_encode_config_selectorIdjNS0_4plusIjEEEEZZNS1_33reduce_by_key_impl_wrapped_configILNS1_25lookback_scan_determinismE0ES3_S7_PKdNS0_17constant_iteratorIjlEEPdPlSF_S6_NS0_8equal_toIdEEEE10hipError_tPvRmT2_T3_mT4_T5_T6_T7_T8_P12ihipStream_tbENKUlT_T0_E_clISt17integral_constantIbLb1EESZ_EEDaSU_SV_EUlSU_E_NS1_11comp_targetILNS1_3genE2ELNS1_11target_archE906ELNS1_3gpuE6ELNS1_3repE0EEENS1_30default_config_static_selectorELNS0_4arch9wavefront6targetE1EEEvT1_
		.amdhsa_group_segment_fixed_size 0
		.amdhsa_private_segment_fixed_size 0
		.amdhsa_kernarg_size 128
		.amdhsa_user_sgpr_count 2
		.amdhsa_user_sgpr_dispatch_ptr 0
		.amdhsa_user_sgpr_queue_ptr 0
		.amdhsa_user_sgpr_kernarg_segment_ptr 1
		.amdhsa_user_sgpr_dispatch_id 0
		.amdhsa_user_sgpr_kernarg_preload_length 0
		.amdhsa_user_sgpr_kernarg_preload_offset 0
		.amdhsa_user_sgpr_private_segment_size 0
		.amdhsa_uses_dynamic_stack 0
		.amdhsa_enable_private_segment 0
		.amdhsa_system_sgpr_workgroup_id_x 1
		.amdhsa_system_sgpr_workgroup_id_y 0
		.amdhsa_system_sgpr_workgroup_id_z 0
		.amdhsa_system_sgpr_workgroup_info 0
		.amdhsa_system_vgpr_workitem_id 0
		.amdhsa_next_free_vgpr 1
		.amdhsa_next_free_sgpr 0
		.amdhsa_accum_offset 4
		.amdhsa_reserve_vcc 0
		.amdhsa_float_round_mode_32 0
		.amdhsa_float_round_mode_16_64 0
		.amdhsa_float_denorm_mode_32 3
		.amdhsa_float_denorm_mode_16_64 3
		.amdhsa_dx10_clamp 1
		.amdhsa_ieee_mode 1
		.amdhsa_fp16_overflow 0
		.amdhsa_tg_split 0
		.amdhsa_exception_fp_ieee_invalid_op 0
		.amdhsa_exception_fp_denorm_src 0
		.amdhsa_exception_fp_ieee_div_zero 0
		.amdhsa_exception_fp_ieee_overflow 0
		.amdhsa_exception_fp_ieee_underflow 0
		.amdhsa_exception_fp_ieee_inexact 0
		.amdhsa_exception_int_div_zero 0
	.end_amdhsa_kernel
	.section	.text._ZN7rocprim17ROCPRIM_400000_NS6detail17trampoline_kernelINS0_14default_configENS1_33run_length_encode_config_selectorIdjNS0_4plusIjEEEEZZNS1_33reduce_by_key_impl_wrapped_configILNS1_25lookback_scan_determinismE0ES3_S7_PKdNS0_17constant_iteratorIjlEEPdPlSF_S6_NS0_8equal_toIdEEEE10hipError_tPvRmT2_T3_mT4_T5_T6_T7_T8_P12ihipStream_tbENKUlT_T0_E_clISt17integral_constantIbLb1EESZ_EEDaSU_SV_EUlSU_E_NS1_11comp_targetILNS1_3genE2ELNS1_11target_archE906ELNS1_3gpuE6ELNS1_3repE0EEENS1_30default_config_static_selectorELNS0_4arch9wavefront6targetE1EEEvT1_,"axG",@progbits,_ZN7rocprim17ROCPRIM_400000_NS6detail17trampoline_kernelINS0_14default_configENS1_33run_length_encode_config_selectorIdjNS0_4plusIjEEEEZZNS1_33reduce_by_key_impl_wrapped_configILNS1_25lookback_scan_determinismE0ES3_S7_PKdNS0_17constant_iteratorIjlEEPdPlSF_S6_NS0_8equal_toIdEEEE10hipError_tPvRmT2_T3_mT4_T5_T6_T7_T8_P12ihipStream_tbENKUlT_T0_E_clISt17integral_constantIbLb1EESZ_EEDaSU_SV_EUlSU_E_NS1_11comp_targetILNS1_3genE2ELNS1_11target_archE906ELNS1_3gpuE6ELNS1_3repE0EEENS1_30default_config_static_selectorELNS0_4arch9wavefront6targetE1EEEvT1_,comdat
.Lfunc_end317:
	.size	_ZN7rocprim17ROCPRIM_400000_NS6detail17trampoline_kernelINS0_14default_configENS1_33run_length_encode_config_selectorIdjNS0_4plusIjEEEEZZNS1_33reduce_by_key_impl_wrapped_configILNS1_25lookback_scan_determinismE0ES3_S7_PKdNS0_17constant_iteratorIjlEEPdPlSF_S6_NS0_8equal_toIdEEEE10hipError_tPvRmT2_T3_mT4_T5_T6_T7_T8_P12ihipStream_tbENKUlT_T0_E_clISt17integral_constantIbLb1EESZ_EEDaSU_SV_EUlSU_E_NS1_11comp_targetILNS1_3genE2ELNS1_11target_archE906ELNS1_3gpuE6ELNS1_3repE0EEENS1_30default_config_static_selectorELNS0_4arch9wavefront6targetE1EEEvT1_, .Lfunc_end317-_ZN7rocprim17ROCPRIM_400000_NS6detail17trampoline_kernelINS0_14default_configENS1_33run_length_encode_config_selectorIdjNS0_4plusIjEEEEZZNS1_33reduce_by_key_impl_wrapped_configILNS1_25lookback_scan_determinismE0ES3_S7_PKdNS0_17constant_iteratorIjlEEPdPlSF_S6_NS0_8equal_toIdEEEE10hipError_tPvRmT2_T3_mT4_T5_T6_T7_T8_P12ihipStream_tbENKUlT_T0_E_clISt17integral_constantIbLb1EESZ_EEDaSU_SV_EUlSU_E_NS1_11comp_targetILNS1_3genE2ELNS1_11target_archE906ELNS1_3gpuE6ELNS1_3repE0EEENS1_30default_config_static_selectorELNS0_4arch9wavefront6targetE1EEEvT1_
                                        ; -- End function
	.section	.AMDGPU.csdata,"",@progbits
; Kernel info:
; codeLenInByte = 0
; NumSgprs: 6
; NumVgprs: 0
; NumAgprs: 0
; TotalNumVgprs: 0
; ScratchSize: 0
; MemoryBound: 0
; FloatMode: 240
; IeeeMode: 1
; LDSByteSize: 0 bytes/workgroup (compile time only)
; SGPRBlocks: 0
; VGPRBlocks: 0
; NumSGPRsForWavesPerEU: 6
; NumVGPRsForWavesPerEU: 1
; AccumOffset: 4
; Occupancy: 8
; WaveLimiterHint : 0
; COMPUTE_PGM_RSRC2:SCRATCH_EN: 0
; COMPUTE_PGM_RSRC2:USER_SGPR: 2
; COMPUTE_PGM_RSRC2:TRAP_HANDLER: 0
; COMPUTE_PGM_RSRC2:TGID_X_EN: 1
; COMPUTE_PGM_RSRC2:TGID_Y_EN: 0
; COMPUTE_PGM_RSRC2:TGID_Z_EN: 0
; COMPUTE_PGM_RSRC2:TIDIG_COMP_CNT: 0
; COMPUTE_PGM_RSRC3_GFX90A:ACCUM_OFFSET: 0
; COMPUTE_PGM_RSRC3_GFX90A:TG_SPLIT: 0
	.section	.text._ZN7rocprim17ROCPRIM_400000_NS6detail17trampoline_kernelINS0_14default_configENS1_33run_length_encode_config_selectorIdjNS0_4plusIjEEEEZZNS1_33reduce_by_key_impl_wrapped_configILNS1_25lookback_scan_determinismE0ES3_S7_PKdNS0_17constant_iteratorIjlEEPdPlSF_S6_NS0_8equal_toIdEEEE10hipError_tPvRmT2_T3_mT4_T5_T6_T7_T8_P12ihipStream_tbENKUlT_T0_E_clISt17integral_constantIbLb1EESZ_EEDaSU_SV_EUlSU_E_NS1_11comp_targetILNS1_3genE10ELNS1_11target_archE1201ELNS1_3gpuE5ELNS1_3repE0EEENS1_30default_config_static_selectorELNS0_4arch9wavefront6targetE1EEEvT1_,"axG",@progbits,_ZN7rocprim17ROCPRIM_400000_NS6detail17trampoline_kernelINS0_14default_configENS1_33run_length_encode_config_selectorIdjNS0_4plusIjEEEEZZNS1_33reduce_by_key_impl_wrapped_configILNS1_25lookback_scan_determinismE0ES3_S7_PKdNS0_17constant_iteratorIjlEEPdPlSF_S6_NS0_8equal_toIdEEEE10hipError_tPvRmT2_T3_mT4_T5_T6_T7_T8_P12ihipStream_tbENKUlT_T0_E_clISt17integral_constantIbLb1EESZ_EEDaSU_SV_EUlSU_E_NS1_11comp_targetILNS1_3genE10ELNS1_11target_archE1201ELNS1_3gpuE5ELNS1_3repE0EEENS1_30default_config_static_selectorELNS0_4arch9wavefront6targetE1EEEvT1_,comdat
	.protected	_ZN7rocprim17ROCPRIM_400000_NS6detail17trampoline_kernelINS0_14default_configENS1_33run_length_encode_config_selectorIdjNS0_4plusIjEEEEZZNS1_33reduce_by_key_impl_wrapped_configILNS1_25lookback_scan_determinismE0ES3_S7_PKdNS0_17constant_iteratorIjlEEPdPlSF_S6_NS0_8equal_toIdEEEE10hipError_tPvRmT2_T3_mT4_T5_T6_T7_T8_P12ihipStream_tbENKUlT_T0_E_clISt17integral_constantIbLb1EESZ_EEDaSU_SV_EUlSU_E_NS1_11comp_targetILNS1_3genE10ELNS1_11target_archE1201ELNS1_3gpuE5ELNS1_3repE0EEENS1_30default_config_static_selectorELNS0_4arch9wavefront6targetE1EEEvT1_ ; -- Begin function _ZN7rocprim17ROCPRIM_400000_NS6detail17trampoline_kernelINS0_14default_configENS1_33run_length_encode_config_selectorIdjNS0_4plusIjEEEEZZNS1_33reduce_by_key_impl_wrapped_configILNS1_25lookback_scan_determinismE0ES3_S7_PKdNS0_17constant_iteratorIjlEEPdPlSF_S6_NS0_8equal_toIdEEEE10hipError_tPvRmT2_T3_mT4_T5_T6_T7_T8_P12ihipStream_tbENKUlT_T0_E_clISt17integral_constantIbLb1EESZ_EEDaSU_SV_EUlSU_E_NS1_11comp_targetILNS1_3genE10ELNS1_11target_archE1201ELNS1_3gpuE5ELNS1_3repE0EEENS1_30default_config_static_selectorELNS0_4arch9wavefront6targetE1EEEvT1_
	.globl	_ZN7rocprim17ROCPRIM_400000_NS6detail17trampoline_kernelINS0_14default_configENS1_33run_length_encode_config_selectorIdjNS0_4plusIjEEEEZZNS1_33reduce_by_key_impl_wrapped_configILNS1_25lookback_scan_determinismE0ES3_S7_PKdNS0_17constant_iteratorIjlEEPdPlSF_S6_NS0_8equal_toIdEEEE10hipError_tPvRmT2_T3_mT4_T5_T6_T7_T8_P12ihipStream_tbENKUlT_T0_E_clISt17integral_constantIbLb1EESZ_EEDaSU_SV_EUlSU_E_NS1_11comp_targetILNS1_3genE10ELNS1_11target_archE1201ELNS1_3gpuE5ELNS1_3repE0EEENS1_30default_config_static_selectorELNS0_4arch9wavefront6targetE1EEEvT1_
	.p2align	8
	.type	_ZN7rocprim17ROCPRIM_400000_NS6detail17trampoline_kernelINS0_14default_configENS1_33run_length_encode_config_selectorIdjNS0_4plusIjEEEEZZNS1_33reduce_by_key_impl_wrapped_configILNS1_25lookback_scan_determinismE0ES3_S7_PKdNS0_17constant_iteratorIjlEEPdPlSF_S6_NS0_8equal_toIdEEEE10hipError_tPvRmT2_T3_mT4_T5_T6_T7_T8_P12ihipStream_tbENKUlT_T0_E_clISt17integral_constantIbLb1EESZ_EEDaSU_SV_EUlSU_E_NS1_11comp_targetILNS1_3genE10ELNS1_11target_archE1201ELNS1_3gpuE5ELNS1_3repE0EEENS1_30default_config_static_selectorELNS0_4arch9wavefront6targetE1EEEvT1_,@function
_ZN7rocprim17ROCPRIM_400000_NS6detail17trampoline_kernelINS0_14default_configENS1_33run_length_encode_config_selectorIdjNS0_4plusIjEEEEZZNS1_33reduce_by_key_impl_wrapped_configILNS1_25lookback_scan_determinismE0ES3_S7_PKdNS0_17constant_iteratorIjlEEPdPlSF_S6_NS0_8equal_toIdEEEE10hipError_tPvRmT2_T3_mT4_T5_T6_T7_T8_P12ihipStream_tbENKUlT_T0_E_clISt17integral_constantIbLb1EESZ_EEDaSU_SV_EUlSU_E_NS1_11comp_targetILNS1_3genE10ELNS1_11target_archE1201ELNS1_3gpuE5ELNS1_3repE0EEENS1_30default_config_static_selectorELNS0_4arch9wavefront6targetE1EEEvT1_: ; @_ZN7rocprim17ROCPRIM_400000_NS6detail17trampoline_kernelINS0_14default_configENS1_33run_length_encode_config_selectorIdjNS0_4plusIjEEEEZZNS1_33reduce_by_key_impl_wrapped_configILNS1_25lookback_scan_determinismE0ES3_S7_PKdNS0_17constant_iteratorIjlEEPdPlSF_S6_NS0_8equal_toIdEEEE10hipError_tPvRmT2_T3_mT4_T5_T6_T7_T8_P12ihipStream_tbENKUlT_T0_E_clISt17integral_constantIbLb1EESZ_EEDaSU_SV_EUlSU_E_NS1_11comp_targetILNS1_3genE10ELNS1_11target_archE1201ELNS1_3gpuE5ELNS1_3repE0EEENS1_30default_config_static_selectorELNS0_4arch9wavefront6targetE1EEEvT1_
; %bb.0:
	.section	.rodata,"a",@progbits
	.p2align	6, 0x0
	.amdhsa_kernel _ZN7rocprim17ROCPRIM_400000_NS6detail17trampoline_kernelINS0_14default_configENS1_33run_length_encode_config_selectorIdjNS0_4plusIjEEEEZZNS1_33reduce_by_key_impl_wrapped_configILNS1_25lookback_scan_determinismE0ES3_S7_PKdNS0_17constant_iteratorIjlEEPdPlSF_S6_NS0_8equal_toIdEEEE10hipError_tPvRmT2_T3_mT4_T5_T6_T7_T8_P12ihipStream_tbENKUlT_T0_E_clISt17integral_constantIbLb1EESZ_EEDaSU_SV_EUlSU_E_NS1_11comp_targetILNS1_3genE10ELNS1_11target_archE1201ELNS1_3gpuE5ELNS1_3repE0EEENS1_30default_config_static_selectorELNS0_4arch9wavefront6targetE1EEEvT1_
		.amdhsa_group_segment_fixed_size 0
		.amdhsa_private_segment_fixed_size 0
		.amdhsa_kernarg_size 128
		.amdhsa_user_sgpr_count 2
		.amdhsa_user_sgpr_dispatch_ptr 0
		.amdhsa_user_sgpr_queue_ptr 0
		.amdhsa_user_sgpr_kernarg_segment_ptr 1
		.amdhsa_user_sgpr_dispatch_id 0
		.amdhsa_user_sgpr_kernarg_preload_length 0
		.amdhsa_user_sgpr_kernarg_preload_offset 0
		.amdhsa_user_sgpr_private_segment_size 0
		.amdhsa_uses_dynamic_stack 0
		.amdhsa_enable_private_segment 0
		.amdhsa_system_sgpr_workgroup_id_x 1
		.amdhsa_system_sgpr_workgroup_id_y 0
		.amdhsa_system_sgpr_workgroup_id_z 0
		.amdhsa_system_sgpr_workgroup_info 0
		.amdhsa_system_vgpr_workitem_id 0
		.amdhsa_next_free_vgpr 1
		.amdhsa_next_free_sgpr 0
		.amdhsa_accum_offset 4
		.amdhsa_reserve_vcc 0
		.amdhsa_float_round_mode_32 0
		.amdhsa_float_round_mode_16_64 0
		.amdhsa_float_denorm_mode_32 3
		.amdhsa_float_denorm_mode_16_64 3
		.amdhsa_dx10_clamp 1
		.amdhsa_ieee_mode 1
		.amdhsa_fp16_overflow 0
		.amdhsa_tg_split 0
		.amdhsa_exception_fp_ieee_invalid_op 0
		.amdhsa_exception_fp_denorm_src 0
		.amdhsa_exception_fp_ieee_div_zero 0
		.amdhsa_exception_fp_ieee_overflow 0
		.amdhsa_exception_fp_ieee_underflow 0
		.amdhsa_exception_fp_ieee_inexact 0
		.amdhsa_exception_int_div_zero 0
	.end_amdhsa_kernel
	.section	.text._ZN7rocprim17ROCPRIM_400000_NS6detail17trampoline_kernelINS0_14default_configENS1_33run_length_encode_config_selectorIdjNS0_4plusIjEEEEZZNS1_33reduce_by_key_impl_wrapped_configILNS1_25lookback_scan_determinismE0ES3_S7_PKdNS0_17constant_iteratorIjlEEPdPlSF_S6_NS0_8equal_toIdEEEE10hipError_tPvRmT2_T3_mT4_T5_T6_T7_T8_P12ihipStream_tbENKUlT_T0_E_clISt17integral_constantIbLb1EESZ_EEDaSU_SV_EUlSU_E_NS1_11comp_targetILNS1_3genE10ELNS1_11target_archE1201ELNS1_3gpuE5ELNS1_3repE0EEENS1_30default_config_static_selectorELNS0_4arch9wavefront6targetE1EEEvT1_,"axG",@progbits,_ZN7rocprim17ROCPRIM_400000_NS6detail17trampoline_kernelINS0_14default_configENS1_33run_length_encode_config_selectorIdjNS0_4plusIjEEEEZZNS1_33reduce_by_key_impl_wrapped_configILNS1_25lookback_scan_determinismE0ES3_S7_PKdNS0_17constant_iteratorIjlEEPdPlSF_S6_NS0_8equal_toIdEEEE10hipError_tPvRmT2_T3_mT4_T5_T6_T7_T8_P12ihipStream_tbENKUlT_T0_E_clISt17integral_constantIbLb1EESZ_EEDaSU_SV_EUlSU_E_NS1_11comp_targetILNS1_3genE10ELNS1_11target_archE1201ELNS1_3gpuE5ELNS1_3repE0EEENS1_30default_config_static_selectorELNS0_4arch9wavefront6targetE1EEEvT1_,comdat
.Lfunc_end318:
	.size	_ZN7rocprim17ROCPRIM_400000_NS6detail17trampoline_kernelINS0_14default_configENS1_33run_length_encode_config_selectorIdjNS0_4plusIjEEEEZZNS1_33reduce_by_key_impl_wrapped_configILNS1_25lookback_scan_determinismE0ES3_S7_PKdNS0_17constant_iteratorIjlEEPdPlSF_S6_NS0_8equal_toIdEEEE10hipError_tPvRmT2_T3_mT4_T5_T6_T7_T8_P12ihipStream_tbENKUlT_T0_E_clISt17integral_constantIbLb1EESZ_EEDaSU_SV_EUlSU_E_NS1_11comp_targetILNS1_3genE10ELNS1_11target_archE1201ELNS1_3gpuE5ELNS1_3repE0EEENS1_30default_config_static_selectorELNS0_4arch9wavefront6targetE1EEEvT1_, .Lfunc_end318-_ZN7rocprim17ROCPRIM_400000_NS6detail17trampoline_kernelINS0_14default_configENS1_33run_length_encode_config_selectorIdjNS0_4plusIjEEEEZZNS1_33reduce_by_key_impl_wrapped_configILNS1_25lookback_scan_determinismE0ES3_S7_PKdNS0_17constant_iteratorIjlEEPdPlSF_S6_NS0_8equal_toIdEEEE10hipError_tPvRmT2_T3_mT4_T5_T6_T7_T8_P12ihipStream_tbENKUlT_T0_E_clISt17integral_constantIbLb1EESZ_EEDaSU_SV_EUlSU_E_NS1_11comp_targetILNS1_3genE10ELNS1_11target_archE1201ELNS1_3gpuE5ELNS1_3repE0EEENS1_30default_config_static_selectorELNS0_4arch9wavefront6targetE1EEEvT1_
                                        ; -- End function
	.section	.AMDGPU.csdata,"",@progbits
; Kernel info:
; codeLenInByte = 0
; NumSgprs: 6
; NumVgprs: 0
; NumAgprs: 0
; TotalNumVgprs: 0
; ScratchSize: 0
; MemoryBound: 0
; FloatMode: 240
; IeeeMode: 1
; LDSByteSize: 0 bytes/workgroup (compile time only)
; SGPRBlocks: 0
; VGPRBlocks: 0
; NumSGPRsForWavesPerEU: 6
; NumVGPRsForWavesPerEU: 1
; AccumOffset: 4
; Occupancy: 8
; WaveLimiterHint : 0
; COMPUTE_PGM_RSRC2:SCRATCH_EN: 0
; COMPUTE_PGM_RSRC2:USER_SGPR: 2
; COMPUTE_PGM_RSRC2:TRAP_HANDLER: 0
; COMPUTE_PGM_RSRC2:TGID_X_EN: 1
; COMPUTE_PGM_RSRC2:TGID_Y_EN: 0
; COMPUTE_PGM_RSRC2:TGID_Z_EN: 0
; COMPUTE_PGM_RSRC2:TIDIG_COMP_CNT: 0
; COMPUTE_PGM_RSRC3_GFX90A:ACCUM_OFFSET: 0
; COMPUTE_PGM_RSRC3_GFX90A:TG_SPLIT: 0
	.section	.text._ZN7rocprim17ROCPRIM_400000_NS6detail17trampoline_kernelINS0_14default_configENS1_33run_length_encode_config_selectorIdjNS0_4plusIjEEEEZZNS1_33reduce_by_key_impl_wrapped_configILNS1_25lookback_scan_determinismE0ES3_S7_PKdNS0_17constant_iteratorIjlEEPdPlSF_S6_NS0_8equal_toIdEEEE10hipError_tPvRmT2_T3_mT4_T5_T6_T7_T8_P12ihipStream_tbENKUlT_T0_E_clISt17integral_constantIbLb1EESZ_EEDaSU_SV_EUlSU_E_NS1_11comp_targetILNS1_3genE10ELNS1_11target_archE1200ELNS1_3gpuE4ELNS1_3repE0EEENS1_30default_config_static_selectorELNS0_4arch9wavefront6targetE1EEEvT1_,"axG",@progbits,_ZN7rocprim17ROCPRIM_400000_NS6detail17trampoline_kernelINS0_14default_configENS1_33run_length_encode_config_selectorIdjNS0_4plusIjEEEEZZNS1_33reduce_by_key_impl_wrapped_configILNS1_25lookback_scan_determinismE0ES3_S7_PKdNS0_17constant_iteratorIjlEEPdPlSF_S6_NS0_8equal_toIdEEEE10hipError_tPvRmT2_T3_mT4_T5_T6_T7_T8_P12ihipStream_tbENKUlT_T0_E_clISt17integral_constantIbLb1EESZ_EEDaSU_SV_EUlSU_E_NS1_11comp_targetILNS1_3genE10ELNS1_11target_archE1200ELNS1_3gpuE4ELNS1_3repE0EEENS1_30default_config_static_selectorELNS0_4arch9wavefront6targetE1EEEvT1_,comdat
	.protected	_ZN7rocprim17ROCPRIM_400000_NS6detail17trampoline_kernelINS0_14default_configENS1_33run_length_encode_config_selectorIdjNS0_4plusIjEEEEZZNS1_33reduce_by_key_impl_wrapped_configILNS1_25lookback_scan_determinismE0ES3_S7_PKdNS0_17constant_iteratorIjlEEPdPlSF_S6_NS0_8equal_toIdEEEE10hipError_tPvRmT2_T3_mT4_T5_T6_T7_T8_P12ihipStream_tbENKUlT_T0_E_clISt17integral_constantIbLb1EESZ_EEDaSU_SV_EUlSU_E_NS1_11comp_targetILNS1_3genE10ELNS1_11target_archE1200ELNS1_3gpuE4ELNS1_3repE0EEENS1_30default_config_static_selectorELNS0_4arch9wavefront6targetE1EEEvT1_ ; -- Begin function _ZN7rocprim17ROCPRIM_400000_NS6detail17trampoline_kernelINS0_14default_configENS1_33run_length_encode_config_selectorIdjNS0_4plusIjEEEEZZNS1_33reduce_by_key_impl_wrapped_configILNS1_25lookback_scan_determinismE0ES3_S7_PKdNS0_17constant_iteratorIjlEEPdPlSF_S6_NS0_8equal_toIdEEEE10hipError_tPvRmT2_T3_mT4_T5_T6_T7_T8_P12ihipStream_tbENKUlT_T0_E_clISt17integral_constantIbLb1EESZ_EEDaSU_SV_EUlSU_E_NS1_11comp_targetILNS1_3genE10ELNS1_11target_archE1200ELNS1_3gpuE4ELNS1_3repE0EEENS1_30default_config_static_selectorELNS0_4arch9wavefront6targetE1EEEvT1_
	.globl	_ZN7rocprim17ROCPRIM_400000_NS6detail17trampoline_kernelINS0_14default_configENS1_33run_length_encode_config_selectorIdjNS0_4plusIjEEEEZZNS1_33reduce_by_key_impl_wrapped_configILNS1_25lookback_scan_determinismE0ES3_S7_PKdNS0_17constant_iteratorIjlEEPdPlSF_S6_NS0_8equal_toIdEEEE10hipError_tPvRmT2_T3_mT4_T5_T6_T7_T8_P12ihipStream_tbENKUlT_T0_E_clISt17integral_constantIbLb1EESZ_EEDaSU_SV_EUlSU_E_NS1_11comp_targetILNS1_3genE10ELNS1_11target_archE1200ELNS1_3gpuE4ELNS1_3repE0EEENS1_30default_config_static_selectorELNS0_4arch9wavefront6targetE1EEEvT1_
	.p2align	8
	.type	_ZN7rocprim17ROCPRIM_400000_NS6detail17trampoline_kernelINS0_14default_configENS1_33run_length_encode_config_selectorIdjNS0_4plusIjEEEEZZNS1_33reduce_by_key_impl_wrapped_configILNS1_25lookback_scan_determinismE0ES3_S7_PKdNS0_17constant_iteratorIjlEEPdPlSF_S6_NS0_8equal_toIdEEEE10hipError_tPvRmT2_T3_mT4_T5_T6_T7_T8_P12ihipStream_tbENKUlT_T0_E_clISt17integral_constantIbLb1EESZ_EEDaSU_SV_EUlSU_E_NS1_11comp_targetILNS1_3genE10ELNS1_11target_archE1200ELNS1_3gpuE4ELNS1_3repE0EEENS1_30default_config_static_selectorELNS0_4arch9wavefront6targetE1EEEvT1_,@function
_ZN7rocprim17ROCPRIM_400000_NS6detail17trampoline_kernelINS0_14default_configENS1_33run_length_encode_config_selectorIdjNS0_4plusIjEEEEZZNS1_33reduce_by_key_impl_wrapped_configILNS1_25lookback_scan_determinismE0ES3_S7_PKdNS0_17constant_iteratorIjlEEPdPlSF_S6_NS0_8equal_toIdEEEE10hipError_tPvRmT2_T3_mT4_T5_T6_T7_T8_P12ihipStream_tbENKUlT_T0_E_clISt17integral_constantIbLb1EESZ_EEDaSU_SV_EUlSU_E_NS1_11comp_targetILNS1_3genE10ELNS1_11target_archE1200ELNS1_3gpuE4ELNS1_3repE0EEENS1_30default_config_static_selectorELNS0_4arch9wavefront6targetE1EEEvT1_: ; @_ZN7rocprim17ROCPRIM_400000_NS6detail17trampoline_kernelINS0_14default_configENS1_33run_length_encode_config_selectorIdjNS0_4plusIjEEEEZZNS1_33reduce_by_key_impl_wrapped_configILNS1_25lookback_scan_determinismE0ES3_S7_PKdNS0_17constant_iteratorIjlEEPdPlSF_S6_NS0_8equal_toIdEEEE10hipError_tPvRmT2_T3_mT4_T5_T6_T7_T8_P12ihipStream_tbENKUlT_T0_E_clISt17integral_constantIbLb1EESZ_EEDaSU_SV_EUlSU_E_NS1_11comp_targetILNS1_3genE10ELNS1_11target_archE1200ELNS1_3gpuE4ELNS1_3repE0EEENS1_30default_config_static_selectorELNS0_4arch9wavefront6targetE1EEEvT1_
; %bb.0:
	.section	.rodata,"a",@progbits
	.p2align	6, 0x0
	.amdhsa_kernel _ZN7rocprim17ROCPRIM_400000_NS6detail17trampoline_kernelINS0_14default_configENS1_33run_length_encode_config_selectorIdjNS0_4plusIjEEEEZZNS1_33reduce_by_key_impl_wrapped_configILNS1_25lookback_scan_determinismE0ES3_S7_PKdNS0_17constant_iteratorIjlEEPdPlSF_S6_NS0_8equal_toIdEEEE10hipError_tPvRmT2_T3_mT4_T5_T6_T7_T8_P12ihipStream_tbENKUlT_T0_E_clISt17integral_constantIbLb1EESZ_EEDaSU_SV_EUlSU_E_NS1_11comp_targetILNS1_3genE10ELNS1_11target_archE1200ELNS1_3gpuE4ELNS1_3repE0EEENS1_30default_config_static_selectorELNS0_4arch9wavefront6targetE1EEEvT1_
		.amdhsa_group_segment_fixed_size 0
		.amdhsa_private_segment_fixed_size 0
		.amdhsa_kernarg_size 128
		.amdhsa_user_sgpr_count 2
		.amdhsa_user_sgpr_dispatch_ptr 0
		.amdhsa_user_sgpr_queue_ptr 0
		.amdhsa_user_sgpr_kernarg_segment_ptr 1
		.amdhsa_user_sgpr_dispatch_id 0
		.amdhsa_user_sgpr_kernarg_preload_length 0
		.amdhsa_user_sgpr_kernarg_preload_offset 0
		.amdhsa_user_sgpr_private_segment_size 0
		.amdhsa_uses_dynamic_stack 0
		.amdhsa_enable_private_segment 0
		.amdhsa_system_sgpr_workgroup_id_x 1
		.amdhsa_system_sgpr_workgroup_id_y 0
		.amdhsa_system_sgpr_workgroup_id_z 0
		.amdhsa_system_sgpr_workgroup_info 0
		.amdhsa_system_vgpr_workitem_id 0
		.amdhsa_next_free_vgpr 1
		.amdhsa_next_free_sgpr 0
		.amdhsa_accum_offset 4
		.amdhsa_reserve_vcc 0
		.amdhsa_float_round_mode_32 0
		.amdhsa_float_round_mode_16_64 0
		.amdhsa_float_denorm_mode_32 3
		.amdhsa_float_denorm_mode_16_64 3
		.amdhsa_dx10_clamp 1
		.amdhsa_ieee_mode 1
		.amdhsa_fp16_overflow 0
		.amdhsa_tg_split 0
		.amdhsa_exception_fp_ieee_invalid_op 0
		.amdhsa_exception_fp_denorm_src 0
		.amdhsa_exception_fp_ieee_div_zero 0
		.amdhsa_exception_fp_ieee_overflow 0
		.amdhsa_exception_fp_ieee_underflow 0
		.amdhsa_exception_fp_ieee_inexact 0
		.amdhsa_exception_int_div_zero 0
	.end_amdhsa_kernel
	.section	.text._ZN7rocprim17ROCPRIM_400000_NS6detail17trampoline_kernelINS0_14default_configENS1_33run_length_encode_config_selectorIdjNS0_4plusIjEEEEZZNS1_33reduce_by_key_impl_wrapped_configILNS1_25lookback_scan_determinismE0ES3_S7_PKdNS0_17constant_iteratorIjlEEPdPlSF_S6_NS0_8equal_toIdEEEE10hipError_tPvRmT2_T3_mT4_T5_T6_T7_T8_P12ihipStream_tbENKUlT_T0_E_clISt17integral_constantIbLb1EESZ_EEDaSU_SV_EUlSU_E_NS1_11comp_targetILNS1_3genE10ELNS1_11target_archE1200ELNS1_3gpuE4ELNS1_3repE0EEENS1_30default_config_static_selectorELNS0_4arch9wavefront6targetE1EEEvT1_,"axG",@progbits,_ZN7rocprim17ROCPRIM_400000_NS6detail17trampoline_kernelINS0_14default_configENS1_33run_length_encode_config_selectorIdjNS0_4plusIjEEEEZZNS1_33reduce_by_key_impl_wrapped_configILNS1_25lookback_scan_determinismE0ES3_S7_PKdNS0_17constant_iteratorIjlEEPdPlSF_S6_NS0_8equal_toIdEEEE10hipError_tPvRmT2_T3_mT4_T5_T6_T7_T8_P12ihipStream_tbENKUlT_T0_E_clISt17integral_constantIbLb1EESZ_EEDaSU_SV_EUlSU_E_NS1_11comp_targetILNS1_3genE10ELNS1_11target_archE1200ELNS1_3gpuE4ELNS1_3repE0EEENS1_30default_config_static_selectorELNS0_4arch9wavefront6targetE1EEEvT1_,comdat
.Lfunc_end319:
	.size	_ZN7rocprim17ROCPRIM_400000_NS6detail17trampoline_kernelINS0_14default_configENS1_33run_length_encode_config_selectorIdjNS0_4plusIjEEEEZZNS1_33reduce_by_key_impl_wrapped_configILNS1_25lookback_scan_determinismE0ES3_S7_PKdNS0_17constant_iteratorIjlEEPdPlSF_S6_NS0_8equal_toIdEEEE10hipError_tPvRmT2_T3_mT4_T5_T6_T7_T8_P12ihipStream_tbENKUlT_T0_E_clISt17integral_constantIbLb1EESZ_EEDaSU_SV_EUlSU_E_NS1_11comp_targetILNS1_3genE10ELNS1_11target_archE1200ELNS1_3gpuE4ELNS1_3repE0EEENS1_30default_config_static_selectorELNS0_4arch9wavefront6targetE1EEEvT1_, .Lfunc_end319-_ZN7rocprim17ROCPRIM_400000_NS6detail17trampoline_kernelINS0_14default_configENS1_33run_length_encode_config_selectorIdjNS0_4plusIjEEEEZZNS1_33reduce_by_key_impl_wrapped_configILNS1_25lookback_scan_determinismE0ES3_S7_PKdNS0_17constant_iteratorIjlEEPdPlSF_S6_NS0_8equal_toIdEEEE10hipError_tPvRmT2_T3_mT4_T5_T6_T7_T8_P12ihipStream_tbENKUlT_T0_E_clISt17integral_constantIbLb1EESZ_EEDaSU_SV_EUlSU_E_NS1_11comp_targetILNS1_3genE10ELNS1_11target_archE1200ELNS1_3gpuE4ELNS1_3repE0EEENS1_30default_config_static_selectorELNS0_4arch9wavefront6targetE1EEEvT1_
                                        ; -- End function
	.section	.AMDGPU.csdata,"",@progbits
; Kernel info:
; codeLenInByte = 0
; NumSgprs: 6
; NumVgprs: 0
; NumAgprs: 0
; TotalNumVgprs: 0
; ScratchSize: 0
; MemoryBound: 0
; FloatMode: 240
; IeeeMode: 1
; LDSByteSize: 0 bytes/workgroup (compile time only)
; SGPRBlocks: 0
; VGPRBlocks: 0
; NumSGPRsForWavesPerEU: 6
; NumVGPRsForWavesPerEU: 1
; AccumOffset: 4
; Occupancy: 8
; WaveLimiterHint : 0
; COMPUTE_PGM_RSRC2:SCRATCH_EN: 0
; COMPUTE_PGM_RSRC2:USER_SGPR: 2
; COMPUTE_PGM_RSRC2:TRAP_HANDLER: 0
; COMPUTE_PGM_RSRC2:TGID_X_EN: 1
; COMPUTE_PGM_RSRC2:TGID_Y_EN: 0
; COMPUTE_PGM_RSRC2:TGID_Z_EN: 0
; COMPUTE_PGM_RSRC2:TIDIG_COMP_CNT: 0
; COMPUTE_PGM_RSRC3_GFX90A:ACCUM_OFFSET: 0
; COMPUTE_PGM_RSRC3_GFX90A:TG_SPLIT: 0
	.section	.text._ZN7rocprim17ROCPRIM_400000_NS6detail17trampoline_kernelINS0_14default_configENS1_33run_length_encode_config_selectorIdjNS0_4plusIjEEEEZZNS1_33reduce_by_key_impl_wrapped_configILNS1_25lookback_scan_determinismE0ES3_S7_PKdNS0_17constant_iteratorIjlEEPdPlSF_S6_NS0_8equal_toIdEEEE10hipError_tPvRmT2_T3_mT4_T5_T6_T7_T8_P12ihipStream_tbENKUlT_T0_E_clISt17integral_constantIbLb1EESZ_EEDaSU_SV_EUlSU_E_NS1_11comp_targetILNS1_3genE9ELNS1_11target_archE1100ELNS1_3gpuE3ELNS1_3repE0EEENS1_30default_config_static_selectorELNS0_4arch9wavefront6targetE1EEEvT1_,"axG",@progbits,_ZN7rocprim17ROCPRIM_400000_NS6detail17trampoline_kernelINS0_14default_configENS1_33run_length_encode_config_selectorIdjNS0_4plusIjEEEEZZNS1_33reduce_by_key_impl_wrapped_configILNS1_25lookback_scan_determinismE0ES3_S7_PKdNS0_17constant_iteratorIjlEEPdPlSF_S6_NS0_8equal_toIdEEEE10hipError_tPvRmT2_T3_mT4_T5_T6_T7_T8_P12ihipStream_tbENKUlT_T0_E_clISt17integral_constantIbLb1EESZ_EEDaSU_SV_EUlSU_E_NS1_11comp_targetILNS1_3genE9ELNS1_11target_archE1100ELNS1_3gpuE3ELNS1_3repE0EEENS1_30default_config_static_selectorELNS0_4arch9wavefront6targetE1EEEvT1_,comdat
	.protected	_ZN7rocprim17ROCPRIM_400000_NS6detail17trampoline_kernelINS0_14default_configENS1_33run_length_encode_config_selectorIdjNS0_4plusIjEEEEZZNS1_33reduce_by_key_impl_wrapped_configILNS1_25lookback_scan_determinismE0ES3_S7_PKdNS0_17constant_iteratorIjlEEPdPlSF_S6_NS0_8equal_toIdEEEE10hipError_tPvRmT2_T3_mT4_T5_T6_T7_T8_P12ihipStream_tbENKUlT_T0_E_clISt17integral_constantIbLb1EESZ_EEDaSU_SV_EUlSU_E_NS1_11comp_targetILNS1_3genE9ELNS1_11target_archE1100ELNS1_3gpuE3ELNS1_3repE0EEENS1_30default_config_static_selectorELNS0_4arch9wavefront6targetE1EEEvT1_ ; -- Begin function _ZN7rocprim17ROCPRIM_400000_NS6detail17trampoline_kernelINS0_14default_configENS1_33run_length_encode_config_selectorIdjNS0_4plusIjEEEEZZNS1_33reduce_by_key_impl_wrapped_configILNS1_25lookback_scan_determinismE0ES3_S7_PKdNS0_17constant_iteratorIjlEEPdPlSF_S6_NS0_8equal_toIdEEEE10hipError_tPvRmT2_T3_mT4_T5_T6_T7_T8_P12ihipStream_tbENKUlT_T0_E_clISt17integral_constantIbLb1EESZ_EEDaSU_SV_EUlSU_E_NS1_11comp_targetILNS1_3genE9ELNS1_11target_archE1100ELNS1_3gpuE3ELNS1_3repE0EEENS1_30default_config_static_selectorELNS0_4arch9wavefront6targetE1EEEvT1_
	.globl	_ZN7rocprim17ROCPRIM_400000_NS6detail17trampoline_kernelINS0_14default_configENS1_33run_length_encode_config_selectorIdjNS0_4plusIjEEEEZZNS1_33reduce_by_key_impl_wrapped_configILNS1_25lookback_scan_determinismE0ES3_S7_PKdNS0_17constant_iteratorIjlEEPdPlSF_S6_NS0_8equal_toIdEEEE10hipError_tPvRmT2_T3_mT4_T5_T6_T7_T8_P12ihipStream_tbENKUlT_T0_E_clISt17integral_constantIbLb1EESZ_EEDaSU_SV_EUlSU_E_NS1_11comp_targetILNS1_3genE9ELNS1_11target_archE1100ELNS1_3gpuE3ELNS1_3repE0EEENS1_30default_config_static_selectorELNS0_4arch9wavefront6targetE1EEEvT1_
	.p2align	8
	.type	_ZN7rocprim17ROCPRIM_400000_NS6detail17trampoline_kernelINS0_14default_configENS1_33run_length_encode_config_selectorIdjNS0_4plusIjEEEEZZNS1_33reduce_by_key_impl_wrapped_configILNS1_25lookback_scan_determinismE0ES3_S7_PKdNS0_17constant_iteratorIjlEEPdPlSF_S6_NS0_8equal_toIdEEEE10hipError_tPvRmT2_T3_mT4_T5_T6_T7_T8_P12ihipStream_tbENKUlT_T0_E_clISt17integral_constantIbLb1EESZ_EEDaSU_SV_EUlSU_E_NS1_11comp_targetILNS1_3genE9ELNS1_11target_archE1100ELNS1_3gpuE3ELNS1_3repE0EEENS1_30default_config_static_selectorELNS0_4arch9wavefront6targetE1EEEvT1_,@function
_ZN7rocprim17ROCPRIM_400000_NS6detail17trampoline_kernelINS0_14default_configENS1_33run_length_encode_config_selectorIdjNS0_4plusIjEEEEZZNS1_33reduce_by_key_impl_wrapped_configILNS1_25lookback_scan_determinismE0ES3_S7_PKdNS0_17constant_iteratorIjlEEPdPlSF_S6_NS0_8equal_toIdEEEE10hipError_tPvRmT2_T3_mT4_T5_T6_T7_T8_P12ihipStream_tbENKUlT_T0_E_clISt17integral_constantIbLb1EESZ_EEDaSU_SV_EUlSU_E_NS1_11comp_targetILNS1_3genE9ELNS1_11target_archE1100ELNS1_3gpuE3ELNS1_3repE0EEENS1_30default_config_static_selectorELNS0_4arch9wavefront6targetE1EEEvT1_: ; @_ZN7rocprim17ROCPRIM_400000_NS6detail17trampoline_kernelINS0_14default_configENS1_33run_length_encode_config_selectorIdjNS0_4plusIjEEEEZZNS1_33reduce_by_key_impl_wrapped_configILNS1_25lookback_scan_determinismE0ES3_S7_PKdNS0_17constant_iteratorIjlEEPdPlSF_S6_NS0_8equal_toIdEEEE10hipError_tPvRmT2_T3_mT4_T5_T6_T7_T8_P12ihipStream_tbENKUlT_T0_E_clISt17integral_constantIbLb1EESZ_EEDaSU_SV_EUlSU_E_NS1_11comp_targetILNS1_3genE9ELNS1_11target_archE1100ELNS1_3gpuE3ELNS1_3repE0EEENS1_30default_config_static_selectorELNS0_4arch9wavefront6targetE1EEEvT1_
; %bb.0:
	.section	.rodata,"a",@progbits
	.p2align	6, 0x0
	.amdhsa_kernel _ZN7rocprim17ROCPRIM_400000_NS6detail17trampoline_kernelINS0_14default_configENS1_33run_length_encode_config_selectorIdjNS0_4plusIjEEEEZZNS1_33reduce_by_key_impl_wrapped_configILNS1_25lookback_scan_determinismE0ES3_S7_PKdNS0_17constant_iteratorIjlEEPdPlSF_S6_NS0_8equal_toIdEEEE10hipError_tPvRmT2_T3_mT4_T5_T6_T7_T8_P12ihipStream_tbENKUlT_T0_E_clISt17integral_constantIbLb1EESZ_EEDaSU_SV_EUlSU_E_NS1_11comp_targetILNS1_3genE9ELNS1_11target_archE1100ELNS1_3gpuE3ELNS1_3repE0EEENS1_30default_config_static_selectorELNS0_4arch9wavefront6targetE1EEEvT1_
		.amdhsa_group_segment_fixed_size 0
		.amdhsa_private_segment_fixed_size 0
		.amdhsa_kernarg_size 128
		.amdhsa_user_sgpr_count 2
		.amdhsa_user_sgpr_dispatch_ptr 0
		.amdhsa_user_sgpr_queue_ptr 0
		.amdhsa_user_sgpr_kernarg_segment_ptr 1
		.amdhsa_user_sgpr_dispatch_id 0
		.amdhsa_user_sgpr_kernarg_preload_length 0
		.amdhsa_user_sgpr_kernarg_preload_offset 0
		.amdhsa_user_sgpr_private_segment_size 0
		.amdhsa_uses_dynamic_stack 0
		.amdhsa_enable_private_segment 0
		.amdhsa_system_sgpr_workgroup_id_x 1
		.amdhsa_system_sgpr_workgroup_id_y 0
		.amdhsa_system_sgpr_workgroup_id_z 0
		.amdhsa_system_sgpr_workgroup_info 0
		.amdhsa_system_vgpr_workitem_id 0
		.amdhsa_next_free_vgpr 1
		.amdhsa_next_free_sgpr 0
		.amdhsa_accum_offset 4
		.amdhsa_reserve_vcc 0
		.amdhsa_float_round_mode_32 0
		.amdhsa_float_round_mode_16_64 0
		.amdhsa_float_denorm_mode_32 3
		.amdhsa_float_denorm_mode_16_64 3
		.amdhsa_dx10_clamp 1
		.amdhsa_ieee_mode 1
		.amdhsa_fp16_overflow 0
		.amdhsa_tg_split 0
		.amdhsa_exception_fp_ieee_invalid_op 0
		.amdhsa_exception_fp_denorm_src 0
		.amdhsa_exception_fp_ieee_div_zero 0
		.amdhsa_exception_fp_ieee_overflow 0
		.amdhsa_exception_fp_ieee_underflow 0
		.amdhsa_exception_fp_ieee_inexact 0
		.amdhsa_exception_int_div_zero 0
	.end_amdhsa_kernel
	.section	.text._ZN7rocprim17ROCPRIM_400000_NS6detail17trampoline_kernelINS0_14default_configENS1_33run_length_encode_config_selectorIdjNS0_4plusIjEEEEZZNS1_33reduce_by_key_impl_wrapped_configILNS1_25lookback_scan_determinismE0ES3_S7_PKdNS0_17constant_iteratorIjlEEPdPlSF_S6_NS0_8equal_toIdEEEE10hipError_tPvRmT2_T3_mT4_T5_T6_T7_T8_P12ihipStream_tbENKUlT_T0_E_clISt17integral_constantIbLb1EESZ_EEDaSU_SV_EUlSU_E_NS1_11comp_targetILNS1_3genE9ELNS1_11target_archE1100ELNS1_3gpuE3ELNS1_3repE0EEENS1_30default_config_static_selectorELNS0_4arch9wavefront6targetE1EEEvT1_,"axG",@progbits,_ZN7rocprim17ROCPRIM_400000_NS6detail17trampoline_kernelINS0_14default_configENS1_33run_length_encode_config_selectorIdjNS0_4plusIjEEEEZZNS1_33reduce_by_key_impl_wrapped_configILNS1_25lookback_scan_determinismE0ES3_S7_PKdNS0_17constant_iteratorIjlEEPdPlSF_S6_NS0_8equal_toIdEEEE10hipError_tPvRmT2_T3_mT4_T5_T6_T7_T8_P12ihipStream_tbENKUlT_T0_E_clISt17integral_constantIbLb1EESZ_EEDaSU_SV_EUlSU_E_NS1_11comp_targetILNS1_3genE9ELNS1_11target_archE1100ELNS1_3gpuE3ELNS1_3repE0EEENS1_30default_config_static_selectorELNS0_4arch9wavefront6targetE1EEEvT1_,comdat
.Lfunc_end320:
	.size	_ZN7rocprim17ROCPRIM_400000_NS6detail17trampoline_kernelINS0_14default_configENS1_33run_length_encode_config_selectorIdjNS0_4plusIjEEEEZZNS1_33reduce_by_key_impl_wrapped_configILNS1_25lookback_scan_determinismE0ES3_S7_PKdNS0_17constant_iteratorIjlEEPdPlSF_S6_NS0_8equal_toIdEEEE10hipError_tPvRmT2_T3_mT4_T5_T6_T7_T8_P12ihipStream_tbENKUlT_T0_E_clISt17integral_constantIbLb1EESZ_EEDaSU_SV_EUlSU_E_NS1_11comp_targetILNS1_3genE9ELNS1_11target_archE1100ELNS1_3gpuE3ELNS1_3repE0EEENS1_30default_config_static_selectorELNS0_4arch9wavefront6targetE1EEEvT1_, .Lfunc_end320-_ZN7rocprim17ROCPRIM_400000_NS6detail17trampoline_kernelINS0_14default_configENS1_33run_length_encode_config_selectorIdjNS0_4plusIjEEEEZZNS1_33reduce_by_key_impl_wrapped_configILNS1_25lookback_scan_determinismE0ES3_S7_PKdNS0_17constant_iteratorIjlEEPdPlSF_S6_NS0_8equal_toIdEEEE10hipError_tPvRmT2_T3_mT4_T5_T6_T7_T8_P12ihipStream_tbENKUlT_T0_E_clISt17integral_constantIbLb1EESZ_EEDaSU_SV_EUlSU_E_NS1_11comp_targetILNS1_3genE9ELNS1_11target_archE1100ELNS1_3gpuE3ELNS1_3repE0EEENS1_30default_config_static_selectorELNS0_4arch9wavefront6targetE1EEEvT1_
                                        ; -- End function
	.section	.AMDGPU.csdata,"",@progbits
; Kernel info:
; codeLenInByte = 0
; NumSgprs: 6
; NumVgprs: 0
; NumAgprs: 0
; TotalNumVgprs: 0
; ScratchSize: 0
; MemoryBound: 0
; FloatMode: 240
; IeeeMode: 1
; LDSByteSize: 0 bytes/workgroup (compile time only)
; SGPRBlocks: 0
; VGPRBlocks: 0
; NumSGPRsForWavesPerEU: 6
; NumVGPRsForWavesPerEU: 1
; AccumOffset: 4
; Occupancy: 8
; WaveLimiterHint : 0
; COMPUTE_PGM_RSRC2:SCRATCH_EN: 0
; COMPUTE_PGM_RSRC2:USER_SGPR: 2
; COMPUTE_PGM_RSRC2:TRAP_HANDLER: 0
; COMPUTE_PGM_RSRC2:TGID_X_EN: 1
; COMPUTE_PGM_RSRC2:TGID_Y_EN: 0
; COMPUTE_PGM_RSRC2:TGID_Z_EN: 0
; COMPUTE_PGM_RSRC2:TIDIG_COMP_CNT: 0
; COMPUTE_PGM_RSRC3_GFX90A:ACCUM_OFFSET: 0
; COMPUTE_PGM_RSRC3_GFX90A:TG_SPLIT: 0
	.section	.text._ZN7rocprim17ROCPRIM_400000_NS6detail17trampoline_kernelINS0_14default_configENS1_33run_length_encode_config_selectorIdjNS0_4plusIjEEEEZZNS1_33reduce_by_key_impl_wrapped_configILNS1_25lookback_scan_determinismE0ES3_S7_PKdNS0_17constant_iteratorIjlEEPdPlSF_S6_NS0_8equal_toIdEEEE10hipError_tPvRmT2_T3_mT4_T5_T6_T7_T8_P12ihipStream_tbENKUlT_T0_E_clISt17integral_constantIbLb1EESZ_EEDaSU_SV_EUlSU_E_NS1_11comp_targetILNS1_3genE8ELNS1_11target_archE1030ELNS1_3gpuE2ELNS1_3repE0EEENS1_30default_config_static_selectorELNS0_4arch9wavefront6targetE1EEEvT1_,"axG",@progbits,_ZN7rocprim17ROCPRIM_400000_NS6detail17trampoline_kernelINS0_14default_configENS1_33run_length_encode_config_selectorIdjNS0_4plusIjEEEEZZNS1_33reduce_by_key_impl_wrapped_configILNS1_25lookback_scan_determinismE0ES3_S7_PKdNS0_17constant_iteratorIjlEEPdPlSF_S6_NS0_8equal_toIdEEEE10hipError_tPvRmT2_T3_mT4_T5_T6_T7_T8_P12ihipStream_tbENKUlT_T0_E_clISt17integral_constantIbLb1EESZ_EEDaSU_SV_EUlSU_E_NS1_11comp_targetILNS1_3genE8ELNS1_11target_archE1030ELNS1_3gpuE2ELNS1_3repE0EEENS1_30default_config_static_selectorELNS0_4arch9wavefront6targetE1EEEvT1_,comdat
	.protected	_ZN7rocprim17ROCPRIM_400000_NS6detail17trampoline_kernelINS0_14default_configENS1_33run_length_encode_config_selectorIdjNS0_4plusIjEEEEZZNS1_33reduce_by_key_impl_wrapped_configILNS1_25lookback_scan_determinismE0ES3_S7_PKdNS0_17constant_iteratorIjlEEPdPlSF_S6_NS0_8equal_toIdEEEE10hipError_tPvRmT2_T3_mT4_T5_T6_T7_T8_P12ihipStream_tbENKUlT_T0_E_clISt17integral_constantIbLb1EESZ_EEDaSU_SV_EUlSU_E_NS1_11comp_targetILNS1_3genE8ELNS1_11target_archE1030ELNS1_3gpuE2ELNS1_3repE0EEENS1_30default_config_static_selectorELNS0_4arch9wavefront6targetE1EEEvT1_ ; -- Begin function _ZN7rocprim17ROCPRIM_400000_NS6detail17trampoline_kernelINS0_14default_configENS1_33run_length_encode_config_selectorIdjNS0_4plusIjEEEEZZNS1_33reduce_by_key_impl_wrapped_configILNS1_25lookback_scan_determinismE0ES3_S7_PKdNS0_17constant_iteratorIjlEEPdPlSF_S6_NS0_8equal_toIdEEEE10hipError_tPvRmT2_T3_mT4_T5_T6_T7_T8_P12ihipStream_tbENKUlT_T0_E_clISt17integral_constantIbLb1EESZ_EEDaSU_SV_EUlSU_E_NS1_11comp_targetILNS1_3genE8ELNS1_11target_archE1030ELNS1_3gpuE2ELNS1_3repE0EEENS1_30default_config_static_selectorELNS0_4arch9wavefront6targetE1EEEvT1_
	.globl	_ZN7rocprim17ROCPRIM_400000_NS6detail17trampoline_kernelINS0_14default_configENS1_33run_length_encode_config_selectorIdjNS0_4plusIjEEEEZZNS1_33reduce_by_key_impl_wrapped_configILNS1_25lookback_scan_determinismE0ES3_S7_PKdNS0_17constant_iteratorIjlEEPdPlSF_S6_NS0_8equal_toIdEEEE10hipError_tPvRmT2_T3_mT4_T5_T6_T7_T8_P12ihipStream_tbENKUlT_T0_E_clISt17integral_constantIbLb1EESZ_EEDaSU_SV_EUlSU_E_NS1_11comp_targetILNS1_3genE8ELNS1_11target_archE1030ELNS1_3gpuE2ELNS1_3repE0EEENS1_30default_config_static_selectorELNS0_4arch9wavefront6targetE1EEEvT1_
	.p2align	8
	.type	_ZN7rocprim17ROCPRIM_400000_NS6detail17trampoline_kernelINS0_14default_configENS1_33run_length_encode_config_selectorIdjNS0_4plusIjEEEEZZNS1_33reduce_by_key_impl_wrapped_configILNS1_25lookback_scan_determinismE0ES3_S7_PKdNS0_17constant_iteratorIjlEEPdPlSF_S6_NS0_8equal_toIdEEEE10hipError_tPvRmT2_T3_mT4_T5_T6_T7_T8_P12ihipStream_tbENKUlT_T0_E_clISt17integral_constantIbLb1EESZ_EEDaSU_SV_EUlSU_E_NS1_11comp_targetILNS1_3genE8ELNS1_11target_archE1030ELNS1_3gpuE2ELNS1_3repE0EEENS1_30default_config_static_selectorELNS0_4arch9wavefront6targetE1EEEvT1_,@function
_ZN7rocprim17ROCPRIM_400000_NS6detail17trampoline_kernelINS0_14default_configENS1_33run_length_encode_config_selectorIdjNS0_4plusIjEEEEZZNS1_33reduce_by_key_impl_wrapped_configILNS1_25lookback_scan_determinismE0ES3_S7_PKdNS0_17constant_iteratorIjlEEPdPlSF_S6_NS0_8equal_toIdEEEE10hipError_tPvRmT2_T3_mT4_T5_T6_T7_T8_P12ihipStream_tbENKUlT_T0_E_clISt17integral_constantIbLb1EESZ_EEDaSU_SV_EUlSU_E_NS1_11comp_targetILNS1_3genE8ELNS1_11target_archE1030ELNS1_3gpuE2ELNS1_3repE0EEENS1_30default_config_static_selectorELNS0_4arch9wavefront6targetE1EEEvT1_: ; @_ZN7rocprim17ROCPRIM_400000_NS6detail17trampoline_kernelINS0_14default_configENS1_33run_length_encode_config_selectorIdjNS0_4plusIjEEEEZZNS1_33reduce_by_key_impl_wrapped_configILNS1_25lookback_scan_determinismE0ES3_S7_PKdNS0_17constant_iteratorIjlEEPdPlSF_S6_NS0_8equal_toIdEEEE10hipError_tPvRmT2_T3_mT4_T5_T6_T7_T8_P12ihipStream_tbENKUlT_T0_E_clISt17integral_constantIbLb1EESZ_EEDaSU_SV_EUlSU_E_NS1_11comp_targetILNS1_3genE8ELNS1_11target_archE1030ELNS1_3gpuE2ELNS1_3repE0EEENS1_30default_config_static_selectorELNS0_4arch9wavefront6targetE1EEEvT1_
; %bb.0:
	.section	.rodata,"a",@progbits
	.p2align	6, 0x0
	.amdhsa_kernel _ZN7rocprim17ROCPRIM_400000_NS6detail17trampoline_kernelINS0_14default_configENS1_33run_length_encode_config_selectorIdjNS0_4plusIjEEEEZZNS1_33reduce_by_key_impl_wrapped_configILNS1_25lookback_scan_determinismE0ES3_S7_PKdNS0_17constant_iteratorIjlEEPdPlSF_S6_NS0_8equal_toIdEEEE10hipError_tPvRmT2_T3_mT4_T5_T6_T7_T8_P12ihipStream_tbENKUlT_T0_E_clISt17integral_constantIbLb1EESZ_EEDaSU_SV_EUlSU_E_NS1_11comp_targetILNS1_3genE8ELNS1_11target_archE1030ELNS1_3gpuE2ELNS1_3repE0EEENS1_30default_config_static_selectorELNS0_4arch9wavefront6targetE1EEEvT1_
		.amdhsa_group_segment_fixed_size 0
		.amdhsa_private_segment_fixed_size 0
		.amdhsa_kernarg_size 128
		.amdhsa_user_sgpr_count 2
		.amdhsa_user_sgpr_dispatch_ptr 0
		.amdhsa_user_sgpr_queue_ptr 0
		.amdhsa_user_sgpr_kernarg_segment_ptr 1
		.amdhsa_user_sgpr_dispatch_id 0
		.amdhsa_user_sgpr_kernarg_preload_length 0
		.amdhsa_user_sgpr_kernarg_preload_offset 0
		.amdhsa_user_sgpr_private_segment_size 0
		.amdhsa_uses_dynamic_stack 0
		.amdhsa_enable_private_segment 0
		.amdhsa_system_sgpr_workgroup_id_x 1
		.amdhsa_system_sgpr_workgroup_id_y 0
		.amdhsa_system_sgpr_workgroup_id_z 0
		.amdhsa_system_sgpr_workgroup_info 0
		.amdhsa_system_vgpr_workitem_id 0
		.amdhsa_next_free_vgpr 1
		.amdhsa_next_free_sgpr 0
		.amdhsa_accum_offset 4
		.amdhsa_reserve_vcc 0
		.amdhsa_float_round_mode_32 0
		.amdhsa_float_round_mode_16_64 0
		.amdhsa_float_denorm_mode_32 3
		.amdhsa_float_denorm_mode_16_64 3
		.amdhsa_dx10_clamp 1
		.amdhsa_ieee_mode 1
		.amdhsa_fp16_overflow 0
		.amdhsa_tg_split 0
		.amdhsa_exception_fp_ieee_invalid_op 0
		.amdhsa_exception_fp_denorm_src 0
		.amdhsa_exception_fp_ieee_div_zero 0
		.amdhsa_exception_fp_ieee_overflow 0
		.amdhsa_exception_fp_ieee_underflow 0
		.amdhsa_exception_fp_ieee_inexact 0
		.amdhsa_exception_int_div_zero 0
	.end_amdhsa_kernel
	.section	.text._ZN7rocprim17ROCPRIM_400000_NS6detail17trampoline_kernelINS0_14default_configENS1_33run_length_encode_config_selectorIdjNS0_4plusIjEEEEZZNS1_33reduce_by_key_impl_wrapped_configILNS1_25lookback_scan_determinismE0ES3_S7_PKdNS0_17constant_iteratorIjlEEPdPlSF_S6_NS0_8equal_toIdEEEE10hipError_tPvRmT2_T3_mT4_T5_T6_T7_T8_P12ihipStream_tbENKUlT_T0_E_clISt17integral_constantIbLb1EESZ_EEDaSU_SV_EUlSU_E_NS1_11comp_targetILNS1_3genE8ELNS1_11target_archE1030ELNS1_3gpuE2ELNS1_3repE0EEENS1_30default_config_static_selectorELNS0_4arch9wavefront6targetE1EEEvT1_,"axG",@progbits,_ZN7rocprim17ROCPRIM_400000_NS6detail17trampoline_kernelINS0_14default_configENS1_33run_length_encode_config_selectorIdjNS0_4plusIjEEEEZZNS1_33reduce_by_key_impl_wrapped_configILNS1_25lookback_scan_determinismE0ES3_S7_PKdNS0_17constant_iteratorIjlEEPdPlSF_S6_NS0_8equal_toIdEEEE10hipError_tPvRmT2_T3_mT4_T5_T6_T7_T8_P12ihipStream_tbENKUlT_T0_E_clISt17integral_constantIbLb1EESZ_EEDaSU_SV_EUlSU_E_NS1_11comp_targetILNS1_3genE8ELNS1_11target_archE1030ELNS1_3gpuE2ELNS1_3repE0EEENS1_30default_config_static_selectorELNS0_4arch9wavefront6targetE1EEEvT1_,comdat
.Lfunc_end321:
	.size	_ZN7rocprim17ROCPRIM_400000_NS6detail17trampoline_kernelINS0_14default_configENS1_33run_length_encode_config_selectorIdjNS0_4plusIjEEEEZZNS1_33reduce_by_key_impl_wrapped_configILNS1_25lookback_scan_determinismE0ES3_S7_PKdNS0_17constant_iteratorIjlEEPdPlSF_S6_NS0_8equal_toIdEEEE10hipError_tPvRmT2_T3_mT4_T5_T6_T7_T8_P12ihipStream_tbENKUlT_T0_E_clISt17integral_constantIbLb1EESZ_EEDaSU_SV_EUlSU_E_NS1_11comp_targetILNS1_3genE8ELNS1_11target_archE1030ELNS1_3gpuE2ELNS1_3repE0EEENS1_30default_config_static_selectorELNS0_4arch9wavefront6targetE1EEEvT1_, .Lfunc_end321-_ZN7rocprim17ROCPRIM_400000_NS6detail17trampoline_kernelINS0_14default_configENS1_33run_length_encode_config_selectorIdjNS0_4plusIjEEEEZZNS1_33reduce_by_key_impl_wrapped_configILNS1_25lookback_scan_determinismE0ES3_S7_PKdNS0_17constant_iteratorIjlEEPdPlSF_S6_NS0_8equal_toIdEEEE10hipError_tPvRmT2_T3_mT4_T5_T6_T7_T8_P12ihipStream_tbENKUlT_T0_E_clISt17integral_constantIbLb1EESZ_EEDaSU_SV_EUlSU_E_NS1_11comp_targetILNS1_3genE8ELNS1_11target_archE1030ELNS1_3gpuE2ELNS1_3repE0EEENS1_30default_config_static_selectorELNS0_4arch9wavefront6targetE1EEEvT1_
                                        ; -- End function
	.section	.AMDGPU.csdata,"",@progbits
; Kernel info:
; codeLenInByte = 0
; NumSgprs: 6
; NumVgprs: 0
; NumAgprs: 0
; TotalNumVgprs: 0
; ScratchSize: 0
; MemoryBound: 0
; FloatMode: 240
; IeeeMode: 1
; LDSByteSize: 0 bytes/workgroup (compile time only)
; SGPRBlocks: 0
; VGPRBlocks: 0
; NumSGPRsForWavesPerEU: 6
; NumVGPRsForWavesPerEU: 1
; AccumOffset: 4
; Occupancy: 8
; WaveLimiterHint : 0
; COMPUTE_PGM_RSRC2:SCRATCH_EN: 0
; COMPUTE_PGM_RSRC2:USER_SGPR: 2
; COMPUTE_PGM_RSRC2:TRAP_HANDLER: 0
; COMPUTE_PGM_RSRC2:TGID_X_EN: 1
; COMPUTE_PGM_RSRC2:TGID_Y_EN: 0
; COMPUTE_PGM_RSRC2:TGID_Z_EN: 0
; COMPUTE_PGM_RSRC2:TIDIG_COMP_CNT: 0
; COMPUTE_PGM_RSRC3_GFX90A:ACCUM_OFFSET: 0
; COMPUTE_PGM_RSRC3_GFX90A:TG_SPLIT: 0
	.section	.text._ZN7rocprim17ROCPRIM_400000_NS6detail17trampoline_kernelINS0_14default_configENS1_33run_length_encode_config_selectorIdjNS0_4plusIjEEEEZZNS1_33reduce_by_key_impl_wrapped_configILNS1_25lookback_scan_determinismE0ES3_S7_PKdNS0_17constant_iteratorIjlEEPdPlSF_S6_NS0_8equal_toIdEEEE10hipError_tPvRmT2_T3_mT4_T5_T6_T7_T8_P12ihipStream_tbENKUlT_T0_E_clISt17integral_constantIbLb1EESY_IbLb0EEEEDaSU_SV_EUlSU_E_NS1_11comp_targetILNS1_3genE0ELNS1_11target_archE4294967295ELNS1_3gpuE0ELNS1_3repE0EEENS1_30default_config_static_selectorELNS0_4arch9wavefront6targetE1EEEvT1_,"axG",@progbits,_ZN7rocprim17ROCPRIM_400000_NS6detail17trampoline_kernelINS0_14default_configENS1_33run_length_encode_config_selectorIdjNS0_4plusIjEEEEZZNS1_33reduce_by_key_impl_wrapped_configILNS1_25lookback_scan_determinismE0ES3_S7_PKdNS0_17constant_iteratorIjlEEPdPlSF_S6_NS0_8equal_toIdEEEE10hipError_tPvRmT2_T3_mT4_T5_T6_T7_T8_P12ihipStream_tbENKUlT_T0_E_clISt17integral_constantIbLb1EESY_IbLb0EEEEDaSU_SV_EUlSU_E_NS1_11comp_targetILNS1_3genE0ELNS1_11target_archE4294967295ELNS1_3gpuE0ELNS1_3repE0EEENS1_30default_config_static_selectorELNS0_4arch9wavefront6targetE1EEEvT1_,comdat
	.protected	_ZN7rocprim17ROCPRIM_400000_NS6detail17trampoline_kernelINS0_14default_configENS1_33run_length_encode_config_selectorIdjNS0_4plusIjEEEEZZNS1_33reduce_by_key_impl_wrapped_configILNS1_25lookback_scan_determinismE0ES3_S7_PKdNS0_17constant_iteratorIjlEEPdPlSF_S6_NS0_8equal_toIdEEEE10hipError_tPvRmT2_T3_mT4_T5_T6_T7_T8_P12ihipStream_tbENKUlT_T0_E_clISt17integral_constantIbLb1EESY_IbLb0EEEEDaSU_SV_EUlSU_E_NS1_11comp_targetILNS1_3genE0ELNS1_11target_archE4294967295ELNS1_3gpuE0ELNS1_3repE0EEENS1_30default_config_static_selectorELNS0_4arch9wavefront6targetE1EEEvT1_ ; -- Begin function _ZN7rocprim17ROCPRIM_400000_NS6detail17trampoline_kernelINS0_14default_configENS1_33run_length_encode_config_selectorIdjNS0_4plusIjEEEEZZNS1_33reduce_by_key_impl_wrapped_configILNS1_25lookback_scan_determinismE0ES3_S7_PKdNS0_17constant_iteratorIjlEEPdPlSF_S6_NS0_8equal_toIdEEEE10hipError_tPvRmT2_T3_mT4_T5_T6_T7_T8_P12ihipStream_tbENKUlT_T0_E_clISt17integral_constantIbLb1EESY_IbLb0EEEEDaSU_SV_EUlSU_E_NS1_11comp_targetILNS1_3genE0ELNS1_11target_archE4294967295ELNS1_3gpuE0ELNS1_3repE0EEENS1_30default_config_static_selectorELNS0_4arch9wavefront6targetE1EEEvT1_
	.globl	_ZN7rocprim17ROCPRIM_400000_NS6detail17trampoline_kernelINS0_14default_configENS1_33run_length_encode_config_selectorIdjNS0_4plusIjEEEEZZNS1_33reduce_by_key_impl_wrapped_configILNS1_25lookback_scan_determinismE0ES3_S7_PKdNS0_17constant_iteratorIjlEEPdPlSF_S6_NS0_8equal_toIdEEEE10hipError_tPvRmT2_T3_mT4_T5_T6_T7_T8_P12ihipStream_tbENKUlT_T0_E_clISt17integral_constantIbLb1EESY_IbLb0EEEEDaSU_SV_EUlSU_E_NS1_11comp_targetILNS1_3genE0ELNS1_11target_archE4294967295ELNS1_3gpuE0ELNS1_3repE0EEENS1_30default_config_static_selectorELNS0_4arch9wavefront6targetE1EEEvT1_
	.p2align	8
	.type	_ZN7rocprim17ROCPRIM_400000_NS6detail17trampoline_kernelINS0_14default_configENS1_33run_length_encode_config_selectorIdjNS0_4plusIjEEEEZZNS1_33reduce_by_key_impl_wrapped_configILNS1_25lookback_scan_determinismE0ES3_S7_PKdNS0_17constant_iteratorIjlEEPdPlSF_S6_NS0_8equal_toIdEEEE10hipError_tPvRmT2_T3_mT4_T5_T6_T7_T8_P12ihipStream_tbENKUlT_T0_E_clISt17integral_constantIbLb1EESY_IbLb0EEEEDaSU_SV_EUlSU_E_NS1_11comp_targetILNS1_3genE0ELNS1_11target_archE4294967295ELNS1_3gpuE0ELNS1_3repE0EEENS1_30default_config_static_selectorELNS0_4arch9wavefront6targetE1EEEvT1_,@function
_ZN7rocprim17ROCPRIM_400000_NS6detail17trampoline_kernelINS0_14default_configENS1_33run_length_encode_config_selectorIdjNS0_4plusIjEEEEZZNS1_33reduce_by_key_impl_wrapped_configILNS1_25lookback_scan_determinismE0ES3_S7_PKdNS0_17constant_iteratorIjlEEPdPlSF_S6_NS0_8equal_toIdEEEE10hipError_tPvRmT2_T3_mT4_T5_T6_T7_T8_P12ihipStream_tbENKUlT_T0_E_clISt17integral_constantIbLb1EESY_IbLb0EEEEDaSU_SV_EUlSU_E_NS1_11comp_targetILNS1_3genE0ELNS1_11target_archE4294967295ELNS1_3gpuE0ELNS1_3repE0EEENS1_30default_config_static_selectorELNS0_4arch9wavefront6targetE1EEEvT1_: ; @_ZN7rocprim17ROCPRIM_400000_NS6detail17trampoline_kernelINS0_14default_configENS1_33run_length_encode_config_selectorIdjNS0_4plusIjEEEEZZNS1_33reduce_by_key_impl_wrapped_configILNS1_25lookback_scan_determinismE0ES3_S7_PKdNS0_17constant_iteratorIjlEEPdPlSF_S6_NS0_8equal_toIdEEEE10hipError_tPvRmT2_T3_mT4_T5_T6_T7_T8_P12ihipStream_tbENKUlT_T0_E_clISt17integral_constantIbLb1EESY_IbLb0EEEEDaSU_SV_EUlSU_E_NS1_11comp_targetILNS1_3genE0ELNS1_11target_archE4294967295ELNS1_3gpuE0ELNS1_3repE0EEENS1_30default_config_static_selectorELNS0_4arch9wavefront6targetE1EEEvT1_
; %bb.0:
	.section	.rodata,"a",@progbits
	.p2align	6, 0x0
	.amdhsa_kernel _ZN7rocprim17ROCPRIM_400000_NS6detail17trampoline_kernelINS0_14default_configENS1_33run_length_encode_config_selectorIdjNS0_4plusIjEEEEZZNS1_33reduce_by_key_impl_wrapped_configILNS1_25lookback_scan_determinismE0ES3_S7_PKdNS0_17constant_iteratorIjlEEPdPlSF_S6_NS0_8equal_toIdEEEE10hipError_tPvRmT2_T3_mT4_T5_T6_T7_T8_P12ihipStream_tbENKUlT_T0_E_clISt17integral_constantIbLb1EESY_IbLb0EEEEDaSU_SV_EUlSU_E_NS1_11comp_targetILNS1_3genE0ELNS1_11target_archE4294967295ELNS1_3gpuE0ELNS1_3repE0EEENS1_30default_config_static_selectorELNS0_4arch9wavefront6targetE1EEEvT1_
		.amdhsa_group_segment_fixed_size 0
		.amdhsa_private_segment_fixed_size 0
		.amdhsa_kernarg_size 128
		.amdhsa_user_sgpr_count 2
		.amdhsa_user_sgpr_dispatch_ptr 0
		.amdhsa_user_sgpr_queue_ptr 0
		.amdhsa_user_sgpr_kernarg_segment_ptr 1
		.amdhsa_user_sgpr_dispatch_id 0
		.amdhsa_user_sgpr_kernarg_preload_length 0
		.amdhsa_user_sgpr_kernarg_preload_offset 0
		.amdhsa_user_sgpr_private_segment_size 0
		.amdhsa_uses_dynamic_stack 0
		.amdhsa_enable_private_segment 0
		.amdhsa_system_sgpr_workgroup_id_x 1
		.amdhsa_system_sgpr_workgroup_id_y 0
		.amdhsa_system_sgpr_workgroup_id_z 0
		.amdhsa_system_sgpr_workgroup_info 0
		.amdhsa_system_vgpr_workitem_id 0
		.amdhsa_next_free_vgpr 1
		.amdhsa_next_free_sgpr 0
		.amdhsa_accum_offset 4
		.amdhsa_reserve_vcc 0
		.amdhsa_float_round_mode_32 0
		.amdhsa_float_round_mode_16_64 0
		.amdhsa_float_denorm_mode_32 3
		.amdhsa_float_denorm_mode_16_64 3
		.amdhsa_dx10_clamp 1
		.amdhsa_ieee_mode 1
		.amdhsa_fp16_overflow 0
		.amdhsa_tg_split 0
		.amdhsa_exception_fp_ieee_invalid_op 0
		.amdhsa_exception_fp_denorm_src 0
		.amdhsa_exception_fp_ieee_div_zero 0
		.amdhsa_exception_fp_ieee_overflow 0
		.amdhsa_exception_fp_ieee_underflow 0
		.amdhsa_exception_fp_ieee_inexact 0
		.amdhsa_exception_int_div_zero 0
	.end_amdhsa_kernel
	.section	.text._ZN7rocprim17ROCPRIM_400000_NS6detail17trampoline_kernelINS0_14default_configENS1_33run_length_encode_config_selectorIdjNS0_4plusIjEEEEZZNS1_33reduce_by_key_impl_wrapped_configILNS1_25lookback_scan_determinismE0ES3_S7_PKdNS0_17constant_iteratorIjlEEPdPlSF_S6_NS0_8equal_toIdEEEE10hipError_tPvRmT2_T3_mT4_T5_T6_T7_T8_P12ihipStream_tbENKUlT_T0_E_clISt17integral_constantIbLb1EESY_IbLb0EEEEDaSU_SV_EUlSU_E_NS1_11comp_targetILNS1_3genE0ELNS1_11target_archE4294967295ELNS1_3gpuE0ELNS1_3repE0EEENS1_30default_config_static_selectorELNS0_4arch9wavefront6targetE1EEEvT1_,"axG",@progbits,_ZN7rocprim17ROCPRIM_400000_NS6detail17trampoline_kernelINS0_14default_configENS1_33run_length_encode_config_selectorIdjNS0_4plusIjEEEEZZNS1_33reduce_by_key_impl_wrapped_configILNS1_25lookback_scan_determinismE0ES3_S7_PKdNS0_17constant_iteratorIjlEEPdPlSF_S6_NS0_8equal_toIdEEEE10hipError_tPvRmT2_T3_mT4_T5_T6_T7_T8_P12ihipStream_tbENKUlT_T0_E_clISt17integral_constantIbLb1EESY_IbLb0EEEEDaSU_SV_EUlSU_E_NS1_11comp_targetILNS1_3genE0ELNS1_11target_archE4294967295ELNS1_3gpuE0ELNS1_3repE0EEENS1_30default_config_static_selectorELNS0_4arch9wavefront6targetE1EEEvT1_,comdat
.Lfunc_end322:
	.size	_ZN7rocprim17ROCPRIM_400000_NS6detail17trampoline_kernelINS0_14default_configENS1_33run_length_encode_config_selectorIdjNS0_4plusIjEEEEZZNS1_33reduce_by_key_impl_wrapped_configILNS1_25lookback_scan_determinismE0ES3_S7_PKdNS0_17constant_iteratorIjlEEPdPlSF_S6_NS0_8equal_toIdEEEE10hipError_tPvRmT2_T3_mT4_T5_T6_T7_T8_P12ihipStream_tbENKUlT_T0_E_clISt17integral_constantIbLb1EESY_IbLb0EEEEDaSU_SV_EUlSU_E_NS1_11comp_targetILNS1_3genE0ELNS1_11target_archE4294967295ELNS1_3gpuE0ELNS1_3repE0EEENS1_30default_config_static_selectorELNS0_4arch9wavefront6targetE1EEEvT1_, .Lfunc_end322-_ZN7rocprim17ROCPRIM_400000_NS6detail17trampoline_kernelINS0_14default_configENS1_33run_length_encode_config_selectorIdjNS0_4plusIjEEEEZZNS1_33reduce_by_key_impl_wrapped_configILNS1_25lookback_scan_determinismE0ES3_S7_PKdNS0_17constant_iteratorIjlEEPdPlSF_S6_NS0_8equal_toIdEEEE10hipError_tPvRmT2_T3_mT4_T5_T6_T7_T8_P12ihipStream_tbENKUlT_T0_E_clISt17integral_constantIbLb1EESY_IbLb0EEEEDaSU_SV_EUlSU_E_NS1_11comp_targetILNS1_3genE0ELNS1_11target_archE4294967295ELNS1_3gpuE0ELNS1_3repE0EEENS1_30default_config_static_selectorELNS0_4arch9wavefront6targetE1EEEvT1_
                                        ; -- End function
	.section	.AMDGPU.csdata,"",@progbits
; Kernel info:
; codeLenInByte = 0
; NumSgprs: 6
; NumVgprs: 0
; NumAgprs: 0
; TotalNumVgprs: 0
; ScratchSize: 0
; MemoryBound: 0
; FloatMode: 240
; IeeeMode: 1
; LDSByteSize: 0 bytes/workgroup (compile time only)
; SGPRBlocks: 0
; VGPRBlocks: 0
; NumSGPRsForWavesPerEU: 6
; NumVGPRsForWavesPerEU: 1
; AccumOffset: 4
; Occupancy: 8
; WaveLimiterHint : 0
; COMPUTE_PGM_RSRC2:SCRATCH_EN: 0
; COMPUTE_PGM_RSRC2:USER_SGPR: 2
; COMPUTE_PGM_RSRC2:TRAP_HANDLER: 0
; COMPUTE_PGM_RSRC2:TGID_X_EN: 1
; COMPUTE_PGM_RSRC2:TGID_Y_EN: 0
; COMPUTE_PGM_RSRC2:TGID_Z_EN: 0
; COMPUTE_PGM_RSRC2:TIDIG_COMP_CNT: 0
; COMPUTE_PGM_RSRC3_GFX90A:ACCUM_OFFSET: 0
; COMPUTE_PGM_RSRC3_GFX90A:TG_SPLIT: 0
	.section	.text._ZN7rocprim17ROCPRIM_400000_NS6detail17trampoline_kernelINS0_14default_configENS1_33run_length_encode_config_selectorIdjNS0_4plusIjEEEEZZNS1_33reduce_by_key_impl_wrapped_configILNS1_25lookback_scan_determinismE0ES3_S7_PKdNS0_17constant_iteratorIjlEEPdPlSF_S6_NS0_8equal_toIdEEEE10hipError_tPvRmT2_T3_mT4_T5_T6_T7_T8_P12ihipStream_tbENKUlT_T0_E_clISt17integral_constantIbLb1EESY_IbLb0EEEEDaSU_SV_EUlSU_E_NS1_11comp_targetILNS1_3genE5ELNS1_11target_archE942ELNS1_3gpuE9ELNS1_3repE0EEENS1_30default_config_static_selectorELNS0_4arch9wavefront6targetE1EEEvT1_,"axG",@progbits,_ZN7rocprim17ROCPRIM_400000_NS6detail17trampoline_kernelINS0_14default_configENS1_33run_length_encode_config_selectorIdjNS0_4plusIjEEEEZZNS1_33reduce_by_key_impl_wrapped_configILNS1_25lookback_scan_determinismE0ES3_S7_PKdNS0_17constant_iteratorIjlEEPdPlSF_S6_NS0_8equal_toIdEEEE10hipError_tPvRmT2_T3_mT4_T5_T6_T7_T8_P12ihipStream_tbENKUlT_T0_E_clISt17integral_constantIbLb1EESY_IbLb0EEEEDaSU_SV_EUlSU_E_NS1_11comp_targetILNS1_3genE5ELNS1_11target_archE942ELNS1_3gpuE9ELNS1_3repE0EEENS1_30default_config_static_selectorELNS0_4arch9wavefront6targetE1EEEvT1_,comdat
	.protected	_ZN7rocprim17ROCPRIM_400000_NS6detail17trampoline_kernelINS0_14default_configENS1_33run_length_encode_config_selectorIdjNS0_4plusIjEEEEZZNS1_33reduce_by_key_impl_wrapped_configILNS1_25lookback_scan_determinismE0ES3_S7_PKdNS0_17constant_iteratorIjlEEPdPlSF_S6_NS0_8equal_toIdEEEE10hipError_tPvRmT2_T3_mT4_T5_T6_T7_T8_P12ihipStream_tbENKUlT_T0_E_clISt17integral_constantIbLb1EESY_IbLb0EEEEDaSU_SV_EUlSU_E_NS1_11comp_targetILNS1_3genE5ELNS1_11target_archE942ELNS1_3gpuE9ELNS1_3repE0EEENS1_30default_config_static_selectorELNS0_4arch9wavefront6targetE1EEEvT1_ ; -- Begin function _ZN7rocprim17ROCPRIM_400000_NS6detail17trampoline_kernelINS0_14default_configENS1_33run_length_encode_config_selectorIdjNS0_4plusIjEEEEZZNS1_33reduce_by_key_impl_wrapped_configILNS1_25lookback_scan_determinismE0ES3_S7_PKdNS0_17constant_iteratorIjlEEPdPlSF_S6_NS0_8equal_toIdEEEE10hipError_tPvRmT2_T3_mT4_T5_T6_T7_T8_P12ihipStream_tbENKUlT_T0_E_clISt17integral_constantIbLb1EESY_IbLb0EEEEDaSU_SV_EUlSU_E_NS1_11comp_targetILNS1_3genE5ELNS1_11target_archE942ELNS1_3gpuE9ELNS1_3repE0EEENS1_30default_config_static_selectorELNS0_4arch9wavefront6targetE1EEEvT1_
	.globl	_ZN7rocprim17ROCPRIM_400000_NS6detail17trampoline_kernelINS0_14default_configENS1_33run_length_encode_config_selectorIdjNS0_4plusIjEEEEZZNS1_33reduce_by_key_impl_wrapped_configILNS1_25lookback_scan_determinismE0ES3_S7_PKdNS0_17constant_iteratorIjlEEPdPlSF_S6_NS0_8equal_toIdEEEE10hipError_tPvRmT2_T3_mT4_T5_T6_T7_T8_P12ihipStream_tbENKUlT_T0_E_clISt17integral_constantIbLb1EESY_IbLb0EEEEDaSU_SV_EUlSU_E_NS1_11comp_targetILNS1_3genE5ELNS1_11target_archE942ELNS1_3gpuE9ELNS1_3repE0EEENS1_30default_config_static_selectorELNS0_4arch9wavefront6targetE1EEEvT1_
	.p2align	8
	.type	_ZN7rocprim17ROCPRIM_400000_NS6detail17trampoline_kernelINS0_14default_configENS1_33run_length_encode_config_selectorIdjNS0_4plusIjEEEEZZNS1_33reduce_by_key_impl_wrapped_configILNS1_25lookback_scan_determinismE0ES3_S7_PKdNS0_17constant_iteratorIjlEEPdPlSF_S6_NS0_8equal_toIdEEEE10hipError_tPvRmT2_T3_mT4_T5_T6_T7_T8_P12ihipStream_tbENKUlT_T0_E_clISt17integral_constantIbLb1EESY_IbLb0EEEEDaSU_SV_EUlSU_E_NS1_11comp_targetILNS1_3genE5ELNS1_11target_archE942ELNS1_3gpuE9ELNS1_3repE0EEENS1_30default_config_static_selectorELNS0_4arch9wavefront6targetE1EEEvT1_,@function
_ZN7rocprim17ROCPRIM_400000_NS6detail17trampoline_kernelINS0_14default_configENS1_33run_length_encode_config_selectorIdjNS0_4plusIjEEEEZZNS1_33reduce_by_key_impl_wrapped_configILNS1_25lookback_scan_determinismE0ES3_S7_PKdNS0_17constant_iteratorIjlEEPdPlSF_S6_NS0_8equal_toIdEEEE10hipError_tPvRmT2_T3_mT4_T5_T6_T7_T8_P12ihipStream_tbENKUlT_T0_E_clISt17integral_constantIbLb1EESY_IbLb0EEEEDaSU_SV_EUlSU_E_NS1_11comp_targetILNS1_3genE5ELNS1_11target_archE942ELNS1_3gpuE9ELNS1_3repE0EEENS1_30default_config_static_selectorELNS0_4arch9wavefront6targetE1EEEvT1_: ; @_ZN7rocprim17ROCPRIM_400000_NS6detail17trampoline_kernelINS0_14default_configENS1_33run_length_encode_config_selectorIdjNS0_4plusIjEEEEZZNS1_33reduce_by_key_impl_wrapped_configILNS1_25lookback_scan_determinismE0ES3_S7_PKdNS0_17constant_iteratorIjlEEPdPlSF_S6_NS0_8equal_toIdEEEE10hipError_tPvRmT2_T3_mT4_T5_T6_T7_T8_P12ihipStream_tbENKUlT_T0_E_clISt17integral_constantIbLb1EESY_IbLb0EEEEDaSU_SV_EUlSU_E_NS1_11comp_targetILNS1_3genE5ELNS1_11target_archE942ELNS1_3gpuE9ELNS1_3repE0EEENS1_30default_config_static_selectorELNS0_4arch9wavefront6targetE1EEEvT1_
; %bb.0:
	s_load_dwordx8 s[36:43], s[0:1], 0x40
	s_load_dwordx4 s[4:7], s[0:1], 0x0
	s_load_dword s3, s[0:1], 0x10
	s_load_dwordx4 s[44:47], s[0:1], 0x60
	s_waitcnt lgkmcnt(0)
	s_mul_i32 s8, s40, s39
	s_mul_hi_u32 s9, s40, s38
	s_add_i32 s8, s9, s8
	s_mul_i32 s9, s41, s38
	s_add_i32 s8, s8, s9
	s_lshl_b64 s[6:7], s[6:7], 3
	s_add_u32 s6, s4, s6
	s_addc_u32 s7, s5, s7
	s_mul_i32 s4, s2, 0x1e00
	s_mov_b32 s5, 0
	s_lshl_b64 s[4:5], s[4:5], 3
	s_mul_i32 s9, s40, s38
	s_add_u32 s40, s6, s4
	s_addc_u32 s41, s7, s5
	s_add_u32 s52, s9, s2
	s_addc_u32 s53, s8, 0
	s_add_u32 s6, s42, -1
	s_addc_u32 s7, s43, -1
	s_cmp_eq_u64 s[52:53], s[6:7]
	s_cselect_b64 s[34:35], -1, 0
	s_cmp_lg_u64 s[52:53], s[6:7]
	s_mov_b64 s[8:9], -1
	s_cselect_b64 s[4:5], -1, 0
	s_mul_i32 s33, s6, 0xffffe200
	s_and_b64 vcc, exec, s[34:35]
	s_cbranch_vccnz .LBB323_2
; %bb.1:
	v_lshlrev_b32_e32 v2, 3, v0
	v_mov_b32_e32 v3, 0
	v_lshl_add_u64 v[4:5], s[40:41], 0, v[2:3]
	v_add_co_u32_e32 v8, vcc, 0x1000, v4
	global_load_dwordx2 v[6:7], v2, s[40:41]
	s_nop 0
	v_addc_co_u32_e32 v9, vcc, 0, v5, vcc
	v_add_co_u32_e32 v10, vcc, 0x2000, v4
	s_movk_i32 s6, 0x70
	s_nop 0
	v_addc_co_u32_e32 v11, vcc, 0, v5, vcc
	v_add_co_u32_e32 v12, vcc, 0x3000, v4
	v_mad_u32_u24 v1, v0, s6, v2
	s_nop 0
	v_addc_co_u32_e32 v13, vcc, 0, v5, vcc
	v_add_co_u32_e32 v14, vcc, 0x4000, v4
	s_nop 1
	v_addc_co_u32_e32 v15, vcc, 0, v5, vcc
	global_load_dwordx2 v[16:17], v[8:9], off
	global_load_dwordx2 v[18:19], v[10:11], off
	;; [unrolled: 1-line block ×4, first 2 shown]
	v_add_co_u32_e32 v8, vcc, 0x5000, v4
	s_mov_b64 s[6:7], -1
	s_nop 0
	v_addc_co_u32_e32 v9, vcc, 0, v5, vcc
	v_add_co_u32_e32 v10, vcc, 0x6000, v4
	s_nop 1
	v_addc_co_u32_e32 v11, vcc, 0, v5, vcc
	v_add_co_u32_e32 v12, vcc, 0x7000, v4
	;; [unrolled: 3-line block ×3, first 2 shown]
	s_nop 1
	v_addc_co_u32_e32 v15, vcc, 0, v5, vcc
	global_load_dwordx2 v[24:25], v[8:9], off
	global_load_dwordx2 v[26:27], v[10:11], off
	;; [unrolled: 1-line block ×4, first 2 shown]
	v_add_co_u32_e32 v8, vcc, 0x9000, v4
	s_nop 1
	v_addc_co_u32_e32 v9, vcc, 0, v5, vcc
	v_add_co_u32_e32 v10, vcc, 0xa000, v4
	s_nop 1
	v_addc_co_u32_e32 v11, vcc, 0, v5, vcc
	v_add_co_u32_e32 v12, vcc, 0xb000, v4
	s_nop 1
	v_addc_co_u32_e32 v13, vcc, 0, v5, vcc
	v_add_co_u32_e32 v14, vcc, 0xc000, v4
	s_nop 1
	v_addc_co_u32_e32 v15, vcc, 0, v5, vcc
	global_load_dwordx2 v[32:33], v[8:9], off
	global_load_dwordx2 v[34:35], v[10:11], off
	;; [unrolled: 1-line block ×4, first 2 shown]
	v_add_co_u32_e32 v8, vcc, 0xd000, v4
	s_nop 1
	v_addc_co_u32_e32 v9, vcc, 0, v5, vcc
	v_add_co_u32_e32 v4, vcc, 0xe000, v4
	global_load_dwordx2 v[8:9], v[8:9], off
	s_nop 0
	v_addc_co_u32_e32 v5, vcc, 0, v5, vcc
	global_load_dwordx2 v[4:5], v[4:5], off
	s_waitcnt vmcnt(13)
	ds_write2st64_b64 v2, v[6:7], v[16:17] offset1:8
	s_waitcnt vmcnt(11)
	ds_write2st64_b64 v2, v[18:19], v[20:21] offset0:16 offset1:24
	s_waitcnt vmcnt(9)
	ds_write2st64_b64 v2, v[22:23], v[24:25] offset0:32 offset1:40
	;; [unrolled: 2-line block ×6, first 2 shown]
	s_waitcnt vmcnt(0)
	ds_write_b64 v2, v[4:5] offset:57344
	s_waitcnt lgkmcnt(0)
	s_barrier
	ds_read2_b64 v[26:29], v1 offset1:1
	ds_read2_b64 v[22:25], v1 offset0:2 offset1:3
	ds_read2_b64 v[18:21], v1 offset0:4 offset1:5
	;; [unrolled: 1-line block ×6, first 2 shown]
	ds_read_b64 v[46:47], v1 offset:112
	s_waitcnt lgkmcnt(7)
	v_mov_b32_e32 v30, v26
	v_mov_b32_e32 v31, v27
	s_waitcnt lgkmcnt(6)
	v_mov_b32_e32 v32, v22
	v_mov_b32_e32 v33, v23
	;; [unrolled: 3-line block ×7, first 2 shown]
	s_add_i32 s33, s33, s44
	s_cbranch_execz .LBB323_3
	s_branch .LBB323_34
.LBB323_2:
	s_mov_b64 s[6:7], 0
                                        ; implicit-def: $vgpr46_vgpr47
                                        ; implicit-def: $vgpr6_vgpr7
                                        ; implicit-def: $vgpr2_vgpr3
                                        ; implicit-def: $vgpr10_vgpr11
                                        ; implicit-def: $vgpr14_vgpr15
                                        ; implicit-def: $vgpr18_vgpr19
                                        ; implicit-def: $vgpr22_vgpr23
                                        ; implicit-def: $vgpr26_vgpr27
                                        ; implicit-def: $vgpr38_vgpr39_vgpr40_vgpr41
                                        ; implicit-def: $vgpr34_vgpr35_vgpr36_vgpr37
                                        ; implicit-def: $vgpr30_vgpr31_vgpr32_vgpr33
                                        ; implicit-def: $vgpr42_vgpr43_vgpr44_vgpr45
	s_add_i32 s33, s33, s44
	s_andn2_b64 vcc, exec, s[8:9]
	s_cbranch_vccnz .LBB323_34
.LBB323_3:
	v_cmp_gt_u32_e32 vcc, s33, v0
                                        ; implicit-def: $vgpr2_vgpr3
	s_and_saveexec_b64 s[6:7], vcc
	s_cbranch_execz .LBB323_5
; %bb.4:
	v_lshlrev_b32_e32 v1, 3, v0
	global_load_dwordx2 v[2:3], v1, s[40:41]
.LBB323_5:
	s_or_b64 exec, exec, s[6:7]
	v_or_b32_e32 v1, 0x200, v0
	v_cmp_gt_u32_e32 vcc, s33, v1
                                        ; implicit-def: $vgpr4_vgpr5
	s_and_saveexec_b64 s[6:7], vcc
	s_cbranch_execz .LBB323_7
; %bb.6:
	v_lshlrev_b32_e32 v1, 3, v1
	global_load_dwordx2 v[4:5], v1, s[40:41]
.LBB323_7:
	s_or_b64 exec, exec, s[6:7]
	v_or_b32_e32 v1, 0x400, v0
	v_cmp_gt_u32_e32 vcc, s33, v1
                                        ; implicit-def: $vgpr6_vgpr7
	s_and_saveexec_b64 s[6:7], vcc
	s_cbranch_execz .LBB323_9
; %bb.8:
	v_lshlrev_b32_e32 v1, 3, v1
	global_load_dwordx2 v[6:7], v1, s[40:41]
.LBB323_9:
	s_or_b64 exec, exec, s[6:7]
	v_or_b32_e32 v1, 0x600, v0
	v_cmp_gt_u32_e32 vcc, s33, v1
                                        ; implicit-def: $vgpr8_vgpr9
	s_and_saveexec_b64 s[6:7], vcc
	s_cbranch_execz .LBB323_11
; %bb.10:
	v_lshlrev_b32_e32 v1, 3, v1
	global_load_dwordx2 v[8:9], v1, s[40:41]
.LBB323_11:
	s_or_b64 exec, exec, s[6:7]
	v_or_b32_e32 v1, 0x800, v0
	v_cmp_gt_u32_e32 vcc, s33, v1
                                        ; implicit-def: $vgpr10_vgpr11
	s_and_saveexec_b64 s[6:7], vcc
	s_cbranch_execz .LBB323_13
; %bb.12:
	v_lshlrev_b32_e32 v1, 3, v1
	global_load_dwordx2 v[10:11], v1, s[40:41]
.LBB323_13:
	s_or_b64 exec, exec, s[6:7]
	v_or_b32_e32 v1, 0xa00, v0
	v_cmp_gt_u32_e32 vcc, s33, v1
                                        ; implicit-def: $vgpr12_vgpr13
	s_and_saveexec_b64 s[6:7], vcc
	s_cbranch_execz .LBB323_15
; %bb.14:
	v_lshlrev_b32_e32 v1, 3, v1
	global_load_dwordx2 v[12:13], v1, s[40:41]
.LBB323_15:
	s_or_b64 exec, exec, s[6:7]
	v_or_b32_e32 v1, 0xc00, v0
	v_cmp_gt_u32_e32 vcc, s33, v1
                                        ; implicit-def: $vgpr14_vgpr15
	s_and_saveexec_b64 s[6:7], vcc
	s_cbranch_execz .LBB323_17
; %bb.16:
	v_lshlrev_b32_e32 v1, 3, v1
	global_load_dwordx2 v[14:15], v1, s[40:41]
.LBB323_17:
	s_or_b64 exec, exec, s[6:7]
	v_or_b32_e32 v1, 0xe00, v0
	v_cmp_gt_u32_e32 vcc, s33, v1
                                        ; implicit-def: $vgpr16_vgpr17
	s_and_saveexec_b64 s[6:7], vcc
	s_cbranch_execz .LBB323_19
; %bb.18:
	v_lshlrev_b32_e32 v1, 3, v1
	global_load_dwordx2 v[16:17], v1, s[40:41]
.LBB323_19:
	s_or_b64 exec, exec, s[6:7]
	v_or_b32_e32 v1, 0x1000, v0
	v_cmp_gt_u32_e32 vcc, s33, v1
                                        ; implicit-def: $vgpr18_vgpr19
	s_and_saveexec_b64 s[6:7], vcc
	s_cbranch_execz .LBB323_21
; %bb.20:
	v_lshlrev_b32_e32 v1, 3, v1
	global_load_dwordx2 v[18:19], v1, s[40:41]
.LBB323_21:
	s_or_b64 exec, exec, s[6:7]
	v_or_b32_e32 v1, 0x1200, v0
	v_cmp_gt_u32_e32 vcc, s33, v1
                                        ; implicit-def: $vgpr20_vgpr21
	s_and_saveexec_b64 s[6:7], vcc
	s_cbranch_execz .LBB323_23
; %bb.22:
	v_lshlrev_b32_e32 v1, 3, v1
	global_load_dwordx2 v[20:21], v1, s[40:41]
.LBB323_23:
	s_or_b64 exec, exec, s[6:7]
	v_or_b32_e32 v1, 0x1400, v0
	v_cmp_gt_u32_e32 vcc, s33, v1
                                        ; implicit-def: $vgpr22_vgpr23
	s_and_saveexec_b64 s[6:7], vcc
	s_cbranch_execz .LBB323_25
; %bb.24:
	v_lshlrev_b32_e32 v1, 3, v1
	global_load_dwordx2 v[22:23], v1, s[40:41]
.LBB323_25:
	s_or_b64 exec, exec, s[6:7]
	v_or_b32_e32 v1, 0x1600, v0
	v_cmp_gt_u32_e32 vcc, s33, v1
                                        ; implicit-def: $vgpr24_vgpr25
	s_and_saveexec_b64 s[6:7], vcc
	s_cbranch_execz .LBB323_27
; %bb.26:
	v_lshlrev_b32_e32 v1, 3, v1
	global_load_dwordx2 v[24:25], v1, s[40:41]
.LBB323_27:
	s_or_b64 exec, exec, s[6:7]
	v_or_b32_e32 v1, 0x1800, v0
	v_cmp_gt_u32_e32 vcc, s33, v1
                                        ; implicit-def: $vgpr26_vgpr27
	s_and_saveexec_b64 s[6:7], vcc
	s_cbranch_execz .LBB323_29
; %bb.28:
	v_lshlrev_b32_e32 v1, 3, v1
	global_load_dwordx2 v[26:27], v1, s[40:41]
.LBB323_29:
	s_or_b64 exec, exec, s[6:7]
	v_or_b32_e32 v1, 0x1a00, v0
	v_cmp_gt_u32_e32 vcc, s33, v1
                                        ; implicit-def: $vgpr28_vgpr29
	s_and_saveexec_b64 s[6:7], vcc
	s_cbranch_execz .LBB323_31
; %bb.30:
	v_lshlrev_b32_e32 v1, 3, v1
	global_load_dwordx2 v[28:29], v1, s[40:41]
.LBB323_31:
	s_or_b64 exec, exec, s[6:7]
	v_or_b32_e32 v1, 0x1c00, v0
	v_cmp_gt_u32_e32 vcc, s33, v1
                                        ; implicit-def: $vgpr30_vgpr31
	s_and_saveexec_b64 s[6:7], vcc
	s_cbranch_execz .LBB323_33
; %bb.32:
	v_lshlrev_b32_e32 v1, 3, v1
	global_load_dwordx2 v[30:31], v1, s[40:41]
.LBB323_33:
	s_or_b64 exec, exec, s[6:7]
	v_lshlrev_b32_e32 v1, 3, v0
	s_movk_i32 s6, 0x70
	s_waitcnt vmcnt(0)
	ds_write2st64_b64 v1, v[2:3], v[4:5] offset1:8
	ds_write2st64_b64 v1, v[6:7], v[8:9] offset0:16 offset1:24
	ds_write2st64_b64 v1, v[10:11], v[12:13] offset0:32 offset1:40
	;; [unrolled: 1-line block ×6, first 2 shown]
	ds_write_b64 v1, v[30:31] offset:57344
	v_mad_u32_u24 v1, v0, s6, v1
	s_waitcnt lgkmcnt(0)
	s_barrier
	ds_read2_b64 v[26:29], v1 offset1:1
	ds_read2_b64 v[22:25], v1 offset0:2 offset1:3
	ds_read2_b64 v[18:21], v1 offset0:4 offset1:5
	;; [unrolled: 1-line block ×6, first 2 shown]
	ds_read_b64 v[46:47], v1 offset:112
	v_mad_u32_u24 v30, v0, 15, 14
	v_cmp_gt_u32_e64 s[6:7], s33, v30
	s_waitcnt lgkmcnt(7)
	v_mov_b32_e32 v30, v26
	v_mov_b32_e32 v31, v27
	s_waitcnt lgkmcnt(6)
	v_mov_b32_e32 v32, v22
	v_mov_b32_e32 v33, v23
	;; [unrolled: 3-line block ×7, first 2 shown]
.LBB323_34:
	v_mov_b32_e32 v68, s3
                                        ; implicit-def: $vgpr69
	s_and_saveexec_b64 s[8:9], s[6:7]
; %bb.35:
	v_mov_b32_e32 v69, s3
; %bb.36:
	s_or_b64 exec, exec, s[8:9]
	s_load_dwordx2 s[50:51], s[0:1], 0x70
	s_cmp_eq_u64 s[52:53], 0
	s_cselect_b64 s[48:49], -1, 0
	s_cmp_lg_u64 s[52:53], 0
	s_mov_b64 s[6:7], 0
	s_cselect_b64 s[42:43], -1, 0
	s_and_b64 vcc, exec, s[4:5]
	s_waitcnt lgkmcnt(0)
	s_barrier
	s_cbranch_vccz .LBB323_42
; %bb.37:
	s_and_b64 vcc, exec, s[42:43]
	s_cbranch_vccz .LBB323_43
; %bb.38:
	s_add_u32 s4, s40, -8
	s_addc_u32 s5, s41, -1
	s_load_dwordx2 s[54:55], s[4:5], 0x0
	v_lshlrev_b32_e32 v1, 3, v0
	v_cmp_neq_f64_e32 vcc, v[8:9], v[46:47]
	v_cmp_neq_f64_e64 s[28:29], v[6:7], v[8:9]
	v_cmp_neq_f64_e64 s[4:5], v[4:5], v[6:7]
	;; [unrolled: 1-line block ×13, first 2 shown]
	v_cmp_ne_u32_e64 s[30:31], 0, v0
	s_waitcnt lgkmcnt(0)
	v_mov_b64_e32 v[44:45], s[54:55]
	ds_write_b64 v1, v[46:47]
	s_waitcnt lgkmcnt(0)
	s_barrier
	s_and_saveexec_b64 s[54:55], s[30:31]
	s_cbranch_execz .LBB323_40
; %bb.39:
	v_add_u32_e32 v1, -8, v1
	ds_read_b64 v[44:45], v1
.LBB323_40:
	s_or_b64 exec, exec, s[54:55]
	v_cndmask_b32_e64 v1, 0, 1, vcc
	v_cndmask_b32_e64 v72, 0, 1, s[28:29]
	v_cndmask_b32_e64 v73, 0, 1, s[4:5]
	;; [unrolled: 1-line block ×13, first 2 shown]
	s_waitcnt lgkmcnt(0)
	v_cmp_neq_f64_e64 s[4:5], v[44:45], v[26:27]
	s_mov_b64 s[6:7], -1
.LBB323_41:
                                        ; implicit-def: $sgpr3
	s_branch .LBB323_55
.LBB323_42:
                                        ; implicit-def: $sgpr4_sgpr5
                                        ; implicit-def: $vgpr1
                                        ; implicit-def: $vgpr72
                                        ; implicit-def: $vgpr73
                                        ; implicit-def: $vgpr74
                                        ; implicit-def: $vgpr75
                                        ; implicit-def: $vgpr76
                                        ; implicit-def: $vgpr77
                                        ; implicit-def: $vgpr78
                                        ; implicit-def: $vgpr79
                                        ; implicit-def: $vgpr80
                                        ; implicit-def: $vgpr81
                                        ; implicit-def: $vgpr82
                                        ; implicit-def: $vgpr83
                                        ; implicit-def: $vgpr84
                                        ; implicit-def: $sgpr3
	s_cbranch_execnz .LBB323_47
	s_branch .LBB323_55
.LBB323_43:
                                        ; implicit-def: $sgpr4_sgpr5
                                        ; implicit-def: $vgpr1
                                        ; implicit-def: $vgpr72
                                        ; implicit-def: $vgpr73
                                        ; implicit-def: $vgpr74
                                        ; implicit-def: $vgpr75
                                        ; implicit-def: $vgpr76
                                        ; implicit-def: $vgpr77
                                        ; implicit-def: $vgpr78
                                        ; implicit-def: $vgpr79
                                        ; implicit-def: $vgpr80
                                        ; implicit-def: $vgpr81
                                        ; implicit-def: $vgpr82
                                        ; implicit-def: $vgpr83
                                        ; implicit-def: $vgpr84
	s_cbranch_execz .LBB323_41
; %bb.44:
	v_cmp_neq_f64_e32 vcc, v[28:29], v[30:31]
	v_lshlrev_b32_e32 v44, 3, v0
	ds_write_b64 v44, v[46:47]
	v_cndmask_b32_e64 v84, 0, 1, vcc
	v_cmp_neq_f64_e32 vcc, v[28:29], v[32:33]
	s_waitcnt lgkmcnt(0)
	s_barrier
	v_cndmask_b32_e64 v83, 0, 1, vcc
	v_cmp_neq_f64_e32 vcc, v[32:33], v[24:25]
	s_waitcnt lgkmcnt(0)
                                        ; implicit-def: $sgpr4_sgpr5
	s_nop 0
	v_cndmask_b32_e64 v82, 0, 1, vcc
	v_cmp_neq_f64_e32 vcc, v[34:35], v[24:25]
	s_nop 1
	v_cndmask_b32_e64 v81, 0, 1, vcc
	v_cmp_neq_f64_e32 vcc, v[20:21], v[34:35]
	;; [unrolled: 3-line block ×11, first 2 shown]
	s_nop 1
	v_cndmask_b32_e64 v1, 0, 1, vcc
	v_cmp_ne_u32_e32 vcc, 0, v0
	s_and_saveexec_b64 s[8:9], vcc
	s_xor_b64 s[8:9], exec, s[8:9]
	s_cbranch_execz .LBB323_46
; %bb.45:
	v_add_u32_e32 v30, -8, v44
	ds_read_b64 v[30:31], v30
	s_or_b64 s[6:7], s[6:7], exec
	s_waitcnt lgkmcnt(0)
	v_cmp_neq_f64_e32 vcc, v[30:31], v[26:27]
	s_and_b64 s[4:5], vcc, exec
.LBB323_46:
	s_or_b64 exec, exec, s[8:9]
	s_mov_b32 s3, 1
	s_branch .LBB323_55
.LBB323_47:
	s_mul_hi_u32 s4, s52, 0xffffe200
	s_mul_i32 s3, s53, 0xffffe200
	s_sub_i32 s4, s4, s52
	s_add_i32 s4, s4, s3
	s_mul_i32 s3, s52, 0xffffe200
	s_add_u32 s8, s3, s44
	s_addc_u32 s9, s4, s45
	s_and_b64 vcc, exec, s[42:43]
	s_cbranch_vccz .LBB323_52
; %bb.48:
	s_add_u32 s4, s40, -8
	s_addc_u32 s5, s41, -1
	v_mad_u32_u24 v32, v0, 15, 14
	v_mov_b32_e32 v33, 0
	s_load_dwordx2 s[42:43], s[4:5], 0x0
	v_cmp_gt_u64_e32 vcc, s[8:9], v[32:33]
	v_cmp_neq_f64_e64 s[4:5], v[8:9], v[46:47]
	v_mad_u32_u24 v32, v0, 15, 13
	s_and_b64 s[6:7], vcc, s[4:5]
	v_cmp_gt_u64_e32 vcc, s[8:9], v[32:33]
	v_cmp_neq_f64_e64 s[4:5], v[6:7], v[8:9]
	v_mad_u32_u24 v32, v0, 15, 12
	s_and_b64 s[10:11], vcc, s[4:5]
	v_cmp_gt_u64_e32 vcc, s[8:9], v[32:33]
	v_cmp_neq_f64_e64 s[4:5], v[4:5], v[6:7]
	v_mad_u32_u24 v32, v0, 15, 11
	s_and_b64 s[12:13], vcc, s[4:5]
	v_cmp_gt_u64_e32 vcc, s[8:9], v[32:33]
	v_cmp_neq_f64_e64 s[4:5], v[2:3], v[4:5]
	v_mad_u32_u24 v32, v0, 15, 10
	s_and_b64 s[14:15], vcc, s[4:5]
	v_cmp_gt_u64_e32 vcc, s[8:9], v[32:33]
	v_cmp_neq_f64_e64 s[4:5], v[12:13], v[2:3]
	v_mad_u32_u24 v32, v0, 15, 9
	s_and_b64 s[16:17], vcc, s[4:5]
	v_cmp_gt_u64_e32 vcc, s[8:9], v[32:33]
	v_cmp_neq_f64_e64 s[4:5], v[10:11], v[12:13]
	v_mad_u32_u24 v32, v0, 15, 8
	s_and_b64 s[18:19], vcc, s[4:5]
	v_cmp_gt_u64_e32 vcc, s[8:9], v[32:33]
	v_cmp_neq_f64_e64 s[4:5], v[16:17], v[10:11]
	v_mad_u32_u24 v32, v0, 15, 7
	s_and_b64 s[20:21], vcc, s[4:5]
	v_cmp_gt_u64_e32 vcc, s[8:9], v[32:33]
	v_cmp_neq_f64_e64 s[4:5], v[14:15], v[16:17]
	v_mad_u32_u24 v32, v0, 15, 6
	s_and_b64 s[22:23], vcc, s[4:5]
	v_cmp_gt_u64_e32 vcc, s[8:9], v[32:33]
	v_cmp_neq_f64_e64 s[4:5], v[20:21], v[14:15]
	v_mad_u32_u24 v32, v0, 15, 5
	s_and_b64 s[24:25], vcc, s[4:5]
	v_cmp_gt_u64_e32 vcc, s[8:9], v[32:33]
	v_cmp_neq_f64_e64 s[4:5], v[18:19], v[20:21]
	v_mad_u32_u24 v32, v0, 15, 4
	s_and_b64 s[26:27], vcc, s[4:5]
	v_cmp_gt_u64_e32 vcc, s[8:9], v[32:33]
	v_cmp_neq_f64_e64 s[4:5], v[24:25], v[18:19]
	v_mad_u32_u24 v32, v0, 15, 3
	s_and_b64 s[28:29], vcc, s[4:5]
	v_cmp_gt_u64_e32 vcc, s[8:9], v[32:33]
	v_cmp_neq_f64_e64 s[4:5], v[22:23], v[24:25]
	v_mad_u32_u24 v32, v0, 15, 2
	s_and_b64 s[30:31], vcc, s[4:5]
	v_cmp_gt_u64_e32 vcc, s[8:9], v[32:33]
	v_cmp_neq_f64_e64 s[4:5], v[28:29], v[22:23]
	v_mad_u32_u24 v32, v0, 15, 1
	s_and_b64 s[40:41], vcc, s[4:5]
	v_cmp_gt_u64_e32 vcc, s[8:9], v[32:33]
	v_cmp_neq_f64_e64 s[4:5], v[26:27], v[28:29]
	v_lshlrev_b32_e32 v1, 3, v0
	v_mul_u32_u24_e32 v30, 15, v0
	s_and_b64 s[4:5], vcc, s[4:5]
	v_cmp_ne_u32_e32 vcc, 0, v0
	s_waitcnt lgkmcnt(0)
	v_mov_b64_e32 v[34:35], s[42:43]
	ds_write_b64 v1, v[46:47]
	s_waitcnt lgkmcnt(0)
	s_barrier
	s_and_saveexec_b64 s[42:43], vcc
	s_cbranch_execz .LBB323_50
; %bb.49:
	v_add_u32_e32 v1, -8, v1
	ds_read_b64 v[34:35], v1
.LBB323_50:
	s_or_b64 exec, exec, s[42:43]
	v_mov_b32_e32 v31, v33
	v_cndmask_b32_e64 v84, 0, 1, s[4:5]
	v_cmp_gt_u64_e32 vcc, s[8:9], v[30:31]
	s_waitcnt lgkmcnt(0)
	v_cmp_neq_f64_e64 s[4:5], v[34:35], v[26:27]
	v_cndmask_b32_e64 v1, 0, 1, s[6:7]
	v_cndmask_b32_e64 v72, 0, 1, s[10:11]
	v_cndmask_b32_e64 v73, 0, 1, s[12:13]
	v_cndmask_b32_e64 v74, 0, 1, s[14:15]
	v_cndmask_b32_e64 v75, 0, 1, s[16:17]
	v_cndmask_b32_e64 v76, 0, 1, s[18:19]
	v_cndmask_b32_e64 v77, 0, 1, s[20:21]
	v_cndmask_b32_e64 v78, 0, 1, s[22:23]
	v_cndmask_b32_e64 v79, 0, 1, s[24:25]
	v_cndmask_b32_e64 v80, 0, 1, s[26:27]
	v_cndmask_b32_e64 v81, 0, 1, s[28:29]
	v_cndmask_b32_e64 v82, 0, 1, s[30:31]
	v_cndmask_b32_e64 v83, 0, 1, s[40:41]
	s_and_b64 s[4:5], vcc, s[4:5]
	s_mov_b64 s[6:7], -1
.LBB323_51:
                                        ; implicit-def: $sgpr3
	v_mov_b32_e32 v85, s3
	s_and_saveexec_b64 s[8:9], s[6:7]
	s_cbranch_execnz .LBB323_56
	s_branch .LBB323_57
.LBB323_52:
                                        ; implicit-def: $sgpr4_sgpr5
                                        ; implicit-def: $vgpr1
                                        ; implicit-def: $vgpr72
                                        ; implicit-def: $vgpr73
                                        ; implicit-def: $vgpr74
                                        ; implicit-def: $vgpr75
                                        ; implicit-def: $vgpr76
                                        ; implicit-def: $vgpr77
                                        ; implicit-def: $vgpr78
                                        ; implicit-def: $vgpr79
                                        ; implicit-def: $vgpr80
                                        ; implicit-def: $vgpr81
                                        ; implicit-def: $vgpr82
                                        ; implicit-def: $vgpr83
                                        ; implicit-def: $vgpr84
	s_cbranch_execz .LBB323_51
; %bb.53:
	v_mad_u32_u24 v30, v0, 15, 14
	v_mov_b32_e32 v31, 0
	v_cmp_gt_u64_e32 vcc, s[8:9], v[30:31]
	v_cmp_neq_f64_e64 s[4:5], v[8:9], v[46:47]
	s_and_b64 s[4:5], vcc, s[4:5]
	v_mad_u32_u24 v30, v0, 15, 13
	v_cndmask_b32_e64 v1, 0, 1, s[4:5]
	v_cmp_gt_u64_e32 vcc, s[8:9], v[30:31]
	v_cmp_neq_f64_e64 s[4:5], v[6:7], v[8:9]
	s_and_b64 s[4:5], vcc, s[4:5]
	v_mad_u32_u24 v30, v0, 15, 12
	v_cndmask_b32_e64 v72, 0, 1, s[4:5]
	v_cmp_gt_u64_e32 vcc, s[8:9], v[30:31]
	v_cmp_neq_f64_e64 s[4:5], v[4:5], v[6:7]
	s_and_b64 s[4:5], vcc, s[4:5]
	v_mad_u32_u24 v30, v0, 15, 11
	v_cndmask_b32_e64 v73, 0, 1, s[4:5]
	v_cmp_gt_u64_e32 vcc, s[8:9], v[30:31]
	v_cmp_neq_f64_e64 s[4:5], v[2:3], v[4:5]
	s_and_b64 s[4:5], vcc, s[4:5]
	v_mad_u32_u24 v30, v0, 15, 10
	v_cndmask_b32_e64 v74, 0, 1, s[4:5]
	v_cmp_gt_u64_e32 vcc, s[8:9], v[30:31]
	v_cmp_neq_f64_e64 s[4:5], v[12:13], v[2:3]
	s_and_b64 s[4:5], vcc, s[4:5]
	v_mad_u32_u24 v30, v0, 15, 9
	v_cndmask_b32_e64 v75, 0, 1, s[4:5]
	v_cmp_gt_u64_e32 vcc, s[8:9], v[30:31]
	v_cmp_neq_f64_e64 s[4:5], v[10:11], v[12:13]
	s_and_b64 s[4:5], vcc, s[4:5]
	v_mad_u32_u24 v30, v0, 15, 8
	v_cndmask_b32_e64 v76, 0, 1, s[4:5]
	v_cmp_gt_u64_e32 vcc, s[8:9], v[30:31]
	v_cmp_neq_f64_e64 s[4:5], v[16:17], v[10:11]
	s_and_b64 s[4:5], vcc, s[4:5]
	v_mad_u32_u24 v30, v0, 15, 7
	v_cndmask_b32_e64 v77, 0, 1, s[4:5]
	v_cmp_gt_u64_e32 vcc, s[8:9], v[30:31]
	v_cmp_neq_f64_e64 s[4:5], v[14:15], v[16:17]
	s_and_b64 s[4:5], vcc, s[4:5]
	v_mad_u32_u24 v30, v0, 15, 6
	v_cndmask_b32_e64 v78, 0, 1, s[4:5]
	v_cmp_gt_u64_e32 vcc, s[8:9], v[30:31]
	v_cmp_neq_f64_e64 s[4:5], v[20:21], v[14:15]
	s_and_b64 s[4:5], vcc, s[4:5]
	v_mad_u32_u24 v30, v0, 15, 5
	v_cndmask_b32_e64 v79, 0, 1, s[4:5]
	v_cmp_gt_u64_e32 vcc, s[8:9], v[30:31]
	v_cmp_neq_f64_e64 s[4:5], v[18:19], v[20:21]
	s_and_b64 s[4:5], vcc, s[4:5]
	v_mad_u32_u24 v30, v0, 15, 4
	v_cndmask_b32_e64 v80, 0, 1, s[4:5]
	v_cmp_gt_u64_e32 vcc, s[8:9], v[30:31]
	v_cmp_neq_f64_e64 s[4:5], v[24:25], v[18:19]
	s_and_b64 s[4:5], vcc, s[4:5]
	v_mad_u32_u24 v30, v0, 15, 3
	v_cndmask_b32_e64 v81, 0, 1, s[4:5]
	v_cmp_gt_u64_e32 vcc, s[8:9], v[30:31]
	v_cmp_neq_f64_e64 s[4:5], v[22:23], v[24:25]
	s_and_b64 s[4:5], vcc, s[4:5]
	v_mad_u32_u24 v30, v0, 15, 2
	v_cndmask_b32_e64 v82, 0, 1, s[4:5]
	v_cmp_gt_u64_e32 vcc, s[8:9], v[30:31]
	v_cmp_neq_f64_e64 s[4:5], v[28:29], v[22:23]
	s_and_b64 s[4:5], vcc, s[4:5]
	v_mad_u32_u24 v30, v0, 15, 1
	v_cndmask_b32_e64 v83, 0, 1, s[4:5]
	v_cmp_gt_u64_e32 vcc, s[8:9], v[30:31]
	v_cmp_neq_f64_e64 s[4:5], v[26:27], v[28:29]
	s_and_b64 s[4:5], vcc, s[4:5]
	v_lshlrev_b32_e32 v32, 3, v0
	s_mov_b32 s3, 1
	v_cndmask_b32_e64 v84, 0, 1, s[4:5]
	v_cmp_ne_u32_e32 vcc, 0, v0
	ds_write_b64 v32, v[46:47]
	s_waitcnt lgkmcnt(0)
	s_barrier
	s_waitcnt lgkmcnt(0)
                                        ; implicit-def: $sgpr4_sgpr5
	s_and_saveexec_b64 s[10:11], vcc
	s_cbranch_execz .LBB323_140
; %bb.54:
	v_add_u32_e32 v30, -8, v32
	ds_read_b64 v[32:33], v30
	v_mul_u32_u24_e32 v30, 15, v0
	v_cmp_gt_u64_e32 vcc, s[8:9], v[30:31]
	s_or_b64 s[6:7], s[6:7], exec
	s_waitcnt lgkmcnt(0)
	v_cmp_neq_f64_e64 s[4:5], v[32:33], v[26:27]
	s_and_b64 s[4:5], vcc, s[4:5]
	s_and_b64 s[4:5], s[4:5], exec
	s_or_b64 exec, exec, s[10:11]
.LBB323_55:
	v_mov_b32_e32 v85, s3
	s_and_saveexec_b64 s[8:9], s[6:7]
.LBB323_56:
	v_cndmask_b32_e64 v85, 0, 1, s[4:5]
.LBB323_57:
	s_or_b64 exec, exec, s[8:9]
	s_load_dwordx4 s[40:43], s[0:1], 0x20
	s_load_dwordx2 s[44:45], s[0:1], 0x30
	s_cmp_eq_u64 s[38:39], 0
	v_add3_u32 v30, v84, v85, v83
	s_cselect_b64 s[38:39], -1, 0
	s_cmp_lg_u32 s2, 0
	v_cmp_eq_u32_e64 s[24:25], 0, v84
	v_cmp_eq_u32_e64 s[22:23], 0, v83
	;; [unrolled: 1-line block ×3, first 2 shown]
	v_add3_u32 v87, v30, v82, v81
	v_cmp_eq_u32_e64 s[18:19], 0, v81
	v_cmp_eq_u32_e64 s[16:17], 0, v80
	;; [unrolled: 1-line block ×10, first 2 shown]
	v_cmp_eq_u32_e32 vcc, 0, v1
	v_mbcnt_lo_u32_b32 v86, -1, 0
	v_lshrrev_b32_e32 v70, 6, v0
	v_or_b32_e32 v71, 63, v0
	s_cbranch_scc0 .LBB323_88
; %bb.58:
	v_cndmask_b32_e64 v30, 0, v68, s[24:25]
	v_add_u32_e32 v30, v30, v68
	v_cndmask_b32_e64 v30, 0, v30, s[22:23]
	v_add_u32_e32 v30, v30, v68
	;; [unrolled: 2-line block ×11, first 2 shown]
	v_cndmask_b32_e64 v30, 0, v30, s[28:29]
	v_add3_u32 v31, v87, v80, v79
	v_add_u32_e32 v30, v30, v68
	v_add3_u32 v31, v31, v78, v77
	v_cndmask_b32_e64 v30, 0, v30, s[0:1]
	v_add3_u32 v31, v31, v76, v75
	v_add_u32_e32 v30, v30, v68
	v_add3_u32 v31, v31, v74, v73
	v_cndmask_b32_e32 v30, 0, v30, vcc
	v_add3_u32 v31, v31, v72, v1
	v_add_u32_e32 v30, v30, v69
	v_mbcnt_hi_u32_b32 v39, -1, v86
	v_and_b32_e32 v32, 15, v39
	v_mov_b32_dpp v34, v30 row_shr:1 row_mask:0xf bank_mask:0xf
	v_cmp_eq_u32_e32 vcc, 0, v31
	v_mov_b32_dpp v33, v31 row_shr:1 row_mask:0xf bank_mask:0xf
	v_cmp_lt_u32_e64 s[26:27], 1, v32
	v_cndmask_b32_e32 v34, 0, v34, vcc
	v_cmp_eq_u32_e32 vcc, 0, v32
	s_nop 1
	v_cndmask_b32_e64 v33, v33, 0, vcc
	v_add_u32_e32 v31, v33, v31
	v_cndmask_b32_e64 v33, v34, 0, vcc
	v_add_u32_e32 v30, v33, v30
	v_cmp_eq_u32_e32 vcc, 0, v31
	v_mov_b32_dpp v33, v31 row_shr:2 row_mask:0xf bank_mask:0xf
	v_mov_b32_dpp v34, v30 row_shr:2 row_mask:0xf bank_mask:0xf
	v_cndmask_b32_e64 v33, 0, v33, s[26:27]
	s_and_b64 vcc, s[26:27], vcc
	v_cndmask_b32_e32 v34, 0, v34, vcc
	v_add_u32_e32 v31, v31, v33
	v_add_u32_e32 v30, v34, v30
	v_cmp_eq_u32_e32 vcc, 0, v31
	v_mov_b32_dpp v33, v31 row_shr:4 row_mask:0xf bank_mask:0xf
	v_cmp_lt_u32_e64 s[26:27], 3, v32
	v_mov_b32_dpp v34, v30 row_shr:4 row_mask:0xf bank_mask:0xf
	s_and_b64 vcc, s[26:27], vcc
	v_cndmask_b32_e64 v33, 0, v33, s[26:27]
	v_cndmask_b32_e32 v34, 0, v34, vcc
	v_add_u32_e32 v31, v33, v31
	v_add_u32_e32 v30, v30, v34
	v_cmp_eq_u32_e32 vcc, 0, v31
	v_cmp_lt_u32_e64 s[26:27], 7, v32
	v_mov_b32_dpp v33, v31 row_shr:8 row_mask:0xf bank_mask:0xf
	v_mov_b32_dpp v34, v30 row_shr:8 row_mask:0xf bank_mask:0xf
	s_and_b64 vcc, s[26:27], vcc
	v_cndmask_b32_e64 v32, 0, v33, s[26:27]
	v_cndmask_b32_e32 v33, 0, v34, vcc
	v_add_u32_e32 v30, v33, v30
	v_add_u32_e32 v31, v32, v31
	v_bfe_i32 v34, v39, 4, 1
	v_mov_b32_dpp v33, v30 row_bcast:15 row_mask:0xf bank_mask:0xf
	v_mov_b32_dpp v32, v31 row_bcast:15 row_mask:0xf bank_mask:0xf
	v_cmp_eq_u32_e32 vcc, 0, v31
	v_and_b32_e32 v32, v34, v32
	v_add_u32_e32 v31, v32, v31
	v_cndmask_b32_e32 v33, 0, v33, vcc
	v_and_b32_e32 v32, v34, v33
	v_add_u32_e32 v32, v32, v30
	v_mov_b32_dpp v30, v31 row_bcast:31 row_mask:0xf bank_mask:0xf
	v_cmp_eq_u32_e32 vcc, 0, v31
	v_cmp_lt_u32_e64 s[26:27], 31, v39
	v_mov_b32_dpp v33, v32 row_bcast:31 row_mask:0xf bank_mask:0xf
	s_and_b64 vcc, s[26:27], vcc
	v_cndmask_b32_e64 v30, 0, v30, s[26:27]
	v_add_u32_e32 v30, v30, v31
	v_cndmask_b32_e32 v31, 0, v33, vcc
	v_add_u32_e32 v31, v31, v32
	v_cmp_eq_u32_e32 vcc, v71, v0
	v_lshlrev_b32_e32 v32, 3, v70
	s_and_saveexec_b64 s[26:27], vcc
	s_cbranch_execz .LBB323_60
; %bb.59:
	ds_write_b64 v32, v[30:31] offset:8208
.LBB323_60:
	s_or_b64 exec, exec, s[26:27]
	v_cmp_gt_u32_e32 vcc, 8, v0
	s_waitcnt lgkmcnt(0)
	s_barrier
	s_and_saveexec_b64 s[30:31], vcc
	s_cbranch_execz .LBB323_62
; %bb.61:
	v_lshlrev_b32_e32 v33, 3, v0
	ds_read_b64 v[34:35], v33 offset:8208
	v_and_b32_e32 v36, 7, v39
	v_cmp_lt_u32_e64 s[26:27], 1, v36
	s_waitcnt lgkmcnt(0)
	v_mov_b32_dpp v38, v35 row_shr:1 row_mask:0xf bank_mask:0xf
	v_cmp_eq_u32_e32 vcc, 0, v34
	v_mov_b32_dpp v37, v34 row_shr:1 row_mask:0xf bank_mask:0xf
	s_nop 0
	v_cndmask_b32_e32 v38, 0, v38, vcc
	v_cmp_eq_u32_e32 vcc, 0, v36
	s_nop 1
	v_cndmask_b32_e64 v37, v37, 0, vcc
	v_add_u32_e32 v34, v37, v34
	v_cndmask_b32_e64 v37, v38, 0, vcc
	v_add_u32_e32 v35, v37, v35
	v_cmp_eq_u32_e32 vcc, 0, v34
	v_mov_b32_dpp v37, v34 row_shr:2 row_mask:0xf bank_mask:0xf
	v_mov_b32_dpp v38, v35 row_shr:2 row_mask:0xf bank_mask:0xf
	v_cndmask_b32_e64 v37, 0, v37, s[26:27]
	s_and_b64 vcc, s[26:27], vcc
	v_cndmask_b32_e32 v38, 0, v38, vcc
	v_add_u32_e32 v34, v37, v34
	v_add_u32_e32 v35, v38, v35
	v_cmp_eq_u32_e32 vcc, 0, v34
	v_mov_b32_dpp v37, v34 row_shr:4 row_mask:0xf bank_mask:0xf
	v_cmp_lt_u32_e64 s[26:27], 3, v36
	v_mov_b32_dpp v38, v35 row_shr:4 row_mask:0xf bank_mask:0xf
	s_and_b64 vcc, s[26:27], vcc
	v_cndmask_b32_e64 v36, 0, v37, s[26:27]
	v_add_u32_e32 v34, v36, v34
	v_cndmask_b32_e32 v36, 0, v38, vcc
	v_add_u32_e32 v35, v36, v35
	ds_write_b64 v33, v[34:35] offset:8208
.LBB323_62:
	s_or_b64 exec, exec, s[30:31]
	v_cmp_gt_u32_e32 vcc, 64, v0
	v_cmp_lt_u32_e64 s[26:27], 63, v0
	v_mov_b32_e32 v36, 0
	v_mov_b32_e32 v37, 0
	s_waitcnt lgkmcnt(0)
	s_barrier
	s_and_saveexec_b64 s[30:31], s[26:27]
	s_cbranch_execz .LBB323_64
; %bb.63:
	ds_read_b64 v[36:37], v32 offset:8200
	v_cmp_eq_u32_e64 s[26:27], 0, v30
	s_waitcnt lgkmcnt(0)
	v_add_u32_e32 v32, v36, v30
	v_cndmask_b32_e64 v30, 0, v37, s[26:27]
	v_add_u32_e32 v31, v30, v31
	v_mov_b32_e32 v30, v32
.LBB323_64:
	s_or_b64 exec, exec, s[30:31]
	v_add_u32_e32 v32, -1, v39
	v_and_b32_e32 v33, 64, v39
	v_cmp_lt_i32_e64 s[26:27], v32, v33
	s_nop 1
	v_cndmask_b32_e64 v32, v32, v39, s[26:27]
	v_lshlrev_b32_e32 v32, 2, v32
	ds_bpermute_b32 v44, v32, v30
	ds_bpermute_b32 v45, v32, v31
	v_cmp_eq_u32_e64 s[26:27], 0, v39
	s_and_saveexec_b64 s[52:53], vcc
	s_cbranch_execz .LBB323_87
; %bb.65:
	v_mov_b32_e32 v35, 0
	ds_read_b64 v[30:31], v35 offset:8264
	s_waitcnt lgkmcnt(0)
	v_readfirstlane_b32 s3, v30
	v_readfirstlane_b32 s56, v31
	s_and_saveexec_b64 s[30:31], s[26:27]
	s_cbranch_execz .LBB323_67
; %bb.66:
	s_add_i32 s54, s2, 64
	s_mov_b32 s55, 0
	s_lshl_b64 s[58:59], s[54:55], 4
	s_add_u32 s58, s36, s58
	s_addc_u32 s59, s37, s59
	s_and_b32 s61, s56, 0xff000000
	s_mov_b32 s60, s55
	s_and_b32 s63, s56, 0xff0000
	s_mov_b32 s62, s55
	s_or_b64 s[60:61], s[62:63], s[60:61]
	s_and_b32 s63, s56, 0xff00
	s_or_b64 s[60:61], s[60:61], s[62:63]
	s_and_b32 s63, s56, 0xff
	s_or_b64 s[54:55], s[60:61], s[62:63]
	v_mov_b32_e32 v32, s3
	v_mov_b32_e32 v33, s55
	;; [unrolled: 1-line block ×3, first 2 shown]
	v_mov_b64_e32 v[30:31], s[58:59]
	;;#ASMSTART
	global_store_dwordx4 v[30:31], v[32:35] off sc1	
s_waitcnt vmcnt(0)
	;;#ASMEND
.LBB323_67:
	s_or_b64 exec, exec, s[30:31]
	v_xad_u32 v38, v39, -1, s2
	v_add_u32_e32 v34, 64, v38
	v_lshl_add_u64 v[40:41], v[34:35], 4, s[36:37]
	;;#ASMSTART
	global_load_dwordx4 v[30:33], v[40:41] off sc1	
s_waitcnt vmcnt(0)
	;;#ASMEND
	s_nop 0
	v_and_b32_e32 v33, 0xff, v31
	v_and_b32_e32 v34, 0xff00, v31
	v_or3_b32 v30, v30, 0, 0
	v_and_b32_e32 v42, 0xff000000, v31
	v_or3_b32 v33, 0, v33, v34
	;; [unrolled: 2-line block ×3, first 2 shown]
	v_or3_b32 v30, v30, 0, 0
	v_cmp_eq_u16_sdwa s[54:55], v32, v35 src0_sel:BYTE_0 src1_sel:DWORD
	s_and_saveexec_b64 s[30:31], s[54:55]
	s_cbranch_execz .LBB323_73
; %bb.68:
	s_mov_b32 s57, 1
	s_mov_b64 s[54:55], 0
	v_mov_b32_e32 v34, 0
.LBB323_69:                             ; =>This Loop Header: Depth=1
                                        ;     Child Loop BB323_70 Depth 2
	s_max_u32 s58, s57, 1
.LBB323_70:                             ;   Parent Loop BB323_69 Depth=1
                                        ; =>  This Inner Loop Header: Depth=2
	s_add_i32 s58, s58, -1
	s_cmp_eq_u32 s58, 0
	s_sleep 1
	s_cbranch_scc0 .LBB323_70
; %bb.71:                               ;   in Loop: Header=BB323_69 Depth=1
	s_cmp_lt_u32 s57, 32
	s_cselect_b64 s[58:59], -1, 0
	s_cmp_lg_u64 s[58:59], 0
	s_addc_u32 s57, s57, 0
	;;#ASMSTART
	global_load_dwordx4 v[30:33], v[40:41] off sc1	
s_waitcnt vmcnt(0)
	;;#ASMEND
	s_nop 0
	v_cmp_ne_u16_sdwa s[58:59], v32, v34 src0_sel:BYTE_0 src1_sel:DWORD
	s_or_b64 s[54:55], s[58:59], s[54:55]
	s_andn2_b64 exec, exec, s[54:55]
	s_cbranch_execnz .LBB323_69
; %bb.72:
	s_or_b64 exec, exec, s[54:55]
.LBB323_73:
	s_or_b64 exec, exec, s[30:31]
	v_mov_b32_e32 v48, 2
	v_cmp_eq_u16_sdwa s[30:31], v32, v48 src0_sel:BYTE_0 src1_sel:DWORD
	v_lshlrev_b64 v[40:41], v39, -1
	v_and_b32_e32 v49, 63, v39
	v_and_b32_e32 v33, s31, v41
	v_or_b32_e32 v33, 0x80000000, v33
	v_cmp_ne_u32_e32 vcc, 63, v49
	v_and_b32_e32 v34, s30, v40
	v_ffbl_b32_e32 v33, v33
	v_addc_co_u32_e32 v35, vcc, 0, v39, vcc
	v_add_u32_e32 v33, 32, v33
	v_ffbl_b32_e32 v34, v34
	v_lshlrev_b32_e32 v50, 2, v35
	v_min_u32_e32 v33, v34, v33
	ds_bpermute_b32 v34, v50, v31
	v_cmp_eq_u32_e32 vcc, 0, v30
	v_cmp_lt_u32_e64 s[30:31], v49, v33
	ds_bpermute_b32 v35, v50, v30
	s_and_b64 vcc, s[30:31], vcc
	s_waitcnt lgkmcnt(1)
	v_cndmask_b32_e32 v34, 0, v34, vcc
	v_cmp_gt_u32_e32 vcc, 62, v49
	v_add_u32_e32 v31, v34, v31
	s_waitcnt lgkmcnt(0)
	v_cndmask_b32_e64 v35, 0, v35, s[30:31]
	v_cndmask_b32_e64 v34, 0, 1, vcc
	v_lshlrev_b32_e32 v34, 1, v34
	v_add_lshl_u32 v51, v34, v39, 2
	ds_bpermute_b32 v34, v51, v31
	v_add_u32_e32 v30, v35, v30
	ds_bpermute_b32 v35, v51, v30
	v_add_u32_e32 v52, 2, v49
	v_cmp_eq_u32_e32 vcc, 0, v30
	v_add_u32_e32 v54, 4, v49
	v_add_u32_e32 v56, 8, v49
	s_waitcnt lgkmcnt(1)
	v_cndmask_b32_e32 v34, 0, v34, vcc
	v_cmp_gt_u32_e32 vcc, v52, v33
	v_add_u32_e32 v58, 16, v49
	v_add_u32_e32 v60, 32, v49
	v_cndmask_b32_e64 v34, v34, 0, vcc
	v_add_u32_e32 v31, v34, v31
	s_waitcnt lgkmcnt(0)
	v_cndmask_b32_e64 v34, v35, 0, vcc
	v_cmp_gt_u32_e32 vcc, 60, v49
	v_add_u32_e32 v30, v30, v34
	s_nop 0
	v_cndmask_b32_e64 v35, 0, 1, vcc
	v_lshlrev_b32_e32 v35, 2, v35
	v_add_lshl_u32 v53, v35, v39, 2
	ds_bpermute_b32 v35, v53, v31
	ds_bpermute_b32 v34, v53, v30
	v_cmp_eq_u32_e32 vcc, 0, v30
	s_waitcnt lgkmcnt(1)
	s_nop 0
	v_cndmask_b32_e32 v35, 0, v35, vcc
	v_cmp_gt_u32_e32 vcc, v54, v33
	s_nop 1
	v_cndmask_b32_e64 v35, v35, 0, vcc
	s_waitcnt lgkmcnt(0)
	v_cndmask_b32_e64 v34, v34, 0, vcc
	v_cmp_gt_u32_e32 vcc, 56, v49
	v_add_u32_e32 v31, v31, v35
	v_add_u32_e32 v30, v30, v34
	v_cndmask_b32_e64 v35, 0, 1, vcc
	v_lshlrev_b32_e32 v35, 3, v35
	v_add_lshl_u32 v55, v35, v39, 2
	ds_bpermute_b32 v35, v55, v31
	ds_bpermute_b32 v34, v55, v30
	v_cmp_eq_u32_e32 vcc, 0, v30
	s_waitcnt lgkmcnt(1)
	s_nop 0
	v_cndmask_b32_e32 v35, 0, v35, vcc
	v_cmp_gt_u32_e32 vcc, v56, v33
	s_nop 1
	v_cndmask_b32_e64 v35, v35, 0, vcc
	s_waitcnt lgkmcnt(0)
	v_cndmask_b32_e64 v34, v34, 0, vcc
	v_cmp_gt_u32_e32 vcc, 48, v49
	v_add_u32_e32 v31, v31, v35
	v_add_u32_e32 v30, v30, v34
	;; [unrolled: 17-line block ×3, first 2 shown]
	v_cndmask_b32_e64 v35, 0, 1, vcc
	v_lshlrev_b32_e32 v35, 5, v35
	v_add_lshl_u32 v59, v35, v39, 2
	ds_bpermute_b32 v35, v59, v31
	ds_bpermute_b32 v34, v59, v30
	v_cmp_eq_u32_e32 vcc, 0, v30
	v_mov_b32_e32 v39, 0
	s_waitcnt lgkmcnt(1)
	v_cndmask_b32_e32 v35, 0, v35, vcc
	v_cmp_gt_u32_e32 vcc, v60, v33
	s_nop 1
	v_cndmask_b32_e64 v33, v35, 0, vcc
	v_add_u32_e32 v31, v33, v31
	s_waitcnt lgkmcnt(0)
	v_cndmask_b32_e64 v33, v34, 0, vcc
	v_add_u32_e32 v30, v33, v30
	s_branch .LBB323_75
.LBB323_74:                             ;   in Loop: Header=BB323_75 Depth=1
	s_or_b64 exec, exec, s[30:31]
	v_cmp_eq_u16_sdwa s[30:31], v32, v48 src0_sel:BYTE_0 src1_sel:DWORD
	v_cmp_eq_u32_e32 vcc, 0, v30
	ds_bpermute_b32 v43, v50, v30
	v_and_b32_e32 v33, s31, v41
	v_or_b32_e32 v33, 0x80000000, v33
	v_and_b32_e32 v42, s30, v40
	v_ffbl_b32_e32 v33, v33
	v_add_u32_e32 v33, 32, v33
	v_ffbl_b32_e32 v42, v42
	v_min_u32_e32 v33, v42, v33
	ds_bpermute_b32 v42, v50, v31
	v_cmp_lt_u32_e64 s[30:31], v49, v33
	s_and_b64 vcc, s[30:31], vcc
	v_subrev_u32_e32 v38, 64, v38
	s_waitcnt lgkmcnt(1)
	v_cndmask_b32_e64 v43, 0, v43, s[30:31]
	s_waitcnt lgkmcnt(0)
	v_cndmask_b32_e32 v42, 0, v42, vcc
	v_add_u32_e32 v31, v42, v31
	ds_bpermute_b32 v42, v51, v31
	v_add_u32_e32 v30, v43, v30
	v_cmp_eq_u32_e32 vcc, 0, v30
	ds_bpermute_b32 v43, v51, v30
	s_waitcnt lgkmcnt(1)
	v_cndmask_b32_e32 v42, 0, v42, vcc
	v_cmp_gt_u32_e32 vcc, v52, v33
	s_nop 1
	v_cndmask_b32_e64 v42, v42, 0, vcc
	v_add_u32_e32 v31, v42, v31
	ds_bpermute_b32 v42, v53, v31
	s_waitcnt lgkmcnt(1)
	v_cndmask_b32_e64 v43, v43, 0, vcc
	v_add_u32_e32 v30, v30, v43
	v_cmp_eq_u32_e32 vcc, 0, v30
	ds_bpermute_b32 v43, v53, v30
	s_waitcnt lgkmcnt(1)
	v_cndmask_b32_e32 v42, 0, v42, vcc
	v_cmp_gt_u32_e32 vcc, v54, v33
	s_nop 1
	v_cndmask_b32_e64 v42, v42, 0, vcc
	v_add_u32_e32 v31, v31, v42
	ds_bpermute_b32 v42, v55, v31
	s_waitcnt lgkmcnt(1)
	v_cndmask_b32_e64 v43, v43, 0, vcc
	v_add_u32_e32 v30, v30, v43
	ds_bpermute_b32 v43, v55, v30
	v_cmp_eq_u32_e32 vcc, 0, v30
	s_waitcnt lgkmcnt(1)
	s_nop 0
	v_cndmask_b32_e32 v42, 0, v42, vcc
	v_cmp_gt_u32_e32 vcc, v56, v33
	s_nop 1
	v_cndmask_b32_e64 v42, v42, 0, vcc
	v_add_u32_e32 v31, v31, v42
	ds_bpermute_b32 v42, v57, v31
	s_waitcnt lgkmcnt(1)
	v_cndmask_b32_e64 v43, v43, 0, vcc
	v_add_u32_e32 v30, v30, v43
	ds_bpermute_b32 v43, v57, v30
	v_cmp_eq_u32_e32 vcc, 0, v30
	s_waitcnt lgkmcnt(1)
	s_nop 0
	;; [unrolled: 13-line block ×3, first 2 shown]
	v_cndmask_b32_e32 v42, 0, v42, vcc
	v_cmp_gt_u32_e32 vcc, v60, v33
	s_nop 1
	v_cndmask_b32_e64 v33, v42, 0, vcc
	v_add_u32_e32 v31, v33, v31
	s_waitcnt lgkmcnt(0)
	v_cndmask_b32_e64 v33, v43, 0, vcc
	v_cmp_eq_u32_e32 vcc, 0, v34
	v_add3_u32 v30, v30, v34, v33
	s_nop 0
	v_cndmask_b32_e32 v31, 0, v31, vcc
	v_add_u32_e32 v31, v31, v35
.LBB323_75:                             ; =>This Loop Header: Depth=1
                                        ;     Child Loop BB323_78 Depth 2
                                        ;       Child Loop BB323_79 Depth 3
	v_cmp_ne_u16_sdwa s[30:31], v32, v48 src0_sel:BYTE_0 src1_sel:DWORD
	v_mov_b32_e32 v35, v31
	v_mov_b32_e32 v34, v30
	v_cndmask_b32_e64 v31, 0, 1, s[30:31]
	;;#ASMSTART
	;;#ASMEND
	s_nop 0
	v_cmp_ne_u32_e32 vcc, 0, v31
	s_cmp_lg_u64 vcc, exec
	s_cbranch_scc1 .LBB323_82
; %bb.76:                               ;   in Loop: Header=BB323_75 Depth=1
	v_lshl_add_u64 v[42:43], v[38:39], 4, s[36:37]
	;;#ASMSTART
	global_load_dwordx4 v[30:33], v[42:43] off sc1	
s_waitcnt vmcnt(0)
	;;#ASMEND
	s_nop 0
	v_and_b32_e32 v33, 0xff, v31
	v_and_b32_e32 v61, 0xff00, v31
	v_or3_b32 v30, v30, 0, 0
	v_and_b32_e32 v62, 0xff000000, v31
	v_or3_b32 v33, 0, v33, v61
	v_and_b32_e32 v31, 0xff0000, v31
	v_or3_b32 v31, v33, v31, v62
	v_or3_b32 v30, v30, 0, 0
	v_cmp_eq_u16_sdwa s[54:55], v32, v39 src0_sel:BYTE_0 src1_sel:DWORD
	s_and_saveexec_b64 s[30:31], s[54:55]
	s_cbranch_execz .LBB323_74
; %bb.77:                               ;   in Loop: Header=BB323_75 Depth=1
	s_mov_b32 s57, 1
	s_mov_b64 s[54:55], 0
.LBB323_78:                             ;   Parent Loop BB323_75 Depth=1
                                        ; =>  This Loop Header: Depth=2
                                        ;       Child Loop BB323_79 Depth 3
	s_max_u32 s58, s57, 1
.LBB323_79:                             ;   Parent Loop BB323_75 Depth=1
                                        ;     Parent Loop BB323_78 Depth=2
                                        ; =>    This Inner Loop Header: Depth=3
	s_add_i32 s58, s58, -1
	s_cmp_eq_u32 s58, 0
	s_sleep 1
	s_cbranch_scc0 .LBB323_79
; %bb.80:                               ;   in Loop: Header=BB323_78 Depth=2
	s_cmp_lt_u32 s57, 32
	s_cselect_b64 s[58:59], -1, 0
	s_cmp_lg_u64 s[58:59], 0
	s_addc_u32 s57, s57, 0
	;;#ASMSTART
	global_load_dwordx4 v[30:33], v[42:43] off sc1	
s_waitcnt vmcnt(0)
	;;#ASMEND
	s_nop 0
	v_cmp_ne_u16_sdwa s[58:59], v32, v39 src0_sel:BYTE_0 src1_sel:DWORD
	s_or_b64 s[54:55], s[58:59], s[54:55]
	s_andn2_b64 exec, exec, s[54:55]
	s_cbranch_execnz .LBB323_78
; %bb.81:                               ;   in Loop: Header=BB323_75 Depth=1
	s_or_b64 exec, exec, s[54:55]
	s_branch .LBB323_74
.LBB323_82:                             ;   in Loop: Header=BB323_75 Depth=1
                                        ; implicit-def: $vgpr31
                                        ; implicit-def: $vgpr30
                                        ; implicit-def: $vgpr32
	s_cbranch_execz .LBB323_75
; %bb.83:
	s_and_saveexec_b64 s[30:31], s[26:27]
	s_cbranch_execz .LBB323_85
; %bb.84:
	s_cmp_eq_u32 s3, 0
	s_cselect_b64 vcc, -1, 0
	s_mov_b32 s55, 0
	v_cndmask_b32_e32 v30, 0, v35, vcc
	s_add_i32 s54, s2, 64
	v_add_u32_e32 v30, s56, v30
	s_lshl_b64 s[54:55], s[54:55], 4
	s_add_u32 s54, s36, s54
	v_and_b32_e32 v31, 0xff000000, v30
	v_and_b32_e32 v32, 0xff0000, v30
	s_addc_u32 s55, s37, s55
	v_or_b32_e32 v31, v32, v31
	v_and_b32_e32 v32, 0xff00, v30
	v_and_b32_e32 v30, 0xff, v30
	v_add_u32_e32 v38, s3, v34
	v_mov_b32_e32 v41, 0
	v_or3_b32 v39, v31, v32, v30
	v_mov_b32_e32 v40, 2
	v_mov_b64_e32 v[30:31], s[54:55]
	;;#ASMSTART
	global_store_dwordx4 v[30:31], v[38:41] off sc1	
s_waitcnt vmcnt(0)
	;;#ASMEND
	v_mov_b32_e32 v32, s3
	v_mov_b32_e32 v33, s56
	ds_write_b128 v41, v[32:35] offset:8192
.LBB323_85:
	s_or_b64 exec, exec, s[30:31]
	v_cmp_eq_u32_e32 vcc, 0, v0
	s_and_b64 exec, exec, vcc
	s_cbranch_execz .LBB323_87
; %bb.86:
	v_mov_b32_e32 v30, 0
	ds_write_b64 v30, v[34:35] offset:8264
.LBB323_87:
	s_or_b64 exec, exec, s[52:53]
	v_mov_b32_e32 v32, 0
	s_waitcnt lgkmcnt(0)
	s_barrier
	ds_read_b64 v[30:31], v32 offset:8264
	v_cndmask_b32_e64 v34, v44, v36, s[26:27]
	v_cmp_eq_u32_e32 vcc, 0, v34
	v_cndmask_b32_e64 v33, v45, v37, s[26:27]
	s_waitcnt lgkmcnt(0)
	v_cndmask_b32_e32 v35, 0, v31, vcc
	v_add_u32_e32 v33, v35, v33
	v_cmp_eq_u32_e32 vcc, 0, v0
	s_barrier
	s_nop 0
	v_cndmask_b32_e32 v67, v33, v31, vcc
	v_cndmask_b32_e64 v31, v34, 0, vcc
	v_cmp_eq_u32_e32 vcc, 0, v85
	v_add_u32_e32 v66, v30, v31
	v_add_u32_e32 v64, v66, v85
	v_cndmask_b32_e32 v30, 0, v67, vcc
	v_add_u32_e32 v65, v30, v68
	v_cndmask_b32_e64 v30, 0, v65, s[24:25]
	v_add_u32_e32 v63, v30, v68
	v_cndmask_b32_e64 v30, 0, v63, s[22:23]
	;; [unrolled: 2-line block ×8, first 2 shown]
	v_add_u32_e32 v49, v30, v68
	v_add_u32_e32 v62, v64, v84
	v_cndmask_b32_e64 v30, 0, v49, s[8:9]
	v_add_u32_e32 v60, v62, v83
	v_add_u32_e32 v45, v30, v68
	v_add_u32_e32 v58, v60, v82
	v_cndmask_b32_e64 v30, 0, v45, s[6:7]
	v_add_u32_e32 v56, v58, v81
	;; [unrolled: 4-line block ×3, first 2 shown]
	v_add_u32_e32 v41, v30, v68
	ds_read_b128 v[30:33], v32 offset:8192
	v_add_u32_e32 v50, v52, v78
	v_add_u32_e32 v48, v50, v77
	;; [unrolled: 1-line block ×4, first 2 shown]
	v_cndmask_b32_e64 v34, 0, v41, s[28:29]
	v_add_u32_e32 v40, v42, v74
	v_add_u32_e32 v37, v34, v68
	s_waitcnt lgkmcnt(0)
	v_cmp_eq_u32_e32 vcc, 0, v30
	v_add_u32_e32 v36, v40, v73
	v_cndmask_b32_e64 v34, 0, v37, s[0:1]
	v_cndmask_b32_e32 v33, 0, v33, vcc
	v_add_u32_e32 v38, v36, v72
	v_add_u32_e32 v39, v34, v68
	;; [unrolled: 1-line block ×3, first 2 shown]
	s_branch .LBB323_100
.LBB323_88:
                                        ; implicit-def: $vgpr30
                                        ; implicit-def: $vgpr34
                                        ; implicit-def: $vgpr38_vgpr39
                                        ; implicit-def: $vgpr36_vgpr37
                                        ; implicit-def: $vgpr40_vgpr41
                                        ; implicit-def: $vgpr42_vgpr43
                                        ; implicit-def: $vgpr66_vgpr67
                                        ; implicit-def: $vgpr64_vgpr65
                                        ; implicit-def: $vgpr62_vgpr63
                                        ; implicit-def: $vgpr60_vgpr61
                                        ; implicit-def: $vgpr58_vgpr59
                                        ; implicit-def: $vgpr56_vgpr57
                                        ; implicit-def: $vgpr54_vgpr55
                                        ; implicit-def: $vgpr52_vgpr53
                                        ; implicit-def: $vgpr50_vgpr51
                                        ; implicit-def: $vgpr48_vgpr49
                                        ; implicit-def: $vgpr44_vgpr45
	s_cbranch_execz .LBB323_100
; %bb.89:
	s_and_b64 s[0:1], s[38:39], exec
	s_cselect_b32 s1, 0, s51
	s_cselect_b32 s0, 0, s50
	s_cmp_eq_u64 s[0:1], 0
	v_mov_b32_e32 v34, v68
	s_cbranch_scc1 .LBB323_91
; %bb.90:
	v_mov_b32_e32 v30, 0
	global_load_dword v34, v30, s[0:1]
.LBB323_91:
	v_cmp_eq_u32_e64 s[0:1], 0, v84
	v_cmp_eq_u32_e64 s[2:3], 0, v83
	v_cmp_eq_u32_e64 s[4:5], 0, v82
	v_cndmask_b32_e64 v30, 0, v68, s[0:1]
	v_add_u32_e32 v30, v30, v68
	v_cndmask_b32_e64 v30, 0, v30, s[2:3]
	v_add_u32_e32 v30, v30, v68
	v_cndmask_b32_e64 v30, 0, v30, s[4:5]
	v_add_u32_e32 v30, v30, v68
	v_cmp_eq_u32_e64 s[6:7], 0, v81
	v_cmp_eq_u32_e64 s[8:9], 0, v80
	v_cmp_eq_u32_e64 s[10:11], 0, v79
	v_cndmask_b32_e64 v30, 0, v30, s[6:7]
	v_add_u32_e32 v30, v30, v68
	v_cndmask_b32_e64 v30, 0, v30, s[8:9]
	v_add_u32_e32 v30, v30, v68
	v_cndmask_b32_e64 v30, 0, v30, s[10:11]
	v_add_u32_e32 v30, v30, v68
	;; [unrolled: 9-line block ×3, first 2 shown]
	v_cmp_eq_u32_e64 s[18:19], 0, v75
	v_cmp_eq_u32_e64 s[20:21], 0, v74
	;; [unrolled: 1-line block ×3, first 2 shown]
	v_cndmask_b32_e64 v30, 0, v30, s[18:19]
	v_add_u32_e32 v30, v30, v68
	v_cndmask_b32_e64 v30, 0, v30, s[20:21]
	v_add_u32_e32 v30, v30, v68
	v_cndmask_b32_e64 v30, 0, v30, s[22:23]
	v_add3_u32 v31, v87, v80, v79
	v_add_u32_e32 v30, v30, v68
	v_cmp_eq_u32_e32 vcc, 0, v72
	v_add3_u32 v31, v31, v78, v77
	v_add3_u32 v31, v31, v76, v75
	v_cndmask_b32_e32 v30, 0, v30, vcc
	v_add_u32_e32 v30, v30, v68
	v_cmp_eq_u32_e64 s[24:25], 0, v1
	v_add3_u32 v31, v31, v74, v73
	v_add3_u32 v31, v31, v72, v1
	v_cndmask_b32_e64 v30, 0, v30, s[24:25]
	v_add_u32_e32 v30, v30, v69
	v_mbcnt_hi_u32_b32 v35, -1, v86
	v_and_b32_e32 v32, 15, v35
	v_mov_b32_dpp v36, v30 row_shr:1 row_mask:0xf bank_mask:0xf
	v_cmp_eq_u32_e64 s[24:25], 0, v31
	v_mov_b32_dpp v33, v31 row_shr:1 row_mask:0xf bank_mask:0xf
	v_cmp_lt_u32_e64 s[26:27], 1, v32
	v_cndmask_b32_e64 v36, 0, v36, s[24:25]
	v_cmp_eq_u32_e64 s[24:25], 0, v32
	s_nop 1
	v_cndmask_b32_e64 v33, v33, 0, s[24:25]
	v_add_u32_e32 v31, v33, v31
	v_cndmask_b32_e64 v33, v36, 0, s[24:25]
	v_add_u32_e32 v30, v33, v30
	v_cmp_eq_u32_e64 s[24:25], 0, v31
	v_mov_b32_dpp v33, v31 row_shr:2 row_mask:0xf bank_mask:0xf
	v_mov_b32_dpp v36, v30 row_shr:2 row_mask:0xf bank_mask:0xf
	v_cndmask_b32_e64 v33, 0, v33, s[26:27]
	s_and_b64 s[24:25], s[26:27], s[24:25]
	v_cndmask_b32_e64 v36, 0, v36, s[24:25]
	v_add_u32_e32 v31, v31, v33
	v_add_u32_e32 v30, v36, v30
	v_cmp_eq_u32_e64 s[24:25], 0, v31
	v_mov_b32_dpp v33, v31 row_shr:4 row_mask:0xf bank_mask:0xf
	v_cmp_lt_u32_e64 s[26:27], 3, v32
	v_mov_b32_dpp v36, v30 row_shr:4 row_mask:0xf bank_mask:0xf
	s_and_b64 s[24:25], s[26:27], s[24:25]
	v_cndmask_b32_e64 v33, 0, v33, s[26:27]
	v_cndmask_b32_e64 v36, 0, v36, s[24:25]
	v_add_u32_e32 v31, v33, v31
	v_add_u32_e32 v30, v30, v36
	v_cmp_eq_u32_e64 s[24:25], 0, v31
	v_cmp_lt_u32_e64 s[26:27], 7, v32
	v_mov_b32_dpp v33, v31 row_shr:8 row_mask:0xf bank_mask:0xf
	v_mov_b32_dpp v36, v30 row_shr:8 row_mask:0xf bank_mask:0xf
	s_and_b64 s[24:25], s[26:27], s[24:25]
	v_cndmask_b32_e64 v32, 0, v33, s[26:27]
	v_cndmask_b32_e64 v33, 0, v36, s[24:25]
	v_add_u32_e32 v30, v33, v30
	v_add_u32_e32 v31, v32, v31
	v_bfe_i32 v36, v35, 4, 1
	v_mov_b32_dpp v33, v30 row_bcast:15 row_mask:0xf bank_mask:0xf
	v_mov_b32_dpp v32, v31 row_bcast:15 row_mask:0xf bank_mask:0xf
	v_cmp_eq_u32_e64 s[24:25], 0, v31
	v_and_b32_e32 v32, v36, v32
	v_add_u32_e32 v31, v32, v31
	v_cndmask_b32_e64 v33, 0, v33, s[24:25]
	v_and_b32_e32 v32, v36, v33
	v_add_u32_e32 v32, v32, v30
	v_mov_b32_dpp v30, v31 row_bcast:31 row_mask:0xf bank_mask:0xf
	v_cmp_eq_u32_e64 s[24:25], 0, v31
	v_cmp_lt_u32_e64 s[26:27], 31, v35
	v_mov_b32_dpp v33, v32 row_bcast:31 row_mask:0xf bank_mask:0xf
	s_and_b64 s[24:25], s[26:27], s[24:25]
	v_cndmask_b32_e64 v30, 0, v30, s[26:27]
	v_add_u32_e32 v30, v30, v31
	v_cndmask_b32_e64 v31, 0, v33, s[24:25]
	v_add_u32_e32 v31, v31, v32
	v_cmp_eq_u32_e64 s[24:25], v71, v0
	s_and_saveexec_b64 s[26:27], s[24:25]
	s_cbranch_execz .LBB323_93
; %bb.92:
	v_lshlrev_b32_e32 v32, 3, v70
	ds_write_b64 v32, v[30:31] offset:8208
.LBB323_93:
	s_or_b64 exec, exec, s[26:27]
	v_cmp_gt_u32_e64 s[24:25], 8, v0
	s_waitcnt lgkmcnt(0)
	s_barrier
	s_and_saveexec_b64 s[28:29], s[24:25]
	s_cbranch_execz .LBB323_95
; %bb.94:
	v_lshlrev_b32_e32 v36, 3, v0
	ds_read_b64 v[32:33], v36 offset:8208
	v_and_b32_e32 v37, 7, v35
	v_cmp_lt_u32_e64 s[26:27], 1, v37
	s_waitcnt lgkmcnt(0)
	v_mov_b32_dpp v39, v33 row_shr:1 row_mask:0xf bank_mask:0xf
	v_cmp_eq_u32_e64 s[24:25], 0, v32
	v_mov_b32_dpp v38, v32 row_shr:1 row_mask:0xf bank_mask:0xf
	s_nop 0
	v_cndmask_b32_e64 v39, 0, v39, s[24:25]
	v_cmp_eq_u32_e64 s[24:25], 0, v37
	s_nop 1
	v_cndmask_b32_e64 v38, v38, 0, s[24:25]
	v_add_u32_e32 v32, v38, v32
	v_cndmask_b32_e64 v38, v39, 0, s[24:25]
	v_add_u32_e32 v33, v38, v33
	v_cmp_eq_u32_e64 s[24:25], 0, v32
	v_mov_b32_dpp v38, v32 row_shr:2 row_mask:0xf bank_mask:0xf
	v_mov_b32_dpp v39, v33 row_shr:2 row_mask:0xf bank_mask:0xf
	v_cndmask_b32_e64 v38, 0, v38, s[26:27]
	s_and_b64 s[24:25], s[26:27], s[24:25]
	v_cndmask_b32_e64 v39, 0, v39, s[24:25]
	v_add_u32_e32 v32, v38, v32
	v_add_u32_e32 v33, v39, v33
	v_cmp_eq_u32_e64 s[24:25], 0, v32
	v_mov_b32_dpp v38, v32 row_shr:4 row_mask:0xf bank_mask:0xf
	v_cmp_lt_u32_e64 s[26:27], 3, v37
	v_mov_b32_dpp v39, v33 row_shr:4 row_mask:0xf bank_mask:0xf
	s_and_b64 s[24:25], s[26:27], s[24:25]
	v_cndmask_b32_e64 v37, 0, v38, s[26:27]
	v_add_u32_e32 v32, v37, v32
	v_cndmask_b32_e64 v37, 0, v39, s[24:25]
	v_add_u32_e32 v33, v37, v33
	ds_write_b64 v36, v[32:33] offset:8208
.LBB323_95:
	s_or_b64 exec, exec, s[28:29]
	v_cmp_lt_u32_e64 s[24:25], 63, v0
	v_mov_b32_e32 v37, 0
	v_mov_b32_e32 v32, 0
	s_waitcnt vmcnt(0)
	v_mov_b32_e32 v33, v34
	s_waitcnt lgkmcnt(0)
	s_barrier
	s_and_saveexec_b64 s[26:27], s[24:25]
	s_cbranch_execz .LBB323_97
; %bb.96:
	v_lshlrev_b32_e32 v32, 3, v70
	ds_read_b64 v[32:33], v32 offset:8200
	s_waitcnt lgkmcnt(0)
	v_cmp_eq_u32_e64 s[24:25], 0, v32
	s_nop 1
	v_cndmask_b32_e64 v36, 0, v34, s[24:25]
	v_add_u32_e32 v33, v36, v33
.LBB323_97:
	s_or_b64 exec, exec, s[26:27]
	v_cmp_eq_u32_e64 s[24:25], 0, v30
	v_add_u32_e32 v36, v32, v30
	v_and_b32_e32 v38, 64, v35
	v_cndmask_b32_e64 v30, 0, v33, s[24:25]
	v_add_u32_e32 v30, v30, v31
	v_add_u32_e32 v31, -1, v35
	v_cmp_lt_i32_e64 s[24:25], v31, v38
	v_cmp_eq_u32_e64 s[26:27], 0, v85
	s_nop 0
	v_cndmask_b32_e64 v31, v31, v35, s[24:25]
	v_lshlrev_b32_e32 v31, 2, v31
	ds_bpermute_b32 v36, v31, v36
	ds_bpermute_b32 v30, v31, v30
	v_cmp_eq_u32_e64 s[24:25], 0, v35
	s_waitcnt lgkmcnt(1)
	s_nop 0
	v_cndmask_b32_e64 v31, v36, v32, s[24:25]
	s_waitcnt lgkmcnt(0)
	v_cndmask_b32_e64 v30, v30, v33, s[24:25]
	v_cmp_eq_u32_e64 s[24:25], 0, v0
	s_nop 1
	v_cndmask_b32_e64 v67, v30, v34, s[24:25]
	v_cndmask_b32_e64 v30, 0, v67, s[26:27]
	v_add_u32_e32 v65, v30, v68
	v_cndmask_b32_e64 v30, 0, v65, s[0:1]
	v_add_u32_e32 v63, v30, v68
	;; [unrolled: 2-line block ×8, first 2 shown]
	v_cndmask_b32_e64 v66, v31, 0, s[24:25]
	v_cndmask_b32_e64 v30, 0, v51, s[14:15]
	v_add_u32_e32 v64, v66, v85
	v_add_u32_e32 v49, v30, v68
	v_add_u32_e32 v62, v64, v84
	v_cndmask_b32_e64 v30, 0, v49, s[16:17]
	v_add_u32_e32 v60, v62, v83
	v_add_u32_e32 v45, v30, v68
	v_add_u32_e32 v58, v60, v82
	;; [unrolled: 4-line block ×3, first 2 shown]
	v_cndmask_b32_e64 v30, 0, v43, s[20:21]
	v_add_u32_e32 v52, v54, v79
	v_add_u32_e32 v41, v30, v68
	ds_read_b64 v[30:31], v37 offset:8264
	v_add_u32_e32 v50, v52, v78
	v_add_u32_e32 v48, v50, v77
	;; [unrolled: 1-line block ×3, first 2 shown]
	v_cndmask_b32_e64 v32, 0, v41, s[22:23]
	v_add_u32_e32 v42, v44, v75
	v_add_u32_e32 v37, v32, v68
	;; [unrolled: 1-line block ×3, first 2 shown]
	v_cndmask_b32_e32 v32, 0, v37, vcc
	s_waitcnt lgkmcnt(0)
	v_cmp_eq_u32_e32 vcc, 0, v30
	v_add_u32_e32 v36, v40, v73
	v_add_u32_e32 v39, v32, v68
	v_cndmask_b32_e32 v32, 0, v34, vcc
	v_add_u32_e32 v38, v36, v72
	v_add_u32_e32 v34, v32, v31
	s_and_saveexec_b64 s[0:1], s[24:25]
	s_cbranch_execz .LBB323_99
; %bb.98:
	s_add_u32 s2, s36, 0x400
	v_and_b32_e32 v31, 0xff000000, v34
	v_and_b32_e32 v32, 0xff0000, v34
	s_addc_u32 s3, s37, 0
	v_or_b32_e32 v31, v32, v31
	v_and_b32_e32 v32, 0xff00, v34
	v_and_b32_e32 v35, 0xff, v34
	v_mov_b32_e32 v33, 0
	v_or3_b32 v31, v31, v32, v35
	v_mov_b32_e32 v32, 2
	v_mov_b64_e32 v[68:69], s[2:3]
	;;#ASMSTART
	global_store_dwordx4 v[68:69], v[30:33] off sc1	
s_waitcnt vmcnt(0)
	;;#ASMEND
.LBB323_99:
	s_or_b64 exec, exec, s[0:1]
	v_mov_b32_e32 v32, 0
.LBB323_100:
	s_and_b64 s[0:1], s[38:39], exec
	s_cselect_b32 s1, 0, s47
	s_cselect_b32 s0, 0, s46
	s_cmp_eq_u64 s[0:1], 0
	v_mov_b64_e32 v[68:69], 0
	s_waitcnt lgkmcnt(0)
	s_barrier
	s_cbranch_scc1 .LBB323_102
; %bb.101:
	v_mov_b32_e32 v31, 0
	global_load_dwordx2 v[68:69], v31, s[0:1]
.LBB323_102:
	v_cmp_eq_u32_e32 vcc, 0, v85
	s_movk_i32 s30, 0x200
	v_mov_b32_e32 v33, 0
	v_cndmask_b32_e64 v31, 1, 2, vcc
	v_cmp_eq_u32_e32 vcc, 0, v84
	v_cmp_ne_u32_e64 s[28:29], 0, v85
	v_cmp_ne_u32_e64 s[26:27], 0, v84
	v_cndmask_b32_e64 v35, 1, 2, vcc
	v_cmp_eq_u32_e32 vcc, 0, v83
	v_and_b32_e32 v31, v35, v31
	v_cmp_ne_u32_e64 s[24:25], 0, v83
	v_cndmask_b32_e64 v35, 1, 2, vcc
	v_cmp_eq_u32_e32 vcc, 0, v82
	v_and_b32_e32 v31, v31, v35
	;; [unrolled: 4-line block ×13, first 2 shown]
	v_cmp_ne_u32_e64 s[0:1], 0, v1
	v_cndmask_b32_e64 v35, 1, 2, vcc
	v_and_b32_e32 v31, v31, v35
	v_cmp_gt_u32_e32 vcc, s30, v30
	s_mov_b64 s[36:37], -1
	v_cmp_gt_i16_e64 s[30:31], 2, v31
	s_cbranch_vccz .LBB323_109
; %bb.103:
	s_and_saveexec_b64 s[36:37], s[30:31]
	s_cbranch_execz .LBB323_108
; %bb.104:
	s_waitcnt vmcnt(0)
	v_lshlrev_b64 v[70:71], 3, v[68:69]
	v_lshl_add_u64 v[70:71], s[40:41], 0, v[70:71]
	v_lshlrev_b64 v[86:87], 3, v[32:33]
	v_lshl_add_u64 v[70:71], v[70:71], 0, v[86:87]
	v_cmp_ne_u16_e32 vcc, 1, v31
	s_mov_b64 s[38:39], 0
	s_and_saveexec_b64 s[30:31], vcc
	s_xor_b64 s[30:31], exec, s[30:31]
	s_cbranch_execnz .LBB323_141
; %bb.105:
	s_andn2_saveexec_b64 s[30:31], s[30:31]
	s_cbranch_execnz .LBB323_157
.LBB323_106:
	s_or_b64 exec, exec, s[30:31]
	s_and_b64 exec, exec, s[38:39]
	s_cbranch_execz .LBB323_108
.LBB323_107:
	v_sub_u32_e32 v86, v38, v32
	v_mov_b32_e32 v87, 0
	v_lshl_add_u64 v[70:71], v[86:87], 3, v[70:71]
	global_store_dwordx2 v[70:71], v[46:47], off
.LBB323_108:
	s_or_b64 exec, exec, s[36:37]
	s_mov_b64 s[36:37], 0
.LBB323_109:
	s_and_b64 vcc, exec, s[36:37]
	s_cbranch_vccz .LBB323_119
; %bb.110:
	v_cmp_gt_i16_e32 vcc, 2, v31
	s_and_saveexec_b64 s[30:31], vcc
	s_cbranch_execz .LBB323_115
; %bb.111:
	v_cmp_ne_u16_e32 vcc, 1, v31
	s_mov_b64 s[38:39], 0
	s_and_saveexec_b64 s[36:37], vcc
	s_xor_b64 s[36:37], exec, s[36:37]
	s_cbranch_execnz .LBB323_158
; %bb.112:
	s_andn2_saveexec_b64 s[0:1], s[36:37]
	s_cbranch_execnz .LBB323_174
.LBB323_113:
	s_or_b64 exec, exec, s[0:1]
	s_and_b64 exec, exec, s[38:39]
	s_cbranch_execz .LBB323_115
.LBB323_114:
	v_sub_u32_e32 v2, v38, v32
	v_lshlrev_b32_e32 v2, 3, v2
	ds_write_b64 v2, v[46:47]
.LBB323_115:
	s_or_b64 exec, exec, s[30:31]
	v_cmp_lt_u32_e32 vcc, v0, v30
	s_waitcnt lgkmcnt(0)
	s_barrier
	s_and_saveexec_b64 s[0:1], vcc
	s_cbranch_execz .LBB323_118
; %bb.116:
	s_waitcnt vmcnt(0)
	v_lshlrev_b64 v[4:5], 3, v[68:69]
	v_lshlrev_b64 v[6:7], 3, v[32:33]
	v_lshl_add_u64 v[4:5], v[4:5], 0, v[6:7]
	v_lshlrev_b32_e32 v2, 3, v0
	v_mov_b32_e32 v3, 0
	v_lshl_add_u64 v[4:5], s[40:41], 0, v[4:5]
	v_lshl_add_u64 v[4:5], v[4:5], 0, v[2:3]
	s_mov_b64 s[2:3], 0
	s_mov_b64 s[4:5], 0x1000
	v_mov_b32_e32 v3, v0
.LBB323_117:                            ; =>This Inner Loop Header: Depth=1
	ds_read_b64 v[6:7], v2
	v_add_u32_e32 v3, 0x200, v3
	v_cmp_ge_u32_e32 vcc, v3, v30
	v_add_u32_e32 v2, 0x1000, v2
	s_or_b64 s[2:3], vcc, s[2:3]
	s_waitcnt lgkmcnt(0)
	global_store_dwordx2 v[4:5], v[6:7], off
	v_lshl_add_u64 v[4:5], v[4:5], 0, s[4:5]
	s_andn2_b64 exec, exec, s[2:3]
	s_cbranch_execnz .LBB323_117
.LBB323_118:
	s_or_b64 exec, exec, s[0:1]
.LBB323_119:
	s_cmpk_lg_i32 s33, 0x1e00
	s_cselect_b64 s[0:1], -1, 0
	v_cndmask_b32_e64 v10, 0, 1, s[48:49]
	s_and_b64 s[0:1], s[34:35], s[0:1]
	v_cmp_eq_u32_e32 vcc, 0, v0
	v_sub_u32_e32 v2, v30, v10
	v_cndmask_b32_e64 v3, 0, 1, s[0:1]
	s_and_b64 s[0:1], vcc, s[48:49]
	v_add_u32_e32 v12, v2, v3
	v_cndmask_b32_e64 v2, v85, 0, s[0:1]
	s_mul_hi_u32 s0, s33, 0x88888889
	s_lshr_b32 s0, s0, 3
	v_mad_i32_i24 v3, v0, -15, s33
	v_cmp_eq_u32_e32 vcc, s0, v0
	v_cmp_ne_u32_e64 s[0:1], 0, v3
	s_and_b64 vcc, s[34:35], vcc
	s_mov_b32 s2, 0
	v_cndmask_b32_e64 v4, 1, v2, s[0:1]
	v_cmp_ne_u32_e64 s[0:1], 1, v3
	v_cndmask_b32_e32 v27, v2, v4, vcc
	s_movk_i32 s30, 0x200
	v_cndmask_b32_e64 v5, 1, v84, s[0:1]
	v_cmp_ne_u32_e64 s[0:1], 2, v3
	v_cndmask_b32_e32 v26, v84, v5, vcc
	s_waitcnt vmcnt(0)
	v_lshlrev_b64 v[4:5], 3, v[68:69]
	v_cndmask_b32_e64 v6, 1, v83, s[0:1]
	v_cmp_ne_u32_e64 s[0:1], 3, v3
	v_cndmask_b32_e32 v25, v83, v6, vcc
	s_mov_b64 s[36:37], -1
	v_cndmask_b32_e64 v7, 1, v82, s[0:1]
	v_cmp_ne_u32_e64 s[0:1], 4, v3
	v_cndmask_b32_e32 v24, v82, v7, vcc
	v_lshlrev_b64 v[6:7], 3, v[32:33]
	v_cndmask_b32_e64 v8, 1, v81, s[0:1]
	v_cmp_ne_u32_e64 s[0:1], 5, v3
	v_cndmask_b32_e32 v23, v81, v8, vcc
	v_cmp_ne_u32_e64 s[28:29], 0, v27
	v_cndmask_b32_e64 v9, 1, v80, s[0:1]
	v_cmp_ne_u32_e64 s[0:1], 6, v3
	v_cndmask_b32_e32 v22, v80, v9, vcc
	v_cmp_ne_u32_e64 s[26:27], 0, v26
	v_cndmask_b32_e64 v11, 1, v79, s[0:1]
	v_cmp_ne_u32_e64 s[0:1], 7, v3
	v_cndmask_b32_e32 v21, v79, v11, vcc
	v_mov_b32_e32 v11, s2
	v_cndmask_b32_e64 v13, 1, v78, s[0:1]
	v_cmp_ne_u32_e64 s[0:1], 8, v3
	v_cndmask_b32_e32 v13, v78, v13, vcc
	v_lshl_add_u64 v[8:9], v[10:11], 0, -1
	v_cndmask_b32_e64 v14, 1, v77, s[0:1]
	v_cmp_ne_u32_e64 s[0:1], 9, v3
	v_cndmask_b32_e32 v14, v77, v14, vcc
	v_cmp_ne_u32_e64 s[14:15], 0, v13
	v_cndmask_b32_e64 v15, 1, v76, s[0:1]
	v_cmp_ne_u32_e64 s[0:1], 10, v3
	v_cndmask_b32_e32 v15, v76, v15, vcc
	v_cmp_ne_u32_e64 s[24:25], 0, v25
	;; [unrolled: 4-line block ×6, first 2 shown]
	v_cndmask_b32_e64 v3, 1, v1, s[0:1]
	v_cndmask_b32_e32 v20, v1, v3, vcc
	v_cmp_eq_u32_e32 vcc, 0, v27
	v_add_u32_e32 v1, v32, v10
	v_lshl_add_u64 v[2:3], s[42:43], 0, v[4:5]
	v_cndmask_b32_e64 v10, 1, 2, vcc
	v_cmp_eq_u32_e32 vcc, 0, v26
	v_lshl_add_u64 v[2:3], v[2:3], 0, v[6:7]
	v_cmp_ne_u32_e64 s[12:13], 0, v14
	v_cndmask_b32_e64 v11, 1, 2, vcc
	v_cmp_eq_u32_e32 vcc, 0, v25
	v_and_b32_e32 v10, v11, v10
	v_cmp_ne_u32_e64 s[10:11], 0, v15
	v_cndmask_b32_e64 v11, 1, 2, vcc
	v_cmp_eq_u32_e32 vcc, 0, v24
	v_and_b32_e32 v10, v10, v11
	;; [unrolled: 4-line block ×7, first 2 shown]
	s_nop 0
	v_cndmask_b32_e64 v11, 1, 2, vcc
	v_cmp_eq_u32_e32 vcc, 0, v15
	v_and_b32_e32 v10, v10, v11
	s_barrier
	v_cndmask_b32_e64 v11, 1, 2, vcc
	v_cmp_eq_u32_e32 vcc, 0, v16
	v_and_b32_e32 v10, v10, v11
	s_nop 0
	v_cndmask_b32_e64 v11, 1, 2, vcc
	v_cmp_eq_u32_e32 vcc, 0, v17
	v_and_b32_e32 v10, v10, v11
	s_nop 0
	;; [unrolled: 4-line block ×5, first 2 shown]
	v_cndmask_b32_e64 v11, 1, 2, vcc
	v_and_b32_e32 v13, v10, v11
	v_cmp_gt_u32_e32 vcc, s30, v12
	v_cmp_gt_i16_e64 s[30:31], 2, v13
	s_cbranch_vccz .LBB323_126
; %bb.120:
	s_and_saveexec_b64 s[36:37], s[30:31]
	s_cbranch_execz .LBB323_125
; %bb.121:
	v_lshlrev_b64 v[10:11], 3, v[8:9]
	v_lshl_add_u64 v[10:11], v[2:3], 0, v[10:11]
	v_cmp_ne_u16_e32 vcc, 1, v13
	s_mov_b64 s[38:39], 0
	s_and_saveexec_b64 s[30:31], vcc
	s_xor_b64 s[30:31], exec, s[30:31]
	s_cbranch_execnz .LBB323_175
; %bb.122:
	s_andn2_saveexec_b64 s[30:31], s[30:31]
	s_cbranch_execnz .LBB323_191
.LBB323_123:
	s_or_b64 exec, exec, s[30:31]
	s_and_b64 exec, exec, s[38:39]
	s_cbranch_execz .LBB323_125
.LBB323_124:
	v_mov_b32_e32 v15, 0
	v_sub_u32_e32 v16, v38, v1
	v_mov_b32_e32 v17, v15
	v_mov_b32_e32 v14, v39
	v_lshl_add_u64 v[10:11], v[16:17], 3, v[10:11]
	global_store_dwordx2 v[10:11], v[14:15], off
.LBB323_125:
	s_or_b64 exec, exec, s[36:37]
	s_mov_b64 s[36:37], 0
.LBB323_126:
	s_and_b64 vcc, exec, s[36:37]
	s_cbranch_vccz .LBB323_136
; %bb.127:
	v_cmp_gt_i16_e32 vcc, 2, v13
	s_and_saveexec_b64 s[30:31], vcc
	s_cbranch_execz .LBB323_132
; %bb.128:
	v_cmp_ne_u16_e32 vcc, 1, v13
	s_mov_b64 s[38:39], 0
	s_and_saveexec_b64 s[36:37], vcc
	s_xor_b64 s[36:37], exec, s[36:37]
	s_cbranch_execnz .LBB323_192
; %bb.129:
	s_andn2_saveexec_b64 s[0:1], s[36:37]
	s_cbranch_execnz .LBB323_208
.LBB323_130:
	s_or_b64 exec, exec, s[0:1]
	s_and_b64 exec, exec, s[38:39]
	s_cbranch_execz .LBB323_132
.LBB323_131:
	v_sub_u32_e32 v1, v38, v1
	v_lshlrev_b32_e32 v1, 2, v1
	ds_write_b32 v1, v39
.LBB323_132:
	s_or_b64 exec, exec, s[30:31]
	v_cmp_lt_u32_e32 vcc, v0, v12
	s_waitcnt lgkmcnt(0)
	s_barrier
	s_and_saveexec_b64 s[0:1], vcc
	s_cbranch_execz .LBB323_135
; %bb.133:
	v_lshlrev_b64 v[8:9], 3, v[8:9]
	v_lshl_add_u64 v[4:5], v[4:5], 0, v[8:9]
	v_lshl_add_u64 v[6:7], v[4:5], 0, v[6:7]
	v_lshlrev_b32_e32 v4, 3, v0
	v_mov_b32_e32 v5, 0
	v_lshl_add_u64 v[6:7], s[42:43], 0, v[6:7]
	v_lshlrev_b32_e32 v1, 2, v0
	v_lshl_add_u64 v[6:7], v[6:7], 0, v[4:5]
	s_mov_b64 s[2:3], 0
	s_mov_b64 s[4:5], 0x1000
	v_mov_b32_e32 v8, v0
.LBB323_134:                            ; =>This Inner Loop Header: Depth=1
	ds_read_b32 v4, v1
	v_add_u32_e32 v8, 0x200, v8
	v_cmp_ge_u32_e32 vcc, v8, v12
	v_add_u32_e32 v1, 0x800, v1
	s_or_b64 s[2:3], vcc, s[2:3]
	s_waitcnt lgkmcnt(0)
	global_store_dwordx2 v[6:7], v[4:5], off
	v_lshl_add_u64 v[6:7], v[6:7], 0, s[4:5]
	s_andn2_b64 exec, exec, s[2:3]
	s_cbranch_execnz .LBB323_134
.LBB323_135:
	s_or_b64 exec, exec, s[0:1]
.LBB323_136:
	s_movk_i32 s0, 0x1ff
	v_cmp_eq_u32_e32 vcc, s0, v0
	s_and_b64 s[0:1], vcc, s[34:35]
	s_and_saveexec_b64 s[2:3], s[0:1]
	s_cbranch_execz .LBB323_139
; %bb.137:
	v_mov_b32_e32 v31, 0
	v_lshl_add_u64 v[0:1], v[30:31], 0, v[32:33]
	v_lshl_add_u64 v[0:1], v[0:1], 0, v[68:69]
	s_cmpk_lg_i32 s33, 0x1e00
	global_store_dwordx2 v31, v[0:1], s[44:45]
	s_cbranch_scc1 .LBB323_139
; %bb.138:
	v_lshlrev_b64 v[0:1], 3, v[30:31]
	v_mov_b32_e32 v35, v31
	v_lshl_add_u64 v[0:1], v[2:3], 0, v[0:1]
	global_store_dwordx2 v[0:1], v[34:35], off offset:-8
.LBB323_139:
	s_endpgm
.LBB323_140:
	s_or_b64 exec, exec, s[10:11]
	v_mov_b32_e32 v85, s3
	s_and_saveexec_b64 s[8:9], s[6:7]
	s_cbranch_execnz .LBB323_56
	s_branch .LBB323_57
.LBB323_141:
	s_and_saveexec_b64 s[38:39], s[28:29]
	s_cbranch_execnz .LBB323_209
; %bb.142:
	s_or_b64 exec, exec, s[38:39]
	s_and_saveexec_b64 s[38:39], s[26:27]
	s_cbranch_execnz .LBB323_210
.LBB323_143:
	s_or_b64 exec, exec, s[38:39]
	s_and_saveexec_b64 s[38:39], s[24:25]
	s_cbranch_execnz .LBB323_211
.LBB323_144:
	s_or_b64 exec, exec, s[38:39]
	s_and_saveexec_b64 s[38:39], s[22:23]
	s_cbranch_execnz .LBB323_212
.LBB323_145:
	s_or_b64 exec, exec, s[38:39]
	s_and_saveexec_b64 s[38:39], s[20:21]
	s_cbranch_execnz .LBB323_213
.LBB323_146:
	s_or_b64 exec, exec, s[38:39]
	s_and_saveexec_b64 s[38:39], s[18:19]
	s_cbranch_execnz .LBB323_214
.LBB323_147:
	s_or_b64 exec, exec, s[38:39]
	s_and_saveexec_b64 s[38:39], s[16:17]
	s_cbranch_execnz .LBB323_215
.LBB323_148:
	s_or_b64 exec, exec, s[38:39]
	s_and_saveexec_b64 s[38:39], s[14:15]
	s_cbranch_execnz .LBB323_216
.LBB323_149:
	s_or_b64 exec, exec, s[38:39]
	s_and_saveexec_b64 s[38:39], s[12:13]
	s_cbranch_execnz .LBB323_217
.LBB323_150:
	s_or_b64 exec, exec, s[38:39]
	s_and_saveexec_b64 s[38:39], s[10:11]
	s_cbranch_execnz .LBB323_218
.LBB323_151:
	s_or_b64 exec, exec, s[38:39]
	s_and_saveexec_b64 s[38:39], s[8:9]
	s_cbranch_execnz .LBB323_219
.LBB323_152:
	s_or_b64 exec, exec, s[38:39]
	s_and_saveexec_b64 s[38:39], s[6:7]
	s_cbranch_execnz .LBB323_220
.LBB323_153:
	s_or_b64 exec, exec, s[38:39]
	s_and_saveexec_b64 s[38:39], s[4:5]
	s_cbranch_execnz .LBB323_221
.LBB323_154:
	s_or_b64 exec, exec, s[38:39]
	s_and_saveexec_b64 s[38:39], s[2:3]
	s_cbranch_execz .LBB323_156
.LBB323_155:
	v_sub_u32_e32 v86, v36, v32
	v_mov_b32_e32 v87, 0
	v_lshl_add_u64 v[86:87], v[86:87], 3, v[70:71]
	global_store_dwordx2 v[86:87], v[8:9], off
.LBB323_156:
	s_or_b64 exec, exec, s[38:39]
	s_and_b64 s[38:39], s[0:1], exec
	s_andn2_saveexec_b64 s[30:31], s[30:31]
	s_cbranch_execz .LBB323_106
.LBB323_157:
	v_sub_u32_e32 v86, v66, v32
	v_mov_b32_e32 v87, 0
	v_lshl_add_u64 v[88:89], v[86:87], 3, v[70:71]
	v_sub_u32_e32 v86, v64, v32
	global_store_dwordx2 v[88:89], v[26:27], off
	v_lshl_add_u64 v[88:89], v[86:87], 3, v[70:71]
	v_sub_u32_e32 v86, v62, v32
	global_store_dwordx2 v[88:89], v[28:29], off
	v_lshl_add_u64 v[88:89], v[86:87], 3, v[70:71]
	v_sub_u32_e32 v86, v60, v32
	global_store_dwordx2 v[88:89], v[22:23], off
	v_lshl_add_u64 v[88:89], v[86:87], 3, v[70:71]
	v_sub_u32_e32 v86, v58, v32
	global_store_dwordx2 v[88:89], v[24:25], off
	v_lshl_add_u64 v[88:89], v[86:87], 3, v[70:71]
	v_sub_u32_e32 v86, v56, v32
	global_store_dwordx2 v[88:89], v[18:19], off
	v_lshl_add_u64 v[88:89], v[86:87], 3, v[70:71]
	v_sub_u32_e32 v86, v54, v32
	global_store_dwordx2 v[88:89], v[20:21], off
	v_lshl_add_u64 v[88:89], v[86:87], 3, v[70:71]
	v_sub_u32_e32 v86, v52, v32
	global_store_dwordx2 v[88:89], v[14:15], off
	v_lshl_add_u64 v[88:89], v[86:87], 3, v[70:71]
	v_sub_u32_e32 v86, v50, v32
	global_store_dwordx2 v[88:89], v[16:17], off
	v_lshl_add_u64 v[88:89], v[86:87], 3, v[70:71]
	v_sub_u32_e32 v86, v48, v32
	global_store_dwordx2 v[88:89], v[10:11], off
	v_lshl_add_u64 v[88:89], v[86:87], 3, v[70:71]
	v_sub_u32_e32 v86, v44, v32
	global_store_dwordx2 v[88:89], v[12:13], off
	v_lshl_add_u64 v[88:89], v[86:87], 3, v[70:71]
	v_sub_u32_e32 v86, v42, v32
	global_store_dwordx2 v[88:89], v[2:3], off
	v_lshl_add_u64 v[88:89], v[86:87], 3, v[70:71]
	v_sub_u32_e32 v86, v40, v32
	global_store_dwordx2 v[88:89], v[4:5], off
	v_lshl_add_u64 v[88:89], v[86:87], 3, v[70:71]
	v_sub_u32_e32 v86, v36, v32
	v_lshl_add_u64 v[86:87], v[86:87], 3, v[70:71]
	s_or_b64 s[38:39], s[38:39], exec
	global_store_dwordx2 v[88:89], v[6:7], off
	global_store_dwordx2 v[86:87], v[8:9], off
	s_or_b64 exec, exec, s[30:31]
	s_and_b64 exec, exec, s[38:39]
	s_cbranch_execnz .LBB323_107
	s_branch .LBB323_108
.LBB323_158:
	s_and_saveexec_b64 s[38:39], s[28:29]
	s_cbranch_execnz .LBB323_222
; %bb.159:
	s_or_b64 exec, exec, s[38:39]
	s_and_saveexec_b64 s[28:29], s[26:27]
	s_cbranch_execnz .LBB323_223
.LBB323_160:
	s_or_b64 exec, exec, s[28:29]
	s_and_saveexec_b64 s[26:27], s[24:25]
	s_cbranch_execnz .LBB323_224
.LBB323_161:
	s_or_b64 exec, exec, s[26:27]
	s_and_saveexec_b64 s[24:25], s[22:23]
	s_cbranch_execnz .LBB323_225
.LBB323_162:
	s_or_b64 exec, exec, s[24:25]
	s_and_saveexec_b64 s[22:23], s[20:21]
	s_cbranch_execnz .LBB323_226
.LBB323_163:
	s_or_b64 exec, exec, s[22:23]
	s_and_saveexec_b64 s[20:21], s[18:19]
	s_cbranch_execnz .LBB323_227
.LBB323_164:
	s_or_b64 exec, exec, s[20:21]
	s_and_saveexec_b64 s[18:19], s[16:17]
	s_cbranch_execnz .LBB323_228
.LBB323_165:
	s_or_b64 exec, exec, s[18:19]
	s_and_saveexec_b64 s[16:17], s[14:15]
	s_cbranch_execnz .LBB323_229
.LBB323_166:
	s_or_b64 exec, exec, s[16:17]
	s_and_saveexec_b64 s[14:15], s[12:13]
	s_cbranch_execnz .LBB323_230
.LBB323_167:
	s_or_b64 exec, exec, s[14:15]
	s_and_saveexec_b64 s[12:13], s[10:11]
	s_cbranch_execnz .LBB323_231
.LBB323_168:
	s_or_b64 exec, exec, s[12:13]
	s_and_saveexec_b64 s[10:11], s[8:9]
	s_cbranch_execnz .LBB323_232
.LBB323_169:
	s_or_b64 exec, exec, s[10:11]
	s_and_saveexec_b64 s[8:9], s[6:7]
	s_cbranch_execnz .LBB323_233
.LBB323_170:
	s_or_b64 exec, exec, s[8:9]
	s_and_saveexec_b64 s[6:7], s[4:5]
	s_cbranch_execnz .LBB323_234
.LBB323_171:
	s_or_b64 exec, exec, s[6:7]
	s_and_saveexec_b64 s[4:5], s[2:3]
	s_cbranch_execz .LBB323_173
.LBB323_172:
	v_sub_u32_e32 v2, v36, v32
	v_lshlrev_b32_e32 v2, 3, v2
	ds_write_b64 v2, v[8:9]
.LBB323_173:
	s_or_b64 exec, exec, s[4:5]
	s_and_b64 s[38:39], s[0:1], exec
                                        ; implicit-def: $vgpr8_vgpr9
                                        ; implicit-def: $vgpr4_vgpr5
                                        ; implicit-def: $vgpr12_vgpr13
                                        ; implicit-def: $vgpr16_vgpr17
                                        ; implicit-def: $vgpr20_vgpr21
                                        ; implicit-def: $vgpr24_vgpr25
                                        ; implicit-def: $vgpr28_vgpr29
	s_andn2_saveexec_b64 s[0:1], s[36:37]
	s_cbranch_execz .LBB323_113
.LBB323_174:
	v_sub_u32_e32 v31, v66, v32
	v_lshlrev_b32_e32 v31, 3, v31
	ds_write_b64 v31, v[26:27]
	v_sub_u32_e32 v26, v64, v32
	v_lshlrev_b32_e32 v26, 3, v26
	ds_write_b64 v26, v[28:29]
	;; [unrolled: 3-line block ×13, first 2 shown]
	v_sub_u32_e32 v2, v36, v32
	v_lshlrev_b32_e32 v2, 3, v2
	s_or_b64 s[38:39], s[38:39], exec
	ds_write_b64 v2, v[8:9]
	s_or_b64 exec, exec, s[0:1]
	s_and_b64 exec, exec, s[38:39]
	s_cbranch_execnz .LBB323_114
	s_branch .LBB323_115
.LBB323_175:
	s_and_saveexec_b64 s[38:39], s[28:29]
	s_cbranch_execnz .LBB323_235
; %bb.176:
	s_or_b64 exec, exec, s[38:39]
	s_and_saveexec_b64 s[38:39], s[26:27]
	s_cbranch_execnz .LBB323_236
.LBB323_177:
	s_or_b64 exec, exec, s[38:39]
	s_and_saveexec_b64 s[38:39], s[24:25]
	s_cbranch_execnz .LBB323_237
.LBB323_178:
	s_or_b64 exec, exec, s[38:39]
	s_and_saveexec_b64 s[38:39], s[22:23]
	s_cbranch_execnz .LBB323_238
.LBB323_179:
	s_or_b64 exec, exec, s[38:39]
	s_and_saveexec_b64 s[38:39], s[20:21]
	s_cbranch_execnz .LBB323_239
.LBB323_180:
	s_or_b64 exec, exec, s[38:39]
	s_and_saveexec_b64 s[38:39], s[18:19]
	s_cbranch_execnz .LBB323_240
.LBB323_181:
	s_or_b64 exec, exec, s[38:39]
	s_and_saveexec_b64 s[38:39], s[16:17]
	s_cbranch_execnz .LBB323_241
.LBB323_182:
	s_or_b64 exec, exec, s[38:39]
	s_and_saveexec_b64 s[38:39], s[14:15]
	s_cbranch_execnz .LBB323_242
.LBB323_183:
	s_or_b64 exec, exec, s[38:39]
	s_and_saveexec_b64 s[38:39], s[12:13]
	s_cbranch_execnz .LBB323_243
.LBB323_184:
	s_or_b64 exec, exec, s[38:39]
	s_and_saveexec_b64 s[38:39], s[10:11]
	s_cbranch_execnz .LBB323_244
.LBB323_185:
	s_or_b64 exec, exec, s[38:39]
	s_and_saveexec_b64 s[38:39], s[8:9]
	s_cbranch_execnz .LBB323_245
.LBB323_186:
	s_or_b64 exec, exec, s[38:39]
	s_and_saveexec_b64 s[38:39], s[6:7]
	s_cbranch_execnz .LBB323_246
.LBB323_187:
	s_or_b64 exec, exec, s[38:39]
	s_and_saveexec_b64 s[38:39], s[4:5]
	s_cbranch_execnz .LBB323_247
.LBB323_188:
	s_or_b64 exec, exec, s[38:39]
	s_and_saveexec_b64 s[38:39], s[2:3]
	s_cbranch_execz .LBB323_190
.LBB323_189:
	v_sub_u32_e32 v14, v36, v1
	v_mov_b32_e32 v15, 0
	v_lshl_add_u64 v[16:17], v[14:15], 3, v[10:11]
	v_mov_b32_e32 v14, v37
	global_store_dwordx2 v[16:17], v[14:15], off
.LBB323_190:
	s_or_b64 exec, exec, s[38:39]
	s_and_b64 s[38:39], s[0:1], exec
	s_andn2_saveexec_b64 s[30:31], s[30:31]
	s_cbranch_execz .LBB323_123
.LBB323_191:
	v_mov_b32_e32 v15, 0
	v_sub_u32_e32 v16, v66, v1
	v_mov_b32_e32 v17, v15
	v_mov_b32_e32 v14, v67
	v_lshl_add_u64 v[16:17], v[16:17], 3, v[10:11]
	global_store_dwordx2 v[16:17], v[14:15], off
	v_sub_u32_e32 v16, v64, v1
	v_mov_b32_e32 v17, v15
	v_mov_b32_e32 v14, v65
	v_lshl_add_u64 v[16:17], v[16:17], 3, v[10:11]
	global_store_dwordx2 v[16:17], v[14:15], off
	;; [unrolled: 5-line block ×13, first 2 shown]
	v_sub_u32_e32 v16, v36, v1
	v_mov_b32_e32 v17, v15
	v_mov_b32_e32 v14, v37
	v_lshl_add_u64 v[16:17], v[16:17], 3, v[10:11]
	s_or_b64 s[38:39], s[38:39], exec
	global_store_dwordx2 v[16:17], v[14:15], off
	s_or_b64 exec, exec, s[30:31]
	s_and_b64 exec, exec, s[38:39]
	s_cbranch_execnz .LBB323_124
	s_branch .LBB323_125
.LBB323_192:
	s_and_saveexec_b64 s[38:39], s[28:29]
	s_cbranch_execnz .LBB323_248
; %bb.193:
	s_or_b64 exec, exec, s[38:39]
	s_and_saveexec_b64 s[28:29], s[26:27]
	s_cbranch_execnz .LBB323_249
.LBB323_194:
	s_or_b64 exec, exec, s[28:29]
	s_and_saveexec_b64 s[26:27], s[24:25]
	s_cbranch_execnz .LBB323_250
.LBB323_195:
	s_or_b64 exec, exec, s[26:27]
	s_and_saveexec_b64 s[24:25], s[22:23]
	s_cbranch_execnz .LBB323_251
.LBB323_196:
	s_or_b64 exec, exec, s[24:25]
	s_and_saveexec_b64 s[22:23], s[20:21]
	s_cbranch_execnz .LBB323_252
.LBB323_197:
	s_or_b64 exec, exec, s[22:23]
	s_and_saveexec_b64 s[20:21], s[18:19]
	s_cbranch_execnz .LBB323_253
.LBB323_198:
	s_or_b64 exec, exec, s[20:21]
	s_and_saveexec_b64 s[18:19], s[16:17]
	s_cbranch_execnz .LBB323_254
.LBB323_199:
	s_or_b64 exec, exec, s[18:19]
	s_and_saveexec_b64 s[16:17], s[14:15]
	s_cbranch_execnz .LBB323_255
.LBB323_200:
	s_or_b64 exec, exec, s[16:17]
	s_and_saveexec_b64 s[14:15], s[12:13]
	s_cbranch_execnz .LBB323_256
.LBB323_201:
	s_or_b64 exec, exec, s[14:15]
	s_and_saveexec_b64 s[12:13], s[10:11]
	s_cbranch_execnz .LBB323_257
.LBB323_202:
	s_or_b64 exec, exec, s[12:13]
	s_and_saveexec_b64 s[10:11], s[8:9]
	s_cbranch_execnz .LBB323_258
.LBB323_203:
	s_or_b64 exec, exec, s[10:11]
	s_and_saveexec_b64 s[8:9], s[6:7]
	s_cbranch_execnz .LBB323_259
.LBB323_204:
	s_or_b64 exec, exec, s[8:9]
	s_and_saveexec_b64 s[6:7], s[4:5]
	s_cbranch_execnz .LBB323_260
.LBB323_205:
	s_or_b64 exec, exec, s[6:7]
	s_and_saveexec_b64 s[4:5], s[2:3]
	s_cbranch_execz .LBB323_207
.LBB323_206:
	v_sub_u32_e32 v10, v36, v1
	v_lshlrev_b32_e32 v10, 2, v10
	ds_write_b32 v10, v37
.LBB323_207:
	s_or_b64 exec, exec, s[4:5]
	s_and_b64 s[38:39], s[0:1], exec
                                        ; implicit-def: $vgpr36_vgpr37
                                        ; implicit-def: $vgpr40_vgpr41
                                        ; implicit-def: $vgpr42_vgpr43
                                        ; implicit-def: $vgpr66_vgpr67
                                        ; implicit-def: $vgpr64_vgpr65
                                        ; implicit-def: $vgpr62_vgpr63
                                        ; implicit-def: $vgpr60_vgpr61
                                        ; implicit-def: $vgpr58_vgpr59
                                        ; implicit-def: $vgpr56_vgpr57
                                        ; implicit-def: $vgpr54_vgpr55
                                        ; implicit-def: $vgpr52_vgpr53
                                        ; implicit-def: $vgpr50_vgpr51
                                        ; implicit-def: $vgpr48_vgpr49
                                        ; implicit-def: $vgpr44_vgpr45
	s_andn2_saveexec_b64 s[0:1], s[36:37]
	s_cbranch_execz .LBB323_130
.LBB323_208:
	v_sub_u32_e32 v10, v66, v1
	v_lshlrev_b32_e32 v10, 2, v10
	ds_write_b32 v10, v67
	v_sub_u32_e32 v10, v64, v1
	v_lshlrev_b32_e32 v10, 2, v10
	ds_write_b32 v10, v65
	;; [unrolled: 3-line block ×13, first 2 shown]
	v_sub_u32_e32 v10, v36, v1
	v_lshlrev_b32_e32 v10, 2, v10
	s_or_b64 s[38:39], s[38:39], exec
	ds_write_b32 v10, v37
	s_or_b64 exec, exec, s[0:1]
	s_and_b64 exec, exec, s[38:39]
	s_cbranch_execnz .LBB323_131
	s_branch .LBB323_132
.LBB323_209:
	v_sub_u32_e32 v86, v66, v32
	v_mov_b32_e32 v87, 0
	v_lshl_add_u64 v[86:87], v[86:87], 3, v[70:71]
	global_store_dwordx2 v[86:87], v[26:27], off
	s_or_b64 exec, exec, s[38:39]
	s_and_saveexec_b64 s[38:39], s[26:27]
	s_cbranch_execz .LBB323_143
.LBB323_210:
	v_sub_u32_e32 v86, v64, v32
	v_mov_b32_e32 v87, 0
	v_lshl_add_u64 v[86:87], v[86:87], 3, v[70:71]
	global_store_dwordx2 v[86:87], v[28:29], off
	s_or_b64 exec, exec, s[38:39]
	s_and_saveexec_b64 s[38:39], s[24:25]
	s_cbranch_execz .LBB323_144
.LBB323_211:
	v_sub_u32_e32 v86, v62, v32
	v_mov_b32_e32 v87, 0
	v_lshl_add_u64 v[86:87], v[86:87], 3, v[70:71]
	global_store_dwordx2 v[86:87], v[22:23], off
	s_or_b64 exec, exec, s[38:39]
	s_and_saveexec_b64 s[38:39], s[22:23]
	s_cbranch_execz .LBB323_145
.LBB323_212:
	v_sub_u32_e32 v86, v60, v32
	v_mov_b32_e32 v87, 0
	v_lshl_add_u64 v[86:87], v[86:87], 3, v[70:71]
	global_store_dwordx2 v[86:87], v[24:25], off
	s_or_b64 exec, exec, s[38:39]
	s_and_saveexec_b64 s[38:39], s[20:21]
	s_cbranch_execz .LBB323_146
.LBB323_213:
	v_sub_u32_e32 v86, v58, v32
	v_mov_b32_e32 v87, 0
	v_lshl_add_u64 v[86:87], v[86:87], 3, v[70:71]
	global_store_dwordx2 v[86:87], v[18:19], off
	s_or_b64 exec, exec, s[38:39]
	s_and_saveexec_b64 s[38:39], s[18:19]
	s_cbranch_execz .LBB323_147
.LBB323_214:
	v_sub_u32_e32 v86, v56, v32
	v_mov_b32_e32 v87, 0
	v_lshl_add_u64 v[86:87], v[86:87], 3, v[70:71]
	global_store_dwordx2 v[86:87], v[20:21], off
	s_or_b64 exec, exec, s[38:39]
	s_and_saveexec_b64 s[38:39], s[16:17]
	s_cbranch_execz .LBB323_148
.LBB323_215:
	v_sub_u32_e32 v86, v54, v32
	v_mov_b32_e32 v87, 0
	v_lshl_add_u64 v[86:87], v[86:87], 3, v[70:71]
	global_store_dwordx2 v[86:87], v[14:15], off
	s_or_b64 exec, exec, s[38:39]
	s_and_saveexec_b64 s[38:39], s[14:15]
	s_cbranch_execz .LBB323_149
.LBB323_216:
	v_sub_u32_e32 v86, v52, v32
	v_mov_b32_e32 v87, 0
	v_lshl_add_u64 v[86:87], v[86:87], 3, v[70:71]
	global_store_dwordx2 v[86:87], v[16:17], off
	s_or_b64 exec, exec, s[38:39]
	s_and_saveexec_b64 s[38:39], s[12:13]
	s_cbranch_execz .LBB323_150
.LBB323_217:
	v_sub_u32_e32 v86, v50, v32
	v_mov_b32_e32 v87, 0
	v_lshl_add_u64 v[86:87], v[86:87], 3, v[70:71]
	global_store_dwordx2 v[86:87], v[10:11], off
	s_or_b64 exec, exec, s[38:39]
	s_and_saveexec_b64 s[38:39], s[10:11]
	s_cbranch_execz .LBB323_151
.LBB323_218:
	v_sub_u32_e32 v86, v48, v32
	v_mov_b32_e32 v87, 0
	v_lshl_add_u64 v[86:87], v[86:87], 3, v[70:71]
	global_store_dwordx2 v[86:87], v[12:13], off
	s_or_b64 exec, exec, s[38:39]
	s_and_saveexec_b64 s[38:39], s[8:9]
	s_cbranch_execz .LBB323_152
.LBB323_219:
	v_sub_u32_e32 v86, v44, v32
	v_mov_b32_e32 v87, 0
	v_lshl_add_u64 v[86:87], v[86:87], 3, v[70:71]
	global_store_dwordx2 v[86:87], v[2:3], off
	s_or_b64 exec, exec, s[38:39]
	s_and_saveexec_b64 s[38:39], s[6:7]
	s_cbranch_execz .LBB323_153
.LBB323_220:
	v_sub_u32_e32 v86, v42, v32
	v_mov_b32_e32 v87, 0
	v_lshl_add_u64 v[86:87], v[86:87], 3, v[70:71]
	global_store_dwordx2 v[86:87], v[4:5], off
	s_or_b64 exec, exec, s[38:39]
	s_and_saveexec_b64 s[38:39], s[4:5]
	s_cbranch_execz .LBB323_154
.LBB323_221:
	v_sub_u32_e32 v86, v40, v32
	v_mov_b32_e32 v87, 0
	v_lshl_add_u64 v[86:87], v[86:87], 3, v[70:71]
	global_store_dwordx2 v[86:87], v[6:7], off
	s_or_b64 exec, exec, s[38:39]
	s_and_saveexec_b64 s[38:39], s[2:3]
	s_cbranch_execnz .LBB323_155
	s_branch .LBB323_156
.LBB323_222:
	v_sub_u32_e32 v31, v66, v32
	v_lshlrev_b32_e32 v31, 3, v31
	ds_write_b64 v31, v[26:27]
	s_or_b64 exec, exec, s[38:39]
	s_and_saveexec_b64 s[28:29], s[26:27]
	s_cbranch_execz .LBB323_160
.LBB323_223:
	v_sub_u32_e32 v26, v64, v32
	v_lshlrev_b32_e32 v26, 3, v26
	ds_write_b64 v26, v[28:29]
	s_or_b64 exec, exec, s[28:29]
	s_and_saveexec_b64 s[26:27], s[24:25]
	s_cbranch_execz .LBB323_161
.LBB323_224:
	v_sub_u32_e32 v26, v62, v32
	v_lshlrev_b32_e32 v26, 3, v26
	ds_write_b64 v26, v[22:23]
	s_or_b64 exec, exec, s[26:27]
	s_and_saveexec_b64 s[24:25], s[22:23]
	s_cbranch_execz .LBB323_162
.LBB323_225:
	v_sub_u32_e32 v22, v60, v32
	v_lshlrev_b32_e32 v22, 3, v22
	ds_write_b64 v22, v[24:25]
	s_or_b64 exec, exec, s[24:25]
	s_and_saveexec_b64 s[22:23], s[20:21]
	s_cbranch_execz .LBB323_163
.LBB323_226:
	v_sub_u32_e32 v22, v58, v32
	v_lshlrev_b32_e32 v22, 3, v22
	ds_write_b64 v22, v[18:19]
	s_or_b64 exec, exec, s[22:23]
	s_and_saveexec_b64 s[20:21], s[18:19]
	s_cbranch_execz .LBB323_164
.LBB323_227:
	v_sub_u32_e32 v18, v56, v32
	v_lshlrev_b32_e32 v18, 3, v18
	ds_write_b64 v18, v[20:21]
	s_or_b64 exec, exec, s[20:21]
	s_and_saveexec_b64 s[18:19], s[16:17]
	s_cbranch_execz .LBB323_165
.LBB323_228:
	v_sub_u32_e32 v18, v54, v32
	v_lshlrev_b32_e32 v18, 3, v18
	ds_write_b64 v18, v[14:15]
	s_or_b64 exec, exec, s[18:19]
	s_and_saveexec_b64 s[16:17], s[14:15]
	s_cbranch_execz .LBB323_166
.LBB323_229:
	v_sub_u32_e32 v14, v52, v32
	v_lshlrev_b32_e32 v14, 3, v14
	ds_write_b64 v14, v[16:17]
	s_or_b64 exec, exec, s[16:17]
	s_and_saveexec_b64 s[14:15], s[12:13]
	s_cbranch_execz .LBB323_167
.LBB323_230:
	v_sub_u32_e32 v14, v50, v32
	v_lshlrev_b32_e32 v14, 3, v14
	ds_write_b64 v14, v[10:11]
	s_or_b64 exec, exec, s[14:15]
	s_and_saveexec_b64 s[12:13], s[10:11]
	s_cbranch_execz .LBB323_168
.LBB323_231:
	v_sub_u32_e32 v10, v48, v32
	v_lshlrev_b32_e32 v10, 3, v10
	ds_write_b64 v10, v[12:13]
	s_or_b64 exec, exec, s[12:13]
	s_and_saveexec_b64 s[10:11], s[8:9]
	s_cbranch_execz .LBB323_169
.LBB323_232:
	v_sub_u32_e32 v10, v44, v32
	v_lshlrev_b32_e32 v10, 3, v10
	ds_write_b64 v10, v[2:3]
	s_or_b64 exec, exec, s[10:11]
	s_and_saveexec_b64 s[8:9], s[6:7]
	s_cbranch_execz .LBB323_170
.LBB323_233:
	v_sub_u32_e32 v2, v42, v32
	v_lshlrev_b32_e32 v2, 3, v2
	ds_write_b64 v2, v[4:5]
	s_or_b64 exec, exec, s[8:9]
	s_and_saveexec_b64 s[6:7], s[4:5]
	s_cbranch_execz .LBB323_171
.LBB323_234:
	v_sub_u32_e32 v2, v40, v32
	v_lshlrev_b32_e32 v2, 3, v2
	ds_write_b64 v2, v[6:7]
	s_or_b64 exec, exec, s[6:7]
	s_and_saveexec_b64 s[4:5], s[2:3]
	s_cbranch_execnz .LBB323_172
	s_branch .LBB323_173
.LBB323_235:
	v_sub_u32_e32 v14, v66, v1
	v_mov_b32_e32 v15, 0
	v_lshl_add_u64 v[16:17], v[14:15], 3, v[10:11]
	v_mov_b32_e32 v14, v67
	global_store_dwordx2 v[16:17], v[14:15], off
	s_or_b64 exec, exec, s[38:39]
	s_and_saveexec_b64 s[38:39], s[26:27]
	s_cbranch_execz .LBB323_177
.LBB323_236:
	v_sub_u32_e32 v14, v64, v1
	v_mov_b32_e32 v15, 0
	v_lshl_add_u64 v[16:17], v[14:15], 3, v[10:11]
	v_mov_b32_e32 v14, v65
	global_store_dwordx2 v[16:17], v[14:15], off
	s_or_b64 exec, exec, s[38:39]
	s_and_saveexec_b64 s[38:39], s[24:25]
	s_cbranch_execz .LBB323_178
.LBB323_237:
	v_sub_u32_e32 v14, v62, v1
	v_mov_b32_e32 v15, 0
	v_lshl_add_u64 v[16:17], v[14:15], 3, v[10:11]
	v_mov_b32_e32 v14, v63
	global_store_dwordx2 v[16:17], v[14:15], off
	s_or_b64 exec, exec, s[38:39]
	s_and_saveexec_b64 s[38:39], s[22:23]
	s_cbranch_execz .LBB323_179
.LBB323_238:
	v_sub_u32_e32 v14, v60, v1
	v_mov_b32_e32 v15, 0
	v_lshl_add_u64 v[16:17], v[14:15], 3, v[10:11]
	v_mov_b32_e32 v14, v61
	global_store_dwordx2 v[16:17], v[14:15], off
	s_or_b64 exec, exec, s[38:39]
	s_and_saveexec_b64 s[38:39], s[20:21]
	s_cbranch_execz .LBB323_180
.LBB323_239:
	v_sub_u32_e32 v14, v58, v1
	v_mov_b32_e32 v15, 0
	v_lshl_add_u64 v[16:17], v[14:15], 3, v[10:11]
	v_mov_b32_e32 v14, v59
	global_store_dwordx2 v[16:17], v[14:15], off
	s_or_b64 exec, exec, s[38:39]
	s_and_saveexec_b64 s[38:39], s[18:19]
	s_cbranch_execz .LBB323_181
.LBB323_240:
	v_sub_u32_e32 v14, v56, v1
	v_mov_b32_e32 v15, 0
	v_lshl_add_u64 v[16:17], v[14:15], 3, v[10:11]
	v_mov_b32_e32 v14, v57
	global_store_dwordx2 v[16:17], v[14:15], off
	s_or_b64 exec, exec, s[38:39]
	s_and_saveexec_b64 s[38:39], s[16:17]
	s_cbranch_execz .LBB323_182
.LBB323_241:
	v_sub_u32_e32 v14, v54, v1
	v_mov_b32_e32 v15, 0
	v_lshl_add_u64 v[16:17], v[14:15], 3, v[10:11]
	v_mov_b32_e32 v14, v55
	global_store_dwordx2 v[16:17], v[14:15], off
	s_or_b64 exec, exec, s[38:39]
	s_and_saveexec_b64 s[38:39], s[14:15]
	s_cbranch_execz .LBB323_183
.LBB323_242:
	v_sub_u32_e32 v14, v52, v1
	v_mov_b32_e32 v15, 0
	v_lshl_add_u64 v[16:17], v[14:15], 3, v[10:11]
	v_mov_b32_e32 v14, v53
	global_store_dwordx2 v[16:17], v[14:15], off
	s_or_b64 exec, exec, s[38:39]
	s_and_saveexec_b64 s[38:39], s[12:13]
	s_cbranch_execz .LBB323_184
.LBB323_243:
	v_sub_u32_e32 v14, v50, v1
	v_mov_b32_e32 v15, 0
	v_lshl_add_u64 v[16:17], v[14:15], 3, v[10:11]
	v_mov_b32_e32 v14, v51
	global_store_dwordx2 v[16:17], v[14:15], off
	s_or_b64 exec, exec, s[38:39]
	s_and_saveexec_b64 s[38:39], s[10:11]
	s_cbranch_execz .LBB323_185
.LBB323_244:
	v_sub_u32_e32 v14, v48, v1
	v_mov_b32_e32 v15, 0
	v_lshl_add_u64 v[16:17], v[14:15], 3, v[10:11]
	v_mov_b32_e32 v14, v49
	global_store_dwordx2 v[16:17], v[14:15], off
	s_or_b64 exec, exec, s[38:39]
	s_and_saveexec_b64 s[38:39], s[8:9]
	s_cbranch_execz .LBB323_186
.LBB323_245:
	v_sub_u32_e32 v14, v44, v1
	v_mov_b32_e32 v15, 0
	v_lshl_add_u64 v[16:17], v[14:15], 3, v[10:11]
	v_mov_b32_e32 v14, v45
	global_store_dwordx2 v[16:17], v[14:15], off
	s_or_b64 exec, exec, s[38:39]
	s_and_saveexec_b64 s[38:39], s[6:7]
	s_cbranch_execz .LBB323_187
.LBB323_246:
	v_sub_u32_e32 v14, v42, v1
	v_mov_b32_e32 v15, 0
	v_lshl_add_u64 v[16:17], v[14:15], 3, v[10:11]
	v_mov_b32_e32 v14, v43
	global_store_dwordx2 v[16:17], v[14:15], off
	s_or_b64 exec, exec, s[38:39]
	s_and_saveexec_b64 s[38:39], s[4:5]
	s_cbranch_execz .LBB323_188
.LBB323_247:
	v_sub_u32_e32 v14, v40, v1
	v_mov_b32_e32 v15, 0
	v_lshl_add_u64 v[16:17], v[14:15], 3, v[10:11]
	v_mov_b32_e32 v14, v41
	global_store_dwordx2 v[16:17], v[14:15], off
	s_or_b64 exec, exec, s[38:39]
	s_and_saveexec_b64 s[38:39], s[2:3]
	s_cbranch_execnz .LBB323_189
	s_branch .LBB323_190
.LBB323_248:
	v_sub_u32_e32 v10, v66, v1
	v_lshlrev_b32_e32 v10, 2, v10
	ds_write_b32 v10, v67
	s_or_b64 exec, exec, s[38:39]
	s_and_saveexec_b64 s[28:29], s[26:27]
	s_cbranch_execz .LBB323_194
.LBB323_249:
	v_sub_u32_e32 v10, v64, v1
	v_lshlrev_b32_e32 v10, 2, v10
	ds_write_b32 v10, v65
	s_or_b64 exec, exec, s[28:29]
	s_and_saveexec_b64 s[26:27], s[24:25]
	s_cbranch_execz .LBB323_195
.LBB323_250:
	v_sub_u32_e32 v10, v62, v1
	v_lshlrev_b32_e32 v10, 2, v10
	ds_write_b32 v10, v63
	s_or_b64 exec, exec, s[26:27]
	s_and_saveexec_b64 s[24:25], s[22:23]
	s_cbranch_execz .LBB323_196
.LBB323_251:
	v_sub_u32_e32 v10, v60, v1
	v_lshlrev_b32_e32 v10, 2, v10
	ds_write_b32 v10, v61
	s_or_b64 exec, exec, s[24:25]
	s_and_saveexec_b64 s[22:23], s[20:21]
	s_cbranch_execz .LBB323_197
.LBB323_252:
	v_sub_u32_e32 v10, v58, v1
	v_lshlrev_b32_e32 v10, 2, v10
	ds_write_b32 v10, v59
	s_or_b64 exec, exec, s[22:23]
	s_and_saveexec_b64 s[20:21], s[18:19]
	s_cbranch_execz .LBB323_198
.LBB323_253:
	v_sub_u32_e32 v10, v56, v1
	v_lshlrev_b32_e32 v10, 2, v10
	ds_write_b32 v10, v57
	s_or_b64 exec, exec, s[20:21]
	s_and_saveexec_b64 s[18:19], s[16:17]
	s_cbranch_execz .LBB323_199
.LBB323_254:
	v_sub_u32_e32 v10, v54, v1
	v_lshlrev_b32_e32 v10, 2, v10
	ds_write_b32 v10, v55
	s_or_b64 exec, exec, s[18:19]
	s_and_saveexec_b64 s[16:17], s[14:15]
	s_cbranch_execz .LBB323_200
.LBB323_255:
	v_sub_u32_e32 v10, v52, v1
	v_lshlrev_b32_e32 v10, 2, v10
	ds_write_b32 v10, v53
	s_or_b64 exec, exec, s[16:17]
	s_and_saveexec_b64 s[14:15], s[12:13]
	s_cbranch_execz .LBB323_201
.LBB323_256:
	v_sub_u32_e32 v10, v50, v1
	v_lshlrev_b32_e32 v10, 2, v10
	ds_write_b32 v10, v51
	s_or_b64 exec, exec, s[14:15]
	s_and_saveexec_b64 s[12:13], s[10:11]
	s_cbranch_execz .LBB323_202
.LBB323_257:
	v_sub_u32_e32 v10, v48, v1
	v_lshlrev_b32_e32 v10, 2, v10
	ds_write_b32 v10, v49
	s_or_b64 exec, exec, s[12:13]
	s_and_saveexec_b64 s[10:11], s[8:9]
	s_cbranch_execz .LBB323_203
.LBB323_258:
	v_sub_u32_e32 v10, v44, v1
	v_lshlrev_b32_e32 v10, 2, v10
	ds_write_b32 v10, v45
	s_or_b64 exec, exec, s[10:11]
	s_and_saveexec_b64 s[8:9], s[6:7]
	s_cbranch_execz .LBB323_204
.LBB323_259:
	v_sub_u32_e32 v10, v42, v1
	v_lshlrev_b32_e32 v10, 2, v10
	ds_write_b32 v10, v43
	s_or_b64 exec, exec, s[8:9]
	s_and_saveexec_b64 s[6:7], s[4:5]
	s_cbranch_execz .LBB323_205
.LBB323_260:
	v_sub_u32_e32 v10, v40, v1
	v_lshlrev_b32_e32 v10, 2, v10
	ds_write_b32 v10, v41
	s_or_b64 exec, exec, s[6:7]
	s_and_saveexec_b64 s[4:5], s[2:3]
	s_cbranch_execnz .LBB323_206
	s_branch .LBB323_207
	.section	.rodata,"a",@progbits
	.p2align	6, 0x0
	.amdhsa_kernel _ZN7rocprim17ROCPRIM_400000_NS6detail17trampoline_kernelINS0_14default_configENS1_33run_length_encode_config_selectorIdjNS0_4plusIjEEEEZZNS1_33reduce_by_key_impl_wrapped_configILNS1_25lookback_scan_determinismE0ES3_S7_PKdNS0_17constant_iteratorIjlEEPdPlSF_S6_NS0_8equal_toIdEEEE10hipError_tPvRmT2_T3_mT4_T5_T6_T7_T8_P12ihipStream_tbENKUlT_T0_E_clISt17integral_constantIbLb1EESY_IbLb0EEEEDaSU_SV_EUlSU_E_NS1_11comp_targetILNS1_3genE5ELNS1_11target_archE942ELNS1_3gpuE9ELNS1_3repE0EEENS1_30default_config_static_selectorELNS0_4arch9wavefront6targetE1EEEvT1_
		.amdhsa_group_segment_fixed_size 61440
		.amdhsa_private_segment_fixed_size 0
		.amdhsa_kernarg_size 128
		.amdhsa_user_sgpr_count 2
		.amdhsa_user_sgpr_dispatch_ptr 0
		.amdhsa_user_sgpr_queue_ptr 0
		.amdhsa_user_sgpr_kernarg_segment_ptr 1
		.amdhsa_user_sgpr_dispatch_id 0
		.amdhsa_user_sgpr_kernarg_preload_length 0
		.amdhsa_user_sgpr_kernarg_preload_offset 0
		.amdhsa_user_sgpr_private_segment_size 0
		.amdhsa_uses_dynamic_stack 0
		.amdhsa_enable_private_segment 0
		.amdhsa_system_sgpr_workgroup_id_x 1
		.amdhsa_system_sgpr_workgroup_id_y 0
		.amdhsa_system_sgpr_workgroup_id_z 0
		.amdhsa_system_sgpr_workgroup_info 0
		.amdhsa_system_vgpr_workitem_id 0
		.amdhsa_next_free_vgpr 90
		.amdhsa_next_free_sgpr 64
		.amdhsa_accum_offset 92
		.amdhsa_reserve_vcc 1
		.amdhsa_float_round_mode_32 0
		.amdhsa_float_round_mode_16_64 0
		.amdhsa_float_denorm_mode_32 3
		.amdhsa_float_denorm_mode_16_64 3
		.amdhsa_dx10_clamp 1
		.amdhsa_ieee_mode 1
		.amdhsa_fp16_overflow 0
		.amdhsa_tg_split 0
		.amdhsa_exception_fp_ieee_invalid_op 0
		.amdhsa_exception_fp_denorm_src 0
		.amdhsa_exception_fp_ieee_div_zero 0
		.amdhsa_exception_fp_ieee_overflow 0
		.amdhsa_exception_fp_ieee_underflow 0
		.amdhsa_exception_fp_ieee_inexact 0
		.amdhsa_exception_int_div_zero 0
	.end_amdhsa_kernel
	.section	.text._ZN7rocprim17ROCPRIM_400000_NS6detail17trampoline_kernelINS0_14default_configENS1_33run_length_encode_config_selectorIdjNS0_4plusIjEEEEZZNS1_33reduce_by_key_impl_wrapped_configILNS1_25lookback_scan_determinismE0ES3_S7_PKdNS0_17constant_iteratorIjlEEPdPlSF_S6_NS0_8equal_toIdEEEE10hipError_tPvRmT2_T3_mT4_T5_T6_T7_T8_P12ihipStream_tbENKUlT_T0_E_clISt17integral_constantIbLb1EESY_IbLb0EEEEDaSU_SV_EUlSU_E_NS1_11comp_targetILNS1_3genE5ELNS1_11target_archE942ELNS1_3gpuE9ELNS1_3repE0EEENS1_30default_config_static_selectorELNS0_4arch9wavefront6targetE1EEEvT1_,"axG",@progbits,_ZN7rocprim17ROCPRIM_400000_NS6detail17trampoline_kernelINS0_14default_configENS1_33run_length_encode_config_selectorIdjNS0_4plusIjEEEEZZNS1_33reduce_by_key_impl_wrapped_configILNS1_25lookback_scan_determinismE0ES3_S7_PKdNS0_17constant_iteratorIjlEEPdPlSF_S6_NS0_8equal_toIdEEEE10hipError_tPvRmT2_T3_mT4_T5_T6_T7_T8_P12ihipStream_tbENKUlT_T0_E_clISt17integral_constantIbLb1EESY_IbLb0EEEEDaSU_SV_EUlSU_E_NS1_11comp_targetILNS1_3genE5ELNS1_11target_archE942ELNS1_3gpuE9ELNS1_3repE0EEENS1_30default_config_static_selectorELNS0_4arch9wavefront6targetE1EEEvT1_,comdat
.Lfunc_end323:
	.size	_ZN7rocprim17ROCPRIM_400000_NS6detail17trampoline_kernelINS0_14default_configENS1_33run_length_encode_config_selectorIdjNS0_4plusIjEEEEZZNS1_33reduce_by_key_impl_wrapped_configILNS1_25lookback_scan_determinismE0ES3_S7_PKdNS0_17constant_iteratorIjlEEPdPlSF_S6_NS0_8equal_toIdEEEE10hipError_tPvRmT2_T3_mT4_T5_T6_T7_T8_P12ihipStream_tbENKUlT_T0_E_clISt17integral_constantIbLb1EESY_IbLb0EEEEDaSU_SV_EUlSU_E_NS1_11comp_targetILNS1_3genE5ELNS1_11target_archE942ELNS1_3gpuE9ELNS1_3repE0EEENS1_30default_config_static_selectorELNS0_4arch9wavefront6targetE1EEEvT1_, .Lfunc_end323-_ZN7rocprim17ROCPRIM_400000_NS6detail17trampoline_kernelINS0_14default_configENS1_33run_length_encode_config_selectorIdjNS0_4plusIjEEEEZZNS1_33reduce_by_key_impl_wrapped_configILNS1_25lookback_scan_determinismE0ES3_S7_PKdNS0_17constant_iteratorIjlEEPdPlSF_S6_NS0_8equal_toIdEEEE10hipError_tPvRmT2_T3_mT4_T5_T6_T7_T8_P12ihipStream_tbENKUlT_T0_E_clISt17integral_constantIbLb1EESY_IbLb0EEEEDaSU_SV_EUlSU_E_NS1_11comp_targetILNS1_3genE5ELNS1_11target_archE942ELNS1_3gpuE9ELNS1_3repE0EEENS1_30default_config_static_selectorELNS0_4arch9wavefront6targetE1EEEvT1_
                                        ; -- End function
	.section	.AMDGPU.csdata,"",@progbits
; Kernel info:
; codeLenInByte = 14112
; NumSgprs: 70
; NumVgprs: 90
; NumAgprs: 0
; TotalNumVgprs: 90
; ScratchSize: 0
; MemoryBound: 0
; FloatMode: 240
; IeeeMode: 1
; LDSByteSize: 61440 bytes/workgroup (compile time only)
; SGPRBlocks: 8
; VGPRBlocks: 11
; NumSGPRsForWavesPerEU: 70
; NumVGPRsForWavesPerEU: 90
; AccumOffset: 92
; Occupancy: 2
; WaveLimiterHint : 1
; COMPUTE_PGM_RSRC2:SCRATCH_EN: 0
; COMPUTE_PGM_RSRC2:USER_SGPR: 2
; COMPUTE_PGM_RSRC2:TRAP_HANDLER: 0
; COMPUTE_PGM_RSRC2:TGID_X_EN: 1
; COMPUTE_PGM_RSRC2:TGID_Y_EN: 0
; COMPUTE_PGM_RSRC2:TGID_Z_EN: 0
; COMPUTE_PGM_RSRC2:TIDIG_COMP_CNT: 0
; COMPUTE_PGM_RSRC3_GFX90A:ACCUM_OFFSET: 22
; COMPUTE_PGM_RSRC3_GFX90A:TG_SPLIT: 0
	.section	.text._ZN7rocprim17ROCPRIM_400000_NS6detail17trampoline_kernelINS0_14default_configENS1_33run_length_encode_config_selectorIdjNS0_4plusIjEEEEZZNS1_33reduce_by_key_impl_wrapped_configILNS1_25lookback_scan_determinismE0ES3_S7_PKdNS0_17constant_iteratorIjlEEPdPlSF_S6_NS0_8equal_toIdEEEE10hipError_tPvRmT2_T3_mT4_T5_T6_T7_T8_P12ihipStream_tbENKUlT_T0_E_clISt17integral_constantIbLb1EESY_IbLb0EEEEDaSU_SV_EUlSU_E_NS1_11comp_targetILNS1_3genE4ELNS1_11target_archE910ELNS1_3gpuE8ELNS1_3repE0EEENS1_30default_config_static_selectorELNS0_4arch9wavefront6targetE1EEEvT1_,"axG",@progbits,_ZN7rocprim17ROCPRIM_400000_NS6detail17trampoline_kernelINS0_14default_configENS1_33run_length_encode_config_selectorIdjNS0_4plusIjEEEEZZNS1_33reduce_by_key_impl_wrapped_configILNS1_25lookback_scan_determinismE0ES3_S7_PKdNS0_17constant_iteratorIjlEEPdPlSF_S6_NS0_8equal_toIdEEEE10hipError_tPvRmT2_T3_mT4_T5_T6_T7_T8_P12ihipStream_tbENKUlT_T0_E_clISt17integral_constantIbLb1EESY_IbLb0EEEEDaSU_SV_EUlSU_E_NS1_11comp_targetILNS1_3genE4ELNS1_11target_archE910ELNS1_3gpuE8ELNS1_3repE0EEENS1_30default_config_static_selectorELNS0_4arch9wavefront6targetE1EEEvT1_,comdat
	.protected	_ZN7rocprim17ROCPRIM_400000_NS6detail17trampoline_kernelINS0_14default_configENS1_33run_length_encode_config_selectorIdjNS0_4plusIjEEEEZZNS1_33reduce_by_key_impl_wrapped_configILNS1_25lookback_scan_determinismE0ES3_S7_PKdNS0_17constant_iteratorIjlEEPdPlSF_S6_NS0_8equal_toIdEEEE10hipError_tPvRmT2_T3_mT4_T5_T6_T7_T8_P12ihipStream_tbENKUlT_T0_E_clISt17integral_constantIbLb1EESY_IbLb0EEEEDaSU_SV_EUlSU_E_NS1_11comp_targetILNS1_3genE4ELNS1_11target_archE910ELNS1_3gpuE8ELNS1_3repE0EEENS1_30default_config_static_selectorELNS0_4arch9wavefront6targetE1EEEvT1_ ; -- Begin function _ZN7rocprim17ROCPRIM_400000_NS6detail17trampoline_kernelINS0_14default_configENS1_33run_length_encode_config_selectorIdjNS0_4plusIjEEEEZZNS1_33reduce_by_key_impl_wrapped_configILNS1_25lookback_scan_determinismE0ES3_S7_PKdNS0_17constant_iteratorIjlEEPdPlSF_S6_NS0_8equal_toIdEEEE10hipError_tPvRmT2_T3_mT4_T5_T6_T7_T8_P12ihipStream_tbENKUlT_T0_E_clISt17integral_constantIbLb1EESY_IbLb0EEEEDaSU_SV_EUlSU_E_NS1_11comp_targetILNS1_3genE4ELNS1_11target_archE910ELNS1_3gpuE8ELNS1_3repE0EEENS1_30default_config_static_selectorELNS0_4arch9wavefront6targetE1EEEvT1_
	.globl	_ZN7rocprim17ROCPRIM_400000_NS6detail17trampoline_kernelINS0_14default_configENS1_33run_length_encode_config_selectorIdjNS0_4plusIjEEEEZZNS1_33reduce_by_key_impl_wrapped_configILNS1_25lookback_scan_determinismE0ES3_S7_PKdNS0_17constant_iteratorIjlEEPdPlSF_S6_NS0_8equal_toIdEEEE10hipError_tPvRmT2_T3_mT4_T5_T6_T7_T8_P12ihipStream_tbENKUlT_T0_E_clISt17integral_constantIbLb1EESY_IbLb0EEEEDaSU_SV_EUlSU_E_NS1_11comp_targetILNS1_3genE4ELNS1_11target_archE910ELNS1_3gpuE8ELNS1_3repE0EEENS1_30default_config_static_selectorELNS0_4arch9wavefront6targetE1EEEvT1_
	.p2align	8
	.type	_ZN7rocprim17ROCPRIM_400000_NS6detail17trampoline_kernelINS0_14default_configENS1_33run_length_encode_config_selectorIdjNS0_4plusIjEEEEZZNS1_33reduce_by_key_impl_wrapped_configILNS1_25lookback_scan_determinismE0ES3_S7_PKdNS0_17constant_iteratorIjlEEPdPlSF_S6_NS0_8equal_toIdEEEE10hipError_tPvRmT2_T3_mT4_T5_T6_T7_T8_P12ihipStream_tbENKUlT_T0_E_clISt17integral_constantIbLb1EESY_IbLb0EEEEDaSU_SV_EUlSU_E_NS1_11comp_targetILNS1_3genE4ELNS1_11target_archE910ELNS1_3gpuE8ELNS1_3repE0EEENS1_30default_config_static_selectorELNS0_4arch9wavefront6targetE1EEEvT1_,@function
_ZN7rocprim17ROCPRIM_400000_NS6detail17trampoline_kernelINS0_14default_configENS1_33run_length_encode_config_selectorIdjNS0_4plusIjEEEEZZNS1_33reduce_by_key_impl_wrapped_configILNS1_25lookback_scan_determinismE0ES3_S7_PKdNS0_17constant_iteratorIjlEEPdPlSF_S6_NS0_8equal_toIdEEEE10hipError_tPvRmT2_T3_mT4_T5_T6_T7_T8_P12ihipStream_tbENKUlT_T0_E_clISt17integral_constantIbLb1EESY_IbLb0EEEEDaSU_SV_EUlSU_E_NS1_11comp_targetILNS1_3genE4ELNS1_11target_archE910ELNS1_3gpuE8ELNS1_3repE0EEENS1_30default_config_static_selectorELNS0_4arch9wavefront6targetE1EEEvT1_: ; @_ZN7rocprim17ROCPRIM_400000_NS6detail17trampoline_kernelINS0_14default_configENS1_33run_length_encode_config_selectorIdjNS0_4plusIjEEEEZZNS1_33reduce_by_key_impl_wrapped_configILNS1_25lookback_scan_determinismE0ES3_S7_PKdNS0_17constant_iteratorIjlEEPdPlSF_S6_NS0_8equal_toIdEEEE10hipError_tPvRmT2_T3_mT4_T5_T6_T7_T8_P12ihipStream_tbENKUlT_T0_E_clISt17integral_constantIbLb1EESY_IbLb0EEEEDaSU_SV_EUlSU_E_NS1_11comp_targetILNS1_3genE4ELNS1_11target_archE910ELNS1_3gpuE8ELNS1_3repE0EEENS1_30default_config_static_selectorELNS0_4arch9wavefront6targetE1EEEvT1_
; %bb.0:
	.section	.rodata,"a",@progbits
	.p2align	6, 0x0
	.amdhsa_kernel _ZN7rocprim17ROCPRIM_400000_NS6detail17trampoline_kernelINS0_14default_configENS1_33run_length_encode_config_selectorIdjNS0_4plusIjEEEEZZNS1_33reduce_by_key_impl_wrapped_configILNS1_25lookback_scan_determinismE0ES3_S7_PKdNS0_17constant_iteratorIjlEEPdPlSF_S6_NS0_8equal_toIdEEEE10hipError_tPvRmT2_T3_mT4_T5_T6_T7_T8_P12ihipStream_tbENKUlT_T0_E_clISt17integral_constantIbLb1EESY_IbLb0EEEEDaSU_SV_EUlSU_E_NS1_11comp_targetILNS1_3genE4ELNS1_11target_archE910ELNS1_3gpuE8ELNS1_3repE0EEENS1_30default_config_static_selectorELNS0_4arch9wavefront6targetE1EEEvT1_
		.amdhsa_group_segment_fixed_size 0
		.amdhsa_private_segment_fixed_size 0
		.amdhsa_kernarg_size 128
		.amdhsa_user_sgpr_count 2
		.amdhsa_user_sgpr_dispatch_ptr 0
		.amdhsa_user_sgpr_queue_ptr 0
		.amdhsa_user_sgpr_kernarg_segment_ptr 1
		.amdhsa_user_sgpr_dispatch_id 0
		.amdhsa_user_sgpr_kernarg_preload_length 0
		.amdhsa_user_sgpr_kernarg_preload_offset 0
		.amdhsa_user_sgpr_private_segment_size 0
		.amdhsa_uses_dynamic_stack 0
		.amdhsa_enable_private_segment 0
		.amdhsa_system_sgpr_workgroup_id_x 1
		.amdhsa_system_sgpr_workgroup_id_y 0
		.amdhsa_system_sgpr_workgroup_id_z 0
		.amdhsa_system_sgpr_workgroup_info 0
		.amdhsa_system_vgpr_workitem_id 0
		.amdhsa_next_free_vgpr 1
		.amdhsa_next_free_sgpr 0
		.amdhsa_accum_offset 4
		.amdhsa_reserve_vcc 0
		.amdhsa_float_round_mode_32 0
		.amdhsa_float_round_mode_16_64 0
		.amdhsa_float_denorm_mode_32 3
		.amdhsa_float_denorm_mode_16_64 3
		.amdhsa_dx10_clamp 1
		.amdhsa_ieee_mode 1
		.amdhsa_fp16_overflow 0
		.amdhsa_tg_split 0
		.amdhsa_exception_fp_ieee_invalid_op 0
		.amdhsa_exception_fp_denorm_src 0
		.amdhsa_exception_fp_ieee_div_zero 0
		.amdhsa_exception_fp_ieee_overflow 0
		.amdhsa_exception_fp_ieee_underflow 0
		.amdhsa_exception_fp_ieee_inexact 0
		.amdhsa_exception_int_div_zero 0
	.end_amdhsa_kernel
	.section	.text._ZN7rocprim17ROCPRIM_400000_NS6detail17trampoline_kernelINS0_14default_configENS1_33run_length_encode_config_selectorIdjNS0_4plusIjEEEEZZNS1_33reduce_by_key_impl_wrapped_configILNS1_25lookback_scan_determinismE0ES3_S7_PKdNS0_17constant_iteratorIjlEEPdPlSF_S6_NS0_8equal_toIdEEEE10hipError_tPvRmT2_T3_mT4_T5_T6_T7_T8_P12ihipStream_tbENKUlT_T0_E_clISt17integral_constantIbLb1EESY_IbLb0EEEEDaSU_SV_EUlSU_E_NS1_11comp_targetILNS1_3genE4ELNS1_11target_archE910ELNS1_3gpuE8ELNS1_3repE0EEENS1_30default_config_static_selectorELNS0_4arch9wavefront6targetE1EEEvT1_,"axG",@progbits,_ZN7rocprim17ROCPRIM_400000_NS6detail17trampoline_kernelINS0_14default_configENS1_33run_length_encode_config_selectorIdjNS0_4plusIjEEEEZZNS1_33reduce_by_key_impl_wrapped_configILNS1_25lookback_scan_determinismE0ES3_S7_PKdNS0_17constant_iteratorIjlEEPdPlSF_S6_NS0_8equal_toIdEEEE10hipError_tPvRmT2_T3_mT4_T5_T6_T7_T8_P12ihipStream_tbENKUlT_T0_E_clISt17integral_constantIbLb1EESY_IbLb0EEEEDaSU_SV_EUlSU_E_NS1_11comp_targetILNS1_3genE4ELNS1_11target_archE910ELNS1_3gpuE8ELNS1_3repE0EEENS1_30default_config_static_selectorELNS0_4arch9wavefront6targetE1EEEvT1_,comdat
.Lfunc_end324:
	.size	_ZN7rocprim17ROCPRIM_400000_NS6detail17trampoline_kernelINS0_14default_configENS1_33run_length_encode_config_selectorIdjNS0_4plusIjEEEEZZNS1_33reduce_by_key_impl_wrapped_configILNS1_25lookback_scan_determinismE0ES3_S7_PKdNS0_17constant_iteratorIjlEEPdPlSF_S6_NS0_8equal_toIdEEEE10hipError_tPvRmT2_T3_mT4_T5_T6_T7_T8_P12ihipStream_tbENKUlT_T0_E_clISt17integral_constantIbLb1EESY_IbLb0EEEEDaSU_SV_EUlSU_E_NS1_11comp_targetILNS1_3genE4ELNS1_11target_archE910ELNS1_3gpuE8ELNS1_3repE0EEENS1_30default_config_static_selectorELNS0_4arch9wavefront6targetE1EEEvT1_, .Lfunc_end324-_ZN7rocprim17ROCPRIM_400000_NS6detail17trampoline_kernelINS0_14default_configENS1_33run_length_encode_config_selectorIdjNS0_4plusIjEEEEZZNS1_33reduce_by_key_impl_wrapped_configILNS1_25lookback_scan_determinismE0ES3_S7_PKdNS0_17constant_iteratorIjlEEPdPlSF_S6_NS0_8equal_toIdEEEE10hipError_tPvRmT2_T3_mT4_T5_T6_T7_T8_P12ihipStream_tbENKUlT_T0_E_clISt17integral_constantIbLb1EESY_IbLb0EEEEDaSU_SV_EUlSU_E_NS1_11comp_targetILNS1_3genE4ELNS1_11target_archE910ELNS1_3gpuE8ELNS1_3repE0EEENS1_30default_config_static_selectorELNS0_4arch9wavefront6targetE1EEEvT1_
                                        ; -- End function
	.section	.AMDGPU.csdata,"",@progbits
; Kernel info:
; codeLenInByte = 0
; NumSgprs: 6
; NumVgprs: 0
; NumAgprs: 0
; TotalNumVgprs: 0
; ScratchSize: 0
; MemoryBound: 0
; FloatMode: 240
; IeeeMode: 1
; LDSByteSize: 0 bytes/workgroup (compile time only)
; SGPRBlocks: 0
; VGPRBlocks: 0
; NumSGPRsForWavesPerEU: 6
; NumVGPRsForWavesPerEU: 1
; AccumOffset: 4
; Occupancy: 8
; WaveLimiterHint : 0
; COMPUTE_PGM_RSRC2:SCRATCH_EN: 0
; COMPUTE_PGM_RSRC2:USER_SGPR: 2
; COMPUTE_PGM_RSRC2:TRAP_HANDLER: 0
; COMPUTE_PGM_RSRC2:TGID_X_EN: 1
; COMPUTE_PGM_RSRC2:TGID_Y_EN: 0
; COMPUTE_PGM_RSRC2:TGID_Z_EN: 0
; COMPUTE_PGM_RSRC2:TIDIG_COMP_CNT: 0
; COMPUTE_PGM_RSRC3_GFX90A:ACCUM_OFFSET: 0
; COMPUTE_PGM_RSRC3_GFX90A:TG_SPLIT: 0
	.section	.text._ZN7rocprim17ROCPRIM_400000_NS6detail17trampoline_kernelINS0_14default_configENS1_33run_length_encode_config_selectorIdjNS0_4plusIjEEEEZZNS1_33reduce_by_key_impl_wrapped_configILNS1_25lookback_scan_determinismE0ES3_S7_PKdNS0_17constant_iteratorIjlEEPdPlSF_S6_NS0_8equal_toIdEEEE10hipError_tPvRmT2_T3_mT4_T5_T6_T7_T8_P12ihipStream_tbENKUlT_T0_E_clISt17integral_constantIbLb1EESY_IbLb0EEEEDaSU_SV_EUlSU_E_NS1_11comp_targetILNS1_3genE3ELNS1_11target_archE908ELNS1_3gpuE7ELNS1_3repE0EEENS1_30default_config_static_selectorELNS0_4arch9wavefront6targetE1EEEvT1_,"axG",@progbits,_ZN7rocprim17ROCPRIM_400000_NS6detail17trampoline_kernelINS0_14default_configENS1_33run_length_encode_config_selectorIdjNS0_4plusIjEEEEZZNS1_33reduce_by_key_impl_wrapped_configILNS1_25lookback_scan_determinismE0ES3_S7_PKdNS0_17constant_iteratorIjlEEPdPlSF_S6_NS0_8equal_toIdEEEE10hipError_tPvRmT2_T3_mT4_T5_T6_T7_T8_P12ihipStream_tbENKUlT_T0_E_clISt17integral_constantIbLb1EESY_IbLb0EEEEDaSU_SV_EUlSU_E_NS1_11comp_targetILNS1_3genE3ELNS1_11target_archE908ELNS1_3gpuE7ELNS1_3repE0EEENS1_30default_config_static_selectorELNS0_4arch9wavefront6targetE1EEEvT1_,comdat
	.protected	_ZN7rocprim17ROCPRIM_400000_NS6detail17trampoline_kernelINS0_14default_configENS1_33run_length_encode_config_selectorIdjNS0_4plusIjEEEEZZNS1_33reduce_by_key_impl_wrapped_configILNS1_25lookback_scan_determinismE0ES3_S7_PKdNS0_17constant_iteratorIjlEEPdPlSF_S6_NS0_8equal_toIdEEEE10hipError_tPvRmT2_T3_mT4_T5_T6_T7_T8_P12ihipStream_tbENKUlT_T0_E_clISt17integral_constantIbLb1EESY_IbLb0EEEEDaSU_SV_EUlSU_E_NS1_11comp_targetILNS1_3genE3ELNS1_11target_archE908ELNS1_3gpuE7ELNS1_3repE0EEENS1_30default_config_static_selectorELNS0_4arch9wavefront6targetE1EEEvT1_ ; -- Begin function _ZN7rocprim17ROCPRIM_400000_NS6detail17trampoline_kernelINS0_14default_configENS1_33run_length_encode_config_selectorIdjNS0_4plusIjEEEEZZNS1_33reduce_by_key_impl_wrapped_configILNS1_25lookback_scan_determinismE0ES3_S7_PKdNS0_17constant_iteratorIjlEEPdPlSF_S6_NS0_8equal_toIdEEEE10hipError_tPvRmT2_T3_mT4_T5_T6_T7_T8_P12ihipStream_tbENKUlT_T0_E_clISt17integral_constantIbLb1EESY_IbLb0EEEEDaSU_SV_EUlSU_E_NS1_11comp_targetILNS1_3genE3ELNS1_11target_archE908ELNS1_3gpuE7ELNS1_3repE0EEENS1_30default_config_static_selectorELNS0_4arch9wavefront6targetE1EEEvT1_
	.globl	_ZN7rocprim17ROCPRIM_400000_NS6detail17trampoline_kernelINS0_14default_configENS1_33run_length_encode_config_selectorIdjNS0_4plusIjEEEEZZNS1_33reduce_by_key_impl_wrapped_configILNS1_25lookback_scan_determinismE0ES3_S7_PKdNS0_17constant_iteratorIjlEEPdPlSF_S6_NS0_8equal_toIdEEEE10hipError_tPvRmT2_T3_mT4_T5_T6_T7_T8_P12ihipStream_tbENKUlT_T0_E_clISt17integral_constantIbLb1EESY_IbLb0EEEEDaSU_SV_EUlSU_E_NS1_11comp_targetILNS1_3genE3ELNS1_11target_archE908ELNS1_3gpuE7ELNS1_3repE0EEENS1_30default_config_static_selectorELNS0_4arch9wavefront6targetE1EEEvT1_
	.p2align	8
	.type	_ZN7rocprim17ROCPRIM_400000_NS6detail17trampoline_kernelINS0_14default_configENS1_33run_length_encode_config_selectorIdjNS0_4plusIjEEEEZZNS1_33reduce_by_key_impl_wrapped_configILNS1_25lookback_scan_determinismE0ES3_S7_PKdNS0_17constant_iteratorIjlEEPdPlSF_S6_NS0_8equal_toIdEEEE10hipError_tPvRmT2_T3_mT4_T5_T6_T7_T8_P12ihipStream_tbENKUlT_T0_E_clISt17integral_constantIbLb1EESY_IbLb0EEEEDaSU_SV_EUlSU_E_NS1_11comp_targetILNS1_3genE3ELNS1_11target_archE908ELNS1_3gpuE7ELNS1_3repE0EEENS1_30default_config_static_selectorELNS0_4arch9wavefront6targetE1EEEvT1_,@function
_ZN7rocprim17ROCPRIM_400000_NS6detail17trampoline_kernelINS0_14default_configENS1_33run_length_encode_config_selectorIdjNS0_4plusIjEEEEZZNS1_33reduce_by_key_impl_wrapped_configILNS1_25lookback_scan_determinismE0ES3_S7_PKdNS0_17constant_iteratorIjlEEPdPlSF_S6_NS0_8equal_toIdEEEE10hipError_tPvRmT2_T3_mT4_T5_T6_T7_T8_P12ihipStream_tbENKUlT_T0_E_clISt17integral_constantIbLb1EESY_IbLb0EEEEDaSU_SV_EUlSU_E_NS1_11comp_targetILNS1_3genE3ELNS1_11target_archE908ELNS1_3gpuE7ELNS1_3repE0EEENS1_30default_config_static_selectorELNS0_4arch9wavefront6targetE1EEEvT1_: ; @_ZN7rocprim17ROCPRIM_400000_NS6detail17trampoline_kernelINS0_14default_configENS1_33run_length_encode_config_selectorIdjNS0_4plusIjEEEEZZNS1_33reduce_by_key_impl_wrapped_configILNS1_25lookback_scan_determinismE0ES3_S7_PKdNS0_17constant_iteratorIjlEEPdPlSF_S6_NS0_8equal_toIdEEEE10hipError_tPvRmT2_T3_mT4_T5_T6_T7_T8_P12ihipStream_tbENKUlT_T0_E_clISt17integral_constantIbLb1EESY_IbLb0EEEEDaSU_SV_EUlSU_E_NS1_11comp_targetILNS1_3genE3ELNS1_11target_archE908ELNS1_3gpuE7ELNS1_3repE0EEENS1_30default_config_static_selectorELNS0_4arch9wavefront6targetE1EEEvT1_
; %bb.0:
	.section	.rodata,"a",@progbits
	.p2align	6, 0x0
	.amdhsa_kernel _ZN7rocprim17ROCPRIM_400000_NS6detail17trampoline_kernelINS0_14default_configENS1_33run_length_encode_config_selectorIdjNS0_4plusIjEEEEZZNS1_33reduce_by_key_impl_wrapped_configILNS1_25lookback_scan_determinismE0ES3_S7_PKdNS0_17constant_iteratorIjlEEPdPlSF_S6_NS0_8equal_toIdEEEE10hipError_tPvRmT2_T3_mT4_T5_T6_T7_T8_P12ihipStream_tbENKUlT_T0_E_clISt17integral_constantIbLb1EESY_IbLb0EEEEDaSU_SV_EUlSU_E_NS1_11comp_targetILNS1_3genE3ELNS1_11target_archE908ELNS1_3gpuE7ELNS1_3repE0EEENS1_30default_config_static_selectorELNS0_4arch9wavefront6targetE1EEEvT1_
		.amdhsa_group_segment_fixed_size 0
		.amdhsa_private_segment_fixed_size 0
		.amdhsa_kernarg_size 128
		.amdhsa_user_sgpr_count 2
		.amdhsa_user_sgpr_dispatch_ptr 0
		.amdhsa_user_sgpr_queue_ptr 0
		.amdhsa_user_sgpr_kernarg_segment_ptr 1
		.amdhsa_user_sgpr_dispatch_id 0
		.amdhsa_user_sgpr_kernarg_preload_length 0
		.amdhsa_user_sgpr_kernarg_preload_offset 0
		.amdhsa_user_sgpr_private_segment_size 0
		.amdhsa_uses_dynamic_stack 0
		.amdhsa_enable_private_segment 0
		.amdhsa_system_sgpr_workgroup_id_x 1
		.amdhsa_system_sgpr_workgroup_id_y 0
		.amdhsa_system_sgpr_workgroup_id_z 0
		.amdhsa_system_sgpr_workgroup_info 0
		.amdhsa_system_vgpr_workitem_id 0
		.amdhsa_next_free_vgpr 1
		.amdhsa_next_free_sgpr 0
		.amdhsa_accum_offset 4
		.amdhsa_reserve_vcc 0
		.amdhsa_float_round_mode_32 0
		.amdhsa_float_round_mode_16_64 0
		.amdhsa_float_denorm_mode_32 3
		.amdhsa_float_denorm_mode_16_64 3
		.amdhsa_dx10_clamp 1
		.amdhsa_ieee_mode 1
		.amdhsa_fp16_overflow 0
		.amdhsa_tg_split 0
		.amdhsa_exception_fp_ieee_invalid_op 0
		.amdhsa_exception_fp_denorm_src 0
		.amdhsa_exception_fp_ieee_div_zero 0
		.amdhsa_exception_fp_ieee_overflow 0
		.amdhsa_exception_fp_ieee_underflow 0
		.amdhsa_exception_fp_ieee_inexact 0
		.amdhsa_exception_int_div_zero 0
	.end_amdhsa_kernel
	.section	.text._ZN7rocprim17ROCPRIM_400000_NS6detail17trampoline_kernelINS0_14default_configENS1_33run_length_encode_config_selectorIdjNS0_4plusIjEEEEZZNS1_33reduce_by_key_impl_wrapped_configILNS1_25lookback_scan_determinismE0ES3_S7_PKdNS0_17constant_iteratorIjlEEPdPlSF_S6_NS0_8equal_toIdEEEE10hipError_tPvRmT2_T3_mT4_T5_T6_T7_T8_P12ihipStream_tbENKUlT_T0_E_clISt17integral_constantIbLb1EESY_IbLb0EEEEDaSU_SV_EUlSU_E_NS1_11comp_targetILNS1_3genE3ELNS1_11target_archE908ELNS1_3gpuE7ELNS1_3repE0EEENS1_30default_config_static_selectorELNS0_4arch9wavefront6targetE1EEEvT1_,"axG",@progbits,_ZN7rocprim17ROCPRIM_400000_NS6detail17trampoline_kernelINS0_14default_configENS1_33run_length_encode_config_selectorIdjNS0_4plusIjEEEEZZNS1_33reduce_by_key_impl_wrapped_configILNS1_25lookback_scan_determinismE0ES3_S7_PKdNS0_17constant_iteratorIjlEEPdPlSF_S6_NS0_8equal_toIdEEEE10hipError_tPvRmT2_T3_mT4_T5_T6_T7_T8_P12ihipStream_tbENKUlT_T0_E_clISt17integral_constantIbLb1EESY_IbLb0EEEEDaSU_SV_EUlSU_E_NS1_11comp_targetILNS1_3genE3ELNS1_11target_archE908ELNS1_3gpuE7ELNS1_3repE0EEENS1_30default_config_static_selectorELNS0_4arch9wavefront6targetE1EEEvT1_,comdat
.Lfunc_end325:
	.size	_ZN7rocprim17ROCPRIM_400000_NS6detail17trampoline_kernelINS0_14default_configENS1_33run_length_encode_config_selectorIdjNS0_4plusIjEEEEZZNS1_33reduce_by_key_impl_wrapped_configILNS1_25lookback_scan_determinismE0ES3_S7_PKdNS0_17constant_iteratorIjlEEPdPlSF_S6_NS0_8equal_toIdEEEE10hipError_tPvRmT2_T3_mT4_T5_T6_T7_T8_P12ihipStream_tbENKUlT_T0_E_clISt17integral_constantIbLb1EESY_IbLb0EEEEDaSU_SV_EUlSU_E_NS1_11comp_targetILNS1_3genE3ELNS1_11target_archE908ELNS1_3gpuE7ELNS1_3repE0EEENS1_30default_config_static_selectorELNS0_4arch9wavefront6targetE1EEEvT1_, .Lfunc_end325-_ZN7rocprim17ROCPRIM_400000_NS6detail17trampoline_kernelINS0_14default_configENS1_33run_length_encode_config_selectorIdjNS0_4plusIjEEEEZZNS1_33reduce_by_key_impl_wrapped_configILNS1_25lookback_scan_determinismE0ES3_S7_PKdNS0_17constant_iteratorIjlEEPdPlSF_S6_NS0_8equal_toIdEEEE10hipError_tPvRmT2_T3_mT4_T5_T6_T7_T8_P12ihipStream_tbENKUlT_T0_E_clISt17integral_constantIbLb1EESY_IbLb0EEEEDaSU_SV_EUlSU_E_NS1_11comp_targetILNS1_3genE3ELNS1_11target_archE908ELNS1_3gpuE7ELNS1_3repE0EEENS1_30default_config_static_selectorELNS0_4arch9wavefront6targetE1EEEvT1_
                                        ; -- End function
	.section	.AMDGPU.csdata,"",@progbits
; Kernel info:
; codeLenInByte = 0
; NumSgprs: 6
; NumVgprs: 0
; NumAgprs: 0
; TotalNumVgprs: 0
; ScratchSize: 0
; MemoryBound: 0
; FloatMode: 240
; IeeeMode: 1
; LDSByteSize: 0 bytes/workgroup (compile time only)
; SGPRBlocks: 0
; VGPRBlocks: 0
; NumSGPRsForWavesPerEU: 6
; NumVGPRsForWavesPerEU: 1
; AccumOffset: 4
; Occupancy: 8
; WaveLimiterHint : 0
; COMPUTE_PGM_RSRC2:SCRATCH_EN: 0
; COMPUTE_PGM_RSRC2:USER_SGPR: 2
; COMPUTE_PGM_RSRC2:TRAP_HANDLER: 0
; COMPUTE_PGM_RSRC2:TGID_X_EN: 1
; COMPUTE_PGM_RSRC2:TGID_Y_EN: 0
; COMPUTE_PGM_RSRC2:TGID_Z_EN: 0
; COMPUTE_PGM_RSRC2:TIDIG_COMP_CNT: 0
; COMPUTE_PGM_RSRC3_GFX90A:ACCUM_OFFSET: 0
; COMPUTE_PGM_RSRC3_GFX90A:TG_SPLIT: 0
	.section	.text._ZN7rocprim17ROCPRIM_400000_NS6detail17trampoline_kernelINS0_14default_configENS1_33run_length_encode_config_selectorIdjNS0_4plusIjEEEEZZNS1_33reduce_by_key_impl_wrapped_configILNS1_25lookback_scan_determinismE0ES3_S7_PKdNS0_17constant_iteratorIjlEEPdPlSF_S6_NS0_8equal_toIdEEEE10hipError_tPvRmT2_T3_mT4_T5_T6_T7_T8_P12ihipStream_tbENKUlT_T0_E_clISt17integral_constantIbLb1EESY_IbLb0EEEEDaSU_SV_EUlSU_E_NS1_11comp_targetILNS1_3genE2ELNS1_11target_archE906ELNS1_3gpuE6ELNS1_3repE0EEENS1_30default_config_static_selectorELNS0_4arch9wavefront6targetE1EEEvT1_,"axG",@progbits,_ZN7rocprim17ROCPRIM_400000_NS6detail17trampoline_kernelINS0_14default_configENS1_33run_length_encode_config_selectorIdjNS0_4plusIjEEEEZZNS1_33reduce_by_key_impl_wrapped_configILNS1_25lookback_scan_determinismE0ES3_S7_PKdNS0_17constant_iteratorIjlEEPdPlSF_S6_NS0_8equal_toIdEEEE10hipError_tPvRmT2_T3_mT4_T5_T6_T7_T8_P12ihipStream_tbENKUlT_T0_E_clISt17integral_constantIbLb1EESY_IbLb0EEEEDaSU_SV_EUlSU_E_NS1_11comp_targetILNS1_3genE2ELNS1_11target_archE906ELNS1_3gpuE6ELNS1_3repE0EEENS1_30default_config_static_selectorELNS0_4arch9wavefront6targetE1EEEvT1_,comdat
	.protected	_ZN7rocprim17ROCPRIM_400000_NS6detail17trampoline_kernelINS0_14default_configENS1_33run_length_encode_config_selectorIdjNS0_4plusIjEEEEZZNS1_33reduce_by_key_impl_wrapped_configILNS1_25lookback_scan_determinismE0ES3_S7_PKdNS0_17constant_iteratorIjlEEPdPlSF_S6_NS0_8equal_toIdEEEE10hipError_tPvRmT2_T3_mT4_T5_T6_T7_T8_P12ihipStream_tbENKUlT_T0_E_clISt17integral_constantIbLb1EESY_IbLb0EEEEDaSU_SV_EUlSU_E_NS1_11comp_targetILNS1_3genE2ELNS1_11target_archE906ELNS1_3gpuE6ELNS1_3repE0EEENS1_30default_config_static_selectorELNS0_4arch9wavefront6targetE1EEEvT1_ ; -- Begin function _ZN7rocprim17ROCPRIM_400000_NS6detail17trampoline_kernelINS0_14default_configENS1_33run_length_encode_config_selectorIdjNS0_4plusIjEEEEZZNS1_33reduce_by_key_impl_wrapped_configILNS1_25lookback_scan_determinismE0ES3_S7_PKdNS0_17constant_iteratorIjlEEPdPlSF_S6_NS0_8equal_toIdEEEE10hipError_tPvRmT2_T3_mT4_T5_T6_T7_T8_P12ihipStream_tbENKUlT_T0_E_clISt17integral_constantIbLb1EESY_IbLb0EEEEDaSU_SV_EUlSU_E_NS1_11comp_targetILNS1_3genE2ELNS1_11target_archE906ELNS1_3gpuE6ELNS1_3repE0EEENS1_30default_config_static_selectorELNS0_4arch9wavefront6targetE1EEEvT1_
	.globl	_ZN7rocprim17ROCPRIM_400000_NS6detail17trampoline_kernelINS0_14default_configENS1_33run_length_encode_config_selectorIdjNS0_4plusIjEEEEZZNS1_33reduce_by_key_impl_wrapped_configILNS1_25lookback_scan_determinismE0ES3_S7_PKdNS0_17constant_iteratorIjlEEPdPlSF_S6_NS0_8equal_toIdEEEE10hipError_tPvRmT2_T3_mT4_T5_T6_T7_T8_P12ihipStream_tbENKUlT_T0_E_clISt17integral_constantIbLb1EESY_IbLb0EEEEDaSU_SV_EUlSU_E_NS1_11comp_targetILNS1_3genE2ELNS1_11target_archE906ELNS1_3gpuE6ELNS1_3repE0EEENS1_30default_config_static_selectorELNS0_4arch9wavefront6targetE1EEEvT1_
	.p2align	8
	.type	_ZN7rocprim17ROCPRIM_400000_NS6detail17trampoline_kernelINS0_14default_configENS1_33run_length_encode_config_selectorIdjNS0_4plusIjEEEEZZNS1_33reduce_by_key_impl_wrapped_configILNS1_25lookback_scan_determinismE0ES3_S7_PKdNS0_17constant_iteratorIjlEEPdPlSF_S6_NS0_8equal_toIdEEEE10hipError_tPvRmT2_T3_mT4_T5_T6_T7_T8_P12ihipStream_tbENKUlT_T0_E_clISt17integral_constantIbLb1EESY_IbLb0EEEEDaSU_SV_EUlSU_E_NS1_11comp_targetILNS1_3genE2ELNS1_11target_archE906ELNS1_3gpuE6ELNS1_3repE0EEENS1_30default_config_static_selectorELNS0_4arch9wavefront6targetE1EEEvT1_,@function
_ZN7rocprim17ROCPRIM_400000_NS6detail17trampoline_kernelINS0_14default_configENS1_33run_length_encode_config_selectorIdjNS0_4plusIjEEEEZZNS1_33reduce_by_key_impl_wrapped_configILNS1_25lookback_scan_determinismE0ES3_S7_PKdNS0_17constant_iteratorIjlEEPdPlSF_S6_NS0_8equal_toIdEEEE10hipError_tPvRmT2_T3_mT4_T5_T6_T7_T8_P12ihipStream_tbENKUlT_T0_E_clISt17integral_constantIbLb1EESY_IbLb0EEEEDaSU_SV_EUlSU_E_NS1_11comp_targetILNS1_3genE2ELNS1_11target_archE906ELNS1_3gpuE6ELNS1_3repE0EEENS1_30default_config_static_selectorELNS0_4arch9wavefront6targetE1EEEvT1_: ; @_ZN7rocprim17ROCPRIM_400000_NS6detail17trampoline_kernelINS0_14default_configENS1_33run_length_encode_config_selectorIdjNS0_4plusIjEEEEZZNS1_33reduce_by_key_impl_wrapped_configILNS1_25lookback_scan_determinismE0ES3_S7_PKdNS0_17constant_iteratorIjlEEPdPlSF_S6_NS0_8equal_toIdEEEE10hipError_tPvRmT2_T3_mT4_T5_T6_T7_T8_P12ihipStream_tbENKUlT_T0_E_clISt17integral_constantIbLb1EESY_IbLb0EEEEDaSU_SV_EUlSU_E_NS1_11comp_targetILNS1_3genE2ELNS1_11target_archE906ELNS1_3gpuE6ELNS1_3repE0EEENS1_30default_config_static_selectorELNS0_4arch9wavefront6targetE1EEEvT1_
; %bb.0:
	.section	.rodata,"a",@progbits
	.p2align	6, 0x0
	.amdhsa_kernel _ZN7rocprim17ROCPRIM_400000_NS6detail17trampoline_kernelINS0_14default_configENS1_33run_length_encode_config_selectorIdjNS0_4plusIjEEEEZZNS1_33reduce_by_key_impl_wrapped_configILNS1_25lookback_scan_determinismE0ES3_S7_PKdNS0_17constant_iteratorIjlEEPdPlSF_S6_NS0_8equal_toIdEEEE10hipError_tPvRmT2_T3_mT4_T5_T6_T7_T8_P12ihipStream_tbENKUlT_T0_E_clISt17integral_constantIbLb1EESY_IbLb0EEEEDaSU_SV_EUlSU_E_NS1_11comp_targetILNS1_3genE2ELNS1_11target_archE906ELNS1_3gpuE6ELNS1_3repE0EEENS1_30default_config_static_selectorELNS0_4arch9wavefront6targetE1EEEvT1_
		.amdhsa_group_segment_fixed_size 0
		.amdhsa_private_segment_fixed_size 0
		.amdhsa_kernarg_size 128
		.amdhsa_user_sgpr_count 2
		.amdhsa_user_sgpr_dispatch_ptr 0
		.amdhsa_user_sgpr_queue_ptr 0
		.amdhsa_user_sgpr_kernarg_segment_ptr 1
		.amdhsa_user_sgpr_dispatch_id 0
		.amdhsa_user_sgpr_kernarg_preload_length 0
		.amdhsa_user_sgpr_kernarg_preload_offset 0
		.amdhsa_user_sgpr_private_segment_size 0
		.amdhsa_uses_dynamic_stack 0
		.amdhsa_enable_private_segment 0
		.amdhsa_system_sgpr_workgroup_id_x 1
		.amdhsa_system_sgpr_workgroup_id_y 0
		.amdhsa_system_sgpr_workgroup_id_z 0
		.amdhsa_system_sgpr_workgroup_info 0
		.amdhsa_system_vgpr_workitem_id 0
		.amdhsa_next_free_vgpr 1
		.amdhsa_next_free_sgpr 0
		.amdhsa_accum_offset 4
		.amdhsa_reserve_vcc 0
		.amdhsa_float_round_mode_32 0
		.amdhsa_float_round_mode_16_64 0
		.amdhsa_float_denorm_mode_32 3
		.amdhsa_float_denorm_mode_16_64 3
		.amdhsa_dx10_clamp 1
		.amdhsa_ieee_mode 1
		.amdhsa_fp16_overflow 0
		.amdhsa_tg_split 0
		.amdhsa_exception_fp_ieee_invalid_op 0
		.amdhsa_exception_fp_denorm_src 0
		.amdhsa_exception_fp_ieee_div_zero 0
		.amdhsa_exception_fp_ieee_overflow 0
		.amdhsa_exception_fp_ieee_underflow 0
		.amdhsa_exception_fp_ieee_inexact 0
		.amdhsa_exception_int_div_zero 0
	.end_amdhsa_kernel
	.section	.text._ZN7rocprim17ROCPRIM_400000_NS6detail17trampoline_kernelINS0_14default_configENS1_33run_length_encode_config_selectorIdjNS0_4plusIjEEEEZZNS1_33reduce_by_key_impl_wrapped_configILNS1_25lookback_scan_determinismE0ES3_S7_PKdNS0_17constant_iteratorIjlEEPdPlSF_S6_NS0_8equal_toIdEEEE10hipError_tPvRmT2_T3_mT4_T5_T6_T7_T8_P12ihipStream_tbENKUlT_T0_E_clISt17integral_constantIbLb1EESY_IbLb0EEEEDaSU_SV_EUlSU_E_NS1_11comp_targetILNS1_3genE2ELNS1_11target_archE906ELNS1_3gpuE6ELNS1_3repE0EEENS1_30default_config_static_selectorELNS0_4arch9wavefront6targetE1EEEvT1_,"axG",@progbits,_ZN7rocprim17ROCPRIM_400000_NS6detail17trampoline_kernelINS0_14default_configENS1_33run_length_encode_config_selectorIdjNS0_4plusIjEEEEZZNS1_33reduce_by_key_impl_wrapped_configILNS1_25lookback_scan_determinismE0ES3_S7_PKdNS0_17constant_iteratorIjlEEPdPlSF_S6_NS0_8equal_toIdEEEE10hipError_tPvRmT2_T3_mT4_T5_T6_T7_T8_P12ihipStream_tbENKUlT_T0_E_clISt17integral_constantIbLb1EESY_IbLb0EEEEDaSU_SV_EUlSU_E_NS1_11comp_targetILNS1_3genE2ELNS1_11target_archE906ELNS1_3gpuE6ELNS1_3repE0EEENS1_30default_config_static_selectorELNS0_4arch9wavefront6targetE1EEEvT1_,comdat
.Lfunc_end326:
	.size	_ZN7rocprim17ROCPRIM_400000_NS6detail17trampoline_kernelINS0_14default_configENS1_33run_length_encode_config_selectorIdjNS0_4plusIjEEEEZZNS1_33reduce_by_key_impl_wrapped_configILNS1_25lookback_scan_determinismE0ES3_S7_PKdNS0_17constant_iteratorIjlEEPdPlSF_S6_NS0_8equal_toIdEEEE10hipError_tPvRmT2_T3_mT4_T5_T6_T7_T8_P12ihipStream_tbENKUlT_T0_E_clISt17integral_constantIbLb1EESY_IbLb0EEEEDaSU_SV_EUlSU_E_NS1_11comp_targetILNS1_3genE2ELNS1_11target_archE906ELNS1_3gpuE6ELNS1_3repE0EEENS1_30default_config_static_selectorELNS0_4arch9wavefront6targetE1EEEvT1_, .Lfunc_end326-_ZN7rocprim17ROCPRIM_400000_NS6detail17trampoline_kernelINS0_14default_configENS1_33run_length_encode_config_selectorIdjNS0_4plusIjEEEEZZNS1_33reduce_by_key_impl_wrapped_configILNS1_25lookback_scan_determinismE0ES3_S7_PKdNS0_17constant_iteratorIjlEEPdPlSF_S6_NS0_8equal_toIdEEEE10hipError_tPvRmT2_T3_mT4_T5_T6_T7_T8_P12ihipStream_tbENKUlT_T0_E_clISt17integral_constantIbLb1EESY_IbLb0EEEEDaSU_SV_EUlSU_E_NS1_11comp_targetILNS1_3genE2ELNS1_11target_archE906ELNS1_3gpuE6ELNS1_3repE0EEENS1_30default_config_static_selectorELNS0_4arch9wavefront6targetE1EEEvT1_
                                        ; -- End function
	.section	.AMDGPU.csdata,"",@progbits
; Kernel info:
; codeLenInByte = 0
; NumSgprs: 6
; NumVgprs: 0
; NumAgprs: 0
; TotalNumVgprs: 0
; ScratchSize: 0
; MemoryBound: 0
; FloatMode: 240
; IeeeMode: 1
; LDSByteSize: 0 bytes/workgroup (compile time only)
; SGPRBlocks: 0
; VGPRBlocks: 0
; NumSGPRsForWavesPerEU: 6
; NumVGPRsForWavesPerEU: 1
; AccumOffset: 4
; Occupancy: 8
; WaveLimiterHint : 0
; COMPUTE_PGM_RSRC2:SCRATCH_EN: 0
; COMPUTE_PGM_RSRC2:USER_SGPR: 2
; COMPUTE_PGM_RSRC2:TRAP_HANDLER: 0
; COMPUTE_PGM_RSRC2:TGID_X_EN: 1
; COMPUTE_PGM_RSRC2:TGID_Y_EN: 0
; COMPUTE_PGM_RSRC2:TGID_Z_EN: 0
; COMPUTE_PGM_RSRC2:TIDIG_COMP_CNT: 0
; COMPUTE_PGM_RSRC3_GFX90A:ACCUM_OFFSET: 0
; COMPUTE_PGM_RSRC3_GFX90A:TG_SPLIT: 0
	.section	.text._ZN7rocprim17ROCPRIM_400000_NS6detail17trampoline_kernelINS0_14default_configENS1_33run_length_encode_config_selectorIdjNS0_4plusIjEEEEZZNS1_33reduce_by_key_impl_wrapped_configILNS1_25lookback_scan_determinismE0ES3_S7_PKdNS0_17constant_iteratorIjlEEPdPlSF_S6_NS0_8equal_toIdEEEE10hipError_tPvRmT2_T3_mT4_T5_T6_T7_T8_P12ihipStream_tbENKUlT_T0_E_clISt17integral_constantIbLb1EESY_IbLb0EEEEDaSU_SV_EUlSU_E_NS1_11comp_targetILNS1_3genE10ELNS1_11target_archE1201ELNS1_3gpuE5ELNS1_3repE0EEENS1_30default_config_static_selectorELNS0_4arch9wavefront6targetE1EEEvT1_,"axG",@progbits,_ZN7rocprim17ROCPRIM_400000_NS6detail17trampoline_kernelINS0_14default_configENS1_33run_length_encode_config_selectorIdjNS0_4plusIjEEEEZZNS1_33reduce_by_key_impl_wrapped_configILNS1_25lookback_scan_determinismE0ES3_S7_PKdNS0_17constant_iteratorIjlEEPdPlSF_S6_NS0_8equal_toIdEEEE10hipError_tPvRmT2_T3_mT4_T5_T6_T7_T8_P12ihipStream_tbENKUlT_T0_E_clISt17integral_constantIbLb1EESY_IbLb0EEEEDaSU_SV_EUlSU_E_NS1_11comp_targetILNS1_3genE10ELNS1_11target_archE1201ELNS1_3gpuE5ELNS1_3repE0EEENS1_30default_config_static_selectorELNS0_4arch9wavefront6targetE1EEEvT1_,comdat
	.protected	_ZN7rocprim17ROCPRIM_400000_NS6detail17trampoline_kernelINS0_14default_configENS1_33run_length_encode_config_selectorIdjNS0_4plusIjEEEEZZNS1_33reduce_by_key_impl_wrapped_configILNS1_25lookback_scan_determinismE0ES3_S7_PKdNS0_17constant_iteratorIjlEEPdPlSF_S6_NS0_8equal_toIdEEEE10hipError_tPvRmT2_T3_mT4_T5_T6_T7_T8_P12ihipStream_tbENKUlT_T0_E_clISt17integral_constantIbLb1EESY_IbLb0EEEEDaSU_SV_EUlSU_E_NS1_11comp_targetILNS1_3genE10ELNS1_11target_archE1201ELNS1_3gpuE5ELNS1_3repE0EEENS1_30default_config_static_selectorELNS0_4arch9wavefront6targetE1EEEvT1_ ; -- Begin function _ZN7rocprim17ROCPRIM_400000_NS6detail17trampoline_kernelINS0_14default_configENS1_33run_length_encode_config_selectorIdjNS0_4plusIjEEEEZZNS1_33reduce_by_key_impl_wrapped_configILNS1_25lookback_scan_determinismE0ES3_S7_PKdNS0_17constant_iteratorIjlEEPdPlSF_S6_NS0_8equal_toIdEEEE10hipError_tPvRmT2_T3_mT4_T5_T6_T7_T8_P12ihipStream_tbENKUlT_T0_E_clISt17integral_constantIbLb1EESY_IbLb0EEEEDaSU_SV_EUlSU_E_NS1_11comp_targetILNS1_3genE10ELNS1_11target_archE1201ELNS1_3gpuE5ELNS1_3repE0EEENS1_30default_config_static_selectorELNS0_4arch9wavefront6targetE1EEEvT1_
	.globl	_ZN7rocprim17ROCPRIM_400000_NS6detail17trampoline_kernelINS0_14default_configENS1_33run_length_encode_config_selectorIdjNS0_4plusIjEEEEZZNS1_33reduce_by_key_impl_wrapped_configILNS1_25lookback_scan_determinismE0ES3_S7_PKdNS0_17constant_iteratorIjlEEPdPlSF_S6_NS0_8equal_toIdEEEE10hipError_tPvRmT2_T3_mT4_T5_T6_T7_T8_P12ihipStream_tbENKUlT_T0_E_clISt17integral_constantIbLb1EESY_IbLb0EEEEDaSU_SV_EUlSU_E_NS1_11comp_targetILNS1_3genE10ELNS1_11target_archE1201ELNS1_3gpuE5ELNS1_3repE0EEENS1_30default_config_static_selectorELNS0_4arch9wavefront6targetE1EEEvT1_
	.p2align	8
	.type	_ZN7rocprim17ROCPRIM_400000_NS6detail17trampoline_kernelINS0_14default_configENS1_33run_length_encode_config_selectorIdjNS0_4plusIjEEEEZZNS1_33reduce_by_key_impl_wrapped_configILNS1_25lookback_scan_determinismE0ES3_S7_PKdNS0_17constant_iteratorIjlEEPdPlSF_S6_NS0_8equal_toIdEEEE10hipError_tPvRmT2_T3_mT4_T5_T6_T7_T8_P12ihipStream_tbENKUlT_T0_E_clISt17integral_constantIbLb1EESY_IbLb0EEEEDaSU_SV_EUlSU_E_NS1_11comp_targetILNS1_3genE10ELNS1_11target_archE1201ELNS1_3gpuE5ELNS1_3repE0EEENS1_30default_config_static_selectorELNS0_4arch9wavefront6targetE1EEEvT1_,@function
_ZN7rocprim17ROCPRIM_400000_NS6detail17trampoline_kernelINS0_14default_configENS1_33run_length_encode_config_selectorIdjNS0_4plusIjEEEEZZNS1_33reduce_by_key_impl_wrapped_configILNS1_25lookback_scan_determinismE0ES3_S7_PKdNS0_17constant_iteratorIjlEEPdPlSF_S6_NS0_8equal_toIdEEEE10hipError_tPvRmT2_T3_mT4_T5_T6_T7_T8_P12ihipStream_tbENKUlT_T0_E_clISt17integral_constantIbLb1EESY_IbLb0EEEEDaSU_SV_EUlSU_E_NS1_11comp_targetILNS1_3genE10ELNS1_11target_archE1201ELNS1_3gpuE5ELNS1_3repE0EEENS1_30default_config_static_selectorELNS0_4arch9wavefront6targetE1EEEvT1_: ; @_ZN7rocprim17ROCPRIM_400000_NS6detail17trampoline_kernelINS0_14default_configENS1_33run_length_encode_config_selectorIdjNS0_4plusIjEEEEZZNS1_33reduce_by_key_impl_wrapped_configILNS1_25lookback_scan_determinismE0ES3_S7_PKdNS0_17constant_iteratorIjlEEPdPlSF_S6_NS0_8equal_toIdEEEE10hipError_tPvRmT2_T3_mT4_T5_T6_T7_T8_P12ihipStream_tbENKUlT_T0_E_clISt17integral_constantIbLb1EESY_IbLb0EEEEDaSU_SV_EUlSU_E_NS1_11comp_targetILNS1_3genE10ELNS1_11target_archE1201ELNS1_3gpuE5ELNS1_3repE0EEENS1_30default_config_static_selectorELNS0_4arch9wavefront6targetE1EEEvT1_
; %bb.0:
	.section	.rodata,"a",@progbits
	.p2align	6, 0x0
	.amdhsa_kernel _ZN7rocprim17ROCPRIM_400000_NS6detail17trampoline_kernelINS0_14default_configENS1_33run_length_encode_config_selectorIdjNS0_4plusIjEEEEZZNS1_33reduce_by_key_impl_wrapped_configILNS1_25lookback_scan_determinismE0ES3_S7_PKdNS0_17constant_iteratorIjlEEPdPlSF_S6_NS0_8equal_toIdEEEE10hipError_tPvRmT2_T3_mT4_T5_T6_T7_T8_P12ihipStream_tbENKUlT_T0_E_clISt17integral_constantIbLb1EESY_IbLb0EEEEDaSU_SV_EUlSU_E_NS1_11comp_targetILNS1_3genE10ELNS1_11target_archE1201ELNS1_3gpuE5ELNS1_3repE0EEENS1_30default_config_static_selectorELNS0_4arch9wavefront6targetE1EEEvT1_
		.amdhsa_group_segment_fixed_size 0
		.amdhsa_private_segment_fixed_size 0
		.amdhsa_kernarg_size 128
		.amdhsa_user_sgpr_count 2
		.amdhsa_user_sgpr_dispatch_ptr 0
		.amdhsa_user_sgpr_queue_ptr 0
		.amdhsa_user_sgpr_kernarg_segment_ptr 1
		.amdhsa_user_sgpr_dispatch_id 0
		.amdhsa_user_sgpr_kernarg_preload_length 0
		.amdhsa_user_sgpr_kernarg_preload_offset 0
		.amdhsa_user_sgpr_private_segment_size 0
		.amdhsa_uses_dynamic_stack 0
		.amdhsa_enable_private_segment 0
		.amdhsa_system_sgpr_workgroup_id_x 1
		.amdhsa_system_sgpr_workgroup_id_y 0
		.amdhsa_system_sgpr_workgroup_id_z 0
		.amdhsa_system_sgpr_workgroup_info 0
		.amdhsa_system_vgpr_workitem_id 0
		.amdhsa_next_free_vgpr 1
		.amdhsa_next_free_sgpr 0
		.amdhsa_accum_offset 4
		.amdhsa_reserve_vcc 0
		.amdhsa_float_round_mode_32 0
		.amdhsa_float_round_mode_16_64 0
		.amdhsa_float_denorm_mode_32 3
		.amdhsa_float_denorm_mode_16_64 3
		.amdhsa_dx10_clamp 1
		.amdhsa_ieee_mode 1
		.amdhsa_fp16_overflow 0
		.amdhsa_tg_split 0
		.amdhsa_exception_fp_ieee_invalid_op 0
		.amdhsa_exception_fp_denorm_src 0
		.amdhsa_exception_fp_ieee_div_zero 0
		.amdhsa_exception_fp_ieee_overflow 0
		.amdhsa_exception_fp_ieee_underflow 0
		.amdhsa_exception_fp_ieee_inexact 0
		.amdhsa_exception_int_div_zero 0
	.end_amdhsa_kernel
	.section	.text._ZN7rocprim17ROCPRIM_400000_NS6detail17trampoline_kernelINS0_14default_configENS1_33run_length_encode_config_selectorIdjNS0_4plusIjEEEEZZNS1_33reduce_by_key_impl_wrapped_configILNS1_25lookback_scan_determinismE0ES3_S7_PKdNS0_17constant_iteratorIjlEEPdPlSF_S6_NS0_8equal_toIdEEEE10hipError_tPvRmT2_T3_mT4_T5_T6_T7_T8_P12ihipStream_tbENKUlT_T0_E_clISt17integral_constantIbLb1EESY_IbLb0EEEEDaSU_SV_EUlSU_E_NS1_11comp_targetILNS1_3genE10ELNS1_11target_archE1201ELNS1_3gpuE5ELNS1_3repE0EEENS1_30default_config_static_selectorELNS0_4arch9wavefront6targetE1EEEvT1_,"axG",@progbits,_ZN7rocprim17ROCPRIM_400000_NS6detail17trampoline_kernelINS0_14default_configENS1_33run_length_encode_config_selectorIdjNS0_4plusIjEEEEZZNS1_33reduce_by_key_impl_wrapped_configILNS1_25lookback_scan_determinismE0ES3_S7_PKdNS0_17constant_iteratorIjlEEPdPlSF_S6_NS0_8equal_toIdEEEE10hipError_tPvRmT2_T3_mT4_T5_T6_T7_T8_P12ihipStream_tbENKUlT_T0_E_clISt17integral_constantIbLb1EESY_IbLb0EEEEDaSU_SV_EUlSU_E_NS1_11comp_targetILNS1_3genE10ELNS1_11target_archE1201ELNS1_3gpuE5ELNS1_3repE0EEENS1_30default_config_static_selectorELNS0_4arch9wavefront6targetE1EEEvT1_,comdat
.Lfunc_end327:
	.size	_ZN7rocprim17ROCPRIM_400000_NS6detail17trampoline_kernelINS0_14default_configENS1_33run_length_encode_config_selectorIdjNS0_4plusIjEEEEZZNS1_33reduce_by_key_impl_wrapped_configILNS1_25lookback_scan_determinismE0ES3_S7_PKdNS0_17constant_iteratorIjlEEPdPlSF_S6_NS0_8equal_toIdEEEE10hipError_tPvRmT2_T3_mT4_T5_T6_T7_T8_P12ihipStream_tbENKUlT_T0_E_clISt17integral_constantIbLb1EESY_IbLb0EEEEDaSU_SV_EUlSU_E_NS1_11comp_targetILNS1_3genE10ELNS1_11target_archE1201ELNS1_3gpuE5ELNS1_3repE0EEENS1_30default_config_static_selectorELNS0_4arch9wavefront6targetE1EEEvT1_, .Lfunc_end327-_ZN7rocprim17ROCPRIM_400000_NS6detail17trampoline_kernelINS0_14default_configENS1_33run_length_encode_config_selectorIdjNS0_4plusIjEEEEZZNS1_33reduce_by_key_impl_wrapped_configILNS1_25lookback_scan_determinismE0ES3_S7_PKdNS0_17constant_iteratorIjlEEPdPlSF_S6_NS0_8equal_toIdEEEE10hipError_tPvRmT2_T3_mT4_T5_T6_T7_T8_P12ihipStream_tbENKUlT_T0_E_clISt17integral_constantIbLb1EESY_IbLb0EEEEDaSU_SV_EUlSU_E_NS1_11comp_targetILNS1_3genE10ELNS1_11target_archE1201ELNS1_3gpuE5ELNS1_3repE0EEENS1_30default_config_static_selectorELNS0_4arch9wavefront6targetE1EEEvT1_
                                        ; -- End function
	.section	.AMDGPU.csdata,"",@progbits
; Kernel info:
; codeLenInByte = 0
; NumSgprs: 6
; NumVgprs: 0
; NumAgprs: 0
; TotalNumVgprs: 0
; ScratchSize: 0
; MemoryBound: 0
; FloatMode: 240
; IeeeMode: 1
; LDSByteSize: 0 bytes/workgroup (compile time only)
; SGPRBlocks: 0
; VGPRBlocks: 0
; NumSGPRsForWavesPerEU: 6
; NumVGPRsForWavesPerEU: 1
; AccumOffset: 4
; Occupancy: 8
; WaveLimiterHint : 0
; COMPUTE_PGM_RSRC2:SCRATCH_EN: 0
; COMPUTE_PGM_RSRC2:USER_SGPR: 2
; COMPUTE_PGM_RSRC2:TRAP_HANDLER: 0
; COMPUTE_PGM_RSRC2:TGID_X_EN: 1
; COMPUTE_PGM_RSRC2:TGID_Y_EN: 0
; COMPUTE_PGM_RSRC2:TGID_Z_EN: 0
; COMPUTE_PGM_RSRC2:TIDIG_COMP_CNT: 0
; COMPUTE_PGM_RSRC3_GFX90A:ACCUM_OFFSET: 0
; COMPUTE_PGM_RSRC3_GFX90A:TG_SPLIT: 0
	.section	.text._ZN7rocprim17ROCPRIM_400000_NS6detail17trampoline_kernelINS0_14default_configENS1_33run_length_encode_config_selectorIdjNS0_4plusIjEEEEZZNS1_33reduce_by_key_impl_wrapped_configILNS1_25lookback_scan_determinismE0ES3_S7_PKdNS0_17constant_iteratorIjlEEPdPlSF_S6_NS0_8equal_toIdEEEE10hipError_tPvRmT2_T3_mT4_T5_T6_T7_T8_P12ihipStream_tbENKUlT_T0_E_clISt17integral_constantIbLb1EESY_IbLb0EEEEDaSU_SV_EUlSU_E_NS1_11comp_targetILNS1_3genE10ELNS1_11target_archE1200ELNS1_3gpuE4ELNS1_3repE0EEENS1_30default_config_static_selectorELNS0_4arch9wavefront6targetE1EEEvT1_,"axG",@progbits,_ZN7rocprim17ROCPRIM_400000_NS6detail17trampoline_kernelINS0_14default_configENS1_33run_length_encode_config_selectorIdjNS0_4plusIjEEEEZZNS1_33reduce_by_key_impl_wrapped_configILNS1_25lookback_scan_determinismE0ES3_S7_PKdNS0_17constant_iteratorIjlEEPdPlSF_S6_NS0_8equal_toIdEEEE10hipError_tPvRmT2_T3_mT4_T5_T6_T7_T8_P12ihipStream_tbENKUlT_T0_E_clISt17integral_constantIbLb1EESY_IbLb0EEEEDaSU_SV_EUlSU_E_NS1_11comp_targetILNS1_3genE10ELNS1_11target_archE1200ELNS1_3gpuE4ELNS1_3repE0EEENS1_30default_config_static_selectorELNS0_4arch9wavefront6targetE1EEEvT1_,comdat
	.protected	_ZN7rocprim17ROCPRIM_400000_NS6detail17trampoline_kernelINS0_14default_configENS1_33run_length_encode_config_selectorIdjNS0_4plusIjEEEEZZNS1_33reduce_by_key_impl_wrapped_configILNS1_25lookback_scan_determinismE0ES3_S7_PKdNS0_17constant_iteratorIjlEEPdPlSF_S6_NS0_8equal_toIdEEEE10hipError_tPvRmT2_T3_mT4_T5_T6_T7_T8_P12ihipStream_tbENKUlT_T0_E_clISt17integral_constantIbLb1EESY_IbLb0EEEEDaSU_SV_EUlSU_E_NS1_11comp_targetILNS1_3genE10ELNS1_11target_archE1200ELNS1_3gpuE4ELNS1_3repE0EEENS1_30default_config_static_selectorELNS0_4arch9wavefront6targetE1EEEvT1_ ; -- Begin function _ZN7rocprim17ROCPRIM_400000_NS6detail17trampoline_kernelINS0_14default_configENS1_33run_length_encode_config_selectorIdjNS0_4plusIjEEEEZZNS1_33reduce_by_key_impl_wrapped_configILNS1_25lookback_scan_determinismE0ES3_S7_PKdNS0_17constant_iteratorIjlEEPdPlSF_S6_NS0_8equal_toIdEEEE10hipError_tPvRmT2_T3_mT4_T5_T6_T7_T8_P12ihipStream_tbENKUlT_T0_E_clISt17integral_constantIbLb1EESY_IbLb0EEEEDaSU_SV_EUlSU_E_NS1_11comp_targetILNS1_3genE10ELNS1_11target_archE1200ELNS1_3gpuE4ELNS1_3repE0EEENS1_30default_config_static_selectorELNS0_4arch9wavefront6targetE1EEEvT1_
	.globl	_ZN7rocprim17ROCPRIM_400000_NS6detail17trampoline_kernelINS0_14default_configENS1_33run_length_encode_config_selectorIdjNS0_4plusIjEEEEZZNS1_33reduce_by_key_impl_wrapped_configILNS1_25lookback_scan_determinismE0ES3_S7_PKdNS0_17constant_iteratorIjlEEPdPlSF_S6_NS0_8equal_toIdEEEE10hipError_tPvRmT2_T3_mT4_T5_T6_T7_T8_P12ihipStream_tbENKUlT_T0_E_clISt17integral_constantIbLb1EESY_IbLb0EEEEDaSU_SV_EUlSU_E_NS1_11comp_targetILNS1_3genE10ELNS1_11target_archE1200ELNS1_3gpuE4ELNS1_3repE0EEENS1_30default_config_static_selectorELNS0_4arch9wavefront6targetE1EEEvT1_
	.p2align	8
	.type	_ZN7rocprim17ROCPRIM_400000_NS6detail17trampoline_kernelINS0_14default_configENS1_33run_length_encode_config_selectorIdjNS0_4plusIjEEEEZZNS1_33reduce_by_key_impl_wrapped_configILNS1_25lookback_scan_determinismE0ES3_S7_PKdNS0_17constant_iteratorIjlEEPdPlSF_S6_NS0_8equal_toIdEEEE10hipError_tPvRmT2_T3_mT4_T5_T6_T7_T8_P12ihipStream_tbENKUlT_T0_E_clISt17integral_constantIbLb1EESY_IbLb0EEEEDaSU_SV_EUlSU_E_NS1_11comp_targetILNS1_3genE10ELNS1_11target_archE1200ELNS1_3gpuE4ELNS1_3repE0EEENS1_30default_config_static_selectorELNS0_4arch9wavefront6targetE1EEEvT1_,@function
_ZN7rocprim17ROCPRIM_400000_NS6detail17trampoline_kernelINS0_14default_configENS1_33run_length_encode_config_selectorIdjNS0_4plusIjEEEEZZNS1_33reduce_by_key_impl_wrapped_configILNS1_25lookback_scan_determinismE0ES3_S7_PKdNS0_17constant_iteratorIjlEEPdPlSF_S6_NS0_8equal_toIdEEEE10hipError_tPvRmT2_T3_mT4_T5_T6_T7_T8_P12ihipStream_tbENKUlT_T0_E_clISt17integral_constantIbLb1EESY_IbLb0EEEEDaSU_SV_EUlSU_E_NS1_11comp_targetILNS1_3genE10ELNS1_11target_archE1200ELNS1_3gpuE4ELNS1_3repE0EEENS1_30default_config_static_selectorELNS0_4arch9wavefront6targetE1EEEvT1_: ; @_ZN7rocprim17ROCPRIM_400000_NS6detail17trampoline_kernelINS0_14default_configENS1_33run_length_encode_config_selectorIdjNS0_4plusIjEEEEZZNS1_33reduce_by_key_impl_wrapped_configILNS1_25lookback_scan_determinismE0ES3_S7_PKdNS0_17constant_iteratorIjlEEPdPlSF_S6_NS0_8equal_toIdEEEE10hipError_tPvRmT2_T3_mT4_T5_T6_T7_T8_P12ihipStream_tbENKUlT_T0_E_clISt17integral_constantIbLb1EESY_IbLb0EEEEDaSU_SV_EUlSU_E_NS1_11comp_targetILNS1_3genE10ELNS1_11target_archE1200ELNS1_3gpuE4ELNS1_3repE0EEENS1_30default_config_static_selectorELNS0_4arch9wavefront6targetE1EEEvT1_
; %bb.0:
	.section	.rodata,"a",@progbits
	.p2align	6, 0x0
	.amdhsa_kernel _ZN7rocprim17ROCPRIM_400000_NS6detail17trampoline_kernelINS0_14default_configENS1_33run_length_encode_config_selectorIdjNS0_4plusIjEEEEZZNS1_33reduce_by_key_impl_wrapped_configILNS1_25lookback_scan_determinismE0ES3_S7_PKdNS0_17constant_iteratorIjlEEPdPlSF_S6_NS0_8equal_toIdEEEE10hipError_tPvRmT2_T3_mT4_T5_T6_T7_T8_P12ihipStream_tbENKUlT_T0_E_clISt17integral_constantIbLb1EESY_IbLb0EEEEDaSU_SV_EUlSU_E_NS1_11comp_targetILNS1_3genE10ELNS1_11target_archE1200ELNS1_3gpuE4ELNS1_3repE0EEENS1_30default_config_static_selectorELNS0_4arch9wavefront6targetE1EEEvT1_
		.amdhsa_group_segment_fixed_size 0
		.amdhsa_private_segment_fixed_size 0
		.amdhsa_kernarg_size 128
		.amdhsa_user_sgpr_count 2
		.amdhsa_user_sgpr_dispatch_ptr 0
		.amdhsa_user_sgpr_queue_ptr 0
		.amdhsa_user_sgpr_kernarg_segment_ptr 1
		.amdhsa_user_sgpr_dispatch_id 0
		.amdhsa_user_sgpr_kernarg_preload_length 0
		.amdhsa_user_sgpr_kernarg_preload_offset 0
		.amdhsa_user_sgpr_private_segment_size 0
		.amdhsa_uses_dynamic_stack 0
		.amdhsa_enable_private_segment 0
		.amdhsa_system_sgpr_workgroup_id_x 1
		.amdhsa_system_sgpr_workgroup_id_y 0
		.amdhsa_system_sgpr_workgroup_id_z 0
		.amdhsa_system_sgpr_workgroup_info 0
		.amdhsa_system_vgpr_workitem_id 0
		.amdhsa_next_free_vgpr 1
		.amdhsa_next_free_sgpr 0
		.amdhsa_accum_offset 4
		.amdhsa_reserve_vcc 0
		.amdhsa_float_round_mode_32 0
		.amdhsa_float_round_mode_16_64 0
		.amdhsa_float_denorm_mode_32 3
		.amdhsa_float_denorm_mode_16_64 3
		.amdhsa_dx10_clamp 1
		.amdhsa_ieee_mode 1
		.amdhsa_fp16_overflow 0
		.amdhsa_tg_split 0
		.amdhsa_exception_fp_ieee_invalid_op 0
		.amdhsa_exception_fp_denorm_src 0
		.amdhsa_exception_fp_ieee_div_zero 0
		.amdhsa_exception_fp_ieee_overflow 0
		.amdhsa_exception_fp_ieee_underflow 0
		.amdhsa_exception_fp_ieee_inexact 0
		.amdhsa_exception_int_div_zero 0
	.end_amdhsa_kernel
	.section	.text._ZN7rocprim17ROCPRIM_400000_NS6detail17trampoline_kernelINS0_14default_configENS1_33run_length_encode_config_selectorIdjNS0_4plusIjEEEEZZNS1_33reduce_by_key_impl_wrapped_configILNS1_25lookback_scan_determinismE0ES3_S7_PKdNS0_17constant_iteratorIjlEEPdPlSF_S6_NS0_8equal_toIdEEEE10hipError_tPvRmT2_T3_mT4_T5_T6_T7_T8_P12ihipStream_tbENKUlT_T0_E_clISt17integral_constantIbLb1EESY_IbLb0EEEEDaSU_SV_EUlSU_E_NS1_11comp_targetILNS1_3genE10ELNS1_11target_archE1200ELNS1_3gpuE4ELNS1_3repE0EEENS1_30default_config_static_selectorELNS0_4arch9wavefront6targetE1EEEvT1_,"axG",@progbits,_ZN7rocprim17ROCPRIM_400000_NS6detail17trampoline_kernelINS0_14default_configENS1_33run_length_encode_config_selectorIdjNS0_4plusIjEEEEZZNS1_33reduce_by_key_impl_wrapped_configILNS1_25lookback_scan_determinismE0ES3_S7_PKdNS0_17constant_iteratorIjlEEPdPlSF_S6_NS0_8equal_toIdEEEE10hipError_tPvRmT2_T3_mT4_T5_T6_T7_T8_P12ihipStream_tbENKUlT_T0_E_clISt17integral_constantIbLb1EESY_IbLb0EEEEDaSU_SV_EUlSU_E_NS1_11comp_targetILNS1_3genE10ELNS1_11target_archE1200ELNS1_3gpuE4ELNS1_3repE0EEENS1_30default_config_static_selectorELNS0_4arch9wavefront6targetE1EEEvT1_,comdat
.Lfunc_end328:
	.size	_ZN7rocprim17ROCPRIM_400000_NS6detail17trampoline_kernelINS0_14default_configENS1_33run_length_encode_config_selectorIdjNS0_4plusIjEEEEZZNS1_33reduce_by_key_impl_wrapped_configILNS1_25lookback_scan_determinismE0ES3_S7_PKdNS0_17constant_iteratorIjlEEPdPlSF_S6_NS0_8equal_toIdEEEE10hipError_tPvRmT2_T3_mT4_T5_T6_T7_T8_P12ihipStream_tbENKUlT_T0_E_clISt17integral_constantIbLb1EESY_IbLb0EEEEDaSU_SV_EUlSU_E_NS1_11comp_targetILNS1_3genE10ELNS1_11target_archE1200ELNS1_3gpuE4ELNS1_3repE0EEENS1_30default_config_static_selectorELNS0_4arch9wavefront6targetE1EEEvT1_, .Lfunc_end328-_ZN7rocprim17ROCPRIM_400000_NS6detail17trampoline_kernelINS0_14default_configENS1_33run_length_encode_config_selectorIdjNS0_4plusIjEEEEZZNS1_33reduce_by_key_impl_wrapped_configILNS1_25lookback_scan_determinismE0ES3_S7_PKdNS0_17constant_iteratorIjlEEPdPlSF_S6_NS0_8equal_toIdEEEE10hipError_tPvRmT2_T3_mT4_T5_T6_T7_T8_P12ihipStream_tbENKUlT_T0_E_clISt17integral_constantIbLb1EESY_IbLb0EEEEDaSU_SV_EUlSU_E_NS1_11comp_targetILNS1_3genE10ELNS1_11target_archE1200ELNS1_3gpuE4ELNS1_3repE0EEENS1_30default_config_static_selectorELNS0_4arch9wavefront6targetE1EEEvT1_
                                        ; -- End function
	.section	.AMDGPU.csdata,"",@progbits
; Kernel info:
; codeLenInByte = 0
; NumSgprs: 6
; NumVgprs: 0
; NumAgprs: 0
; TotalNumVgprs: 0
; ScratchSize: 0
; MemoryBound: 0
; FloatMode: 240
; IeeeMode: 1
; LDSByteSize: 0 bytes/workgroup (compile time only)
; SGPRBlocks: 0
; VGPRBlocks: 0
; NumSGPRsForWavesPerEU: 6
; NumVGPRsForWavesPerEU: 1
; AccumOffset: 4
; Occupancy: 8
; WaveLimiterHint : 0
; COMPUTE_PGM_RSRC2:SCRATCH_EN: 0
; COMPUTE_PGM_RSRC2:USER_SGPR: 2
; COMPUTE_PGM_RSRC2:TRAP_HANDLER: 0
; COMPUTE_PGM_RSRC2:TGID_X_EN: 1
; COMPUTE_PGM_RSRC2:TGID_Y_EN: 0
; COMPUTE_PGM_RSRC2:TGID_Z_EN: 0
; COMPUTE_PGM_RSRC2:TIDIG_COMP_CNT: 0
; COMPUTE_PGM_RSRC3_GFX90A:ACCUM_OFFSET: 0
; COMPUTE_PGM_RSRC3_GFX90A:TG_SPLIT: 0
	.section	.text._ZN7rocprim17ROCPRIM_400000_NS6detail17trampoline_kernelINS0_14default_configENS1_33run_length_encode_config_selectorIdjNS0_4plusIjEEEEZZNS1_33reduce_by_key_impl_wrapped_configILNS1_25lookback_scan_determinismE0ES3_S7_PKdNS0_17constant_iteratorIjlEEPdPlSF_S6_NS0_8equal_toIdEEEE10hipError_tPvRmT2_T3_mT4_T5_T6_T7_T8_P12ihipStream_tbENKUlT_T0_E_clISt17integral_constantIbLb1EESY_IbLb0EEEEDaSU_SV_EUlSU_E_NS1_11comp_targetILNS1_3genE9ELNS1_11target_archE1100ELNS1_3gpuE3ELNS1_3repE0EEENS1_30default_config_static_selectorELNS0_4arch9wavefront6targetE1EEEvT1_,"axG",@progbits,_ZN7rocprim17ROCPRIM_400000_NS6detail17trampoline_kernelINS0_14default_configENS1_33run_length_encode_config_selectorIdjNS0_4plusIjEEEEZZNS1_33reduce_by_key_impl_wrapped_configILNS1_25lookback_scan_determinismE0ES3_S7_PKdNS0_17constant_iteratorIjlEEPdPlSF_S6_NS0_8equal_toIdEEEE10hipError_tPvRmT2_T3_mT4_T5_T6_T7_T8_P12ihipStream_tbENKUlT_T0_E_clISt17integral_constantIbLb1EESY_IbLb0EEEEDaSU_SV_EUlSU_E_NS1_11comp_targetILNS1_3genE9ELNS1_11target_archE1100ELNS1_3gpuE3ELNS1_3repE0EEENS1_30default_config_static_selectorELNS0_4arch9wavefront6targetE1EEEvT1_,comdat
	.protected	_ZN7rocprim17ROCPRIM_400000_NS6detail17trampoline_kernelINS0_14default_configENS1_33run_length_encode_config_selectorIdjNS0_4plusIjEEEEZZNS1_33reduce_by_key_impl_wrapped_configILNS1_25lookback_scan_determinismE0ES3_S7_PKdNS0_17constant_iteratorIjlEEPdPlSF_S6_NS0_8equal_toIdEEEE10hipError_tPvRmT2_T3_mT4_T5_T6_T7_T8_P12ihipStream_tbENKUlT_T0_E_clISt17integral_constantIbLb1EESY_IbLb0EEEEDaSU_SV_EUlSU_E_NS1_11comp_targetILNS1_3genE9ELNS1_11target_archE1100ELNS1_3gpuE3ELNS1_3repE0EEENS1_30default_config_static_selectorELNS0_4arch9wavefront6targetE1EEEvT1_ ; -- Begin function _ZN7rocprim17ROCPRIM_400000_NS6detail17trampoline_kernelINS0_14default_configENS1_33run_length_encode_config_selectorIdjNS0_4plusIjEEEEZZNS1_33reduce_by_key_impl_wrapped_configILNS1_25lookback_scan_determinismE0ES3_S7_PKdNS0_17constant_iteratorIjlEEPdPlSF_S6_NS0_8equal_toIdEEEE10hipError_tPvRmT2_T3_mT4_T5_T6_T7_T8_P12ihipStream_tbENKUlT_T0_E_clISt17integral_constantIbLb1EESY_IbLb0EEEEDaSU_SV_EUlSU_E_NS1_11comp_targetILNS1_3genE9ELNS1_11target_archE1100ELNS1_3gpuE3ELNS1_3repE0EEENS1_30default_config_static_selectorELNS0_4arch9wavefront6targetE1EEEvT1_
	.globl	_ZN7rocprim17ROCPRIM_400000_NS6detail17trampoline_kernelINS0_14default_configENS1_33run_length_encode_config_selectorIdjNS0_4plusIjEEEEZZNS1_33reduce_by_key_impl_wrapped_configILNS1_25lookback_scan_determinismE0ES3_S7_PKdNS0_17constant_iteratorIjlEEPdPlSF_S6_NS0_8equal_toIdEEEE10hipError_tPvRmT2_T3_mT4_T5_T6_T7_T8_P12ihipStream_tbENKUlT_T0_E_clISt17integral_constantIbLb1EESY_IbLb0EEEEDaSU_SV_EUlSU_E_NS1_11comp_targetILNS1_3genE9ELNS1_11target_archE1100ELNS1_3gpuE3ELNS1_3repE0EEENS1_30default_config_static_selectorELNS0_4arch9wavefront6targetE1EEEvT1_
	.p2align	8
	.type	_ZN7rocprim17ROCPRIM_400000_NS6detail17trampoline_kernelINS0_14default_configENS1_33run_length_encode_config_selectorIdjNS0_4plusIjEEEEZZNS1_33reduce_by_key_impl_wrapped_configILNS1_25lookback_scan_determinismE0ES3_S7_PKdNS0_17constant_iteratorIjlEEPdPlSF_S6_NS0_8equal_toIdEEEE10hipError_tPvRmT2_T3_mT4_T5_T6_T7_T8_P12ihipStream_tbENKUlT_T0_E_clISt17integral_constantIbLb1EESY_IbLb0EEEEDaSU_SV_EUlSU_E_NS1_11comp_targetILNS1_3genE9ELNS1_11target_archE1100ELNS1_3gpuE3ELNS1_3repE0EEENS1_30default_config_static_selectorELNS0_4arch9wavefront6targetE1EEEvT1_,@function
_ZN7rocprim17ROCPRIM_400000_NS6detail17trampoline_kernelINS0_14default_configENS1_33run_length_encode_config_selectorIdjNS0_4plusIjEEEEZZNS1_33reduce_by_key_impl_wrapped_configILNS1_25lookback_scan_determinismE0ES3_S7_PKdNS0_17constant_iteratorIjlEEPdPlSF_S6_NS0_8equal_toIdEEEE10hipError_tPvRmT2_T3_mT4_T5_T6_T7_T8_P12ihipStream_tbENKUlT_T0_E_clISt17integral_constantIbLb1EESY_IbLb0EEEEDaSU_SV_EUlSU_E_NS1_11comp_targetILNS1_3genE9ELNS1_11target_archE1100ELNS1_3gpuE3ELNS1_3repE0EEENS1_30default_config_static_selectorELNS0_4arch9wavefront6targetE1EEEvT1_: ; @_ZN7rocprim17ROCPRIM_400000_NS6detail17trampoline_kernelINS0_14default_configENS1_33run_length_encode_config_selectorIdjNS0_4plusIjEEEEZZNS1_33reduce_by_key_impl_wrapped_configILNS1_25lookback_scan_determinismE0ES3_S7_PKdNS0_17constant_iteratorIjlEEPdPlSF_S6_NS0_8equal_toIdEEEE10hipError_tPvRmT2_T3_mT4_T5_T6_T7_T8_P12ihipStream_tbENKUlT_T0_E_clISt17integral_constantIbLb1EESY_IbLb0EEEEDaSU_SV_EUlSU_E_NS1_11comp_targetILNS1_3genE9ELNS1_11target_archE1100ELNS1_3gpuE3ELNS1_3repE0EEENS1_30default_config_static_selectorELNS0_4arch9wavefront6targetE1EEEvT1_
; %bb.0:
	.section	.rodata,"a",@progbits
	.p2align	6, 0x0
	.amdhsa_kernel _ZN7rocprim17ROCPRIM_400000_NS6detail17trampoline_kernelINS0_14default_configENS1_33run_length_encode_config_selectorIdjNS0_4plusIjEEEEZZNS1_33reduce_by_key_impl_wrapped_configILNS1_25lookback_scan_determinismE0ES3_S7_PKdNS0_17constant_iteratorIjlEEPdPlSF_S6_NS0_8equal_toIdEEEE10hipError_tPvRmT2_T3_mT4_T5_T6_T7_T8_P12ihipStream_tbENKUlT_T0_E_clISt17integral_constantIbLb1EESY_IbLb0EEEEDaSU_SV_EUlSU_E_NS1_11comp_targetILNS1_3genE9ELNS1_11target_archE1100ELNS1_3gpuE3ELNS1_3repE0EEENS1_30default_config_static_selectorELNS0_4arch9wavefront6targetE1EEEvT1_
		.amdhsa_group_segment_fixed_size 0
		.amdhsa_private_segment_fixed_size 0
		.amdhsa_kernarg_size 128
		.amdhsa_user_sgpr_count 2
		.amdhsa_user_sgpr_dispatch_ptr 0
		.amdhsa_user_sgpr_queue_ptr 0
		.amdhsa_user_sgpr_kernarg_segment_ptr 1
		.amdhsa_user_sgpr_dispatch_id 0
		.amdhsa_user_sgpr_kernarg_preload_length 0
		.amdhsa_user_sgpr_kernarg_preload_offset 0
		.amdhsa_user_sgpr_private_segment_size 0
		.amdhsa_uses_dynamic_stack 0
		.amdhsa_enable_private_segment 0
		.amdhsa_system_sgpr_workgroup_id_x 1
		.amdhsa_system_sgpr_workgroup_id_y 0
		.amdhsa_system_sgpr_workgroup_id_z 0
		.amdhsa_system_sgpr_workgroup_info 0
		.amdhsa_system_vgpr_workitem_id 0
		.amdhsa_next_free_vgpr 1
		.amdhsa_next_free_sgpr 0
		.amdhsa_accum_offset 4
		.amdhsa_reserve_vcc 0
		.amdhsa_float_round_mode_32 0
		.amdhsa_float_round_mode_16_64 0
		.amdhsa_float_denorm_mode_32 3
		.amdhsa_float_denorm_mode_16_64 3
		.amdhsa_dx10_clamp 1
		.amdhsa_ieee_mode 1
		.amdhsa_fp16_overflow 0
		.amdhsa_tg_split 0
		.amdhsa_exception_fp_ieee_invalid_op 0
		.amdhsa_exception_fp_denorm_src 0
		.amdhsa_exception_fp_ieee_div_zero 0
		.amdhsa_exception_fp_ieee_overflow 0
		.amdhsa_exception_fp_ieee_underflow 0
		.amdhsa_exception_fp_ieee_inexact 0
		.amdhsa_exception_int_div_zero 0
	.end_amdhsa_kernel
	.section	.text._ZN7rocprim17ROCPRIM_400000_NS6detail17trampoline_kernelINS0_14default_configENS1_33run_length_encode_config_selectorIdjNS0_4plusIjEEEEZZNS1_33reduce_by_key_impl_wrapped_configILNS1_25lookback_scan_determinismE0ES3_S7_PKdNS0_17constant_iteratorIjlEEPdPlSF_S6_NS0_8equal_toIdEEEE10hipError_tPvRmT2_T3_mT4_T5_T6_T7_T8_P12ihipStream_tbENKUlT_T0_E_clISt17integral_constantIbLb1EESY_IbLb0EEEEDaSU_SV_EUlSU_E_NS1_11comp_targetILNS1_3genE9ELNS1_11target_archE1100ELNS1_3gpuE3ELNS1_3repE0EEENS1_30default_config_static_selectorELNS0_4arch9wavefront6targetE1EEEvT1_,"axG",@progbits,_ZN7rocprim17ROCPRIM_400000_NS6detail17trampoline_kernelINS0_14default_configENS1_33run_length_encode_config_selectorIdjNS0_4plusIjEEEEZZNS1_33reduce_by_key_impl_wrapped_configILNS1_25lookback_scan_determinismE0ES3_S7_PKdNS0_17constant_iteratorIjlEEPdPlSF_S6_NS0_8equal_toIdEEEE10hipError_tPvRmT2_T3_mT4_T5_T6_T7_T8_P12ihipStream_tbENKUlT_T0_E_clISt17integral_constantIbLb1EESY_IbLb0EEEEDaSU_SV_EUlSU_E_NS1_11comp_targetILNS1_3genE9ELNS1_11target_archE1100ELNS1_3gpuE3ELNS1_3repE0EEENS1_30default_config_static_selectorELNS0_4arch9wavefront6targetE1EEEvT1_,comdat
.Lfunc_end329:
	.size	_ZN7rocprim17ROCPRIM_400000_NS6detail17trampoline_kernelINS0_14default_configENS1_33run_length_encode_config_selectorIdjNS0_4plusIjEEEEZZNS1_33reduce_by_key_impl_wrapped_configILNS1_25lookback_scan_determinismE0ES3_S7_PKdNS0_17constant_iteratorIjlEEPdPlSF_S6_NS0_8equal_toIdEEEE10hipError_tPvRmT2_T3_mT4_T5_T6_T7_T8_P12ihipStream_tbENKUlT_T0_E_clISt17integral_constantIbLb1EESY_IbLb0EEEEDaSU_SV_EUlSU_E_NS1_11comp_targetILNS1_3genE9ELNS1_11target_archE1100ELNS1_3gpuE3ELNS1_3repE0EEENS1_30default_config_static_selectorELNS0_4arch9wavefront6targetE1EEEvT1_, .Lfunc_end329-_ZN7rocprim17ROCPRIM_400000_NS6detail17trampoline_kernelINS0_14default_configENS1_33run_length_encode_config_selectorIdjNS0_4plusIjEEEEZZNS1_33reduce_by_key_impl_wrapped_configILNS1_25lookback_scan_determinismE0ES3_S7_PKdNS0_17constant_iteratorIjlEEPdPlSF_S6_NS0_8equal_toIdEEEE10hipError_tPvRmT2_T3_mT4_T5_T6_T7_T8_P12ihipStream_tbENKUlT_T0_E_clISt17integral_constantIbLb1EESY_IbLb0EEEEDaSU_SV_EUlSU_E_NS1_11comp_targetILNS1_3genE9ELNS1_11target_archE1100ELNS1_3gpuE3ELNS1_3repE0EEENS1_30default_config_static_selectorELNS0_4arch9wavefront6targetE1EEEvT1_
                                        ; -- End function
	.section	.AMDGPU.csdata,"",@progbits
; Kernel info:
; codeLenInByte = 0
; NumSgprs: 6
; NumVgprs: 0
; NumAgprs: 0
; TotalNumVgprs: 0
; ScratchSize: 0
; MemoryBound: 0
; FloatMode: 240
; IeeeMode: 1
; LDSByteSize: 0 bytes/workgroup (compile time only)
; SGPRBlocks: 0
; VGPRBlocks: 0
; NumSGPRsForWavesPerEU: 6
; NumVGPRsForWavesPerEU: 1
; AccumOffset: 4
; Occupancy: 8
; WaveLimiterHint : 0
; COMPUTE_PGM_RSRC2:SCRATCH_EN: 0
; COMPUTE_PGM_RSRC2:USER_SGPR: 2
; COMPUTE_PGM_RSRC2:TRAP_HANDLER: 0
; COMPUTE_PGM_RSRC2:TGID_X_EN: 1
; COMPUTE_PGM_RSRC2:TGID_Y_EN: 0
; COMPUTE_PGM_RSRC2:TGID_Z_EN: 0
; COMPUTE_PGM_RSRC2:TIDIG_COMP_CNT: 0
; COMPUTE_PGM_RSRC3_GFX90A:ACCUM_OFFSET: 0
; COMPUTE_PGM_RSRC3_GFX90A:TG_SPLIT: 0
	.section	.text._ZN7rocprim17ROCPRIM_400000_NS6detail17trampoline_kernelINS0_14default_configENS1_33run_length_encode_config_selectorIdjNS0_4plusIjEEEEZZNS1_33reduce_by_key_impl_wrapped_configILNS1_25lookback_scan_determinismE0ES3_S7_PKdNS0_17constant_iteratorIjlEEPdPlSF_S6_NS0_8equal_toIdEEEE10hipError_tPvRmT2_T3_mT4_T5_T6_T7_T8_P12ihipStream_tbENKUlT_T0_E_clISt17integral_constantIbLb1EESY_IbLb0EEEEDaSU_SV_EUlSU_E_NS1_11comp_targetILNS1_3genE8ELNS1_11target_archE1030ELNS1_3gpuE2ELNS1_3repE0EEENS1_30default_config_static_selectorELNS0_4arch9wavefront6targetE1EEEvT1_,"axG",@progbits,_ZN7rocprim17ROCPRIM_400000_NS6detail17trampoline_kernelINS0_14default_configENS1_33run_length_encode_config_selectorIdjNS0_4plusIjEEEEZZNS1_33reduce_by_key_impl_wrapped_configILNS1_25lookback_scan_determinismE0ES3_S7_PKdNS0_17constant_iteratorIjlEEPdPlSF_S6_NS0_8equal_toIdEEEE10hipError_tPvRmT2_T3_mT4_T5_T6_T7_T8_P12ihipStream_tbENKUlT_T0_E_clISt17integral_constantIbLb1EESY_IbLb0EEEEDaSU_SV_EUlSU_E_NS1_11comp_targetILNS1_3genE8ELNS1_11target_archE1030ELNS1_3gpuE2ELNS1_3repE0EEENS1_30default_config_static_selectorELNS0_4arch9wavefront6targetE1EEEvT1_,comdat
	.protected	_ZN7rocprim17ROCPRIM_400000_NS6detail17trampoline_kernelINS0_14default_configENS1_33run_length_encode_config_selectorIdjNS0_4plusIjEEEEZZNS1_33reduce_by_key_impl_wrapped_configILNS1_25lookback_scan_determinismE0ES3_S7_PKdNS0_17constant_iteratorIjlEEPdPlSF_S6_NS0_8equal_toIdEEEE10hipError_tPvRmT2_T3_mT4_T5_T6_T7_T8_P12ihipStream_tbENKUlT_T0_E_clISt17integral_constantIbLb1EESY_IbLb0EEEEDaSU_SV_EUlSU_E_NS1_11comp_targetILNS1_3genE8ELNS1_11target_archE1030ELNS1_3gpuE2ELNS1_3repE0EEENS1_30default_config_static_selectorELNS0_4arch9wavefront6targetE1EEEvT1_ ; -- Begin function _ZN7rocprim17ROCPRIM_400000_NS6detail17trampoline_kernelINS0_14default_configENS1_33run_length_encode_config_selectorIdjNS0_4plusIjEEEEZZNS1_33reduce_by_key_impl_wrapped_configILNS1_25lookback_scan_determinismE0ES3_S7_PKdNS0_17constant_iteratorIjlEEPdPlSF_S6_NS0_8equal_toIdEEEE10hipError_tPvRmT2_T3_mT4_T5_T6_T7_T8_P12ihipStream_tbENKUlT_T0_E_clISt17integral_constantIbLb1EESY_IbLb0EEEEDaSU_SV_EUlSU_E_NS1_11comp_targetILNS1_3genE8ELNS1_11target_archE1030ELNS1_3gpuE2ELNS1_3repE0EEENS1_30default_config_static_selectorELNS0_4arch9wavefront6targetE1EEEvT1_
	.globl	_ZN7rocprim17ROCPRIM_400000_NS6detail17trampoline_kernelINS0_14default_configENS1_33run_length_encode_config_selectorIdjNS0_4plusIjEEEEZZNS1_33reduce_by_key_impl_wrapped_configILNS1_25lookback_scan_determinismE0ES3_S7_PKdNS0_17constant_iteratorIjlEEPdPlSF_S6_NS0_8equal_toIdEEEE10hipError_tPvRmT2_T3_mT4_T5_T6_T7_T8_P12ihipStream_tbENKUlT_T0_E_clISt17integral_constantIbLb1EESY_IbLb0EEEEDaSU_SV_EUlSU_E_NS1_11comp_targetILNS1_3genE8ELNS1_11target_archE1030ELNS1_3gpuE2ELNS1_3repE0EEENS1_30default_config_static_selectorELNS0_4arch9wavefront6targetE1EEEvT1_
	.p2align	8
	.type	_ZN7rocprim17ROCPRIM_400000_NS6detail17trampoline_kernelINS0_14default_configENS1_33run_length_encode_config_selectorIdjNS0_4plusIjEEEEZZNS1_33reduce_by_key_impl_wrapped_configILNS1_25lookback_scan_determinismE0ES3_S7_PKdNS0_17constant_iteratorIjlEEPdPlSF_S6_NS0_8equal_toIdEEEE10hipError_tPvRmT2_T3_mT4_T5_T6_T7_T8_P12ihipStream_tbENKUlT_T0_E_clISt17integral_constantIbLb1EESY_IbLb0EEEEDaSU_SV_EUlSU_E_NS1_11comp_targetILNS1_3genE8ELNS1_11target_archE1030ELNS1_3gpuE2ELNS1_3repE0EEENS1_30default_config_static_selectorELNS0_4arch9wavefront6targetE1EEEvT1_,@function
_ZN7rocprim17ROCPRIM_400000_NS6detail17trampoline_kernelINS0_14default_configENS1_33run_length_encode_config_selectorIdjNS0_4plusIjEEEEZZNS1_33reduce_by_key_impl_wrapped_configILNS1_25lookback_scan_determinismE0ES3_S7_PKdNS0_17constant_iteratorIjlEEPdPlSF_S6_NS0_8equal_toIdEEEE10hipError_tPvRmT2_T3_mT4_T5_T6_T7_T8_P12ihipStream_tbENKUlT_T0_E_clISt17integral_constantIbLb1EESY_IbLb0EEEEDaSU_SV_EUlSU_E_NS1_11comp_targetILNS1_3genE8ELNS1_11target_archE1030ELNS1_3gpuE2ELNS1_3repE0EEENS1_30default_config_static_selectorELNS0_4arch9wavefront6targetE1EEEvT1_: ; @_ZN7rocprim17ROCPRIM_400000_NS6detail17trampoline_kernelINS0_14default_configENS1_33run_length_encode_config_selectorIdjNS0_4plusIjEEEEZZNS1_33reduce_by_key_impl_wrapped_configILNS1_25lookback_scan_determinismE0ES3_S7_PKdNS0_17constant_iteratorIjlEEPdPlSF_S6_NS0_8equal_toIdEEEE10hipError_tPvRmT2_T3_mT4_T5_T6_T7_T8_P12ihipStream_tbENKUlT_T0_E_clISt17integral_constantIbLb1EESY_IbLb0EEEEDaSU_SV_EUlSU_E_NS1_11comp_targetILNS1_3genE8ELNS1_11target_archE1030ELNS1_3gpuE2ELNS1_3repE0EEENS1_30default_config_static_selectorELNS0_4arch9wavefront6targetE1EEEvT1_
; %bb.0:
	.section	.rodata,"a",@progbits
	.p2align	6, 0x0
	.amdhsa_kernel _ZN7rocprim17ROCPRIM_400000_NS6detail17trampoline_kernelINS0_14default_configENS1_33run_length_encode_config_selectorIdjNS0_4plusIjEEEEZZNS1_33reduce_by_key_impl_wrapped_configILNS1_25lookback_scan_determinismE0ES3_S7_PKdNS0_17constant_iteratorIjlEEPdPlSF_S6_NS0_8equal_toIdEEEE10hipError_tPvRmT2_T3_mT4_T5_T6_T7_T8_P12ihipStream_tbENKUlT_T0_E_clISt17integral_constantIbLb1EESY_IbLb0EEEEDaSU_SV_EUlSU_E_NS1_11comp_targetILNS1_3genE8ELNS1_11target_archE1030ELNS1_3gpuE2ELNS1_3repE0EEENS1_30default_config_static_selectorELNS0_4arch9wavefront6targetE1EEEvT1_
		.amdhsa_group_segment_fixed_size 0
		.amdhsa_private_segment_fixed_size 0
		.amdhsa_kernarg_size 128
		.amdhsa_user_sgpr_count 2
		.amdhsa_user_sgpr_dispatch_ptr 0
		.amdhsa_user_sgpr_queue_ptr 0
		.amdhsa_user_sgpr_kernarg_segment_ptr 1
		.amdhsa_user_sgpr_dispatch_id 0
		.amdhsa_user_sgpr_kernarg_preload_length 0
		.amdhsa_user_sgpr_kernarg_preload_offset 0
		.amdhsa_user_sgpr_private_segment_size 0
		.amdhsa_uses_dynamic_stack 0
		.amdhsa_enable_private_segment 0
		.amdhsa_system_sgpr_workgroup_id_x 1
		.amdhsa_system_sgpr_workgroup_id_y 0
		.amdhsa_system_sgpr_workgroup_id_z 0
		.amdhsa_system_sgpr_workgroup_info 0
		.amdhsa_system_vgpr_workitem_id 0
		.amdhsa_next_free_vgpr 1
		.amdhsa_next_free_sgpr 0
		.amdhsa_accum_offset 4
		.amdhsa_reserve_vcc 0
		.amdhsa_float_round_mode_32 0
		.amdhsa_float_round_mode_16_64 0
		.amdhsa_float_denorm_mode_32 3
		.amdhsa_float_denorm_mode_16_64 3
		.amdhsa_dx10_clamp 1
		.amdhsa_ieee_mode 1
		.amdhsa_fp16_overflow 0
		.amdhsa_tg_split 0
		.amdhsa_exception_fp_ieee_invalid_op 0
		.amdhsa_exception_fp_denorm_src 0
		.amdhsa_exception_fp_ieee_div_zero 0
		.amdhsa_exception_fp_ieee_overflow 0
		.amdhsa_exception_fp_ieee_underflow 0
		.amdhsa_exception_fp_ieee_inexact 0
		.amdhsa_exception_int_div_zero 0
	.end_amdhsa_kernel
	.section	.text._ZN7rocprim17ROCPRIM_400000_NS6detail17trampoline_kernelINS0_14default_configENS1_33run_length_encode_config_selectorIdjNS0_4plusIjEEEEZZNS1_33reduce_by_key_impl_wrapped_configILNS1_25lookback_scan_determinismE0ES3_S7_PKdNS0_17constant_iteratorIjlEEPdPlSF_S6_NS0_8equal_toIdEEEE10hipError_tPvRmT2_T3_mT4_T5_T6_T7_T8_P12ihipStream_tbENKUlT_T0_E_clISt17integral_constantIbLb1EESY_IbLb0EEEEDaSU_SV_EUlSU_E_NS1_11comp_targetILNS1_3genE8ELNS1_11target_archE1030ELNS1_3gpuE2ELNS1_3repE0EEENS1_30default_config_static_selectorELNS0_4arch9wavefront6targetE1EEEvT1_,"axG",@progbits,_ZN7rocprim17ROCPRIM_400000_NS6detail17trampoline_kernelINS0_14default_configENS1_33run_length_encode_config_selectorIdjNS0_4plusIjEEEEZZNS1_33reduce_by_key_impl_wrapped_configILNS1_25lookback_scan_determinismE0ES3_S7_PKdNS0_17constant_iteratorIjlEEPdPlSF_S6_NS0_8equal_toIdEEEE10hipError_tPvRmT2_T3_mT4_T5_T6_T7_T8_P12ihipStream_tbENKUlT_T0_E_clISt17integral_constantIbLb1EESY_IbLb0EEEEDaSU_SV_EUlSU_E_NS1_11comp_targetILNS1_3genE8ELNS1_11target_archE1030ELNS1_3gpuE2ELNS1_3repE0EEENS1_30default_config_static_selectorELNS0_4arch9wavefront6targetE1EEEvT1_,comdat
.Lfunc_end330:
	.size	_ZN7rocprim17ROCPRIM_400000_NS6detail17trampoline_kernelINS0_14default_configENS1_33run_length_encode_config_selectorIdjNS0_4plusIjEEEEZZNS1_33reduce_by_key_impl_wrapped_configILNS1_25lookback_scan_determinismE0ES3_S7_PKdNS0_17constant_iteratorIjlEEPdPlSF_S6_NS0_8equal_toIdEEEE10hipError_tPvRmT2_T3_mT4_T5_T6_T7_T8_P12ihipStream_tbENKUlT_T0_E_clISt17integral_constantIbLb1EESY_IbLb0EEEEDaSU_SV_EUlSU_E_NS1_11comp_targetILNS1_3genE8ELNS1_11target_archE1030ELNS1_3gpuE2ELNS1_3repE0EEENS1_30default_config_static_selectorELNS0_4arch9wavefront6targetE1EEEvT1_, .Lfunc_end330-_ZN7rocprim17ROCPRIM_400000_NS6detail17trampoline_kernelINS0_14default_configENS1_33run_length_encode_config_selectorIdjNS0_4plusIjEEEEZZNS1_33reduce_by_key_impl_wrapped_configILNS1_25lookback_scan_determinismE0ES3_S7_PKdNS0_17constant_iteratorIjlEEPdPlSF_S6_NS0_8equal_toIdEEEE10hipError_tPvRmT2_T3_mT4_T5_T6_T7_T8_P12ihipStream_tbENKUlT_T0_E_clISt17integral_constantIbLb1EESY_IbLb0EEEEDaSU_SV_EUlSU_E_NS1_11comp_targetILNS1_3genE8ELNS1_11target_archE1030ELNS1_3gpuE2ELNS1_3repE0EEENS1_30default_config_static_selectorELNS0_4arch9wavefront6targetE1EEEvT1_
                                        ; -- End function
	.section	.AMDGPU.csdata,"",@progbits
; Kernel info:
; codeLenInByte = 0
; NumSgprs: 6
; NumVgprs: 0
; NumAgprs: 0
; TotalNumVgprs: 0
; ScratchSize: 0
; MemoryBound: 0
; FloatMode: 240
; IeeeMode: 1
; LDSByteSize: 0 bytes/workgroup (compile time only)
; SGPRBlocks: 0
; VGPRBlocks: 0
; NumSGPRsForWavesPerEU: 6
; NumVGPRsForWavesPerEU: 1
; AccumOffset: 4
; Occupancy: 8
; WaveLimiterHint : 0
; COMPUTE_PGM_RSRC2:SCRATCH_EN: 0
; COMPUTE_PGM_RSRC2:USER_SGPR: 2
; COMPUTE_PGM_RSRC2:TRAP_HANDLER: 0
; COMPUTE_PGM_RSRC2:TGID_X_EN: 1
; COMPUTE_PGM_RSRC2:TGID_Y_EN: 0
; COMPUTE_PGM_RSRC2:TGID_Z_EN: 0
; COMPUTE_PGM_RSRC2:TIDIG_COMP_CNT: 0
; COMPUTE_PGM_RSRC3_GFX90A:ACCUM_OFFSET: 0
; COMPUTE_PGM_RSRC3_GFX90A:TG_SPLIT: 0
	.section	.text._ZN7rocprim17ROCPRIM_400000_NS6detail17trampoline_kernelINS0_14default_configENS1_33run_length_encode_config_selectorIdjNS0_4plusIjEEEEZZNS1_33reduce_by_key_impl_wrapped_configILNS1_25lookback_scan_determinismE0ES3_S7_PKdNS0_17constant_iteratorIjlEEPdPlSF_S6_NS0_8equal_toIdEEEE10hipError_tPvRmT2_T3_mT4_T5_T6_T7_T8_P12ihipStream_tbENKUlT_T0_E_clISt17integral_constantIbLb0EESY_IbLb1EEEEDaSU_SV_EUlSU_E_NS1_11comp_targetILNS1_3genE0ELNS1_11target_archE4294967295ELNS1_3gpuE0ELNS1_3repE0EEENS1_30default_config_static_selectorELNS0_4arch9wavefront6targetE1EEEvT1_,"axG",@progbits,_ZN7rocprim17ROCPRIM_400000_NS6detail17trampoline_kernelINS0_14default_configENS1_33run_length_encode_config_selectorIdjNS0_4plusIjEEEEZZNS1_33reduce_by_key_impl_wrapped_configILNS1_25lookback_scan_determinismE0ES3_S7_PKdNS0_17constant_iteratorIjlEEPdPlSF_S6_NS0_8equal_toIdEEEE10hipError_tPvRmT2_T3_mT4_T5_T6_T7_T8_P12ihipStream_tbENKUlT_T0_E_clISt17integral_constantIbLb0EESY_IbLb1EEEEDaSU_SV_EUlSU_E_NS1_11comp_targetILNS1_3genE0ELNS1_11target_archE4294967295ELNS1_3gpuE0ELNS1_3repE0EEENS1_30default_config_static_selectorELNS0_4arch9wavefront6targetE1EEEvT1_,comdat
	.protected	_ZN7rocprim17ROCPRIM_400000_NS6detail17trampoline_kernelINS0_14default_configENS1_33run_length_encode_config_selectorIdjNS0_4plusIjEEEEZZNS1_33reduce_by_key_impl_wrapped_configILNS1_25lookback_scan_determinismE0ES3_S7_PKdNS0_17constant_iteratorIjlEEPdPlSF_S6_NS0_8equal_toIdEEEE10hipError_tPvRmT2_T3_mT4_T5_T6_T7_T8_P12ihipStream_tbENKUlT_T0_E_clISt17integral_constantIbLb0EESY_IbLb1EEEEDaSU_SV_EUlSU_E_NS1_11comp_targetILNS1_3genE0ELNS1_11target_archE4294967295ELNS1_3gpuE0ELNS1_3repE0EEENS1_30default_config_static_selectorELNS0_4arch9wavefront6targetE1EEEvT1_ ; -- Begin function _ZN7rocprim17ROCPRIM_400000_NS6detail17trampoline_kernelINS0_14default_configENS1_33run_length_encode_config_selectorIdjNS0_4plusIjEEEEZZNS1_33reduce_by_key_impl_wrapped_configILNS1_25lookback_scan_determinismE0ES3_S7_PKdNS0_17constant_iteratorIjlEEPdPlSF_S6_NS0_8equal_toIdEEEE10hipError_tPvRmT2_T3_mT4_T5_T6_T7_T8_P12ihipStream_tbENKUlT_T0_E_clISt17integral_constantIbLb0EESY_IbLb1EEEEDaSU_SV_EUlSU_E_NS1_11comp_targetILNS1_3genE0ELNS1_11target_archE4294967295ELNS1_3gpuE0ELNS1_3repE0EEENS1_30default_config_static_selectorELNS0_4arch9wavefront6targetE1EEEvT1_
	.globl	_ZN7rocprim17ROCPRIM_400000_NS6detail17trampoline_kernelINS0_14default_configENS1_33run_length_encode_config_selectorIdjNS0_4plusIjEEEEZZNS1_33reduce_by_key_impl_wrapped_configILNS1_25lookback_scan_determinismE0ES3_S7_PKdNS0_17constant_iteratorIjlEEPdPlSF_S6_NS0_8equal_toIdEEEE10hipError_tPvRmT2_T3_mT4_T5_T6_T7_T8_P12ihipStream_tbENKUlT_T0_E_clISt17integral_constantIbLb0EESY_IbLb1EEEEDaSU_SV_EUlSU_E_NS1_11comp_targetILNS1_3genE0ELNS1_11target_archE4294967295ELNS1_3gpuE0ELNS1_3repE0EEENS1_30default_config_static_selectorELNS0_4arch9wavefront6targetE1EEEvT1_
	.p2align	8
	.type	_ZN7rocprim17ROCPRIM_400000_NS6detail17trampoline_kernelINS0_14default_configENS1_33run_length_encode_config_selectorIdjNS0_4plusIjEEEEZZNS1_33reduce_by_key_impl_wrapped_configILNS1_25lookback_scan_determinismE0ES3_S7_PKdNS0_17constant_iteratorIjlEEPdPlSF_S6_NS0_8equal_toIdEEEE10hipError_tPvRmT2_T3_mT4_T5_T6_T7_T8_P12ihipStream_tbENKUlT_T0_E_clISt17integral_constantIbLb0EESY_IbLb1EEEEDaSU_SV_EUlSU_E_NS1_11comp_targetILNS1_3genE0ELNS1_11target_archE4294967295ELNS1_3gpuE0ELNS1_3repE0EEENS1_30default_config_static_selectorELNS0_4arch9wavefront6targetE1EEEvT1_,@function
_ZN7rocprim17ROCPRIM_400000_NS6detail17trampoline_kernelINS0_14default_configENS1_33run_length_encode_config_selectorIdjNS0_4plusIjEEEEZZNS1_33reduce_by_key_impl_wrapped_configILNS1_25lookback_scan_determinismE0ES3_S7_PKdNS0_17constant_iteratorIjlEEPdPlSF_S6_NS0_8equal_toIdEEEE10hipError_tPvRmT2_T3_mT4_T5_T6_T7_T8_P12ihipStream_tbENKUlT_T0_E_clISt17integral_constantIbLb0EESY_IbLb1EEEEDaSU_SV_EUlSU_E_NS1_11comp_targetILNS1_3genE0ELNS1_11target_archE4294967295ELNS1_3gpuE0ELNS1_3repE0EEENS1_30default_config_static_selectorELNS0_4arch9wavefront6targetE1EEEvT1_: ; @_ZN7rocprim17ROCPRIM_400000_NS6detail17trampoline_kernelINS0_14default_configENS1_33run_length_encode_config_selectorIdjNS0_4plusIjEEEEZZNS1_33reduce_by_key_impl_wrapped_configILNS1_25lookback_scan_determinismE0ES3_S7_PKdNS0_17constant_iteratorIjlEEPdPlSF_S6_NS0_8equal_toIdEEEE10hipError_tPvRmT2_T3_mT4_T5_T6_T7_T8_P12ihipStream_tbENKUlT_T0_E_clISt17integral_constantIbLb0EESY_IbLb1EEEEDaSU_SV_EUlSU_E_NS1_11comp_targetILNS1_3genE0ELNS1_11target_archE4294967295ELNS1_3gpuE0ELNS1_3repE0EEENS1_30default_config_static_selectorELNS0_4arch9wavefront6targetE1EEEvT1_
; %bb.0:
	.section	.rodata,"a",@progbits
	.p2align	6, 0x0
	.amdhsa_kernel _ZN7rocprim17ROCPRIM_400000_NS6detail17trampoline_kernelINS0_14default_configENS1_33run_length_encode_config_selectorIdjNS0_4plusIjEEEEZZNS1_33reduce_by_key_impl_wrapped_configILNS1_25lookback_scan_determinismE0ES3_S7_PKdNS0_17constant_iteratorIjlEEPdPlSF_S6_NS0_8equal_toIdEEEE10hipError_tPvRmT2_T3_mT4_T5_T6_T7_T8_P12ihipStream_tbENKUlT_T0_E_clISt17integral_constantIbLb0EESY_IbLb1EEEEDaSU_SV_EUlSU_E_NS1_11comp_targetILNS1_3genE0ELNS1_11target_archE4294967295ELNS1_3gpuE0ELNS1_3repE0EEENS1_30default_config_static_selectorELNS0_4arch9wavefront6targetE1EEEvT1_
		.amdhsa_group_segment_fixed_size 0
		.amdhsa_private_segment_fixed_size 0
		.amdhsa_kernarg_size 128
		.amdhsa_user_sgpr_count 2
		.amdhsa_user_sgpr_dispatch_ptr 0
		.amdhsa_user_sgpr_queue_ptr 0
		.amdhsa_user_sgpr_kernarg_segment_ptr 1
		.amdhsa_user_sgpr_dispatch_id 0
		.amdhsa_user_sgpr_kernarg_preload_length 0
		.amdhsa_user_sgpr_kernarg_preload_offset 0
		.amdhsa_user_sgpr_private_segment_size 0
		.amdhsa_uses_dynamic_stack 0
		.amdhsa_enable_private_segment 0
		.amdhsa_system_sgpr_workgroup_id_x 1
		.amdhsa_system_sgpr_workgroup_id_y 0
		.amdhsa_system_sgpr_workgroup_id_z 0
		.amdhsa_system_sgpr_workgroup_info 0
		.amdhsa_system_vgpr_workitem_id 0
		.amdhsa_next_free_vgpr 1
		.amdhsa_next_free_sgpr 0
		.amdhsa_accum_offset 4
		.amdhsa_reserve_vcc 0
		.amdhsa_float_round_mode_32 0
		.amdhsa_float_round_mode_16_64 0
		.amdhsa_float_denorm_mode_32 3
		.amdhsa_float_denorm_mode_16_64 3
		.amdhsa_dx10_clamp 1
		.amdhsa_ieee_mode 1
		.amdhsa_fp16_overflow 0
		.amdhsa_tg_split 0
		.amdhsa_exception_fp_ieee_invalid_op 0
		.amdhsa_exception_fp_denorm_src 0
		.amdhsa_exception_fp_ieee_div_zero 0
		.amdhsa_exception_fp_ieee_overflow 0
		.amdhsa_exception_fp_ieee_underflow 0
		.amdhsa_exception_fp_ieee_inexact 0
		.amdhsa_exception_int_div_zero 0
	.end_amdhsa_kernel
	.section	.text._ZN7rocprim17ROCPRIM_400000_NS6detail17trampoline_kernelINS0_14default_configENS1_33run_length_encode_config_selectorIdjNS0_4plusIjEEEEZZNS1_33reduce_by_key_impl_wrapped_configILNS1_25lookback_scan_determinismE0ES3_S7_PKdNS0_17constant_iteratorIjlEEPdPlSF_S6_NS0_8equal_toIdEEEE10hipError_tPvRmT2_T3_mT4_T5_T6_T7_T8_P12ihipStream_tbENKUlT_T0_E_clISt17integral_constantIbLb0EESY_IbLb1EEEEDaSU_SV_EUlSU_E_NS1_11comp_targetILNS1_3genE0ELNS1_11target_archE4294967295ELNS1_3gpuE0ELNS1_3repE0EEENS1_30default_config_static_selectorELNS0_4arch9wavefront6targetE1EEEvT1_,"axG",@progbits,_ZN7rocprim17ROCPRIM_400000_NS6detail17trampoline_kernelINS0_14default_configENS1_33run_length_encode_config_selectorIdjNS0_4plusIjEEEEZZNS1_33reduce_by_key_impl_wrapped_configILNS1_25lookback_scan_determinismE0ES3_S7_PKdNS0_17constant_iteratorIjlEEPdPlSF_S6_NS0_8equal_toIdEEEE10hipError_tPvRmT2_T3_mT4_T5_T6_T7_T8_P12ihipStream_tbENKUlT_T0_E_clISt17integral_constantIbLb0EESY_IbLb1EEEEDaSU_SV_EUlSU_E_NS1_11comp_targetILNS1_3genE0ELNS1_11target_archE4294967295ELNS1_3gpuE0ELNS1_3repE0EEENS1_30default_config_static_selectorELNS0_4arch9wavefront6targetE1EEEvT1_,comdat
.Lfunc_end331:
	.size	_ZN7rocprim17ROCPRIM_400000_NS6detail17trampoline_kernelINS0_14default_configENS1_33run_length_encode_config_selectorIdjNS0_4plusIjEEEEZZNS1_33reduce_by_key_impl_wrapped_configILNS1_25lookback_scan_determinismE0ES3_S7_PKdNS0_17constant_iteratorIjlEEPdPlSF_S6_NS0_8equal_toIdEEEE10hipError_tPvRmT2_T3_mT4_T5_T6_T7_T8_P12ihipStream_tbENKUlT_T0_E_clISt17integral_constantIbLb0EESY_IbLb1EEEEDaSU_SV_EUlSU_E_NS1_11comp_targetILNS1_3genE0ELNS1_11target_archE4294967295ELNS1_3gpuE0ELNS1_3repE0EEENS1_30default_config_static_selectorELNS0_4arch9wavefront6targetE1EEEvT1_, .Lfunc_end331-_ZN7rocprim17ROCPRIM_400000_NS6detail17trampoline_kernelINS0_14default_configENS1_33run_length_encode_config_selectorIdjNS0_4plusIjEEEEZZNS1_33reduce_by_key_impl_wrapped_configILNS1_25lookback_scan_determinismE0ES3_S7_PKdNS0_17constant_iteratorIjlEEPdPlSF_S6_NS0_8equal_toIdEEEE10hipError_tPvRmT2_T3_mT4_T5_T6_T7_T8_P12ihipStream_tbENKUlT_T0_E_clISt17integral_constantIbLb0EESY_IbLb1EEEEDaSU_SV_EUlSU_E_NS1_11comp_targetILNS1_3genE0ELNS1_11target_archE4294967295ELNS1_3gpuE0ELNS1_3repE0EEENS1_30default_config_static_selectorELNS0_4arch9wavefront6targetE1EEEvT1_
                                        ; -- End function
	.section	.AMDGPU.csdata,"",@progbits
; Kernel info:
; codeLenInByte = 0
; NumSgprs: 6
; NumVgprs: 0
; NumAgprs: 0
; TotalNumVgprs: 0
; ScratchSize: 0
; MemoryBound: 0
; FloatMode: 240
; IeeeMode: 1
; LDSByteSize: 0 bytes/workgroup (compile time only)
; SGPRBlocks: 0
; VGPRBlocks: 0
; NumSGPRsForWavesPerEU: 6
; NumVGPRsForWavesPerEU: 1
; AccumOffset: 4
; Occupancy: 8
; WaveLimiterHint : 0
; COMPUTE_PGM_RSRC2:SCRATCH_EN: 0
; COMPUTE_PGM_RSRC2:USER_SGPR: 2
; COMPUTE_PGM_RSRC2:TRAP_HANDLER: 0
; COMPUTE_PGM_RSRC2:TGID_X_EN: 1
; COMPUTE_PGM_RSRC2:TGID_Y_EN: 0
; COMPUTE_PGM_RSRC2:TGID_Z_EN: 0
; COMPUTE_PGM_RSRC2:TIDIG_COMP_CNT: 0
; COMPUTE_PGM_RSRC3_GFX90A:ACCUM_OFFSET: 0
; COMPUTE_PGM_RSRC3_GFX90A:TG_SPLIT: 0
	.section	.text._ZN7rocprim17ROCPRIM_400000_NS6detail17trampoline_kernelINS0_14default_configENS1_33run_length_encode_config_selectorIdjNS0_4plusIjEEEEZZNS1_33reduce_by_key_impl_wrapped_configILNS1_25lookback_scan_determinismE0ES3_S7_PKdNS0_17constant_iteratorIjlEEPdPlSF_S6_NS0_8equal_toIdEEEE10hipError_tPvRmT2_T3_mT4_T5_T6_T7_T8_P12ihipStream_tbENKUlT_T0_E_clISt17integral_constantIbLb0EESY_IbLb1EEEEDaSU_SV_EUlSU_E_NS1_11comp_targetILNS1_3genE5ELNS1_11target_archE942ELNS1_3gpuE9ELNS1_3repE0EEENS1_30default_config_static_selectorELNS0_4arch9wavefront6targetE1EEEvT1_,"axG",@progbits,_ZN7rocprim17ROCPRIM_400000_NS6detail17trampoline_kernelINS0_14default_configENS1_33run_length_encode_config_selectorIdjNS0_4plusIjEEEEZZNS1_33reduce_by_key_impl_wrapped_configILNS1_25lookback_scan_determinismE0ES3_S7_PKdNS0_17constant_iteratorIjlEEPdPlSF_S6_NS0_8equal_toIdEEEE10hipError_tPvRmT2_T3_mT4_T5_T6_T7_T8_P12ihipStream_tbENKUlT_T0_E_clISt17integral_constantIbLb0EESY_IbLb1EEEEDaSU_SV_EUlSU_E_NS1_11comp_targetILNS1_3genE5ELNS1_11target_archE942ELNS1_3gpuE9ELNS1_3repE0EEENS1_30default_config_static_selectorELNS0_4arch9wavefront6targetE1EEEvT1_,comdat
	.protected	_ZN7rocprim17ROCPRIM_400000_NS6detail17trampoline_kernelINS0_14default_configENS1_33run_length_encode_config_selectorIdjNS0_4plusIjEEEEZZNS1_33reduce_by_key_impl_wrapped_configILNS1_25lookback_scan_determinismE0ES3_S7_PKdNS0_17constant_iteratorIjlEEPdPlSF_S6_NS0_8equal_toIdEEEE10hipError_tPvRmT2_T3_mT4_T5_T6_T7_T8_P12ihipStream_tbENKUlT_T0_E_clISt17integral_constantIbLb0EESY_IbLb1EEEEDaSU_SV_EUlSU_E_NS1_11comp_targetILNS1_3genE5ELNS1_11target_archE942ELNS1_3gpuE9ELNS1_3repE0EEENS1_30default_config_static_selectorELNS0_4arch9wavefront6targetE1EEEvT1_ ; -- Begin function _ZN7rocprim17ROCPRIM_400000_NS6detail17trampoline_kernelINS0_14default_configENS1_33run_length_encode_config_selectorIdjNS0_4plusIjEEEEZZNS1_33reduce_by_key_impl_wrapped_configILNS1_25lookback_scan_determinismE0ES3_S7_PKdNS0_17constant_iteratorIjlEEPdPlSF_S6_NS0_8equal_toIdEEEE10hipError_tPvRmT2_T3_mT4_T5_T6_T7_T8_P12ihipStream_tbENKUlT_T0_E_clISt17integral_constantIbLb0EESY_IbLb1EEEEDaSU_SV_EUlSU_E_NS1_11comp_targetILNS1_3genE5ELNS1_11target_archE942ELNS1_3gpuE9ELNS1_3repE0EEENS1_30default_config_static_selectorELNS0_4arch9wavefront6targetE1EEEvT1_
	.globl	_ZN7rocprim17ROCPRIM_400000_NS6detail17trampoline_kernelINS0_14default_configENS1_33run_length_encode_config_selectorIdjNS0_4plusIjEEEEZZNS1_33reduce_by_key_impl_wrapped_configILNS1_25lookback_scan_determinismE0ES3_S7_PKdNS0_17constant_iteratorIjlEEPdPlSF_S6_NS0_8equal_toIdEEEE10hipError_tPvRmT2_T3_mT4_T5_T6_T7_T8_P12ihipStream_tbENKUlT_T0_E_clISt17integral_constantIbLb0EESY_IbLb1EEEEDaSU_SV_EUlSU_E_NS1_11comp_targetILNS1_3genE5ELNS1_11target_archE942ELNS1_3gpuE9ELNS1_3repE0EEENS1_30default_config_static_selectorELNS0_4arch9wavefront6targetE1EEEvT1_
	.p2align	8
	.type	_ZN7rocprim17ROCPRIM_400000_NS6detail17trampoline_kernelINS0_14default_configENS1_33run_length_encode_config_selectorIdjNS0_4plusIjEEEEZZNS1_33reduce_by_key_impl_wrapped_configILNS1_25lookback_scan_determinismE0ES3_S7_PKdNS0_17constant_iteratorIjlEEPdPlSF_S6_NS0_8equal_toIdEEEE10hipError_tPvRmT2_T3_mT4_T5_T6_T7_T8_P12ihipStream_tbENKUlT_T0_E_clISt17integral_constantIbLb0EESY_IbLb1EEEEDaSU_SV_EUlSU_E_NS1_11comp_targetILNS1_3genE5ELNS1_11target_archE942ELNS1_3gpuE9ELNS1_3repE0EEENS1_30default_config_static_selectorELNS0_4arch9wavefront6targetE1EEEvT1_,@function
_ZN7rocprim17ROCPRIM_400000_NS6detail17trampoline_kernelINS0_14default_configENS1_33run_length_encode_config_selectorIdjNS0_4plusIjEEEEZZNS1_33reduce_by_key_impl_wrapped_configILNS1_25lookback_scan_determinismE0ES3_S7_PKdNS0_17constant_iteratorIjlEEPdPlSF_S6_NS0_8equal_toIdEEEE10hipError_tPvRmT2_T3_mT4_T5_T6_T7_T8_P12ihipStream_tbENKUlT_T0_E_clISt17integral_constantIbLb0EESY_IbLb1EEEEDaSU_SV_EUlSU_E_NS1_11comp_targetILNS1_3genE5ELNS1_11target_archE942ELNS1_3gpuE9ELNS1_3repE0EEENS1_30default_config_static_selectorELNS0_4arch9wavefront6targetE1EEEvT1_: ; @_ZN7rocprim17ROCPRIM_400000_NS6detail17trampoline_kernelINS0_14default_configENS1_33run_length_encode_config_selectorIdjNS0_4plusIjEEEEZZNS1_33reduce_by_key_impl_wrapped_configILNS1_25lookback_scan_determinismE0ES3_S7_PKdNS0_17constant_iteratorIjlEEPdPlSF_S6_NS0_8equal_toIdEEEE10hipError_tPvRmT2_T3_mT4_T5_T6_T7_T8_P12ihipStream_tbENKUlT_T0_E_clISt17integral_constantIbLb0EESY_IbLb1EEEEDaSU_SV_EUlSU_E_NS1_11comp_targetILNS1_3genE5ELNS1_11target_archE942ELNS1_3gpuE9ELNS1_3repE0EEENS1_30default_config_static_selectorELNS0_4arch9wavefront6targetE1EEEvT1_
; %bb.0:
	s_load_dword s10, s[0:1], 0x10
	s_load_dwordx4 s[44:47], s[0:1], 0x20
	s_load_dwordx2 s[48:49], s[0:1], 0x30
	s_load_dwordx2 s[50:51], s[0:1], 0x70
	s_load_dwordx4 s[28:31], s[0:1], 0x60
	s_load_dwordx8 s[36:43], s[0:1], 0x40
	v_cmp_ne_u32_e64 s[2:3], 0, v0
	v_cmp_eq_u32_e64 s[34:35], 0, v0
	s_and_saveexec_b64 s[4:5], s[34:35]
	s_cbranch_execz .LBB332_4
; %bb.1:
	s_mov_b64 s[8:9], exec
	v_mbcnt_lo_u32_b32 v1, s8, 0
	v_mbcnt_hi_u32_b32 v1, s9, v1
	v_cmp_eq_u32_e32 vcc, 0, v1
                                        ; implicit-def: $vgpr2
	s_and_saveexec_b64 s[6:7], vcc
	s_cbranch_execz .LBB332_3
; %bb.2:
	s_load_dwordx2 s[12:13], s[0:1], 0x78
	s_bcnt1_i32_b64 s8, s[8:9]
	v_mov_b32_e32 v2, 0
	v_mov_b32_e32 v3, s8
	s_waitcnt lgkmcnt(0)
	global_atomic_add v2, v2, v3, s[12:13] sc0
.LBB332_3:
	s_or_b64 exec, exec, s[6:7]
	s_waitcnt vmcnt(0)
	v_readfirstlane_b32 s6, v2
	v_mov_b32_e32 v2, 0
	s_nop 0
	v_add_u32_e32 v1, s6, v1
	ds_write_b32 v2, v1
.LBB332_4:
	s_or_b64 exec, exec, s[4:5]
	s_load_dwordx4 s[4:7], s[0:1], 0x0
	v_mov_b32_e32 v3, 0
	s_waitcnt lgkmcnt(0)
	s_barrier
	ds_read_b32 v1, v3
	s_mul_i32 s0, s40, s39
	s_mul_hi_u32 s1, s40, s38
	s_add_i32 s0, s1, s0
	s_mul_i32 s1, s41, s38
	s_add_i32 s8, s0, s1
	s_lshl_b64 s[0:1], s[6:7], 3
	s_add_u32 s0, s4, s0
	s_mul_i32 s9, s40, s38
	s_addc_u32 s1, s5, s1
	s_waitcnt lgkmcnt(0)
	v_readfirstlane_b32 s58, v1
	s_add_u32 s52, s9, s58
	s_movk_i32 s4, 0x1e00
	s_addc_u32 s53, s8, 0
	v_mul_lo_u32 v2, v1, s4
	s_add_u32 s4, s42, -1
	s_addc_u32 s5, s43, -1
	s_cmp_eq_u64 s[52:53], s[4:5]
	v_lshlrev_b64 v[4:5], 3, v[2:3]
	s_cselect_b64 s[40:41], -1, 0
	s_cmp_lg_u64 s[52:53], s[4:5]
	v_lshl_add_u64 v[48:49], s[0:1], 0, v[4:5]
	s_mov_b64 s[6:7], -1
	s_cselect_b64 s[0:1], -1, 0
	s_mul_i32 s33, s4, 0xffffe200
	s_and_b64 vcc, exec, s[40:41]
	s_barrier
	s_cbranch_vccnz .LBB332_6
; %bb.5:
	v_lshlrev_b32_e32 v2, 3, v0
	v_lshl_add_u64 v[4:5], v[48:49], 0, v[2:3]
	v_add_co_u32_e32 v8, vcc, 0x1000, v4
	v_readfirstlane_b32 s4, v48
	s_nop 0
	v_addc_co_u32_e32 v9, vcc, 0, v5, vcc
	v_add_co_u32_e32 v10, vcc, 0x2000, v4
	v_readfirstlane_b32 s5, v49
	s_nop 0
	v_addc_co_u32_e32 v11, vcc, 0, v5, vcc
	v_add_co_u32_e32 v12, vcc, 0x3000, v4
	s_nop 1
	v_addc_co_u32_e32 v13, vcc, 0, v5, vcc
	v_add_co_u32_e32 v14, vcc, 0x4000, v4
	global_load_dwordx2 v[6:7], v2, s[4:5]
	s_nop 0
	v_addc_co_u32_e32 v15, vcc, 0, v5, vcc
	global_load_dwordx2 v[16:17], v[8:9], off
	global_load_dwordx2 v[18:19], v[10:11], off
	;; [unrolled: 1-line block ×4, first 2 shown]
	v_add_co_u32_e32 v8, vcc, 0x5000, v4
	s_movk_i32 s4, 0x70
	s_nop 0
	v_addc_co_u32_e32 v9, vcc, 0, v5, vcc
	v_add_co_u32_e32 v10, vcc, 0x6000, v4
	v_mad_u32_u24 v1, v0, s4, v2
	s_nop 0
	v_addc_co_u32_e32 v11, vcc, 0, v5, vcc
	v_add_co_u32_e32 v12, vcc, 0x7000, v4
	s_mov_b64 s[4:5], -1
	s_nop 0
	v_addc_co_u32_e32 v13, vcc, 0, v5, vcc
	v_add_co_u32_e32 v14, vcc, 0x8000, v4
	s_nop 1
	v_addc_co_u32_e32 v15, vcc, 0, v5, vcc
	global_load_dwordx2 v[24:25], v[8:9], off
	global_load_dwordx2 v[26:27], v[10:11], off
	;; [unrolled: 1-line block ×4, first 2 shown]
	v_add_co_u32_e32 v8, vcc, 0x9000, v4
	s_nop 1
	v_addc_co_u32_e32 v9, vcc, 0, v5, vcc
	v_add_co_u32_e32 v10, vcc, 0xa000, v4
	s_nop 1
	v_addc_co_u32_e32 v11, vcc, 0, v5, vcc
	;; [unrolled: 3-line block ×4, first 2 shown]
	global_load_dwordx2 v[32:33], v[8:9], off
	global_load_dwordx2 v[34:35], v[10:11], off
	;; [unrolled: 1-line block ×4, first 2 shown]
	v_add_co_u32_e32 v8, vcc, 0xd000, v4
	s_nop 1
	v_addc_co_u32_e32 v9, vcc, 0, v5, vcc
	v_add_co_u32_e32 v4, vcc, 0xe000, v4
	global_load_dwordx2 v[8:9], v[8:9], off
	s_nop 0
	v_addc_co_u32_e32 v5, vcc, 0, v5, vcc
	global_load_dwordx2 v[4:5], v[4:5], off
	s_waitcnt vmcnt(13)
	ds_write2st64_b64 v2, v[6:7], v[16:17] offset1:8
	s_waitcnt vmcnt(11)
	ds_write2st64_b64 v2, v[18:19], v[20:21] offset0:16 offset1:24
	s_waitcnt vmcnt(9)
	ds_write2st64_b64 v2, v[22:23], v[24:25] offset0:32 offset1:40
	;; [unrolled: 2-line block ×6, first 2 shown]
	s_waitcnt vmcnt(0)
	ds_write_b64 v2, v[4:5] offset:57344
	s_waitcnt lgkmcnt(0)
	s_barrier
	ds_read2_b64 v[26:29], v1 offset1:1
	ds_read2_b64 v[22:25], v1 offset0:2 offset1:3
	ds_read2_b64 v[18:21], v1 offset0:4 offset1:5
	;; [unrolled: 1-line block ×6, first 2 shown]
	ds_read_b64 v[46:47], v1 offset:112
	s_waitcnt lgkmcnt(7)
	v_mov_b32_e32 v30, v26
	v_mov_b32_e32 v31, v27
	s_waitcnt lgkmcnt(6)
	v_mov_b32_e32 v32, v22
	v_mov_b32_e32 v33, v23
	;; [unrolled: 3-line block ×7, first 2 shown]
	s_add_i32 s33, s33, s28
	s_cbranch_execz .LBB332_7
	s_branch .LBB332_38
.LBB332_6:
	s_mov_b64 s[4:5], 0
                                        ; implicit-def: $vgpr46_vgpr47
                                        ; implicit-def: $vgpr6_vgpr7
                                        ; implicit-def: $vgpr2_vgpr3
                                        ; implicit-def: $vgpr10_vgpr11
                                        ; implicit-def: $vgpr14_vgpr15
                                        ; implicit-def: $vgpr18_vgpr19
                                        ; implicit-def: $vgpr22_vgpr23
                                        ; implicit-def: $vgpr26_vgpr27
                                        ; implicit-def: $vgpr38_vgpr39_vgpr40_vgpr41
                                        ; implicit-def: $vgpr34_vgpr35_vgpr36_vgpr37
                                        ; implicit-def: $vgpr30_vgpr31_vgpr32_vgpr33
                                        ; implicit-def: $vgpr42_vgpr43_vgpr44_vgpr45
	s_add_i32 s33, s33, s28
	s_andn2_b64 vcc, exec, s[6:7]
	s_cbranch_vccnz .LBB332_38
.LBB332_7:
	v_cmp_gt_u32_e32 vcc, s33, v0
                                        ; implicit-def: $vgpr2_vgpr3
	s_and_saveexec_b64 s[4:5], vcc
	s_cbranch_execz .LBB332_9
; %bb.8:
	v_lshlrev_b32_e32 v1, 3, v0
	v_readfirstlane_b32 s6, v48
	v_readfirstlane_b32 s7, v49
	s_nop 4
	global_load_dwordx2 v[2:3], v1, s[6:7]
.LBB332_9:
	s_or_b64 exec, exec, s[4:5]
	v_or_b32_e32 v1, 0x200, v0
	v_cmp_gt_u32_e32 vcc, s33, v1
                                        ; implicit-def: $vgpr4_vgpr5
	s_and_saveexec_b64 s[4:5], vcc
	s_cbranch_execz .LBB332_11
; %bb.10:
	v_lshlrev_b32_e32 v1, 3, v1
	v_readfirstlane_b32 s6, v48
	v_readfirstlane_b32 s7, v49
	s_nop 4
	global_load_dwordx2 v[4:5], v1, s[6:7]
.LBB332_11:
	s_or_b64 exec, exec, s[4:5]
	v_or_b32_e32 v1, 0x400, v0
	v_cmp_gt_u32_e32 vcc, s33, v1
                                        ; implicit-def: $vgpr6_vgpr7
	s_and_saveexec_b64 s[4:5], vcc
	s_cbranch_execz .LBB332_13
; %bb.12:
	v_lshlrev_b32_e32 v1, 3, v1
	v_readfirstlane_b32 s6, v48
	v_readfirstlane_b32 s7, v49
	s_nop 4
	global_load_dwordx2 v[6:7], v1, s[6:7]
.LBB332_13:
	s_or_b64 exec, exec, s[4:5]
	v_or_b32_e32 v1, 0x600, v0
	v_cmp_gt_u32_e32 vcc, s33, v1
                                        ; implicit-def: $vgpr8_vgpr9
	s_and_saveexec_b64 s[4:5], vcc
	s_cbranch_execz .LBB332_15
; %bb.14:
	v_lshlrev_b32_e32 v1, 3, v1
	v_readfirstlane_b32 s6, v48
	v_readfirstlane_b32 s7, v49
	s_nop 4
	global_load_dwordx2 v[8:9], v1, s[6:7]
.LBB332_15:
	s_or_b64 exec, exec, s[4:5]
	v_or_b32_e32 v1, 0x800, v0
	v_cmp_gt_u32_e32 vcc, s33, v1
                                        ; implicit-def: $vgpr10_vgpr11
	s_and_saveexec_b64 s[4:5], vcc
	s_cbranch_execz .LBB332_17
; %bb.16:
	v_lshlrev_b32_e32 v1, 3, v1
	v_readfirstlane_b32 s6, v48
	v_readfirstlane_b32 s7, v49
	s_nop 4
	global_load_dwordx2 v[10:11], v1, s[6:7]
.LBB332_17:
	s_or_b64 exec, exec, s[4:5]
	v_or_b32_e32 v1, 0xa00, v0
	v_cmp_gt_u32_e32 vcc, s33, v1
                                        ; implicit-def: $vgpr12_vgpr13
	s_and_saveexec_b64 s[4:5], vcc
	s_cbranch_execz .LBB332_19
; %bb.18:
	v_lshlrev_b32_e32 v1, 3, v1
	v_readfirstlane_b32 s6, v48
	v_readfirstlane_b32 s7, v49
	s_nop 4
	global_load_dwordx2 v[12:13], v1, s[6:7]
.LBB332_19:
	s_or_b64 exec, exec, s[4:5]
	v_or_b32_e32 v1, 0xc00, v0
	v_cmp_gt_u32_e32 vcc, s33, v1
                                        ; implicit-def: $vgpr14_vgpr15
	s_and_saveexec_b64 s[4:5], vcc
	s_cbranch_execz .LBB332_21
; %bb.20:
	v_lshlrev_b32_e32 v1, 3, v1
	v_readfirstlane_b32 s6, v48
	v_readfirstlane_b32 s7, v49
	s_nop 4
	global_load_dwordx2 v[14:15], v1, s[6:7]
.LBB332_21:
	s_or_b64 exec, exec, s[4:5]
	v_or_b32_e32 v1, 0xe00, v0
	v_cmp_gt_u32_e32 vcc, s33, v1
                                        ; implicit-def: $vgpr16_vgpr17
	s_and_saveexec_b64 s[4:5], vcc
	s_cbranch_execz .LBB332_23
; %bb.22:
	v_lshlrev_b32_e32 v1, 3, v1
	v_readfirstlane_b32 s6, v48
	v_readfirstlane_b32 s7, v49
	s_nop 4
	global_load_dwordx2 v[16:17], v1, s[6:7]
.LBB332_23:
	s_or_b64 exec, exec, s[4:5]
	v_or_b32_e32 v1, 0x1000, v0
	v_cmp_gt_u32_e32 vcc, s33, v1
                                        ; implicit-def: $vgpr18_vgpr19
	s_and_saveexec_b64 s[4:5], vcc
	s_cbranch_execz .LBB332_25
; %bb.24:
	v_lshlrev_b32_e32 v1, 3, v1
	v_readfirstlane_b32 s6, v48
	v_readfirstlane_b32 s7, v49
	s_nop 4
	global_load_dwordx2 v[18:19], v1, s[6:7]
.LBB332_25:
	s_or_b64 exec, exec, s[4:5]
	v_or_b32_e32 v1, 0x1200, v0
	v_cmp_gt_u32_e32 vcc, s33, v1
                                        ; implicit-def: $vgpr20_vgpr21
	s_and_saveexec_b64 s[4:5], vcc
	s_cbranch_execz .LBB332_27
; %bb.26:
	v_lshlrev_b32_e32 v1, 3, v1
	v_readfirstlane_b32 s6, v48
	v_readfirstlane_b32 s7, v49
	s_nop 4
	global_load_dwordx2 v[20:21], v1, s[6:7]
.LBB332_27:
	s_or_b64 exec, exec, s[4:5]
	v_or_b32_e32 v1, 0x1400, v0
	v_cmp_gt_u32_e32 vcc, s33, v1
                                        ; implicit-def: $vgpr22_vgpr23
	s_and_saveexec_b64 s[4:5], vcc
	s_cbranch_execz .LBB332_29
; %bb.28:
	v_lshlrev_b32_e32 v1, 3, v1
	v_readfirstlane_b32 s6, v48
	v_readfirstlane_b32 s7, v49
	s_nop 4
	global_load_dwordx2 v[22:23], v1, s[6:7]
.LBB332_29:
	s_or_b64 exec, exec, s[4:5]
	v_or_b32_e32 v1, 0x1600, v0
	v_cmp_gt_u32_e32 vcc, s33, v1
                                        ; implicit-def: $vgpr24_vgpr25
	s_and_saveexec_b64 s[4:5], vcc
	s_cbranch_execz .LBB332_31
; %bb.30:
	v_lshlrev_b32_e32 v1, 3, v1
	v_readfirstlane_b32 s6, v48
	v_readfirstlane_b32 s7, v49
	s_nop 4
	global_load_dwordx2 v[24:25], v1, s[6:7]
.LBB332_31:
	s_or_b64 exec, exec, s[4:5]
	v_or_b32_e32 v1, 0x1800, v0
	v_cmp_gt_u32_e32 vcc, s33, v1
                                        ; implicit-def: $vgpr26_vgpr27
	s_and_saveexec_b64 s[4:5], vcc
	s_cbranch_execz .LBB332_33
; %bb.32:
	v_lshlrev_b32_e32 v1, 3, v1
	v_readfirstlane_b32 s6, v48
	v_readfirstlane_b32 s7, v49
	s_nop 4
	global_load_dwordx2 v[26:27], v1, s[6:7]
.LBB332_33:
	s_or_b64 exec, exec, s[4:5]
	v_or_b32_e32 v1, 0x1a00, v0
	v_cmp_gt_u32_e32 vcc, s33, v1
                                        ; implicit-def: $vgpr28_vgpr29
	s_and_saveexec_b64 s[4:5], vcc
	s_cbranch_execz .LBB332_35
; %bb.34:
	v_lshlrev_b32_e32 v1, 3, v1
	v_readfirstlane_b32 s6, v48
	v_readfirstlane_b32 s7, v49
	s_nop 4
	global_load_dwordx2 v[28:29], v1, s[6:7]
.LBB332_35:
	s_or_b64 exec, exec, s[4:5]
	v_or_b32_e32 v1, 0x1c00, v0
	v_cmp_gt_u32_e32 vcc, s33, v1
                                        ; implicit-def: $vgpr30_vgpr31
	s_and_saveexec_b64 s[4:5], vcc
	s_cbranch_execz .LBB332_37
; %bb.36:
	v_lshlrev_b32_e32 v1, 3, v1
	v_readfirstlane_b32 s6, v48
	v_readfirstlane_b32 s7, v49
	s_nop 4
	global_load_dwordx2 v[30:31], v1, s[6:7]
.LBB332_37:
	s_or_b64 exec, exec, s[4:5]
	v_lshlrev_b32_e32 v1, 3, v0
	s_movk_i32 s4, 0x70
	s_waitcnt vmcnt(0)
	ds_write2st64_b64 v1, v[2:3], v[4:5] offset1:8
	ds_write2st64_b64 v1, v[6:7], v[8:9] offset0:16 offset1:24
	ds_write2st64_b64 v1, v[10:11], v[12:13] offset0:32 offset1:40
	;; [unrolled: 1-line block ×6, first 2 shown]
	ds_write_b64 v1, v[30:31] offset:57344
	v_mad_u32_u24 v1, v0, s4, v1
	s_waitcnt lgkmcnt(0)
	s_barrier
	ds_read2_b64 v[26:29], v1 offset1:1
	ds_read2_b64 v[22:25], v1 offset0:2 offset1:3
	ds_read2_b64 v[18:21], v1 offset0:4 offset1:5
	;; [unrolled: 1-line block ×6, first 2 shown]
	ds_read_b64 v[46:47], v1 offset:112
	v_mad_u32_u24 v30, v0, 15, 14
	v_cmp_gt_u32_e64 s[4:5], s33, v30
	s_waitcnt lgkmcnt(7)
	v_mov_b32_e32 v30, v26
	v_mov_b32_e32 v31, v27
	s_waitcnt lgkmcnt(6)
	v_mov_b32_e32 v32, v22
	v_mov_b32_e32 v33, v23
	;; [unrolled: 3-line block ×7, first 2 shown]
.LBB332_38:
	v_mov_b32_e32 v68, s10
                                        ; implicit-def: $vgpr69
	s_and_saveexec_b64 s[6:7], s[4:5]
; %bb.39:
	v_mov_b32_e32 v69, s10
; %bb.40:
	s_or_b64 exec, exec, s[6:7]
	s_cmp_eq_u64 s[52:53], 0
	s_cselect_b64 s[42:43], -1, 0
	s_cmp_lg_u64 s[52:53], 0
	s_mov_b64 s[54:55], 0
	s_cselect_b64 s[56:57], -1, 0
	s_and_b64 vcc, exec, s[0:1]
	s_waitcnt lgkmcnt(0)
	s_barrier
	s_cbranch_vccz .LBB332_46
; %bb.41:
	s_and_b64 vcc, exec, s[56:57]
	s_cbranch_vccz .LBB332_47
; %bb.42:
	global_load_dwordx2 v[44:45], v[48:49], off offset:-8
	v_lshlrev_b32_e32 v1, 3, v0
	v_cmp_neq_f64_e32 vcc, v[8:9], v[46:47]
	v_cmp_neq_f64_e64 s[0:1], v[6:7], v[8:9]
	v_cmp_neq_f64_e64 s[4:5], v[4:5], v[6:7]
	v_cmp_neq_f64_e64 s[6:7], v[2:3], v[4:5]
	v_cmp_neq_f64_e64 s[8:9], v[12:13], v[2:3]
	v_cmp_neq_f64_e64 s[10:11], v[10:11], v[12:13]
	v_cmp_neq_f64_e64 s[12:13], v[16:17], v[10:11]
	v_cmp_neq_f64_e64 s[14:15], v[14:15], v[16:17]
	v_cmp_neq_f64_e64 s[16:17], v[20:21], v[14:15]
	v_cmp_neq_f64_e64 s[18:19], v[18:19], v[20:21]
	v_cmp_neq_f64_e64 s[20:21], v[24:25], v[18:19]
	v_cmp_neq_f64_e64 s[22:23], v[22:23], v[24:25]
	v_cmp_neq_f64_e64 s[24:25], v[28:29], v[22:23]
	v_cmp_neq_f64_e64 s[26:27], v[26:27], v[28:29]
	ds_write_b64 v1, v[46:47]
	s_waitcnt lgkmcnt(0)
	s_barrier
	s_and_saveexec_b64 s[54:55], s[2:3]
	s_cbranch_execz .LBB332_44
; %bb.43:
	v_add_u32_e32 v1, -8, v1
	s_waitcnt vmcnt(0)
	ds_read_b64 v[44:45], v1
.LBB332_44:
	s_or_b64 exec, exec, s[54:55]
	v_cndmask_b32_e64 v1, 0, 1, vcc
	v_cndmask_b32_e64 v72, 0, 1, s[0:1]
	v_cndmask_b32_e64 v73, 0, 1, s[4:5]
	;; [unrolled: 1-line block ×13, first 2 shown]
	s_waitcnt vmcnt(0) lgkmcnt(0)
	v_cmp_neq_f64_e64 s[0:1], v[44:45], v[26:27]
	s_mov_b64 s[54:55], -1
.LBB332_45:
                                        ; implicit-def: $sgpr6
	s_branch .LBB332_59
.LBB332_46:
                                        ; implicit-def: $sgpr0_sgpr1
                                        ; implicit-def: $vgpr1
                                        ; implicit-def: $vgpr72
                                        ; implicit-def: $vgpr73
                                        ; implicit-def: $vgpr74
                                        ; implicit-def: $vgpr75
                                        ; implicit-def: $vgpr76
                                        ; implicit-def: $vgpr77
                                        ; implicit-def: $vgpr78
                                        ; implicit-def: $vgpr79
                                        ; implicit-def: $vgpr80
                                        ; implicit-def: $vgpr81
                                        ; implicit-def: $vgpr82
                                        ; implicit-def: $vgpr83
                                        ; implicit-def: $vgpr84
                                        ; implicit-def: $sgpr6
	s_cbranch_execnz .LBB332_51
	s_branch .LBB332_59
.LBB332_47:
                                        ; implicit-def: $sgpr0_sgpr1
                                        ; implicit-def: $vgpr1
                                        ; implicit-def: $vgpr72
                                        ; implicit-def: $vgpr73
                                        ; implicit-def: $vgpr74
                                        ; implicit-def: $vgpr75
                                        ; implicit-def: $vgpr76
                                        ; implicit-def: $vgpr77
                                        ; implicit-def: $vgpr78
                                        ; implicit-def: $vgpr79
                                        ; implicit-def: $vgpr80
                                        ; implicit-def: $vgpr81
                                        ; implicit-def: $vgpr82
                                        ; implicit-def: $vgpr83
                                        ; implicit-def: $vgpr84
	s_cbranch_execz .LBB332_45
; %bb.48:
	v_cmp_neq_f64_e32 vcc, v[28:29], v[30:31]
	v_lshlrev_b32_e32 v44, 3, v0
	ds_write_b64 v44, v[46:47]
	v_cndmask_b32_e64 v84, 0, 1, vcc
	v_cmp_neq_f64_e32 vcc, v[28:29], v[32:33]
	s_waitcnt lgkmcnt(0)
	s_barrier
	v_cndmask_b32_e64 v83, 0, 1, vcc
	v_cmp_neq_f64_e32 vcc, v[32:33], v[24:25]
	s_waitcnt lgkmcnt(0)
                                        ; implicit-def: $sgpr0_sgpr1
	s_nop 0
	v_cndmask_b32_e64 v82, 0, 1, vcc
	v_cmp_neq_f64_e32 vcc, v[34:35], v[24:25]
	s_nop 1
	v_cndmask_b32_e64 v81, 0, 1, vcc
	v_cmp_neq_f64_e32 vcc, v[20:21], v[34:35]
	;; [unrolled: 3-line block ×11, first 2 shown]
	s_nop 1
	v_cndmask_b32_e64 v1, 0, 1, vcc
	s_and_saveexec_b64 s[4:5], s[2:3]
	s_xor_b64 s[4:5], exec, s[4:5]
	s_cbranch_execz .LBB332_50
; %bb.49:
	v_add_u32_e32 v30, -8, v44
	ds_read_b64 v[30:31], v30
	s_or_b64 s[54:55], s[54:55], exec
	s_waitcnt lgkmcnt(0)
	v_cmp_neq_f64_e32 vcc, v[30:31], v[26:27]
	s_and_b64 s[0:1], vcc, exec
.LBB332_50:
	s_or_b64 exec, exec, s[4:5]
	s_mov_b32 s6, 1
	s_branch .LBB332_59
.LBB332_51:
	s_mul_hi_u32 s1, s52, 0xffffe200
	s_mul_i32 s0, s53, 0xffffe200
	s_sub_i32 s1, s1, s52
	s_add_i32 s1, s1, s0
	s_mul_i32 s0, s52, 0xffffe200
	s_add_u32 s52, s0, s28
	s_addc_u32 s53, s1, s29
	s_and_b64 vcc, exec, s[56:57]
	v_cmp_neq_f64_e64 s[28:29], v[8:9], v[46:47]
	v_cmp_neq_f64_e64 s[0:1], v[6:7], v[8:9]
	;; [unrolled: 1-line block ×14, first 2 shown]
	v_mad_u32_u24 v30, v0, 15, 14
	v_mad_u32_u24 v60, v0, 15, 13
	;; [unrolled: 1-line block ×14, first 2 shown]
	s_cbranch_vccz .LBB332_56
; %bb.52:
	global_load_dwordx2 v[48:49], v[48:49], off offset:-8
	v_mov_b32_e32 v31, 0
	v_cmp_gt_u64_e32 vcc, s[52:53], v[30:31]
	v_mov_b32_e32 v61, v31
	s_and_b64 s[28:29], vcc, s[28:29]
	v_cmp_gt_u64_e32 vcc, s[52:53], v[60:61]
	v_mov_b32_e32 v59, v31
	s_and_b64 s[0:1], vcc, s[0:1]
	;; [unrolled: 3-line block ×13, first 2 shown]
	v_cmp_gt_u64_e32 vcc, s[52:53], v[32:33]
	v_lshlrev_b32_e32 v1, 3, v0
	v_mul_u32_u24_e32 v62, 15, v0
	s_and_b64 s[4:5], vcc, s[4:5]
	ds_write_b64 v1, v[46:47]
	s_waitcnt lgkmcnt(0)
	s_barrier
	s_and_saveexec_b64 s[54:55], s[2:3]
	s_cbranch_execz .LBB332_54
; %bb.53:
	v_add_u32_e32 v1, -8, v1
	s_waitcnt vmcnt(0)
	ds_read_b64 v[48:49], v1
.LBB332_54:
	s_or_b64 exec, exec, s[54:55]
	v_mov_b32_e32 v63, v31
	v_cndmask_b32_e64 v72, 0, 1, s[0:1]
	v_cmp_gt_u64_e32 vcc, s[52:53], v[62:63]
	s_waitcnt vmcnt(0) lgkmcnt(0)
	v_cmp_neq_f64_e64 s[0:1], v[48:49], v[26:27]
	v_cndmask_b32_e64 v1, 0, 1, s[28:29]
	v_cndmask_b32_e64 v73, 0, 1, s[26:27]
	;; [unrolled: 1-line block ×13, first 2 shown]
	s_and_b64 s[0:1], vcc, s[0:1]
	s_mov_b64 s[54:55], -1
.LBB332_55:
                                        ; implicit-def: $sgpr6
	v_mov_b32_e32 v85, s6
	s_and_saveexec_b64 s[2:3], s[54:55]
	s_cbranch_execnz .LBB332_60
	s_branch .LBB332_61
.LBB332_56:
                                        ; implicit-def: $sgpr0_sgpr1
                                        ; implicit-def: $vgpr1
                                        ; implicit-def: $vgpr72
                                        ; implicit-def: $vgpr73
                                        ; implicit-def: $vgpr74
                                        ; implicit-def: $vgpr75
                                        ; implicit-def: $vgpr76
                                        ; implicit-def: $vgpr77
                                        ; implicit-def: $vgpr78
                                        ; implicit-def: $vgpr79
                                        ; implicit-def: $vgpr80
                                        ; implicit-def: $vgpr81
                                        ; implicit-def: $vgpr82
                                        ; implicit-def: $vgpr83
                                        ; implicit-def: $vgpr84
	s_cbranch_execz .LBB332_55
; %bb.57:
	v_mov_b32_e32 v31, 0
	v_cmp_gt_u64_e32 vcc, s[52:53], v[30:31]
	v_cmp_neq_f64_e64 s[0:1], v[8:9], v[46:47]
	s_and_b64 s[0:1], vcc, s[0:1]
	v_mov_b32_e32 v61, v31
	v_cndmask_b32_e64 v1, 0, 1, s[0:1]
	v_cmp_gt_u64_e32 vcc, s[52:53], v[60:61]
	v_cmp_neq_f64_e64 s[0:1], v[6:7], v[8:9]
	s_and_b64 s[0:1], vcc, s[0:1]
	v_mov_b32_e32 v59, v31
	v_cndmask_b32_e64 v72, 0, 1, s[0:1]
	;; [unrolled: 5-line block ×13, first 2 shown]
	v_cmp_gt_u64_e32 vcc, s[52:53], v[32:33]
	v_cmp_neq_f64_e64 s[0:1], v[26:27], v[28:29]
	s_and_b64 s[0:1], vcc, s[0:1]
	v_lshlrev_b32_e32 v48, 3, v0
	s_mov_b32 s6, 1
	v_cndmask_b32_e64 v84, 0, 1, s[0:1]
	ds_write_b64 v48, v[46:47]
	s_waitcnt lgkmcnt(0)
	s_barrier
	s_waitcnt lgkmcnt(0)
                                        ; implicit-def: $sgpr0_sgpr1
	s_and_saveexec_b64 s[4:5], s[2:3]
	s_cbranch_execz .LBB332_140
; %bb.58:
	v_add_u32_e32 v30, -8, v48
	ds_read_b64 v[32:33], v30
	v_mul_u32_u24_e32 v30, 15, v0
	v_cmp_gt_u64_e32 vcc, s[52:53], v[30:31]
	s_or_b64 s[54:55], s[54:55], exec
	s_waitcnt lgkmcnt(0)
	v_cmp_neq_f64_e64 s[0:1], v[32:33], v[26:27]
	s_and_b64 s[0:1], vcc, s[0:1]
	s_and_b64 s[0:1], s[0:1], exec
	s_or_b64 exec, exec, s[4:5]
.LBB332_59:
	v_mov_b32_e32 v85, s6
	s_and_saveexec_b64 s[2:3], s[54:55]
.LBB332_60:
	v_cndmask_b32_e64 v85, 0, 1, s[0:1]
.LBB332_61:
	s_or_b64 exec, exec, s[2:3]
	s_cmp_eq_u64 s[38:39], 0
	v_add3_u32 v30, v84, v85, v83
	s_cselect_b64 s[38:39], -1, 0
	s_cmp_lg_u32 s58, 0
	v_cmp_eq_u32_e64 s[26:27], 0, v84
	v_cmp_eq_u32_e64 s[24:25], 0, v83
	;; [unrolled: 1-line block ×3, first 2 shown]
	v_add3_u32 v87, v30, v82, v81
	v_cmp_eq_u32_e64 s[20:21], 0, v81
	v_cmp_eq_u32_e64 s[18:19], 0, v80
	;; [unrolled: 1-line block ×10, first 2 shown]
	v_cmp_eq_u32_e32 vcc, 0, v1
	v_mbcnt_lo_u32_b32 v86, -1, 0
	v_lshrrev_b32_e32 v70, 6, v0
	v_or_b32_e32 v71, 63, v0
	s_cbranch_scc0 .LBB332_88
; %bb.62:
	v_cndmask_b32_e64 v30, 0, v68, s[26:27]
	v_add_u32_e32 v30, v30, v68
	v_cndmask_b32_e64 v30, 0, v30, s[24:25]
	v_add_u32_e32 v30, v30, v68
	;; [unrolled: 2-line block ×11, first 2 shown]
	v_cndmask_b32_e64 v30, 0, v30, s[4:5]
	v_add3_u32 v31, v87, v80, v79
	v_add_u32_e32 v30, v30, v68
	v_add3_u32 v31, v31, v78, v77
	v_cndmask_b32_e64 v30, 0, v30, s[2:3]
	v_add3_u32 v31, v31, v76, v75
	v_add_u32_e32 v30, v30, v68
	v_add3_u32 v31, v31, v74, v73
	v_cndmask_b32_e32 v30, 0, v30, vcc
	v_add3_u32 v31, v31, v72, v1
	v_add_u32_e32 v30, v30, v69
	v_mbcnt_hi_u32_b32 v39, -1, v86
	v_and_b32_e32 v32, 15, v39
	v_mov_b32_dpp v34, v30 row_shr:1 row_mask:0xf bank_mask:0xf
	v_cmp_eq_u32_e32 vcc, 0, v31
	v_mov_b32_dpp v33, v31 row_shr:1 row_mask:0xf bank_mask:0xf
	v_cmp_lt_u32_e64 s[0:1], 1, v32
	v_cndmask_b32_e32 v34, 0, v34, vcc
	v_cmp_eq_u32_e32 vcc, 0, v32
	s_nop 1
	v_cndmask_b32_e64 v33, v33, 0, vcc
	v_add_u32_e32 v31, v33, v31
	v_cndmask_b32_e64 v33, v34, 0, vcc
	v_add_u32_e32 v30, v33, v30
	v_cmp_eq_u32_e32 vcc, 0, v31
	v_mov_b32_dpp v33, v31 row_shr:2 row_mask:0xf bank_mask:0xf
	v_mov_b32_dpp v34, v30 row_shr:2 row_mask:0xf bank_mask:0xf
	v_cndmask_b32_e64 v33, 0, v33, s[0:1]
	s_and_b64 vcc, s[0:1], vcc
	v_cndmask_b32_e32 v34, 0, v34, vcc
	v_add_u32_e32 v31, v31, v33
	v_add_u32_e32 v30, v34, v30
	v_cmp_eq_u32_e32 vcc, 0, v31
	v_mov_b32_dpp v33, v31 row_shr:4 row_mask:0xf bank_mask:0xf
	v_cmp_lt_u32_e64 s[0:1], 3, v32
	v_mov_b32_dpp v34, v30 row_shr:4 row_mask:0xf bank_mask:0xf
	s_and_b64 vcc, s[0:1], vcc
	v_cndmask_b32_e64 v33, 0, v33, s[0:1]
	v_cndmask_b32_e32 v34, 0, v34, vcc
	v_add_u32_e32 v31, v33, v31
	v_add_u32_e32 v30, v30, v34
	v_cmp_eq_u32_e32 vcc, 0, v31
	v_cmp_lt_u32_e64 s[0:1], 7, v32
	v_mov_b32_dpp v33, v31 row_shr:8 row_mask:0xf bank_mask:0xf
	v_mov_b32_dpp v34, v30 row_shr:8 row_mask:0xf bank_mask:0xf
	s_and_b64 vcc, s[0:1], vcc
	v_cndmask_b32_e64 v32, 0, v33, s[0:1]
	v_cndmask_b32_e32 v33, 0, v34, vcc
	v_add_u32_e32 v30, v33, v30
	v_add_u32_e32 v31, v32, v31
	v_bfe_i32 v34, v39, 4, 1
	v_mov_b32_dpp v33, v30 row_bcast:15 row_mask:0xf bank_mask:0xf
	v_mov_b32_dpp v32, v31 row_bcast:15 row_mask:0xf bank_mask:0xf
	v_cmp_eq_u32_e32 vcc, 0, v31
	v_and_b32_e32 v32, v34, v32
	v_add_u32_e32 v31, v32, v31
	v_cndmask_b32_e32 v33, 0, v33, vcc
	v_and_b32_e32 v32, v34, v33
	v_add_u32_e32 v32, v32, v30
	v_mov_b32_dpp v30, v31 row_bcast:31 row_mask:0xf bank_mask:0xf
	v_cmp_eq_u32_e32 vcc, 0, v31
	v_cmp_lt_u32_e64 s[0:1], 31, v39
	v_mov_b32_dpp v33, v32 row_bcast:31 row_mask:0xf bank_mask:0xf
	s_and_b64 vcc, s[0:1], vcc
	v_cndmask_b32_e64 v30, 0, v30, s[0:1]
	v_add_u32_e32 v30, v30, v31
	v_cndmask_b32_e32 v31, 0, v33, vcc
	v_add_u32_e32 v31, v31, v32
	v_cmp_eq_u32_e32 vcc, v71, v0
	v_lshlrev_b32_e32 v32, 3, v70
	s_and_saveexec_b64 s[0:1], vcc
	s_cbranch_execz .LBB332_64
; %bb.63:
	ds_write_b64 v32, v[30:31] offset:8208
.LBB332_64:
	s_or_b64 exec, exec, s[0:1]
	v_cmp_gt_u32_e32 vcc, 8, v0
	s_waitcnt lgkmcnt(0)
	s_barrier
	s_and_saveexec_b64 s[28:29], vcc
	s_cbranch_execz .LBB332_66
; %bb.65:
	v_lshlrev_b32_e32 v33, 3, v0
	ds_read_b64 v[34:35], v33 offset:8208
	v_and_b32_e32 v36, 7, v39
	v_cmp_lt_u32_e64 s[0:1], 1, v36
	s_waitcnt lgkmcnt(0)
	v_mov_b32_dpp v38, v35 row_shr:1 row_mask:0xf bank_mask:0xf
	v_cmp_eq_u32_e32 vcc, 0, v34
	v_mov_b32_dpp v37, v34 row_shr:1 row_mask:0xf bank_mask:0xf
	s_nop 0
	v_cndmask_b32_e32 v38, 0, v38, vcc
	v_cmp_eq_u32_e32 vcc, 0, v36
	s_nop 1
	v_cndmask_b32_e64 v37, v37, 0, vcc
	v_add_u32_e32 v34, v37, v34
	v_cndmask_b32_e64 v37, v38, 0, vcc
	v_add_u32_e32 v35, v37, v35
	v_cmp_eq_u32_e32 vcc, 0, v34
	v_mov_b32_dpp v37, v34 row_shr:2 row_mask:0xf bank_mask:0xf
	v_mov_b32_dpp v38, v35 row_shr:2 row_mask:0xf bank_mask:0xf
	v_cndmask_b32_e64 v37, 0, v37, s[0:1]
	s_and_b64 vcc, s[0:1], vcc
	v_cndmask_b32_e32 v38, 0, v38, vcc
	v_add_u32_e32 v34, v37, v34
	v_add_u32_e32 v35, v38, v35
	v_cmp_eq_u32_e32 vcc, 0, v34
	v_mov_b32_dpp v37, v34 row_shr:4 row_mask:0xf bank_mask:0xf
	v_cmp_lt_u32_e64 s[0:1], 3, v36
	v_mov_b32_dpp v38, v35 row_shr:4 row_mask:0xf bank_mask:0xf
	s_and_b64 vcc, s[0:1], vcc
	v_cndmask_b32_e64 v36, 0, v37, s[0:1]
	v_add_u32_e32 v34, v36, v34
	v_cndmask_b32_e32 v36, 0, v38, vcc
	v_add_u32_e32 v35, v36, v35
	ds_write_b64 v33, v[34:35] offset:8208
.LBB332_66:
	s_or_b64 exec, exec, s[28:29]
	v_cmp_gt_u32_e32 vcc, 64, v0
	v_cmp_lt_u32_e64 s[0:1], 63, v0
	v_mov_b32_e32 v36, 0
	v_mov_b32_e32 v37, 0
	s_waitcnt lgkmcnt(0)
	s_barrier
	s_and_saveexec_b64 s[28:29], s[0:1]
	s_cbranch_execz .LBB332_68
; %bb.67:
	ds_read_b64 v[36:37], v32 offset:8200
	v_cmp_eq_u32_e64 s[0:1], 0, v30
	s_waitcnt lgkmcnt(0)
	v_add_u32_e32 v32, v36, v30
	v_cndmask_b32_e64 v30, 0, v37, s[0:1]
	v_add_u32_e32 v31, v30, v31
	v_mov_b32_e32 v30, v32
.LBB332_68:
	s_or_b64 exec, exec, s[28:29]
	v_add_u32_e32 v32, -1, v39
	v_and_b32_e32 v33, 64, v39
	v_cmp_lt_i32_e64 s[0:1], v32, v33
	v_cmp_eq_u32_e64 s[28:29], 0, v39
	s_nop 0
	v_cndmask_b32_e64 v32, v32, v39, s[0:1]
	v_lshlrev_b32_e32 v32, 2, v32
	ds_bpermute_b32 v44, v32, v30
	ds_bpermute_b32 v45, v32, v31
	s_and_saveexec_b64 s[52:53], vcc
	s_cbranch_execz .LBB332_87
; %bb.69:
	v_mov_b32_e32 v35, 0
	ds_read_b64 v[30:31], v35 offset:8264
	s_waitcnt lgkmcnt(0)
	v_readfirstlane_b32 s56, v30
	v_readfirstlane_b32 s57, v31
	s_and_saveexec_b64 s[0:1], s[28:29]
	s_cbranch_execz .LBB332_71
; %bb.70:
	s_add_i32 s54, s58, 64
	s_mov_b32 s55, 0
	s_lshl_b64 s[60:61], s[54:55], 4
	s_add_u32 s60, s36, s60
	s_addc_u32 s61, s37, s61
	s_and_b32 s63, s57, 0xff000000
	s_mov_b32 s62, s55
	s_and_b32 s65, s57, 0xff0000
	s_mov_b32 s64, s55
	s_or_b64 s[62:63], s[64:65], s[62:63]
	s_and_b32 s65, s57, 0xff00
	s_or_b64 s[62:63], s[62:63], s[64:65]
	s_and_b32 s65, s57, 0xff
	s_or_b64 s[54:55], s[62:63], s[64:65]
	v_mov_b32_e32 v32, s56
	v_mov_b32_e32 v33, s55
	;; [unrolled: 1-line block ×3, first 2 shown]
	v_mov_b64_e32 v[30:31], s[60:61]
	;;#ASMSTART
	global_store_dwordx4 v[30:31], v[32:35] off sc1	
s_waitcnt vmcnt(0)
	;;#ASMEND
.LBB332_71:
	s_or_b64 exec, exec, s[0:1]
	v_xad_u32 v38, v39, -1, s58
	v_add_u32_e32 v34, 64, v38
	v_lshl_add_u64 v[40:41], v[34:35], 4, s[36:37]
	;;#ASMSTART
	global_load_dwordx4 v[30:33], v[40:41] off sc1	
s_waitcnt vmcnt(0)
	;;#ASMEND
	s_nop 0
	v_and_b32_e32 v33, 0xff, v31
	v_and_b32_e32 v34, 0xff00, v31
	v_or3_b32 v30, v30, 0, 0
	v_and_b32_e32 v42, 0xff000000, v31
	v_or3_b32 v33, 0, v33, v34
	;; [unrolled: 2-line block ×3, first 2 shown]
	v_or3_b32 v30, v30, 0, 0
	v_cmp_eq_u16_sdwa s[54:55], v32, v35 src0_sel:BYTE_0 src1_sel:DWORD
	s_and_saveexec_b64 s[0:1], s[54:55]
	s_cbranch_execz .LBB332_75
; %bb.72:
	s_mov_b64 s[54:55], 0
	v_mov_b32_e32 v34, 0
.LBB332_73:                             ; =>This Inner Loop Header: Depth=1
	;;#ASMSTART
	global_load_dwordx4 v[30:33], v[40:41] off sc1	
s_waitcnt vmcnt(0)
	;;#ASMEND
	s_nop 0
	v_cmp_ne_u16_sdwa s[60:61], v32, v34 src0_sel:BYTE_0 src1_sel:DWORD
	s_or_b64 s[54:55], s[60:61], s[54:55]
	s_andn2_b64 exec, exec, s[54:55]
	s_cbranch_execnz .LBB332_73
; %bb.74:
	s_or_b64 exec, exec, s[54:55]
.LBB332_75:
	s_or_b64 exec, exec, s[0:1]
	v_mov_b32_e32 v48, 2
	v_cmp_eq_u16_sdwa s[0:1], v32, v48 src0_sel:BYTE_0 src1_sel:DWORD
	v_lshlrev_b64 v[40:41], v39, -1
	v_and_b32_e32 v49, 63, v39
	v_and_b32_e32 v33, s1, v41
	v_or_b32_e32 v33, 0x80000000, v33
	v_cmp_ne_u32_e32 vcc, 63, v49
	v_and_b32_e32 v34, s0, v40
	v_ffbl_b32_e32 v33, v33
	v_addc_co_u32_e32 v35, vcc, 0, v39, vcc
	v_add_u32_e32 v33, 32, v33
	v_ffbl_b32_e32 v34, v34
	v_lshlrev_b32_e32 v50, 2, v35
	v_min_u32_e32 v33, v34, v33
	ds_bpermute_b32 v34, v50, v31
	v_cmp_eq_u32_e32 vcc, 0, v30
	v_cmp_lt_u32_e64 s[0:1], v49, v33
	ds_bpermute_b32 v35, v50, v30
	s_and_b64 vcc, s[0:1], vcc
	s_waitcnt lgkmcnt(1)
	v_cndmask_b32_e32 v34, 0, v34, vcc
	v_cmp_gt_u32_e32 vcc, 62, v49
	v_add_u32_e32 v31, v34, v31
	s_waitcnt lgkmcnt(0)
	v_cndmask_b32_e64 v35, 0, v35, s[0:1]
	v_cndmask_b32_e64 v34, 0, 1, vcc
	v_lshlrev_b32_e32 v34, 1, v34
	v_add_lshl_u32 v51, v34, v39, 2
	ds_bpermute_b32 v34, v51, v31
	v_add_u32_e32 v30, v35, v30
	ds_bpermute_b32 v35, v51, v30
	v_add_u32_e32 v52, 2, v49
	v_cmp_eq_u32_e32 vcc, 0, v30
	v_add_u32_e32 v54, 4, v49
	v_add_u32_e32 v56, 8, v49
	s_waitcnt lgkmcnt(1)
	v_cndmask_b32_e32 v34, 0, v34, vcc
	v_cmp_gt_u32_e32 vcc, v52, v33
	v_add_u32_e32 v58, 16, v49
	v_add_u32_e32 v60, 32, v49
	v_cndmask_b32_e64 v34, v34, 0, vcc
	v_add_u32_e32 v31, v34, v31
	s_waitcnt lgkmcnt(0)
	v_cndmask_b32_e64 v34, v35, 0, vcc
	v_cmp_gt_u32_e32 vcc, 60, v49
	v_add_u32_e32 v30, v30, v34
	s_nop 0
	v_cndmask_b32_e64 v35, 0, 1, vcc
	v_lshlrev_b32_e32 v35, 2, v35
	v_add_lshl_u32 v53, v35, v39, 2
	ds_bpermute_b32 v35, v53, v31
	ds_bpermute_b32 v34, v53, v30
	v_cmp_eq_u32_e32 vcc, 0, v30
	s_waitcnt lgkmcnt(1)
	s_nop 0
	v_cndmask_b32_e32 v35, 0, v35, vcc
	v_cmp_gt_u32_e32 vcc, v54, v33
	s_nop 1
	v_cndmask_b32_e64 v35, v35, 0, vcc
	s_waitcnt lgkmcnt(0)
	v_cndmask_b32_e64 v34, v34, 0, vcc
	v_cmp_gt_u32_e32 vcc, 56, v49
	v_add_u32_e32 v31, v31, v35
	v_add_u32_e32 v30, v30, v34
	v_cndmask_b32_e64 v35, 0, 1, vcc
	v_lshlrev_b32_e32 v35, 3, v35
	v_add_lshl_u32 v55, v35, v39, 2
	ds_bpermute_b32 v35, v55, v31
	ds_bpermute_b32 v34, v55, v30
	v_cmp_eq_u32_e32 vcc, 0, v30
	s_waitcnt lgkmcnt(1)
	s_nop 0
	v_cndmask_b32_e32 v35, 0, v35, vcc
	v_cmp_gt_u32_e32 vcc, v56, v33
	s_nop 1
	v_cndmask_b32_e64 v35, v35, 0, vcc
	s_waitcnt lgkmcnt(0)
	v_cndmask_b32_e64 v34, v34, 0, vcc
	v_cmp_gt_u32_e32 vcc, 48, v49
	v_add_u32_e32 v31, v31, v35
	v_add_u32_e32 v30, v30, v34
	;; [unrolled: 17-line block ×3, first 2 shown]
	v_cndmask_b32_e64 v35, 0, 1, vcc
	v_lshlrev_b32_e32 v35, 5, v35
	v_add_lshl_u32 v59, v35, v39, 2
	ds_bpermute_b32 v35, v59, v31
	ds_bpermute_b32 v34, v59, v30
	v_cmp_eq_u32_e32 vcc, 0, v30
	v_mov_b32_e32 v39, 0
	s_waitcnt lgkmcnt(1)
	v_cndmask_b32_e32 v35, 0, v35, vcc
	v_cmp_gt_u32_e32 vcc, v60, v33
	s_nop 1
	v_cndmask_b32_e64 v33, v35, 0, vcc
	v_add_u32_e32 v31, v33, v31
	s_waitcnt lgkmcnt(0)
	v_cndmask_b32_e64 v33, v34, 0, vcc
	v_add_u32_e32 v30, v33, v30
	s_branch .LBB332_77
.LBB332_76:                             ;   in Loop: Header=BB332_77 Depth=1
	s_or_b64 exec, exec, s[0:1]
	v_cmp_eq_u16_sdwa s[0:1], v32, v48 src0_sel:BYTE_0 src1_sel:DWORD
	v_cmp_eq_u32_e32 vcc, 0, v30
	ds_bpermute_b32 v43, v50, v30
	v_and_b32_e32 v33, s1, v41
	v_or_b32_e32 v33, 0x80000000, v33
	v_and_b32_e32 v42, s0, v40
	v_ffbl_b32_e32 v33, v33
	v_add_u32_e32 v33, 32, v33
	v_ffbl_b32_e32 v42, v42
	v_min_u32_e32 v33, v42, v33
	ds_bpermute_b32 v42, v50, v31
	v_cmp_lt_u32_e64 s[0:1], v49, v33
	s_and_b64 vcc, s[0:1], vcc
	v_subrev_u32_e32 v38, 64, v38
	s_waitcnt lgkmcnt(1)
	v_cndmask_b32_e64 v43, 0, v43, s[0:1]
	s_waitcnt lgkmcnt(0)
	v_cndmask_b32_e32 v42, 0, v42, vcc
	v_add_u32_e32 v31, v42, v31
	ds_bpermute_b32 v42, v51, v31
	v_add_u32_e32 v30, v43, v30
	v_cmp_eq_u32_e32 vcc, 0, v30
	ds_bpermute_b32 v43, v51, v30
	s_waitcnt lgkmcnt(1)
	v_cndmask_b32_e32 v42, 0, v42, vcc
	v_cmp_gt_u32_e32 vcc, v52, v33
	s_nop 1
	v_cndmask_b32_e64 v42, v42, 0, vcc
	v_add_u32_e32 v31, v42, v31
	ds_bpermute_b32 v42, v53, v31
	s_waitcnt lgkmcnt(1)
	v_cndmask_b32_e64 v43, v43, 0, vcc
	v_add_u32_e32 v30, v30, v43
	v_cmp_eq_u32_e32 vcc, 0, v30
	ds_bpermute_b32 v43, v53, v30
	s_waitcnt lgkmcnt(1)
	v_cndmask_b32_e32 v42, 0, v42, vcc
	v_cmp_gt_u32_e32 vcc, v54, v33
	s_nop 1
	v_cndmask_b32_e64 v42, v42, 0, vcc
	v_add_u32_e32 v31, v31, v42
	ds_bpermute_b32 v42, v55, v31
	s_waitcnt lgkmcnt(1)
	v_cndmask_b32_e64 v43, v43, 0, vcc
	v_add_u32_e32 v30, v30, v43
	ds_bpermute_b32 v43, v55, v30
	v_cmp_eq_u32_e32 vcc, 0, v30
	s_waitcnt lgkmcnt(1)
	s_nop 0
	v_cndmask_b32_e32 v42, 0, v42, vcc
	v_cmp_gt_u32_e32 vcc, v56, v33
	s_nop 1
	v_cndmask_b32_e64 v42, v42, 0, vcc
	v_add_u32_e32 v31, v31, v42
	ds_bpermute_b32 v42, v57, v31
	s_waitcnt lgkmcnt(1)
	v_cndmask_b32_e64 v43, v43, 0, vcc
	v_add_u32_e32 v30, v30, v43
	ds_bpermute_b32 v43, v57, v30
	v_cmp_eq_u32_e32 vcc, 0, v30
	s_waitcnt lgkmcnt(1)
	s_nop 0
	;; [unrolled: 13-line block ×3, first 2 shown]
	v_cndmask_b32_e32 v42, 0, v42, vcc
	v_cmp_gt_u32_e32 vcc, v60, v33
	s_nop 1
	v_cndmask_b32_e64 v33, v42, 0, vcc
	v_add_u32_e32 v31, v33, v31
	s_waitcnt lgkmcnt(0)
	v_cndmask_b32_e64 v33, v43, 0, vcc
	v_cmp_eq_u32_e32 vcc, 0, v34
	v_add3_u32 v30, v30, v34, v33
	s_nop 0
	v_cndmask_b32_e32 v31, 0, v31, vcc
	v_add_u32_e32 v31, v31, v35
.LBB332_77:                             ; =>This Loop Header: Depth=1
                                        ;     Child Loop BB332_80 Depth 2
	v_cmp_ne_u16_sdwa s[0:1], v32, v48 src0_sel:BYTE_0 src1_sel:DWORD
	v_mov_b32_e32 v35, v31
	v_mov_b32_e32 v34, v30
	v_cndmask_b32_e64 v31, 0, 1, s[0:1]
	;;#ASMSTART
	;;#ASMEND
	s_nop 0
	v_cmp_ne_u32_e32 vcc, 0, v31
	s_cmp_lg_u64 vcc, exec
	s_cbranch_scc1 .LBB332_82
; %bb.78:                               ;   in Loop: Header=BB332_77 Depth=1
	v_lshl_add_u64 v[42:43], v[38:39], 4, s[36:37]
	;;#ASMSTART
	global_load_dwordx4 v[30:33], v[42:43] off sc1	
s_waitcnt vmcnt(0)
	;;#ASMEND
	s_nop 0
	v_and_b32_e32 v33, 0xff, v31
	v_and_b32_e32 v61, 0xff00, v31
	v_or3_b32 v30, v30, 0, 0
	v_and_b32_e32 v62, 0xff000000, v31
	v_or3_b32 v33, 0, v33, v61
	;; [unrolled: 2-line block ×3, first 2 shown]
	v_or3_b32 v30, v30, 0, 0
	v_cmp_eq_u16_sdwa s[54:55], v32, v39 src0_sel:BYTE_0 src1_sel:DWORD
	s_and_saveexec_b64 s[0:1], s[54:55]
	s_cbranch_execz .LBB332_76
; %bb.79:                               ;   in Loop: Header=BB332_77 Depth=1
	s_mov_b64 s[54:55], 0
.LBB332_80:                             ;   Parent Loop BB332_77 Depth=1
                                        ; =>  This Inner Loop Header: Depth=2
	;;#ASMSTART
	global_load_dwordx4 v[30:33], v[42:43] off sc1	
s_waitcnt vmcnt(0)
	;;#ASMEND
	s_nop 0
	v_cmp_ne_u16_sdwa s[60:61], v32, v39 src0_sel:BYTE_0 src1_sel:DWORD
	s_or_b64 s[54:55], s[60:61], s[54:55]
	s_andn2_b64 exec, exec, s[54:55]
	s_cbranch_execnz .LBB332_80
; %bb.81:                               ;   in Loop: Header=BB332_77 Depth=1
	s_or_b64 exec, exec, s[54:55]
	s_branch .LBB332_76
.LBB332_82:                             ;   in Loop: Header=BB332_77 Depth=1
                                        ; implicit-def: $vgpr31
                                        ; implicit-def: $vgpr30
                                        ; implicit-def: $vgpr32
	s_cbranch_execz .LBB332_77
; %bb.83:
	s_and_saveexec_b64 s[0:1], s[28:29]
	s_cbranch_execz .LBB332_85
; %bb.84:
	s_cmp_eq_u32 s56, 0
	s_cselect_b64 vcc, -1, 0
	s_mov_b32 s55, 0
	v_cndmask_b32_e32 v30, 0, v35, vcc
	s_add_i32 s54, s58, 64
	v_add_u32_e32 v30, s57, v30
	s_lshl_b64 s[54:55], s[54:55], 4
	s_add_u32 s54, s36, s54
	v_and_b32_e32 v31, 0xff000000, v30
	v_and_b32_e32 v32, 0xff0000, v30
	s_addc_u32 s55, s37, s55
	v_or_b32_e32 v31, v32, v31
	v_and_b32_e32 v32, 0xff00, v30
	v_and_b32_e32 v30, 0xff, v30
	v_add_u32_e32 v38, s56, v34
	v_mov_b32_e32 v41, 0
	v_or3_b32 v39, v31, v32, v30
	v_mov_b32_e32 v40, 2
	v_mov_b64_e32 v[30:31], s[54:55]
	;;#ASMSTART
	global_store_dwordx4 v[30:31], v[38:41] off sc1	
s_waitcnt vmcnt(0)
	;;#ASMEND
	v_mov_b32_e32 v32, s56
	v_mov_b32_e32 v33, s57
	ds_write_b128 v41, v[32:35] offset:8192
.LBB332_85:
	s_or_b64 exec, exec, s[0:1]
	s_and_b64 exec, exec, s[34:35]
	s_cbranch_execz .LBB332_87
; %bb.86:
	v_mov_b32_e32 v30, 0
	ds_write_b64 v30, v[34:35] offset:8264
.LBB332_87:
	s_or_b64 exec, exec, s[52:53]
	v_mov_b32_e32 v32, 0
	s_waitcnt lgkmcnt(0)
	s_barrier
	ds_read_b64 v[30:31], v32 offset:8264
	v_cndmask_b32_e64 v34, v44, v36, s[28:29]
	v_cmp_eq_u32_e32 vcc, 0, v34
	v_cndmask_b32_e64 v33, v45, v37, s[28:29]
	s_waitcnt lgkmcnt(0)
	v_cndmask_b32_e32 v35, 0, v31, vcc
	v_add_u32_e32 v33, v35, v33
	v_cndmask_b32_e64 v67, v33, v31, s[34:35]
	v_cndmask_b32_e64 v31, v34, 0, s[34:35]
	v_cmp_eq_u32_e32 vcc, 0, v85
	v_add_u32_e32 v66, v30, v31
	v_add_u32_e32 v64, v66, v85
	v_cndmask_b32_e32 v30, 0, v67, vcc
	v_add_u32_e32 v65, v30, v68
	v_cndmask_b32_e64 v30, 0, v65, s[26:27]
	v_add_u32_e32 v63, v30, v68
	v_cndmask_b32_e64 v30, 0, v63, s[24:25]
	;; [unrolled: 2-line block ×8, first 2 shown]
	v_add_u32_e32 v49, v30, v68
	v_add_u32_e32 v62, v64, v84
	v_cndmask_b32_e64 v30, 0, v49, s[10:11]
	v_add_u32_e32 v60, v62, v83
	v_add_u32_e32 v45, v30, v68
	v_add_u32_e32 v58, v60, v82
	v_cndmask_b32_e64 v30, 0, v45, s[8:9]
	v_add_u32_e32 v56, v58, v81
	;; [unrolled: 4-line block ×3, first 2 shown]
	v_add_u32_e32 v41, v30, v68
	s_barrier
	ds_read_b128 v[30:33], v32 offset:8192
	v_add_u32_e32 v50, v52, v78
	v_add_u32_e32 v48, v50, v77
	;; [unrolled: 1-line block ×4, first 2 shown]
	v_cndmask_b32_e64 v34, 0, v41, s[4:5]
	v_add_u32_e32 v40, v42, v74
	v_add_u32_e32 v37, v34, v68
	s_waitcnt lgkmcnt(0)
	v_cmp_eq_u32_e32 vcc, 0, v30
	v_add_u32_e32 v36, v40, v73
	v_cndmask_b32_e64 v34, 0, v37, s[2:3]
	v_cndmask_b32_e32 v33, 0, v33, vcc
	v_add_u32_e32 v38, v36, v72
	v_add_u32_e32 v39, v34, v68
	;; [unrolled: 1-line block ×3, first 2 shown]
	s_branch .LBB332_100
.LBB332_88:
                                        ; implicit-def: $vgpr30
                                        ; implicit-def: $vgpr34
                                        ; implicit-def: $vgpr38_vgpr39
                                        ; implicit-def: $vgpr36_vgpr37
                                        ; implicit-def: $vgpr40_vgpr41
                                        ; implicit-def: $vgpr42_vgpr43
                                        ; implicit-def: $vgpr66_vgpr67
                                        ; implicit-def: $vgpr64_vgpr65
                                        ; implicit-def: $vgpr62_vgpr63
                                        ; implicit-def: $vgpr60_vgpr61
                                        ; implicit-def: $vgpr58_vgpr59
                                        ; implicit-def: $vgpr56_vgpr57
                                        ; implicit-def: $vgpr54_vgpr55
                                        ; implicit-def: $vgpr52_vgpr53
                                        ; implicit-def: $vgpr50_vgpr51
                                        ; implicit-def: $vgpr48_vgpr49
                                        ; implicit-def: $vgpr44_vgpr45
	s_cbranch_execz .LBB332_100
; %bb.89:
	s_and_b64 s[0:1], s[38:39], exec
	s_cselect_b32 s1, 0, s51
	s_cselect_b32 s0, 0, s50
	s_cmp_eq_u64 s[0:1], 0
	v_mov_b32_e32 v34, v68
	s_cbranch_scc1 .LBB332_91
; %bb.90:
	v_mov_b32_e32 v30, 0
	global_load_dword v34, v30, s[0:1]
.LBB332_91:
	v_cmp_eq_u32_e64 s[2:3], 0, v84
	v_cmp_eq_u32_e64 s[4:5], 0, v83
	v_cmp_eq_u32_e64 s[6:7], 0, v82
	v_cndmask_b32_e64 v30, 0, v68, s[2:3]
	v_add_u32_e32 v30, v30, v68
	v_cndmask_b32_e64 v30, 0, v30, s[4:5]
	v_add_u32_e32 v30, v30, v68
	v_cndmask_b32_e64 v30, 0, v30, s[6:7]
	v_add_u32_e32 v30, v30, v68
	v_cmp_eq_u32_e64 s[8:9], 0, v81
	v_cmp_eq_u32_e64 s[10:11], 0, v80
	v_cmp_eq_u32_e64 s[12:13], 0, v79
	v_cndmask_b32_e64 v30, 0, v30, s[8:9]
	v_add_u32_e32 v30, v30, v68
	v_cndmask_b32_e64 v30, 0, v30, s[10:11]
	v_add_u32_e32 v30, v30, v68
	v_cndmask_b32_e64 v30, 0, v30, s[12:13]
	v_add_u32_e32 v30, v30, v68
	;; [unrolled: 9-line block ×3, first 2 shown]
	v_cmp_eq_u32_e64 s[20:21], 0, v75
	v_cmp_eq_u32_e64 s[22:23], 0, v74
	;; [unrolled: 1-line block ×3, first 2 shown]
	v_cndmask_b32_e64 v30, 0, v30, s[20:21]
	v_add_u32_e32 v30, v30, v68
	v_cndmask_b32_e64 v30, 0, v30, s[22:23]
	v_add_u32_e32 v30, v30, v68
	v_cndmask_b32_e64 v30, 0, v30, s[24:25]
	v_add3_u32 v31, v87, v80, v79
	v_add_u32_e32 v30, v30, v68
	v_cmp_eq_u32_e32 vcc, 0, v72
	v_add3_u32 v31, v31, v78, v77
	v_add3_u32 v31, v31, v76, v75
	v_cndmask_b32_e32 v30, 0, v30, vcc
	v_add_u32_e32 v30, v30, v68
	v_cmp_eq_u32_e64 s[0:1], 0, v1
	v_add3_u32 v31, v31, v74, v73
	v_add3_u32 v31, v31, v72, v1
	v_cndmask_b32_e64 v30, 0, v30, s[0:1]
	v_add_u32_e32 v30, v30, v69
	v_mbcnt_hi_u32_b32 v35, -1, v86
	v_and_b32_e32 v32, 15, v35
	v_mov_b32_dpp v36, v30 row_shr:1 row_mask:0xf bank_mask:0xf
	v_cmp_eq_u32_e64 s[0:1], 0, v31
	v_mov_b32_dpp v33, v31 row_shr:1 row_mask:0xf bank_mask:0xf
	v_cmp_lt_u32_e64 s[26:27], 1, v32
	v_cndmask_b32_e64 v36, 0, v36, s[0:1]
	v_cmp_eq_u32_e64 s[0:1], 0, v32
	s_nop 1
	v_cndmask_b32_e64 v33, v33, 0, s[0:1]
	v_add_u32_e32 v31, v33, v31
	v_cndmask_b32_e64 v33, v36, 0, s[0:1]
	v_add_u32_e32 v30, v33, v30
	v_cmp_eq_u32_e64 s[0:1], 0, v31
	v_mov_b32_dpp v33, v31 row_shr:2 row_mask:0xf bank_mask:0xf
	v_mov_b32_dpp v36, v30 row_shr:2 row_mask:0xf bank_mask:0xf
	v_cndmask_b32_e64 v33, 0, v33, s[26:27]
	s_and_b64 s[0:1], s[26:27], s[0:1]
	v_cndmask_b32_e64 v36, 0, v36, s[0:1]
	v_add_u32_e32 v31, v31, v33
	v_add_u32_e32 v30, v36, v30
	v_cmp_eq_u32_e64 s[0:1], 0, v31
	v_mov_b32_dpp v33, v31 row_shr:4 row_mask:0xf bank_mask:0xf
	v_cmp_lt_u32_e64 s[26:27], 3, v32
	v_mov_b32_dpp v36, v30 row_shr:4 row_mask:0xf bank_mask:0xf
	s_and_b64 s[0:1], s[26:27], s[0:1]
	v_cndmask_b32_e64 v33, 0, v33, s[26:27]
	v_cndmask_b32_e64 v36, 0, v36, s[0:1]
	v_add_u32_e32 v31, v33, v31
	v_add_u32_e32 v30, v30, v36
	v_cmp_eq_u32_e64 s[0:1], 0, v31
	v_cmp_lt_u32_e64 s[26:27], 7, v32
	v_mov_b32_dpp v33, v31 row_shr:8 row_mask:0xf bank_mask:0xf
	v_mov_b32_dpp v36, v30 row_shr:8 row_mask:0xf bank_mask:0xf
	s_and_b64 s[0:1], s[26:27], s[0:1]
	v_cndmask_b32_e64 v32, 0, v33, s[26:27]
	v_cndmask_b32_e64 v33, 0, v36, s[0:1]
	v_add_u32_e32 v30, v33, v30
	v_add_u32_e32 v31, v32, v31
	v_bfe_i32 v36, v35, 4, 1
	v_mov_b32_dpp v33, v30 row_bcast:15 row_mask:0xf bank_mask:0xf
	v_mov_b32_dpp v32, v31 row_bcast:15 row_mask:0xf bank_mask:0xf
	v_cmp_eq_u32_e64 s[0:1], 0, v31
	v_and_b32_e32 v32, v36, v32
	v_add_u32_e32 v31, v32, v31
	v_cndmask_b32_e64 v33, 0, v33, s[0:1]
	v_and_b32_e32 v32, v36, v33
	v_add_u32_e32 v32, v32, v30
	v_mov_b32_dpp v30, v31 row_bcast:31 row_mask:0xf bank_mask:0xf
	v_cmp_eq_u32_e64 s[0:1], 0, v31
	v_cmp_lt_u32_e64 s[26:27], 31, v35
	v_mov_b32_dpp v33, v32 row_bcast:31 row_mask:0xf bank_mask:0xf
	s_and_b64 s[0:1], s[26:27], s[0:1]
	v_cndmask_b32_e64 v30, 0, v30, s[26:27]
	v_add_u32_e32 v30, v30, v31
	v_cndmask_b32_e64 v31, 0, v33, s[0:1]
	v_add_u32_e32 v31, v31, v32
	v_cmp_eq_u32_e64 s[0:1], v71, v0
	v_lshlrev_b32_e32 v33, 3, v70
	s_and_saveexec_b64 s[26:27], s[0:1]
	s_cbranch_execz .LBB332_93
; %bb.92:
	ds_write_b64 v33, v[30:31] offset:8208
.LBB332_93:
	s_or_b64 exec, exec, s[26:27]
	v_cmp_gt_u32_e64 s[0:1], 8, v0
	s_waitcnt lgkmcnt(0)
	s_barrier
	s_and_saveexec_b64 s[28:29], s[0:1]
	s_cbranch_execz .LBB332_95
; %bb.94:
	v_lshlrev_b32_e32 v32, 3, v0
	ds_read_b64 v[36:37], v32 offset:8208
	v_and_b32_e32 v38, 7, v35
	v_cmp_lt_u32_e64 s[26:27], 1, v38
	s_waitcnt lgkmcnt(0)
	v_mov_b32_dpp v40, v37 row_shr:1 row_mask:0xf bank_mask:0xf
	v_cmp_eq_u32_e64 s[0:1], 0, v36
	v_mov_b32_dpp v39, v36 row_shr:1 row_mask:0xf bank_mask:0xf
	s_nop 0
	v_cndmask_b32_e64 v40, 0, v40, s[0:1]
	v_cmp_eq_u32_e64 s[0:1], 0, v38
	s_nop 1
	v_cndmask_b32_e64 v39, v39, 0, s[0:1]
	v_add_u32_e32 v36, v39, v36
	v_cndmask_b32_e64 v39, v40, 0, s[0:1]
	v_add_u32_e32 v37, v39, v37
	v_cmp_eq_u32_e64 s[0:1], 0, v36
	v_mov_b32_dpp v39, v36 row_shr:2 row_mask:0xf bank_mask:0xf
	v_mov_b32_dpp v40, v37 row_shr:2 row_mask:0xf bank_mask:0xf
	v_cndmask_b32_e64 v39, 0, v39, s[26:27]
	s_and_b64 s[0:1], s[26:27], s[0:1]
	v_cndmask_b32_e64 v40, 0, v40, s[0:1]
	v_add_u32_e32 v36, v39, v36
	v_add_u32_e32 v37, v40, v37
	v_cmp_eq_u32_e64 s[0:1], 0, v36
	v_mov_b32_dpp v39, v36 row_shr:4 row_mask:0xf bank_mask:0xf
	v_cmp_lt_u32_e64 s[26:27], 3, v38
	v_mov_b32_dpp v40, v37 row_shr:4 row_mask:0xf bank_mask:0xf
	s_and_b64 s[0:1], s[26:27], s[0:1]
	v_cndmask_b32_e64 v38, 0, v39, s[26:27]
	v_add_u32_e32 v36, v38, v36
	v_cndmask_b32_e64 v38, 0, v40, s[0:1]
	v_add_u32_e32 v37, v38, v37
	ds_write_b64 v32, v[36:37] offset:8208
.LBB332_95:
	s_or_b64 exec, exec, s[28:29]
	v_cmp_lt_u32_e64 s[0:1], 63, v0
	v_mov_b32_e32 v37, 0
	v_mov_b32_e32 v32, 0
	s_waitcnt vmcnt(0)
	v_mov_b32_e32 v36, v34
	s_waitcnt lgkmcnt(0)
	s_barrier
	s_and_saveexec_b64 s[26:27], s[0:1]
	s_cbranch_execz .LBB332_97
; %bb.96:
	ds_read_b64 v[32:33], v33 offset:8200
	s_waitcnt lgkmcnt(0)
	v_cmp_eq_u32_e64 s[0:1], 0, v32
	s_nop 1
	v_cndmask_b32_e64 v36, 0, v34, s[0:1]
	v_add_u32_e32 v36, v36, v33
.LBB332_97:
	s_or_b64 exec, exec, s[26:27]
	v_cmp_eq_u32_e64 s[0:1], 0, v30
	v_add_u32_e32 v33, v32, v30
	v_and_b32_e32 v38, 64, v35
	v_cndmask_b32_e64 v30, 0, v36, s[0:1]
	v_add_u32_e32 v30, v30, v31
	v_add_u32_e32 v31, -1, v35
	v_cmp_lt_i32_e64 s[0:1], v31, v38
	s_nop 1
	v_cndmask_b32_e64 v31, v31, v35, s[0:1]
	v_lshlrev_b32_e32 v31, 2, v31
	ds_bpermute_b32 v30, v31, v30
	ds_bpermute_b32 v33, v31, v33
	v_cmp_eq_u32_e64 s[0:1], 0, v35
	s_waitcnt lgkmcnt(1)
	s_nop 0
	v_cndmask_b32_e64 v30, v30, v36, s[0:1]
	s_waitcnt lgkmcnt(0)
	v_cndmask_b32_e64 v31, v33, v32, s[0:1]
	v_cndmask_b32_e64 v67, v30, v34, s[34:35]
	v_cmp_eq_u32_e64 s[0:1], 0, v85
	v_cndmask_b32_e64 v66, v31, 0, s[34:35]
	v_add_u32_e32 v64, v66, v85
	v_cndmask_b32_e64 v30, 0, v67, s[0:1]
	v_add_u32_e32 v65, v30, v68
	;; [unrolled: 2-line block ×10, first 2 shown]
	v_add_u32_e32 v62, v64, v84
	v_cndmask_b32_e64 v30, 0, v49, s[18:19]
	v_add_u32_e32 v60, v62, v83
	v_add_u32_e32 v45, v30, v68
	v_add_u32_e32 v58, v60, v82
	v_cndmask_b32_e64 v30, 0, v45, s[20:21]
	v_add_u32_e32 v56, v58, v81
	v_add_u32_e32 v43, v30, v68
	;; [unrolled: 4-line block ×3, first 2 shown]
	ds_read_b64 v[30:31], v37 offset:8264
	v_add_u32_e32 v50, v52, v78
	v_add_u32_e32 v48, v50, v77
	;; [unrolled: 1-line block ×3, first 2 shown]
	v_cndmask_b32_e64 v32, 0, v41, s[24:25]
	v_add_u32_e32 v42, v44, v75
	v_add_u32_e32 v37, v32, v68
	;; [unrolled: 1-line block ×3, first 2 shown]
	v_cndmask_b32_e32 v32, 0, v37, vcc
	s_waitcnt lgkmcnt(0)
	v_cmp_eq_u32_e32 vcc, 0, v30
	v_add_u32_e32 v36, v40, v73
	v_add_u32_e32 v39, v32, v68
	v_cndmask_b32_e32 v32, 0, v34, vcc
	v_add_u32_e32 v38, v36, v72
	v_add_u32_e32 v34, v32, v31
	s_and_saveexec_b64 s[0:1], s[34:35]
	s_cbranch_execz .LBB332_99
; %bb.98:
	s_add_u32 s2, s36, 0x400
	v_and_b32_e32 v31, 0xff000000, v34
	v_and_b32_e32 v32, 0xff0000, v34
	s_addc_u32 s3, s37, 0
	v_or_b32_e32 v31, v32, v31
	v_and_b32_e32 v32, 0xff00, v34
	v_and_b32_e32 v35, 0xff, v34
	v_mov_b32_e32 v33, 0
	v_or3_b32 v31, v31, v32, v35
	v_mov_b32_e32 v32, 2
	v_mov_b64_e32 v[68:69], s[2:3]
	;;#ASMSTART
	global_store_dwordx4 v[68:69], v[30:33] off sc1	
s_waitcnt vmcnt(0)
	;;#ASMEND
.LBB332_99:
	s_or_b64 exec, exec, s[0:1]
	v_mov_b32_e32 v32, 0
.LBB332_100:
	s_and_b64 s[0:1], s[38:39], exec
	s_cselect_b32 s1, 0, s31
	s_cselect_b32 s0, 0, s30
	s_cmp_eq_u64 s[0:1], 0
	v_mov_b64_e32 v[68:69], 0
	s_barrier
	s_cbranch_scc1 .LBB332_102
; %bb.101:
	v_mov_b32_e32 v31, 0
	global_load_dwordx2 v[68:69], v31, s[0:1]
.LBB332_102:
	v_cmp_eq_u32_e32 vcc, 0, v85
	s_movk_i32 s0, 0x200
	v_mov_b32_e32 v33, 0
	v_cndmask_b32_e64 v31, 1, 2, vcc
	v_cmp_eq_u32_e32 vcc, 0, v84
	v_cmp_ne_u32_e64 s[30:31], 0, v85
	v_cmp_ne_u32_e64 s[28:29], 0, v84
	v_cndmask_b32_e64 v35, 1, 2, vcc
	v_cmp_eq_u32_e32 vcc, 0, v83
	v_and_b32_e32 v31, v35, v31
	v_cmp_ne_u32_e64 s[26:27], 0, v83
	v_cndmask_b32_e64 v35, 1, 2, vcc
	v_cmp_eq_u32_e32 vcc, 0, v82
	v_and_b32_e32 v31, v31, v35
	;; [unrolled: 4-line block ×13, first 2 shown]
	v_cmp_ne_u32_e64 s[2:3], 0, v1
	v_cndmask_b32_e64 v35, 1, 2, vcc
	v_and_b32_e32 v31, v31, v35
	v_cmp_gt_u32_e32 vcc, s0, v30
	s_mov_b64 s[36:37], -1
	v_cmp_gt_i16_e64 s[0:1], 2, v31
	s_cbranch_vccz .LBB332_109
; %bb.103:
	s_and_saveexec_b64 s[36:37], s[0:1]
	s_cbranch_execz .LBB332_108
; %bb.104:
	s_waitcnt vmcnt(0)
	v_lshlrev_b64 v[70:71], 3, v[68:69]
	v_lshl_add_u64 v[70:71], s[44:45], 0, v[70:71]
	v_lshlrev_b64 v[86:87], 3, v[32:33]
	v_lshl_add_u64 v[70:71], v[70:71], 0, v[86:87]
	v_cmp_ne_u16_e32 vcc, 1, v31
	s_mov_b64 s[38:39], 0
	s_and_saveexec_b64 s[0:1], vcc
	s_xor_b64 s[0:1], exec, s[0:1]
	s_cbranch_execnz .LBB332_141
; %bb.105:
	s_andn2_saveexec_b64 s[0:1], s[0:1]
	s_cbranch_execnz .LBB332_157
.LBB332_106:
	s_or_b64 exec, exec, s[0:1]
	s_and_b64 exec, exec, s[38:39]
	s_cbranch_execz .LBB332_108
.LBB332_107:
	v_sub_u32_e32 v86, v38, v32
	v_mov_b32_e32 v87, 0
	v_lshl_add_u64 v[70:71], v[86:87], 3, v[70:71]
	global_store_dwordx2 v[70:71], v[46:47], off
.LBB332_108:
	s_or_b64 exec, exec, s[36:37]
	s_mov_b64 s[36:37], 0
.LBB332_109:
	s_and_b64 vcc, exec, s[36:37]
	s_cbranch_vccz .LBB332_119
; %bb.110:
	v_cmp_gt_i16_e32 vcc, 2, v31
	s_and_saveexec_b64 s[0:1], vcc
	s_cbranch_execz .LBB332_115
; %bb.111:
	v_cmp_ne_u16_e32 vcc, 1, v31
	s_mov_b64 s[38:39], 0
	s_and_saveexec_b64 s[36:37], vcc
	s_xor_b64 s[36:37], exec, s[36:37]
	s_cbranch_execnz .LBB332_158
; %bb.112:
	s_andn2_saveexec_b64 s[2:3], s[36:37]
	s_cbranch_execnz .LBB332_174
.LBB332_113:
	s_or_b64 exec, exec, s[2:3]
	s_and_b64 exec, exec, s[38:39]
	s_cbranch_execz .LBB332_115
.LBB332_114:
	v_sub_u32_e32 v2, v38, v32
	v_lshlrev_b32_e32 v2, 3, v2
	ds_write_b64 v2, v[46:47]
.LBB332_115:
	s_or_b64 exec, exec, s[0:1]
	v_cmp_lt_u32_e32 vcc, v0, v30
	s_waitcnt lgkmcnt(0)
	s_barrier
	s_and_saveexec_b64 s[0:1], vcc
	s_cbranch_execz .LBB332_118
; %bb.116:
	s_waitcnt vmcnt(0)
	v_lshlrev_b64 v[4:5], 3, v[68:69]
	v_lshlrev_b64 v[6:7], 3, v[32:33]
	v_lshl_add_u64 v[4:5], v[4:5], 0, v[6:7]
	v_lshlrev_b32_e32 v2, 3, v0
	v_mov_b32_e32 v3, 0
	v_lshl_add_u64 v[4:5], s[44:45], 0, v[4:5]
	v_lshl_add_u64 v[4:5], v[4:5], 0, v[2:3]
	s_mov_b64 s[2:3], 0
	s_mov_b64 s[4:5], 0x1000
	v_mov_b32_e32 v3, v0
.LBB332_117:                            ; =>This Inner Loop Header: Depth=1
	ds_read_b64 v[6:7], v2
	v_add_u32_e32 v3, 0x200, v3
	v_cmp_ge_u32_e32 vcc, v3, v30
	v_add_u32_e32 v2, 0x1000, v2
	s_or_b64 s[2:3], vcc, s[2:3]
	s_waitcnt lgkmcnt(0)
	global_store_dwordx2 v[4:5], v[6:7], off
	v_lshl_add_u64 v[4:5], v[4:5], 0, s[4:5]
	s_andn2_b64 exec, exec, s[2:3]
	s_cbranch_execnz .LBB332_117
.LBB332_118:
	s_or_b64 exec, exec, s[0:1]
.LBB332_119:
	s_cmpk_lg_i32 s33, 0x1e00
	s_cselect_b64 s[0:1], -1, 0
	v_cndmask_b32_e64 v10, 0, 1, s[42:43]
	s_and_b64 s[0:1], s[0:1], s[40:41]
	v_sub_u32_e32 v2, v30, v10
	v_cndmask_b32_e64 v3, 0, 1, s[0:1]
	s_and_b64 s[0:1], s[34:35], s[42:43]
	v_add_u32_e32 v12, v2, v3
	v_cndmask_b32_e64 v2, v85, 0, s[0:1]
	s_mul_hi_u32 s0, s33, 0x88888889
	s_lshr_b32 s0, s0, 3
	v_mad_i32_i24 v3, v0, -15, s33
	v_cmp_eq_u32_e32 vcc, s0, v0
	v_cmp_ne_u32_e64 s[0:1], 0, v3
	s_and_b64 vcc, vcc, s[40:41]
	s_mov_b32 s2, 0
	v_cndmask_b32_e64 v4, 1, v2, s[0:1]
	v_cmp_ne_u32_e64 s[0:1], 1, v3
	v_cndmask_b32_e32 v27, v2, v4, vcc
	s_movk_i32 s30, 0x200
	v_cndmask_b32_e64 v5, 1, v84, s[0:1]
	v_cmp_ne_u32_e64 s[0:1], 2, v3
	v_cndmask_b32_e32 v26, v84, v5, vcc
	s_waitcnt vmcnt(0)
	v_lshlrev_b64 v[4:5], 3, v[68:69]
	v_cndmask_b32_e64 v6, 1, v83, s[0:1]
	v_cmp_ne_u32_e64 s[0:1], 3, v3
	v_cndmask_b32_e32 v25, v83, v6, vcc
	s_mov_b64 s[34:35], -1
	v_cndmask_b32_e64 v7, 1, v82, s[0:1]
	v_cmp_ne_u32_e64 s[0:1], 4, v3
	v_cndmask_b32_e32 v24, v82, v7, vcc
	v_lshlrev_b64 v[6:7], 3, v[32:33]
	v_cndmask_b32_e64 v8, 1, v81, s[0:1]
	v_cmp_ne_u32_e64 s[0:1], 5, v3
	v_cndmask_b32_e32 v23, v81, v8, vcc
	v_cmp_ne_u32_e64 s[28:29], 0, v27
	v_cndmask_b32_e64 v9, 1, v80, s[0:1]
	v_cmp_ne_u32_e64 s[0:1], 6, v3
	v_cndmask_b32_e32 v22, v80, v9, vcc
	v_cmp_ne_u32_e64 s[26:27], 0, v26
	v_cndmask_b32_e64 v11, 1, v79, s[0:1]
	v_cmp_ne_u32_e64 s[0:1], 7, v3
	v_cndmask_b32_e32 v21, v79, v11, vcc
	v_mov_b32_e32 v11, s2
	v_cndmask_b32_e64 v13, 1, v78, s[0:1]
	v_cmp_ne_u32_e64 s[0:1], 8, v3
	v_cndmask_b32_e32 v13, v78, v13, vcc
	v_lshl_add_u64 v[8:9], v[10:11], 0, -1
	v_cndmask_b32_e64 v14, 1, v77, s[0:1]
	v_cmp_ne_u32_e64 s[0:1], 9, v3
	v_cndmask_b32_e32 v14, v77, v14, vcc
	v_cmp_ne_u32_e64 s[14:15], 0, v13
	v_cndmask_b32_e64 v15, 1, v76, s[0:1]
	v_cmp_ne_u32_e64 s[0:1], 10, v3
	v_cndmask_b32_e32 v15, v76, v15, vcc
	v_cmp_ne_u32_e64 s[24:25], 0, v25
	;; [unrolled: 4-line block ×6, first 2 shown]
	v_cndmask_b32_e64 v3, 1, v1, s[0:1]
	v_cndmask_b32_e32 v20, v1, v3, vcc
	v_cmp_eq_u32_e32 vcc, 0, v27
	v_add_u32_e32 v1, v32, v10
	v_lshl_add_u64 v[2:3], s[46:47], 0, v[4:5]
	v_cndmask_b32_e64 v10, 1, 2, vcc
	v_cmp_eq_u32_e32 vcc, 0, v26
	v_lshl_add_u64 v[2:3], v[2:3], 0, v[6:7]
	v_cmp_ne_u32_e64 s[12:13], 0, v14
	v_cndmask_b32_e64 v11, 1, 2, vcc
	v_cmp_eq_u32_e32 vcc, 0, v25
	v_and_b32_e32 v10, v11, v10
	v_cmp_ne_u32_e64 s[10:11], 0, v15
	v_cndmask_b32_e64 v11, 1, 2, vcc
	v_cmp_eq_u32_e32 vcc, 0, v24
	v_and_b32_e32 v10, v10, v11
	;; [unrolled: 4-line block ×7, first 2 shown]
	s_nop 0
	v_cndmask_b32_e64 v11, 1, 2, vcc
	v_cmp_eq_u32_e32 vcc, 0, v15
	v_and_b32_e32 v10, v10, v11
	s_barrier
	v_cndmask_b32_e64 v11, 1, 2, vcc
	v_cmp_eq_u32_e32 vcc, 0, v16
	v_and_b32_e32 v10, v10, v11
	s_nop 0
	v_cndmask_b32_e64 v11, 1, 2, vcc
	v_cmp_eq_u32_e32 vcc, 0, v17
	v_and_b32_e32 v10, v10, v11
	s_nop 0
	;; [unrolled: 4-line block ×5, first 2 shown]
	v_cndmask_b32_e64 v11, 1, 2, vcc
	v_and_b32_e32 v13, v10, v11
	v_cmp_gt_u32_e32 vcc, s30, v12
	v_cmp_gt_i16_e64 s[30:31], 2, v13
	s_cbranch_vccz .LBB332_126
; %bb.120:
	s_and_saveexec_b64 s[34:35], s[30:31]
	s_cbranch_execz .LBB332_125
; %bb.121:
	v_lshlrev_b64 v[10:11], 3, v[8:9]
	v_lshl_add_u64 v[10:11], v[2:3], 0, v[10:11]
	v_cmp_ne_u16_e32 vcc, 1, v13
	s_mov_b64 s[36:37], 0
	s_and_saveexec_b64 s[30:31], vcc
	s_xor_b64 s[30:31], exec, s[30:31]
	s_cbranch_execnz .LBB332_175
; %bb.122:
	s_andn2_saveexec_b64 s[30:31], s[30:31]
	s_cbranch_execnz .LBB332_191
.LBB332_123:
	s_or_b64 exec, exec, s[30:31]
	s_and_b64 exec, exec, s[36:37]
	s_cbranch_execz .LBB332_125
.LBB332_124:
	v_mov_b32_e32 v15, 0
	v_sub_u32_e32 v16, v38, v1
	v_mov_b32_e32 v17, v15
	v_mov_b32_e32 v14, v39
	v_lshl_add_u64 v[10:11], v[16:17], 3, v[10:11]
	global_store_dwordx2 v[10:11], v[14:15], off
.LBB332_125:
	s_or_b64 exec, exec, s[34:35]
	s_mov_b64 s[34:35], 0
.LBB332_126:
	s_and_b64 vcc, exec, s[34:35]
	s_cbranch_vccz .LBB332_136
; %bb.127:
	v_cmp_gt_i16_e32 vcc, 2, v13
	s_and_saveexec_b64 s[30:31], vcc
	s_cbranch_execz .LBB332_132
; %bb.128:
	v_cmp_ne_u16_e32 vcc, 1, v13
	s_mov_b64 s[36:37], 0
	s_and_saveexec_b64 s[34:35], vcc
	s_xor_b64 s[34:35], exec, s[34:35]
	s_cbranch_execnz .LBB332_192
; %bb.129:
	s_andn2_saveexec_b64 s[0:1], s[34:35]
	s_cbranch_execnz .LBB332_208
.LBB332_130:
	s_or_b64 exec, exec, s[0:1]
	s_and_b64 exec, exec, s[36:37]
	s_cbranch_execz .LBB332_132
.LBB332_131:
	v_sub_u32_e32 v1, v38, v1
	v_lshlrev_b32_e32 v1, 2, v1
	ds_write_b32 v1, v39
.LBB332_132:
	s_or_b64 exec, exec, s[30:31]
	v_cmp_lt_u32_e32 vcc, v0, v12
	s_waitcnt lgkmcnt(0)
	s_barrier
	s_and_saveexec_b64 s[0:1], vcc
	s_cbranch_execz .LBB332_135
; %bb.133:
	v_lshlrev_b64 v[8:9], 3, v[8:9]
	v_lshl_add_u64 v[4:5], v[4:5], 0, v[8:9]
	v_lshl_add_u64 v[6:7], v[4:5], 0, v[6:7]
	v_lshlrev_b32_e32 v4, 3, v0
	v_mov_b32_e32 v5, 0
	v_lshl_add_u64 v[6:7], s[46:47], 0, v[6:7]
	v_lshlrev_b32_e32 v1, 2, v0
	v_lshl_add_u64 v[6:7], v[6:7], 0, v[4:5]
	s_mov_b64 s[2:3], 0
	s_mov_b64 s[4:5], 0x1000
	v_mov_b32_e32 v8, v0
.LBB332_134:                            ; =>This Inner Loop Header: Depth=1
	ds_read_b32 v4, v1
	v_add_u32_e32 v8, 0x200, v8
	v_cmp_ge_u32_e32 vcc, v8, v12
	v_add_u32_e32 v1, 0x800, v1
	s_or_b64 s[2:3], vcc, s[2:3]
	s_waitcnt lgkmcnt(0)
	global_store_dwordx2 v[6:7], v[4:5], off
	v_lshl_add_u64 v[6:7], v[6:7], 0, s[4:5]
	s_andn2_b64 exec, exec, s[2:3]
	s_cbranch_execnz .LBB332_134
.LBB332_135:
	s_or_b64 exec, exec, s[0:1]
.LBB332_136:
	s_movk_i32 s0, 0x1ff
	v_cmp_eq_u32_e32 vcc, s0, v0
	s_and_b64 s[0:1], vcc, s[40:41]
	s_and_saveexec_b64 s[2:3], s[0:1]
	s_cbranch_execz .LBB332_139
; %bb.137:
	v_mov_b32_e32 v31, 0
	v_lshl_add_u64 v[0:1], v[30:31], 0, v[32:33]
	v_lshl_add_u64 v[0:1], v[0:1], 0, v[68:69]
	s_cmpk_lg_i32 s33, 0x1e00
	global_store_dwordx2 v31, v[0:1], s[48:49]
	s_cbranch_scc1 .LBB332_139
; %bb.138:
	v_lshlrev_b64 v[0:1], 3, v[30:31]
	v_mov_b32_e32 v35, v31
	v_lshl_add_u64 v[0:1], v[2:3], 0, v[0:1]
	global_store_dwordx2 v[0:1], v[34:35], off offset:-8
.LBB332_139:
	s_endpgm
.LBB332_140:
	s_or_b64 exec, exec, s[4:5]
	v_mov_b32_e32 v85, s6
	s_and_saveexec_b64 s[2:3], s[54:55]
	s_cbranch_execnz .LBB332_60
	s_branch .LBB332_61
.LBB332_141:
	s_and_saveexec_b64 s[38:39], s[30:31]
	s_cbranch_execnz .LBB332_209
; %bb.142:
	s_or_b64 exec, exec, s[38:39]
	s_and_saveexec_b64 s[38:39], s[28:29]
	s_cbranch_execnz .LBB332_210
.LBB332_143:
	s_or_b64 exec, exec, s[38:39]
	s_and_saveexec_b64 s[38:39], s[26:27]
	s_cbranch_execnz .LBB332_211
.LBB332_144:
	s_or_b64 exec, exec, s[38:39]
	s_and_saveexec_b64 s[38:39], s[24:25]
	s_cbranch_execnz .LBB332_212
.LBB332_145:
	s_or_b64 exec, exec, s[38:39]
	s_and_saveexec_b64 s[38:39], s[22:23]
	s_cbranch_execnz .LBB332_213
.LBB332_146:
	s_or_b64 exec, exec, s[38:39]
	s_and_saveexec_b64 s[38:39], s[20:21]
	s_cbranch_execnz .LBB332_214
.LBB332_147:
	s_or_b64 exec, exec, s[38:39]
	s_and_saveexec_b64 s[38:39], s[18:19]
	s_cbranch_execnz .LBB332_215
.LBB332_148:
	s_or_b64 exec, exec, s[38:39]
	s_and_saveexec_b64 s[38:39], s[16:17]
	s_cbranch_execnz .LBB332_216
.LBB332_149:
	s_or_b64 exec, exec, s[38:39]
	s_and_saveexec_b64 s[38:39], s[14:15]
	s_cbranch_execnz .LBB332_217
.LBB332_150:
	s_or_b64 exec, exec, s[38:39]
	s_and_saveexec_b64 s[38:39], s[12:13]
	s_cbranch_execnz .LBB332_218
.LBB332_151:
	s_or_b64 exec, exec, s[38:39]
	s_and_saveexec_b64 s[38:39], s[10:11]
	s_cbranch_execnz .LBB332_219
.LBB332_152:
	s_or_b64 exec, exec, s[38:39]
	s_and_saveexec_b64 s[38:39], s[8:9]
	s_cbranch_execnz .LBB332_220
.LBB332_153:
	s_or_b64 exec, exec, s[38:39]
	s_and_saveexec_b64 s[38:39], s[6:7]
	s_cbranch_execnz .LBB332_221
.LBB332_154:
	s_or_b64 exec, exec, s[38:39]
	s_and_saveexec_b64 s[38:39], s[4:5]
	s_cbranch_execz .LBB332_156
.LBB332_155:
	v_sub_u32_e32 v86, v36, v32
	v_mov_b32_e32 v87, 0
	v_lshl_add_u64 v[86:87], v[86:87], 3, v[70:71]
	global_store_dwordx2 v[86:87], v[8:9], off
.LBB332_156:
	s_or_b64 exec, exec, s[38:39]
	s_and_b64 s[38:39], s[2:3], exec
	s_andn2_saveexec_b64 s[0:1], s[0:1]
	s_cbranch_execz .LBB332_106
.LBB332_157:
	v_sub_u32_e32 v86, v66, v32
	v_mov_b32_e32 v87, 0
	v_lshl_add_u64 v[88:89], v[86:87], 3, v[70:71]
	v_sub_u32_e32 v86, v64, v32
	global_store_dwordx2 v[88:89], v[26:27], off
	v_lshl_add_u64 v[88:89], v[86:87], 3, v[70:71]
	v_sub_u32_e32 v86, v62, v32
	global_store_dwordx2 v[88:89], v[28:29], off
	;; [unrolled: 3-line block ×12, first 2 shown]
	v_lshl_add_u64 v[88:89], v[86:87], 3, v[70:71]
	v_sub_u32_e32 v86, v36, v32
	v_lshl_add_u64 v[86:87], v[86:87], 3, v[70:71]
	s_or_b64 s[38:39], s[38:39], exec
	global_store_dwordx2 v[88:89], v[6:7], off
	global_store_dwordx2 v[86:87], v[8:9], off
	s_or_b64 exec, exec, s[0:1]
	s_and_b64 exec, exec, s[38:39]
	s_cbranch_execnz .LBB332_107
	s_branch .LBB332_108
.LBB332_158:
	s_and_saveexec_b64 s[38:39], s[30:31]
	s_cbranch_execnz .LBB332_222
; %bb.159:
	s_or_b64 exec, exec, s[38:39]
	s_and_saveexec_b64 s[30:31], s[28:29]
	s_cbranch_execnz .LBB332_223
.LBB332_160:
	s_or_b64 exec, exec, s[30:31]
	s_and_saveexec_b64 s[28:29], s[26:27]
	s_cbranch_execnz .LBB332_224
.LBB332_161:
	s_or_b64 exec, exec, s[28:29]
	s_and_saveexec_b64 s[26:27], s[24:25]
	s_cbranch_execnz .LBB332_225
.LBB332_162:
	s_or_b64 exec, exec, s[26:27]
	s_and_saveexec_b64 s[24:25], s[22:23]
	s_cbranch_execnz .LBB332_226
.LBB332_163:
	s_or_b64 exec, exec, s[24:25]
	s_and_saveexec_b64 s[22:23], s[20:21]
	s_cbranch_execnz .LBB332_227
.LBB332_164:
	s_or_b64 exec, exec, s[22:23]
	s_and_saveexec_b64 s[20:21], s[18:19]
	s_cbranch_execnz .LBB332_228
.LBB332_165:
	s_or_b64 exec, exec, s[20:21]
	s_and_saveexec_b64 s[18:19], s[16:17]
	s_cbranch_execnz .LBB332_229
.LBB332_166:
	s_or_b64 exec, exec, s[18:19]
	s_and_saveexec_b64 s[16:17], s[14:15]
	s_cbranch_execnz .LBB332_230
.LBB332_167:
	s_or_b64 exec, exec, s[16:17]
	s_and_saveexec_b64 s[14:15], s[12:13]
	s_cbranch_execnz .LBB332_231
.LBB332_168:
	s_or_b64 exec, exec, s[14:15]
	s_and_saveexec_b64 s[12:13], s[10:11]
	s_cbranch_execnz .LBB332_232
.LBB332_169:
	s_or_b64 exec, exec, s[12:13]
	s_and_saveexec_b64 s[10:11], s[8:9]
	s_cbranch_execnz .LBB332_233
.LBB332_170:
	s_or_b64 exec, exec, s[10:11]
	s_and_saveexec_b64 s[8:9], s[6:7]
	s_cbranch_execnz .LBB332_234
.LBB332_171:
	s_or_b64 exec, exec, s[8:9]
	s_and_saveexec_b64 s[6:7], s[4:5]
	s_cbranch_execz .LBB332_173
.LBB332_172:
	v_sub_u32_e32 v2, v36, v32
	v_lshlrev_b32_e32 v2, 3, v2
	ds_write_b64 v2, v[8:9]
.LBB332_173:
	s_or_b64 exec, exec, s[6:7]
	s_and_b64 s[38:39], s[2:3], exec
                                        ; implicit-def: $vgpr8_vgpr9
                                        ; implicit-def: $vgpr4_vgpr5
                                        ; implicit-def: $vgpr12_vgpr13
                                        ; implicit-def: $vgpr16_vgpr17
                                        ; implicit-def: $vgpr20_vgpr21
                                        ; implicit-def: $vgpr24_vgpr25
                                        ; implicit-def: $vgpr28_vgpr29
	s_andn2_saveexec_b64 s[2:3], s[36:37]
	s_cbranch_execz .LBB332_113
.LBB332_174:
	v_sub_u32_e32 v31, v66, v32
	v_lshlrev_b32_e32 v31, 3, v31
	ds_write_b64 v31, v[26:27]
	v_sub_u32_e32 v26, v64, v32
	v_lshlrev_b32_e32 v26, 3, v26
	ds_write_b64 v26, v[28:29]
	;; [unrolled: 3-line block ×13, first 2 shown]
	v_sub_u32_e32 v2, v36, v32
	v_lshlrev_b32_e32 v2, 3, v2
	s_or_b64 s[38:39], s[38:39], exec
	ds_write_b64 v2, v[8:9]
	s_or_b64 exec, exec, s[2:3]
	s_and_b64 exec, exec, s[38:39]
	s_cbranch_execnz .LBB332_114
	s_branch .LBB332_115
.LBB332_175:
	s_and_saveexec_b64 s[36:37], s[28:29]
	s_cbranch_execnz .LBB332_235
; %bb.176:
	s_or_b64 exec, exec, s[36:37]
	s_and_saveexec_b64 s[36:37], s[26:27]
	s_cbranch_execnz .LBB332_236
.LBB332_177:
	s_or_b64 exec, exec, s[36:37]
	s_and_saveexec_b64 s[36:37], s[24:25]
	s_cbranch_execnz .LBB332_237
.LBB332_178:
	s_or_b64 exec, exec, s[36:37]
	s_and_saveexec_b64 s[36:37], s[22:23]
	s_cbranch_execnz .LBB332_238
.LBB332_179:
	s_or_b64 exec, exec, s[36:37]
	s_and_saveexec_b64 s[36:37], s[20:21]
	s_cbranch_execnz .LBB332_239
.LBB332_180:
	s_or_b64 exec, exec, s[36:37]
	s_and_saveexec_b64 s[36:37], s[18:19]
	s_cbranch_execnz .LBB332_240
.LBB332_181:
	s_or_b64 exec, exec, s[36:37]
	s_and_saveexec_b64 s[36:37], s[16:17]
	s_cbranch_execnz .LBB332_241
.LBB332_182:
	s_or_b64 exec, exec, s[36:37]
	s_and_saveexec_b64 s[36:37], s[14:15]
	s_cbranch_execnz .LBB332_242
.LBB332_183:
	s_or_b64 exec, exec, s[36:37]
	s_and_saveexec_b64 s[36:37], s[12:13]
	s_cbranch_execnz .LBB332_243
.LBB332_184:
	s_or_b64 exec, exec, s[36:37]
	s_and_saveexec_b64 s[36:37], s[10:11]
	s_cbranch_execnz .LBB332_244
.LBB332_185:
	s_or_b64 exec, exec, s[36:37]
	s_and_saveexec_b64 s[36:37], s[8:9]
	s_cbranch_execnz .LBB332_245
.LBB332_186:
	s_or_b64 exec, exec, s[36:37]
	s_and_saveexec_b64 s[36:37], s[6:7]
	s_cbranch_execnz .LBB332_246
.LBB332_187:
	s_or_b64 exec, exec, s[36:37]
	s_and_saveexec_b64 s[36:37], s[4:5]
	s_cbranch_execnz .LBB332_247
.LBB332_188:
	s_or_b64 exec, exec, s[36:37]
	s_and_saveexec_b64 s[36:37], s[2:3]
	s_cbranch_execz .LBB332_190
.LBB332_189:
	v_sub_u32_e32 v14, v36, v1
	v_mov_b32_e32 v15, 0
	v_lshl_add_u64 v[16:17], v[14:15], 3, v[10:11]
	v_mov_b32_e32 v14, v37
	global_store_dwordx2 v[16:17], v[14:15], off
.LBB332_190:
	s_or_b64 exec, exec, s[36:37]
	s_and_b64 s[36:37], s[0:1], exec
	s_andn2_saveexec_b64 s[30:31], s[30:31]
	s_cbranch_execz .LBB332_123
.LBB332_191:
	v_mov_b32_e32 v15, 0
	v_sub_u32_e32 v16, v66, v1
	v_mov_b32_e32 v17, v15
	v_mov_b32_e32 v14, v67
	v_lshl_add_u64 v[16:17], v[16:17], 3, v[10:11]
	global_store_dwordx2 v[16:17], v[14:15], off
	v_sub_u32_e32 v16, v64, v1
	v_mov_b32_e32 v17, v15
	v_mov_b32_e32 v14, v65
	v_lshl_add_u64 v[16:17], v[16:17], 3, v[10:11]
	global_store_dwordx2 v[16:17], v[14:15], off
	v_sub_u32_e32 v16, v62, v1
	v_mov_b32_e32 v17, v15
	v_mov_b32_e32 v14, v63
	v_lshl_add_u64 v[16:17], v[16:17], 3, v[10:11]
	global_store_dwordx2 v[16:17], v[14:15], off
	v_sub_u32_e32 v16, v60, v1
	v_mov_b32_e32 v17, v15
	v_mov_b32_e32 v14, v61
	v_lshl_add_u64 v[16:17], v[16:17], 3, v[10:11]
	global_store_dwordx2 v[16:17], v[14:15], off
	v_sub_u32_e32 v16, v58, v1
	v_mov_b32_e32 v17, v15
	v_mov_b32_e32 v14, v59
	v_lshl_add_u64 v[16:17], v[16:17], 3, v[10:11]
	global_store_dwordx2 v[16:17], v[14:15], off
	v_sub_u32_e32 v16, v56, v1
	v_mov_b32_e32 v17, v15
	v_mov_b32_e32 v14, v57
	v_lshl_add_u64 v[16:17], v[16:17], 3, v[10:11]
	global_store_dwordx2 v[16:17], v[14:15], off
	v_sub_u32_e32 v16, v54, v1
	v_mov_b32_e32 v17, v15
	v_mov_b32_e32 v14, v55
	v_lshl_add_u64 v[16:17], v[16:17], 3, v[10:11]
	global_store_dwordx2 v[16:17], v[14:15], off
	v_sub_u32_e32 v16, v52, v1
	v_mov_b32_e32 v17, v15
	v_mov_b32_e32 v14, v53
	v_lshl_add_u64 v[16:17], v[16:17], 3, v[10:11]
	global_store_dwordx2 v[16:17], v[14:15], off
	v_sub_u32_e32 v16, v50, v1
	v_mov_b32_e32 v17, v15
	v_mov_b32_e32 v14, v51
	v_lshl_add_u64 v[16:17], v[16:17], 3, v[10:11]
	global_store_dwordx2 v[16:17], v[14:15], off
	v_sub_u32_e32 v16, v48, v1
	v_mov_b32_e32 v17, v15
	v_mov_b32_e32 v14, v49
	v_lshl_add_u64 v[16:17], v[16:17], 3, v[10:11]
	global_store_dwordx2 v[16:17], v[14:15], off
	v_sub_u32_e32 v16, v44, v1
	v_mov_b32_e32 v17, v15
	v_mov_b32_e32 v14, v45
	v_lshl_add_u64 v[16:17], v[16:17], 3, v[10:11]
	global_store_dwordx2 v[16:17], v[14:15], off
	v_sub_u32_e32 v16, v42, v1
	v_mov_b32_e32 v17, v15
	v_mov_b32_e32 v14, v43
	v_lshl_add_u64 v[16:17], v[16:17], 3, v[10:11]
	global_store_dwordx2 v[16:17], v[14:15], off
	v_sub_u32_e32 v16, v40, v1
	v_mov_b32_e32 v17, v15
	v_mov_b32_e32 v14, v41
	v_lshl_add_u64 v[16:17], v[16:17], 3, v[10:11]
	global_store_dwordx2 v[16:17], v[14:15], off
	v_sub_u32_e32 v16, v36, v1
	v_mov_b32_e32 v17, v15
	v_mov_b32_e32 v14, v37
	v_lshl_add_u64 v[16:17], v[16:17], 3, v[10:11]
	s_or_b64 s[36:37], s[36:37], exec
	global_store_dwordx2 v[16:17], v[14:15], off
	s_or_b64 exec, exec, s[30:31]
	s_and_b64 exec, exec, s[36:37]
	s_cbranch_execnz .LBB332_124
	s_branch .LBB332_125
.LBB332_192:
	s_and_saveexec_b64 s[36:37], s[28:29]
	s_cbranch_execnz .LBB332_248
; %bb.193:
	s_or_b64 exec, exec, s[36:37]
	s_and_saveexec_b64 s[28:29], s[26:27]
	s_cbranch_execnz .LBB332_249
.LBB332_194:
	s_or_b64 exec, exec, s[28:29]
	s_and_saveexec_b64 s[26:27], s[24:25]
	s_cbranch_execnz .LBB332_250
.LBB332_195:
	s_or_b64 exec, exec, s[26:27]
	s_and_saveexec_b64 s[24:25], s[22:23]
	s_cbranch_execnz .LBB332_251
.LBB332_196:
	s_or_b64 exec, exec, s[24:25]
	s_and_saveexec_b64 s[22:23], s[20:21]
	s_cbranch_execnz .LBB332_252
.LBB332_197:
	s_or_b64 exec, exec, s[22:23]
	s_and_saveexec_b64 s[20:21], s[18:19]
	s_cbranch_execnz .LBB332_253
.LBB332_198:
	s_or_b64 exec, exec, s[20:21]
	s_and_saveexec_b64 s[18:19], s[16:17]
	s_cbranch_execnz .LBB332_254
.LBB332_199:
	s_or_b64 exec, exec, s[18:19]
	s_and_saveexec_b64 s[16:17], s[14:15]
	s_cbranch_execnz .LBB332_255
.LBB332_200:
	s_or_b64 exec, exec, s[16:17]
	s_and_saveexec_b64 s[14:15], s[12:13]
	s_cbranch_execnz .LBB332_256
.LBB332_201:
	s_or_b64 exec, exec, s[14:15]
	s_and_saveexec_b64 s[12:13], s[10:11]
	s_cbranch_execnz .LBB332_257
.LBB332_202:
	s_or_b64 exec, exec, s[12:13]
	s_and_saveexec_b64 s[10:11], s[8:9]
	s_cbranch_execnz .LBB332_258
.LBB332_203:
	s_or_b64 exec, exec, s[10:11]
	s_and_saveexec_b64 s[8:9], s[6:7]
	s_cbranch_execnz .LBB332_259
.LBB332_204:
	s_or_b64 exec, exec, s[8:9]
	s_and_saveexec_b64 s[6:7], s[4:5]
	s_cbranch_execnz .LBB332_260
.LBB332_205:
	s_or_b64 exec, exec, s[6:7]
	s_and_saveexec_b64 s[4:5], s[2:3]
	s_cbranch_execz .LBB332_207
.LBB332_206:
	v_sub_u32_e32 v10, v36, v1
	v_lshlrev_b32_e32 v10, 2, v10
	ds_write_b32 v10, v37
.LBB332_207:
	s_or_b64 exec, exec, s[4:5]
	s_and_b64 s[36:37], s[0:1], exec
                                        ; implicit-def: $vgpr36_vgpr37
                                        ; implicit-def: $vgpr40_vgpr41
                                        ; implicit-def: $vgpr42_vgpr43
                                        ; implicit-def: $vgpr66_vgpr67
                                        ; implicit-def: $vgpr64_vgpr65
                                        ; implicit-def: $vgpr62_vgpr63
                                        ; implicit-def: $vgpr60_vgpr61
                                        ; implicit-def: $vgpr58_vgpr59
                                        ; implicit-def: $vgpr56_vgpr57
                                        ; implicit-def: $vgpr54_vgpr55
                                        ; implicit-def: $vgpr52_vgpr53
                                        ; implicit-def: $vgpr50_vgpr51
                                        ; implicit-def: $vgpr48_vgpr49
                                        ; implicit-def: $vgpr44_vgpr45
	s_andn2_saveexec_b64 s[0:1], s[34:35]
	s_cbranch_execz .LBB332_130
.LBB332_208:
	v_sub_u32_e32 v10, v66, v1
	v_lshlrev_b32_e32 v10, 2, v10
	ds_write_b32 v10, v67
	v_sub_u32_e32 v10, v64, v1
	v_lshlrev_b32_e32 v10, 2, v10
	ds_write_b32 v10, v65
	;; [unrolled: 3-line block ×13, first 2 shown]
	v_sub_u32_e32 v10, v36, v1
	v_lshlrev_b32_e32 v10, 2, v10
	s_or_b64 s[36:37], s[36:37], exec
	ds_write_b32 v10, v37
	s_or_b64 exec, exec, s[0:1]
	s_and_b64 exec, exec, s[36:37]
	s_cbranch_execnz .LBB332_131
	s_branch .LBB332_132
.LBB332_209:
	v_sub_u32_e32 v86, v66, v32
	v_mov_b32_e32 v87, 0
	v_lshl_add_u64 v[86:87], v[86:87], 3, v[70:71]
	global_store_dwordx2 v[86:87], v[26:27], off
	s_or_b64 exec, exec, s[38:39]
	s_and_saveexec_b64 s[38:39], s[28:29]
	s_cbranch_execz .LBB332_143
.LBB332_210:
	v_sub_u32_e32 v86, v64, v32
	v_mov_b32_e32 v87, 0
	v_lshl_add_u64 v[86:87], v[86:87], 3, v[70:71]
	global_store_dwordx2 v[86:87], v[28:29], off
	s_or_b64 exec, exec, s[38:39]
	s_and_saveexec_b64 s[38:39], s[26:27]
	s_cbranch_execz .LBB332_144
.LBB332_211:
	v_sub_u32_e32 v86, v62, v32
	v_mov_b32_e32 v87, 0
	v_lshl_add_u64 v[86:87], v[86:87], 3, v[70:71]
	global_store_dwordx2 v[86:87], v[22:23], off
	s_or_b64 exec, exec, s[38:39]
	s_and_saveexec_b64 s[38:39], s[24:25]
	s_cbranch_execz .LBB332_145
.LBB332_212:
	v_sub_u32_e32 v86, v60, v32
	v_mov_b32_e32 v87, 0
	v_lshl_add_u64 v[86:87], v[86:87], 3, v[70:71]
	global_store_dwordx2 v[86:87], v[24:25], off
	s_or_b64 exec, exec, s[38:39]
	s_and_saveexec_b64 s[38:39], s[22:23]
	s_cbranch_execz .LBB332_146
.LBB332_213:
	v_sub_u32_e32 v86, v58, v32
	v_mov_b32_e32 v87, 0
	v_lshl_add_u64 v[86:87], v[86:87], 3, v[70:71]
	global_store_dwordx2 v[86:87], v[18:19], off
	s_or_b64 exec, exec, s[38:39]
	s_and_saveexec_b64 s[38:39], s[20:21]
	s_cbranch_execz .LBB332_147
.LBB332_214:
	v_sub_u32_e32 v86, v56, v32
	v_mov_b32_e32 v87, 0
	v_lshl_add_u64 v[86:87], v[86:87], 3, v[70:71]
	global_store_dwordx2 v[86:87], v[20:21], off
	s_or_b64 exec, exec, s[38:39]
	s_and_saveexec_b64 s[38:39], s[18:19]
	s_cbranch_execz .LBB332_148
.LBB332_215:
	v_sub_u32_e32 v86, v54, v32
	v_mov_b32_e32 v87, 0
	v_lshl_add_u64 v[86:87], v[86:87], 3, v[70:71]
	global_store_dwordx2 v[86:87], v[14:15], off
	s_or_b64 exec, exec, s[38:39]
	s_and_saveexec_b64 s[38:39], s[16:17]
	s_cbranch_execz .LBB332_149
.LBB332_216:
	v_sub_u32_e32 v86, v52, v32
	v_mov_b32_e32 v87, 0
	v_lshl_add_u64 v[86:87], v[86:87], 3, v[70:71]
	global_store_dwordx2 v[86:87], v[16:17], off
	s_or_b64 exec, exec, s[38:39]
	s_and_saveexec_b64 s[38:39], s[14:15]
	s_cbranch_execz .LBB332_150
.LBB332_217:
	v_sub_u32_e32 v86, v50, v32
	v_mov_b32_e32 v87, 0
	v_lshl_add_u64 v[86:87], v[86:87], 3, v[70:71]
	global_store_dwordx2 v[86:87], v[10:11], off
	s_or_b64 exec, exec, s[38:39]
	s_and_saveexec_b64 s[38:39], s[12:13]
	s_cbranch_execz .LBB332_151
.LBB332_218:
	v_sub_u32_e32 v86, v48, v32
	v_mov_b32_e32 v87, 0
	v_lshl_add_u64 v[86:87], v[86:87], 3, v[70:71]
	global_store_dwordx2 v[86:87], v[12:13], off
	s_or_b64 exec, exec, s[38:39]
	s_and_saveexec_b64 s[38:39], s[10:11]
	s_cbranch_execz .LBB332_152
.LBB332_219:
	v_sub_u32_e32 v86, v44, v32
	v_mov_b32_e32 v87, 0
	v_lshl_add_u64 v[86:87], v[86:87], 3, v[70:71]
	global_store_dwordx2 v[86:87], v[2:3], off
	s_or_b64 exec, exec, s[38:39]
	s_and_saveexec_b64 s[38:39], s[8:9]
	s_cbranch_execz .LBB332_153
.LBB332_220:
	v_sub_u32_e32 v86, v42, v32
	v_mov_b32_e32 v87, 0
	v_lshl_add_u64 v[86:87], v[86:87], 3, v[70:71]
	global_store_dwordx2 v[86:87], v[4:5], off
	s_or_b64 exec, exec, s[38:39]
	s_and_saveexec_b64 s[38:39], s[6:7]
	s_cbranch_execz .LBB332_154
.LBB332_221:
	v_sub_u32_e32 v86, v40, v32
	v_mov_b32_e32 v87, 0
	v_lshl_add_u64 v[86:87], v[86:87], 3, v[70:71]
	global_store_dwordx2 v[86:87], v[6:7], off
	s_or_b64 exec, exec, s[38:39]
	s_and_saveexec_b64 s[38:39], s[4:5]
	s_cbranch_execnz .LBB332_155
	s_branch .LBB332_156
.LBB332_222:
	v_sub_u32_e32 v31, v66, v32
	v_lshlrev_b32_e32 v31, 3, v31
	ds_write_b64 v31, v[26:27]
	s_or_b64 exec, exec, s[38:39]
	s_and_saveexec_b64 s[30:31], s[28:29]
	s_cbranch_execz .LBB332_160
.LBB332_223:
	v_sub_u32_e32 v26, v64, v32
	v_lshlrev_b32_e32 v26, 3, v26
	ds_write_b64 v26, v[28:29]
	s_or_b64 exec, exec, s[30:31]
	s_and_saveexec_b64 s[28:29], s[26:27]
	s_cbranch_execz .LBB332_161
.LBB332_224:
	v_sub_u32_e32 v26, v62, v32
	v_lshlrev_b32_e32 v26, 3, v26
	ds_write_b64 v26, v[22:23]
	s_or_b64 exec, exec, s[28:29]
	s_and_saveexec_b64 s[26:27], s[24:25]
	s_cbranch_execz .LBB332_162
.LBB332_225:
	v_sub_u32_e32 v22, v60, v32
	v_lshlrev_b32_e32 v22, 3, v22
	ds_write_b64 v22, v[24:25]
	s_or_b64 exec, exec, s[26:27]
	s_and_saveexec_b64 s[24:25], s[22:23]
	s_cbranch_execz .LBB332_163
.LBB332_226:
	v_sub_u32_e32 v22, v58, v32
	v_lshlrev_b32_e32 v22, 3, v22
	ds_write_b64 v22, v[18:19]
	s_or_b64 exec, exec, s[24:25]
	s_and_saveexec_b64 s[22:23], s[20:21]
	s_cbranch_execz .LBB332_164
.LBB332_227:
	v_sub_u32_e32 v18, v56, v32
	v_lshlrev_b32_e32 v18, 3, v18
	ds_write_b64 v18, v[20:21]
	s_or_b64 exec, exec, s[22:23]
	s_and_saveexec_b64 s[20:21], s[18:19]
	s_cbranch_execz .LBB332_165
.LBB332_228:
	v_sub_u32_e32 v18, v54, v32
	v_lshlrev_b32_e32 v18, 3, v18
	ds_write_b64 v18, v[14:15]
	s_or_b64 exec, exec, s[20:21]
	s_and_saveexec_b64 s[18:19], s[16:17]
	s_cbranch_execz .LBB332_166
.LBB332_229:
	v_sub_u32_e32 v14, v52, v32
	v_lshlrev_b32_e32 v14, 3, v14
	ds_write_b64 v14, v[16:17]
	s_or_b64 exec, exec, s[18:19]
	s_and_saveexec_b64 s[16:17], s[14:15]
	s_cbranch_execz .LBB332_167
.LBB332_230:
	v_sub_u32_e32 v14, v50, v32
	v_lshlrev_b32_e32 v14, 3, v14
	ds_write_b64 v14, v[10:11]
	s_or_b64 exec, exec, s[16:17]
	s_and_saveexec_b64 s[14:15], s[12:13]
	s_cbranch_execz .LBB332_168
.LBB332_231:
	v_sub_u32_e32 v10, v48, v32
	v_lshlrev_b32_e32 v10, 3, v10
	ds_write_b64 v10, v[12:13]
	s_or_b64 exec, exec, s[14:15]
	s_and_saveexec_b64 s[12:13], s[10:11]
	s_cbranch_execz .LBB332_169
.LBB332_232:
	v_sub_u32_e32 v10, v44, v32
	v_lshlrev_b32_e32 v10, 3, v10
	ds_write_b64 v10, v[2:3]
	s_or_b64 exec, exec, s[12:13]
	s_and_saveexec_b64 s[10:11], s[8:9]
	s_cbranch_execz .LBB332_170
.LBB332_233:
	v_sub_u32_e32 v2, v42, v32
	v_lshlrev_b32_e32 v2, 3, v2
	ds_write_b64 v2, v[4:5]
	s_or_b64 exec, exec, s[10:11]
	s_and_saveexec_b64 s[8:9], s[6:7]
	s_cbranch_execz .LBB332_171
.LBB332_234:
	v_sub_u32_e32 v2, v40, v32
	v_lshlrev_b32_e32 v2, 3, v2
	ds_write_b64 v2, v[6:7]
	s_or_b64 exec, exec, s[8:9]
	s_and_saveexec_b64 s[6:7], s[4:5]
	s_cbranch_execnz .LBB332_172
	s_branch .LBB332_173
.LBB332_235:
	v_sub_u32_e32 v14, v66, v1
	v_mov_b32_e32 v15, 0
	v_lshl_add_u64 v[16:17], v[14:15], 3, v[10:11]
	v_mov_b32_e32 v14, v67
	global_store_dwordx2 v[16:17], v[14:15], off
	s_or_b64 exec, exec, s[36:37]
	s_and_saveexec_b64 s[36:37], s[26:27]
	s_cbranch_execz .LBB332_177
.LBB332_236:
	v_sub_u32_e32 v14, v64, v1
	v_mov_b32_e32 v15, 0
	v_lshl_add_u64 v[16:17], v[14:15], 3, v[10:11]
	v_mov_b32_e32 v14, v65
	global_store_dwordx2 v[16:17], v[14:15], off
	s_or_b64 exec, exec, s[36:37]
	s_and_saveexec_b64 s[36:37], s[24:25]
	s_cbranch_execz .LBB332_178
.LBB332_237:
	v_sub_u32_e32 v14, v62, v1
	v_mov_b32_e32 v15, 0
	v_lshl_add_u64 v[16:17], v[14:15], 3, v[10:11]
	v_mov_b32_e32 v14, v63
	global_store_dwordx2 v[16:17], v[14:15], off
	s_or_b64 exec, exec, s[36:37]
	s_and_saveexec_b64 s[36:37], s[22:23]
	s_cbranch_execz .LBB332_179
.LBB332_238:
	v_sub_u32_e32 v14, v60, v1
	v_mov_b32_e32 v15, 0
	v_lshl_add_u64 v[16:17], v[14:15], 3, v[10:11]
	v_mov_b32_e32 v14, v61
	global_store_dwordx2 v[16:17], v[14:15], off
	s_or_b64 exec, exec, s[36:37]
	s_and_saveexec_b64 s[36:37], s[20:21]
	s_cbranch_execz .LBB332_180
.LBB332_239:
	v_sub_u32_e32 v14, v58, v1
	v_mov_b32_e32 v15, 0
	v_lshl_add_u64 v[16:17], v[14:15], 3, v[10:11]
	v_mov_b32_e32 v14, v59
	global_store_dwordx2 v[16:17], v[14:15], off
	s_or_b64 exec, exec, s[36:37]
	s_and_saveexec_b64 s[36:37], s[18:19]
	s_cbranch_execz .LBB332_181
.LBB332_240:
	v_sub_u32_e32 v14, v56, v1
	v_mov_b32_e32 v15, 0
	v_lshl_add_u64 v[16:17], v[14:15], 3, v[10:11]
	v_mov_b32_e32 v14, v57
	global_store_dwordx2 v[16:17], v[14:15], off
	s_or_b64 exec, exec, s[36:37]
	s_and_saveexec_b64 s[36:37], s[16:17]
	s_cbranch_execz .LBB332_182
.LBB332_241:
	v_sub_u32_e32 v14, v54, v1
	v_mov_b32_e32 v15, 0
	v_lshl_add_u64 v[16:17], v[14:15], 3, v[10:11]
	v_mov_b32_e32 v14, v55
	global_store_dwordx2 v[16:17], v[14:15], off
	s_or_b64 exec, exec, s[36:37]
	s_and_saveexec_b64 s[36:37], s[14:15]
	s_cbranch_execz .LBB332_183
.LBB332_242:
	v_sub_u32_e32 v14, v52, v1
	v_mov_b32_e32 v15, 0
	v_lshl_add_u64 v[16:17], v[14:15], 3, v[10:11]
	v_mov_b32_e32 v14, v53
	global_store_dwordx2 v[16:17], v[14:15], off
	s_or_b64 exec, exec, s[36:37]
	s_and_saveexec_b64 s[36:37], s[12:13]
	s_cbranch_execz .LBB332_184
.LBB332_243:
	v_sub_u32_e32 v14, v50, v1
	v_mov_b32_e32 v15, 0
	v_lshl_add_u64 v[16:17], v[14:15], 3, v[10:11]
	v_mov_b32_e32 v14, v51
	global_store_dwordx2 v[16:17], v[14:15], off
	s_or_b64 exec, exec, s[36:37]
	s_and_saveexec_b64 s[36:37], s[10:11]
	s_cbranch_execz .LBB332_185
.LBB332_244:
	v_sub_u32_e32 v14, v48, v1
	v_mov_b32_e32 v15, 0
	v_lshl_add_u64 v[16:17], v[14:15], 3, v[10:11]
	v_mov_b32_e32 v14, v49
	global_store_dwordx2 v[16:17], v[14:15], off
	s_or_b64 exec, exec, s[36:37]
	s_and_saveexec_b64 s[36:37], s[8:9]
	s_cbranch_execz .LBB332_186
.LBB332_245:
	v_sub_u32_e32 v14, v44, v1
	v_mov_b32_e32 v15, 0
	v_lshl_add_u64 v[16:17], v[14:15], 3, v[10:11]
	v_mov_b32_e32 v14, v45
	global_store_dwordx2 v[16:17], v[14:15], off
	s_or_b64 exec, exec, s[36:37]
	s_and_saveexec_b64 s[36:37], s[6:7]
	s_cbranch_execz .LBB332_187
.LBB332_246:
	v_sub_u32_e32 v14, v42, v1
	v_mov_b32_e32 v15, 0
	v_lshl_add_u64 v[16:17], v[14:15], 3, v[10:11]
	v_mov_b32_e32 v14, v43
	global_store_dwordx2 v[16:17], v[14:15], off
	s_or_b64 exec, exec, s[36:37]
	s_and_saveexec_b64 s[36:37], s[4:5]
	s_cbranch_execz .LBB332_188
.LBB332_247:
	v_sub_u32_e32 v14, v40, v1
	v_mov_b32_e32 v15, 0
	v_lshl_add_u64 v[16:17], v[14:15], 3, v[10:11]
	v_mov_b32_e32 v14, v41
	global_store_dwordx2 v[16:17], v[14:15], off
	s_or_b64 exec, exec, s[36:37]
	s_and_saveexec_b64 s[36:37], s[2:3]
	s_cbranch_execnz .LBB332_189
	s_branch .LBB332_190
.LBB332_248:
	v_sub_u32_e32 v10, v66, v1
	v_lshlrev_b32_e32 v10, 2, v10
	ds_write_b32 v10, v67
	s_or_b64 exec, exec, s[36:37]
	s_and_saveexec_b64 s[28:29], s[26:27]
	s_cbranch_execz .LBB332_194
.LBB332_249:
	v_sub_u32_e32 v10, v64, v1
	v_lshlrev_b32_e32 v10, 2, v10
	ds_write_b32 v10, v65
	s_or_b64 exec, exec, s[28:29]
	s_and_saveexec_b64 s[26:27], s[24:25]
	s_cbranch_execz .LBB332_195
.LBB332_250:
	v_sub_u32_e32 v10, v62, v1
	v_lshlrev_b32_e32 v10, 2, v10
	ds_write_b32 v10, v63
	s_or_b64 exec, exec, s[26:27]
	s_and_saveexec_b64 s[24:25], s[22:23]
	s_cbranch_execz .LBB332_196
.LBB332_251:
	v_sub_u32_e32 v10, v60, v1
	v_lshlrev_b32_e32 v10, 2, v10
	ds_write_b32 v10, v61
	s_or_b64 exec, exec, s[24:25]
	s_and_saveexec_b64 s[22:23], s[20:21]
	s_cbranch_execz .LBB332_197
.LBB332_252:
	v_sub_u32_e32 v10, v58, v1
	v_lshlrev_b32_e32 v10, 2, v10
	ds_write_b32 v10, v59
	s_or_b64 exec, exec, s[22:23]
	s_and_saveexec_b64 s[20:21], s[18:19]
	s_cbranch_execz .LBB332_198
.LBB332_253:
	v_sub_u32_e32 v10, v56, v1
	v_lshlrev_b32_e32 v10, 2, v10
	ds_write_b32 v10, v57
	s_or_b64 exec, exec, s[20:21]
	s_and_saveexec_b64 s[18:19], s[16:17]
	s_cbranch_execz .LBB332_199
.LBB332_254:
	v_sub_u32_e32 v10, v54, v1
	v_lshlrev_b32_e32 v10, 2, v10
	ds_write_b32 v10, v55
	s_or_b64 exec, exec, s[18:19]
	s_and_saveexec_b64 s[16:17], s[14:15]
	s_cbranch_execz .LBB332_200
.LBB332_255:
	v_sub_u32_e32 v10, v52, v1
	v_lshlrev_b32_e32 v10, 2, v10
	ds_write_b32 v10, v53
	s_or_b64 exec, exec, s[16:17]
	s_and_saveexec_b64 s[14:15], s[12:13]
	s_cbranch_execz .LBB332_201
.LBB332_256:
	v_sub_u32_e32 v10, v50, v1
	v_lshlrev_b32_e32 v10, 2, v10
	ds_write_b32 v10, v51
	s_or_b64 exec, exec, s[14:15]
	s_and_saveexec_b64 s[12:13], s[10:11]
	s_cbranch_execz .LBB332_202
.LBB332_257:
	v_sub_u32_e32 v10, v48, v1
	v_lshlrev_b32_e32 v10, 2, v10
	ds_write_b32 v10, v49
	s_or_b64 exec, exec, s[12:13]
	s_and_saveexec_b64 s[10:11], s[8:9]
	s_cbranch_execz .LBB332_203
.LBB332_258:
	v_sub_u32_e32 v10, v44, v1
	v_lshlrev_b32_e32 v10, 2, v10
	ds_write_b32 v10, v45
	s_or_b64 exec, exec, s[10:11]
	s_and_saveexec_b64 s[8:9], s[6:7]
	s_cbranch_execz .LBB332_204
.LBB332_259:
	v_sub_u32_e32 v10, v42, v1
	v_lshlrev_b32_e32 v10, 2, v10
	ds_write_b32 v10, v43
	s_or_b64 exec, exec, s[8:9]
	s_and_saveexec_b64 s[6:7], s[4:5]
	s_cbranch_execz .LBB332_205
.LBB332_260:
	v_sub_u32_e32 v10, v40, v1
	v_lshlrev_b32_e32 v10, 2, v10
	ds_write_b32 v10, v41
	s_or_b64 exec, exec, s[6:7]
	s_and_saveexec_b64 s[4:5], s[2:3]
	s_cbranch_execnz .LBB332_206
	s_branch .LBB332_207
	.section	.rodata,"a",@progbits
	.p2align	6, 0x0
	.amdhsa_kernel _ZN7rocprim17ROCPRIM_400000_NS6detail17trampoline_kernelINS0_14default_configENS1_33run_length_encode_config_selectorIdjNS0_4plusIjEEEEZZNS1_33reduce_by_key_impl_wrapped_configILNS1_25lookback_scan_determinismE0ES3_S7_PKdNS0_17constant_iteratorIjlEEPdPlSF_S6_NS0_8equal_toIdEEEE10hipError_tPvRmT2_T3_mT4_T5_T6_T7_T8_P12ihipStream_tbENKUlT_T0_E_clISt17integral_constantIbLb0EESY_IbLb1EEEEDaSU_SV_EUlSU_E_NS1_11comp_targetILNS1_3genE5ELNS1_11target_archE942ELNS1_3gpuE9ELNS1_3repE0EEENS1_30default_config_static_selectorELNS0_4arch9wavefront6targetE1EEEvT1_
		.amdhsa_group_segment_fixed_size 61440
		.amdhsa_private_segment_fixed_size 0
		.amdhsa_kernarg_size 128
		.amdhsa_user_sgpr_count 2
		.amdhsa_user_sgpr_dispatch_ptr 0
		.amdhsa_user_sgpr_queue_ptr 0
		.amdhsa_user_sgpr_kernarg_segment_ptr 1
		.amdhsa_user_sgpr_dispatch_id 0
		.amdhsa_user_sgpr_kernarg_preload_length 0
		.amdhsa_user_sgpr_kernarg_preload_offset 0
		.amdhsa_user_sgpr_private_segment_size 0
		.amdhsa_uses_dynamic_stack 0
		.amdhsa_enable_private_segment 0
		.amdhsa_system_sgpr_workgroup_id_x 1
		.amdhsa_system_sgpr_workgroup_id_y 0
		.amdhsa_system_sgpr_workgroup_id_z 0
		.amdhsa_system_sgpr_workgroup_info 0
		.amdhsa_system_vgpr_workitem_id 0
		.amdhsa_next_free_vgpr 90
		.amdhsa_next_free_sgpr 66
		.amdhsa_accum_offset 92
		.amdhsa_reserve_vcc 1
		.amdhsa_float_round_mode_32 0
		.amdhsa_float_round_mode_16_64 0
		.amdhsa_float_denorm_mode_32 3
		.amdhsa_float_denorm_mode_16_64 3
		.amdhsa_dx10_clamp 1
		.amdhsa_ieee_mode 1
		.amdhsa_fp16_overflow 0
		.amdhsa_tg_split 0
		.amdhsa_exception_fp_ieee_invalid_op 0
		.amdhsa_exception_fp_denorm_src 0
		.amdhsa_exception_fp_ieee_div_zero 0
		.amdhsa_exception_fp_ieee_overflow 0
		.amdhsa_exception_fp_ieee_underflow 0
		.amdhsa_exception_fp_ieee_inexact 0
		.amdhsa_exception_int_div_zero 0
	.end_amdhsa_kernel
	.section	.text._ZN7rocprim17ROCPRIM_400000_NS6detail17trampoline_kernelINS0_14default_configENS1_33run_length_encode_config_selectorIdjNS0_4plusIjEEEEZZNS1_33reduce_by_key_impl_wrapped_configILNS1_25lookback_scan_determinismE0ES3_S7_PKdNS0_17constant_iteratorIjlEEPdPlSF_S6_NS0_8equal_toIdEEEE10hipError_tPvRmT2_T3_mT4_T5_T6_T7_T8_P12ihipStream_tbENKUlT_T0_E_clISt17integral_constantIbLb0EESY_IbLb1EEEEDaSU_SV_EUlSU_E_NS1_11comp_targetILNS1_3genE5ELNS1_11target_archE942ELNS1_3gpuE9ELNS1_3repE0EEENS1_30default_config_static_selectorELNS0_4arch9wavefront6targetE1EEEvT1_,"axG",@progbits,_ZN7rocprim17ROCPRIM_400000_NS6detail17trampoline_kernelINS0_14default_configENS1_33run_length_encode_config_selectorIdjNS0_4plusIjEEEEZZNS1_33reduce_by_key_impl_wrapped_configILNS1_25lookback_scan_determinismE0ES3_S7_PKdNS0_17constant_iteratorIjlEEPdPlSF_S6_NS0_8equal_toIdEEEE10hipError_tPvRmT2_T3_mT4_T5_T6_T7_T8_P12ihipStream_tbENKUlT_T0_E_clISt17integral_constantIbLb0EESY_IbLb1EEEEDaSU_SV_EUlSU_E_NS1_11comp_targetILNS1_3genE5ELNS1_11target_archE942ELNS1_3gpuE9ELNS1_3repE0EEENS1_30default_config_static_selectorELNS0_4arch9wavefront6targetE1EEEvT1_,comdat
.Lfunc_end332:
	.size	_ZN7rocprim17ROCPRIM_400000_NS6detail17trampoline_kernelINS0_14default_configENS1_33run_length_encode_config_selectorIdjNS0_4plusIjEEEEZZNS1_33reduce_by_key_impl_wrapped_configILNS1_25lookback_scan_determinismE0ES3_S7_PKdNS0_17constant_iteratorIjlEEPdPlSF_S6_NS0_8equal_toIdEEEE10hipError_tPvRmT2_T3_mT4_T5_T6_T7_T8_P12ihipStream_tbENKUlT_T0_E_clISt17integral_constantIbLb0EESY_IbLb1EEEEDaSU_SV_EUlSU_E_NS1_11comp_targetILNS1_3genE5ELNS1_11target_archE942ELNS1_3gpuE9ELNS1_3repE0EEENS1_30default_config_static_selectorELNS0_4arch9wavefront6targetE1EEEvT1_, .Lfunc_end332-_ZN7rocprim17ROCPRIM_400000_NS6detail17trampoline_kernelINS0_14default_configENS1_33run_length_encode_config_selectorIdjNS0_4plusIjEEEEZZNS1_33reduce_by_key_impl_wrapped_configILNS1_25lookback_scan_determinismE0ES3_S7_PKdNS0_17constant_iteratorIjlEEPdPlSF_S6_NS0_8equal_toIdEEEE10hipError_tPvRmT2_T3_mT4_T5_T6_T7_T8_P12ihipStream_tbENKUlT_T0_E_clISt17integral_constantIbLb0EESY_IbLb1EEEEDaSU_SV_EUlSU_E_NS1_11comp_targetILNS1_3genE5ELNS1_11target_archE942ELNS1_3gpuE9ELNS1_3repE0EEENS1_30default_config_static_selectorELNS0_4arch9wavefront6targetE1EEEvT1_
                                        ; -- End function
	.section	.AMDGPU.csdata,"",@progbits
; Kernel info:
; codeLenInByte = 14288
; NumSgprs: 72
; NumVgprs: 90
; NumAgprs: 0
; TotalNumVgprs: 90
; ScratchSize: 0
; MemoryBound: 0
; FloatMode: 240
; IeeeMode: 1
; LDSByteSize: 61440 bytes/workgroup (compile time only)
; SGPRBlocks: 8
; VGPRBlocks: 11
; NumSGPRsForWavesPerEU: 72
; NumVGPRsForWavesPerEU: 90
; AccumOffset: 92
; Occupancy: 2
; WaveLimiterHint : 1
; COMPUTE_PGM_RSRC2:SCRATCH_EN: 0
; COMPUTE_PGM_RSRC2:USER_SGPR: 2
; COMPUTE_PGM_RSRC2:TRAP_HANDLER: 0
; COMPUTE_PGM_RSRC2:TGID_X_EN: 1
; COMPUTE_PGM_RSRC2:TGID_Y_EN: 0
; COMPUTE_PGM_RSRC2:TGID_Z_EN: 0
; COMPUTE_PGM_RSRC2:TIDIG_COMP_CNT: 0
; COMPUTE_PGM_RSRC3_GFX90A:ACCUM_OFFSET: 22
; COMPUTE_PGM_RSRC3_GFX90A:TG_SPLIT: 0
	.section	.text._ZN7rocprim17ROCPRIM_400000_NS6detail17trampoline_kernelINS0_14default_configENS1_33run_length_encode_config_selectorIdjNS0_4plusIjEEEEZZNS1_33reduce_by_key_impl_wrapped_configILNS1_25lookback_scan_determinismE0ES3_S7_PKdNS0_17constant_iteratorIjlEEPdPlSF_S6_NS0_8equal_toIdEEEE10hipError_tPvRmT2_T3_mT4_T5_T6_T7_T8_P12ihipStream_tbENKUlT_T0_E_clISt17integral_constantIbLb0EESY_IbLb1EEEEDaSU_SV_EUlSU_E_NS1_11comp_targetILNS1_3genE4ELNS1_11target_archE910ELNS1_3gpuE8ELNS1_3repE0EEENS1_30default_config_static_selectorELNS0_4arch9wavefront6targetE1EEEvT1_,"axG",@progbits,_ZN7rocprim17ROCPRIM_400000_NS6detail17trampoline_kernelINS0_14default_configENS1_33run_length_encode_config_selectorIdjNS0_4plusIjEEEEZZNS1_33reduce_by_key_impl_wrapped_configILNS1_25lookback_scan_determinismE0ES3_S7_PKdNS0_17constant_iteratorIjlEEPdPlSF_S6_NS0_8equal_toIdEEEE10hipError_tPvRmT2_T3_mT4_T5_T6_T7_T8_P12ihipStream_tbENKUlT_T0_E_clISt17integral_constantIbLb0EESY_IbLb1EEEEDaSU_SV_EUlSU_E_NS1_11comp_targetILNS1_3genE4ELNS1_11target_archE910ELNS1_3gpuE8ELNS1_3repE0EEENS1_30default_config_static_selectorELNS0_4arch9wavefront6targetE1EEEvT1_,comdat
	.protected	_ZN7rocprim17ROCPRIM_400000_NS6detail17trampoline_kernelINS0_14default_configENS1_33run_length_encode_config_selectorIdjNS0_4plusIjEEEEZZNS1_33reduce_by_key_impl_wrapped_configILNS1_25lookback_scan_determinismE0ES3_S7_PKdNS0_17constant_iteratorIjlEEPdPlSF_S6_NS0_8equal_toIdEEEE10hipError_tPvRmT2_T3_mT4_T5_T6_T7_T8_P12ihipStream_tbENKUlT_T0_E_clISt17integral_constantIbLb0EESY_IbLb1EEEEDaSU_SV_EUlSU_E_NS1_11comp_targetILNS1_3genE4ELNS1_11target_archE910ELNS1_3gpuE8ELNS1_3repE0EEENS1_30default_config_static_selectorELNS0_4arch9wavefront6targetE1EEEvT1_ ; -- Begin function _ZN7rocprim17ROCPRIM_400000_NS6detail17trampoline_kernelINS0_14default_configENS1_33run_length_encode_config_selectorIdjNS0_4plusIjEEEEZZNS1_33reduce_by_key_impl_wrapped_configILNS1_25lookback_scan_determinismE0ES3_S7_PKdNS0_17constant_iteratorIjlEEPdPlSF_S6_NS0_8equal_toIdEEEE10hipError_tPvRmT2_T3_mT4_T5_T6_T7_T8_P12ihipStream_tbENKUlT_T0_E_clISt17integral_constantIbLb0EESY_IbLb1EEEEDaSU_SV_EUlSU_E_NS1_11comp_targetILNS1_3genE4ELNS1_11target_archE910ELNS1_3gpuE8ELNS1_3repE0EEENS1_30default_config_static_selectorELNS0_4arch9wavefront6targetE1EEEvT1_
	.globl	_ZN7rocprim17ROCPRIM_400000_NS6detail17trampoline_kernelINS0_14default_configENS1_33run_length_encode_config_selectorIdjNS0_4plusIjEEEEZZNS1_33reduce_by_key_impl_wrapped_configILNS1_25lookback_scan_determinismE0ES3_S7_PKdNS0_17constant_iteratorIjlEEPdPlSF_S6_NS0_8equal_toIdEEEE10hipError_tPvRmT2_T3_mT4_T5_T6_T7_T8_P12ihipStream_tbENKUlT_T0_E_clISt17integral_constantIbLb0EESY_IbLb1EEEEDaSU_SV_EUlSU_E_NS1_11comp_targetILNS1_3genE4ELNS1_11target_archE910ELNS1_3gpuE8ELNS1_3repE0EEENS1_30default_config_static_selectorELNS0_4arch9wavefront6targetE1EEEvT1_
	.p2align	8
	.type	_ZN7rocprim17ROCPRIM_400000_NS6detail17trampoline_kernelINS0_14default_configENS1_33run_length_encode_config_selectorIdjNS0_4plusIjEEEEZZNS1_33reduce_by_key_impl_wrapped_configILNS1_25lookback_scan_determinismE0ES3_S7_PKdNS0_17constant_iteratorIjlEEPdPlSF_S6_NS0_8equal_toIdEEEE10hipError_tPvRmT2_T3_mT4_T5_T6_T7_T8_P12ihipStream_tbENKUlT_T0_E_clISt17integral_constantIbLb0EESY_IbLb1EEEEDaSU_SV_EUlSU_E_NS1_11comp_targetILNS1_3genE4ELNS1_11target_archE910ELNS1_3gpuE8ELNS1_3repE0EEENS1_30default_config_static_selectorELNS0_4arch9wavefront6targetE1EEEvT1_,@function
_ZN7rocprim17ROCPRIM_400000_NS6detail17trampoline_kernelINS0_14default_configENS1_33run_length_encode_config_selectorIdjNS0_4plusIjEEEEZZNS1_33reduce_by_key_impl_wrapped_configILNS1_25lookback_scan_determinismE0ES3_S7_PKdNS0_17constant_iteratorIjlEEPdPlSF_S6_NS0_8equal_toIdEEEE10hipError_tPvRmT2_T3_mT4_T5_T6_T7_T8_P12ihipStream_tbENKUlT_T0_E_clISt17integral_constantIbLb0EESY_IbLb1EEEEDaSU_SV_EUlSU_E_NS1_11comp_targetILNS1_3genE4ELNS1_11target_archE910ELNS1_3gpuE8ELNS1_3repE0EEENS1_30default_config_static_selectorELNS0_4arch9wavefront6targetE1EEEvT1_: ; @_ZN7rocprim17ROCPRIM_400000_NS6detail17trampoline_kernelINS0_14default_configENS1_33run_length_encode_config_selectorIdjNS0_4plusIjEEEEZZNS1_33reduce_by_key_impl_wrapped_configILNS1_25lookback_scan_determinismE0ES3_S7_PKdNS0_17constant_iteratorIjlEEPdPlSF_S6_NS0_8equal_toIdEEEE10hipError_tPvRmT2_T3_mT4_T5_T6_T7_T8_P12ihipStream_tbENKUlT_T0_E_clISt17integral_constantIbLb0EESY_IbLb1EEEEDaSU_SV_EUlSU_E_NS1_11comp_targetILNS1_3genE4ELNS1_11target_archE910ELNS1_3gpuE8ELNS1_3repE0EEENS1_30default_config_static_selectorELNS0_4arch9wavefront6targetE1EEEvT1_
; %bb.0:
	.section	.rodata,"a",@progbits
	.p2align	6, 0x0
	.amdhsa_kernel _ZN7rocprim17ROCPRIM_400000_NS6detail17trampoline_kernelINS0_14default_configENS1_33run_length_encode_config_selectorIdjNS0_4plusIjEEEEZZNS1_33reduce_by_key_impl_wrapped_configILNS1_25lookback_scan_determinismE0ES3_S7_PKdNS0_17constant_iteratorIjlEEPdPlSF_S6_NS0_8equal_toIdEEEE10hipError_tPvRmT2_T3_mT4_T5_T6_T7_T8_P12ihipStream_tbENKUlT_T0_E_clISt17integral_constantIbLb0EESY_IbLb1EEEEDaSU_SV_EUlSU_E_NS1_11comp_targetILNS1_3genE4ELNS1_11target_archE910ELNS1_3gpuE8ELNS1_3repE0EEENS1_30default_config_static_selectorELNS0_4arch9wavefront6targetE1EEEvT1_
		.amdhsa_group_segment_fixed_size 0
		.amdhsa_private_segment_fixed_size 0
		.amdhsa_kernarg_size 128
		.amdhsa_user_sgpr_count 2
		.amdhsa_user_sgpr_dispatch_ptr 0
		.amdhsa_user_sgpr_queue_ptr 0
		.amdhsa_user_sgpr_kernarg_segment_ptr 1
		.amdhsa_user_sgpr_dispatch_id 0
		.amdhsa_user_sgpr_kernarg_preload_length 0
		.amdhsa_user_sgpr_kernarg_preload_offset 0
		.amdhsa_user_sgpr_private_segment_size 0
		.amdhsa_uses_dynamic_stack 0
		.amdhsa_enable_private_segment 0
		.amdhsa_system_sgpr_workgroup_id_x 1
		.amdhsa_system_sgpr_workgroup_id_y 0
		.amdhsa_system_sgpr_workgroup_id_z 0
		.amdhsa_system_sgpr_workgroup_info 0
		.amdhsa_system_vgpr_workitem_id 0
		.amdhsa_next_free_vgpr 1
		.amdhsa_next_free_sgpr 0
		.amdhsa_accum_offset 4
		.amdhsa_reserve_vcc 0
		.amdhsa_float_round_mode_32 0
		.amdhsa_float_round_mode_16_64 0
		.amdhsa_float_denorm_mode_32 3
		.amdhsa_float_denorm_mode_16_64 3
		.amdhsa_dx10_clamp 1
		.amdhsa_ieee_mode 1
		.amdhsa_fp16_overflow 0
		.amdhsa_tg_split 0
		.amdhsa_exception_fp_ieee_invalid_op 0
		.amdhsa_exception_fp_denorm_src 0
		.amdhsa_exception_fp_ieee_div_zero 0
		.amdhsa_exception_fp_ieee_overflow 0
		.amdhsa_exception_fp_ieee_underflow 0
		.amdhsa_exception_fp_ieee_inexact 0
		.amdhsa_exception_int_div_zero 0
	.end_amdhsa_kernel
	.section	.text._ZN7rocprim17ROCPRIM_400000_NS6detail17trampoline_kernelINS0_14default_configENS1_33run_length_encode_config_selectorIdjNS0_4plusIjEEEEZZNS1_33reduce_by_key_impl_wrapped_configILNS1_25lookback_scan_determinismE0ES3_S7_PKdNS0_17constant_iteratorIjlEEPdPlSF_S6_NS0_8equal_toIdEEEE10hipError_tPvRmT2_T3_mT4_T5_T6_T7_T8_P12ihipStream_tbENKUlT_T0_E_clISt17integral_constantIbLb0EESY_IbLb1EEEEDaSU_SV_EUlSU_E_NS1_11comp_targetILNS1_3genE4ELNS1_11target_archE910ELNS1_3gpuE8ELNS1_3repE0EEENS1_30default_config_static_selectorELNS0_4arch9wavefront6targetE1EEEvT1_,"axG",@progbits,_ZN7rocprim17ROCPRIM_400000_NS6detail17trampoline_kernelINS0_14default_configENS1_33run_length_encode_config_selectorIdjNS0_4plusIjEEEEZZNS1_33reduce_by_key_impl_wrapped_configILNS1_25lookback_scan_determinismE0ES3_S7_PKdNS0_17constant_iteratorIjlEEPdPlSF_S6_NS0_8equal_toIdEEEE10hipError_tPvRmT2_T3_mT4_T5_T6_T7_T8_P12ihipStream_tbENKUlT_T0_E_clISt17integral_constantIbLb0EESY_IbLb1EEEEDaSU_SV_EUlSU_E_NS1_11comp_targetILNS1_3genE4ELNS1_11target_archE910ELNS1_3gpuE8ELNS1_3repE0EEENS1_30default_config_static_selectorELNS0_4arch9wavefront6targetE1EEEvT1_,comdat
.Lfunc_end333:
	.size	_ZN7rocprim17ROCPRIM_400000_NS6detail17trampoline_kernelINS0_14default_configENS1_33run_length_encode_config_selectorIdjNS0_4plusIjEEEEZZNS1_33reduce_by_key_impl_wrapped_configILNS1_25lookback_scan_determinismE0ES3_S7_PKdNS0_17constant_iteratorIjlEEPdPlSF_S6_NS0_8equal_toIdEEEE10hipError_tPvRmT2_T3_mT4_T5_T6_T7_T8_P12ihipStream_tbENKUlT_T0_E_clISt17integral_constantIbLb0EESY_IbLb1EEEEDaSU_SV_EUlSU_E_NS1_11comp_targetILNS1_3genE4ELNS1_11target_archE910ELNS1_3gpuE8ELNS1_3repE0EEENS1_30default_config_static_selectorELNS0_4arch9wavefront6targetE1EEEvT1_, .Lfunc_end333-_ZN7rocprim17ROCPRIM_400000_NS6detail17trampoline_kernelINS0_14default_configENS1_33run_length_encode_config_selectorIdjNS0_4plusIjEEEEZZNS1_33reduce_by_key_impl_wrapped_configILNS1_25lookback_scan_determinismE0ES3_S7_PKdNS0_17constant_iteratorIjlEEPdPlSF_S6_NS0_8equal_toIdEEEE10hipError_tPvRmT2_T3_mT4_T5_T6_T7_T8_P12ihipStream_tbENKUlT_T0_E_clISt17integral_constantIbLb0EESY_IbLb1EEEEDaSU_SV_EUlSU_E_NS1_11comp_targetILNS1_3genE4ELNS1_11target_archE910ELNS1_3gpuE8ELNS1_3repE0EEENS1_30default_config_static_selectorELNS0_4arch9wavefront6targetE1EEEvT1_
                                        ; -- End function
	.section	.AMDGPU.csdata,"",@progbits
; Kernel info:
; codeLenInByte = 0
; NumSgprs: 6
; NumVgprs: 0
; NumAgprs: 0
; TotalNumVgprs: 0
; ScratchSize: 0
; MemoryBound: 0
; FloatMode: 240
; IeeeMode: 1
; LDSByteSize: 0 bytes/workgroup (compile time only)
; SGPRBlocks: 0
; VGPRBlocks: 0
; NumSGPRsForWavesPerEU: 6
; NumVGPRsForWavesPerEU: 1
; AccumOffset: 4
; Occupancy: 8
; WaveLimiterHint : 0
; COMPUTE_PGM_RSRC2:SCRATCH_EN: 0
; COMPUTE_PGM_RSRC2:USER_SGPR: 2
; COMPUTE_PGM_RSRC2:TRAP_HANDLER: 0
; COMPUTE_PGM_RSRC2:TGID_X_EN: 1
; COMPUTE_PGM_RSRC2:TGID_Y_EN: 0
; COMPUTE_PGM_RSRC2:TGID_Z_EN: 0
; COMPUTE_PGM_RSRC2:TIDIG_COMP_CNT: 0
; COMPUTE_PGM_RSRC3_GFX90A:ACCUM_OFFSET: 0
; COMPUTE_PGM_RSRC3_GFX90A:TG_SPLIT: 0
	.section	.text._ZN7rocprim17ROCPRIM_400000_NS6detail17trampoline_kernelINS0_14default_configENS1_33run_length_encode_config_selectorIdjNS0_4plusIjEEEEZZNS1_33reduce_by_key_impl_wrapped_configILNS1_25lookback_scan_determinismE0ES3_S7_PKdNS0_17constant_iteratorIjlEEPdPlSF_S6_NS0_8equal_toIdEEEE10hipError_tPvRmT2_T3_mT4_T5_T6_T7_T8_P12ihipStream_tbENKUlT_T0_E_clISt17integral_constantIbLb0EESY_IbLb1EEEEDaSU_SV_EUlSU_E_NS1_11comp_targetILNS1_3genE3ELNS1_11target_archE908ELNS1_3gpuE7ELNS1_3repE0EEENS1_30default_config_static_selectorELNS0_4arch9wavefront6targetE1EEEvT1_,"axG",@progbits,_ZN7rocprim17ROCPRIM_400000_NS6detail17trampoline_kernelINS0_14default_configENS1_33run_length_encode_config_selectorIdjNS0_4plusIjEEEEZZNS1_33reduce_by_key_impl_wrapped_configILNS1_25lookback_scan_determinismE0ES3_S7_PKdNS0_17constant_iteratorIjlEEPdPlSF_S6_NS0_8equal_toIdEEEE10hipError_tPvRmT2_T3_mT4_T5_T6_T7_T8_P12ihipStream_tbENKUlT_T0_E_clISt17integral_constantIbLb0EESY_IbLb1EEEEDaSU_SV_EUlSU_E_NS1_11comp_targetILNS1_3genE3ELNS1_11target_archE908ELNS1_3gpuE7ELNS1_3repE0EEENS1_30default_config_static_selectorELNS0_4arch9wavefront6targetE1EEEvT1_,comdat
	.protected	_ZN7rocprim17ROCPRIM_400000_NS6detail17trampoline_kernelINS0_14default_configENS1_33run_length_encode_config_selectorIdjNS0_4plusIjEEEEZZNS1_33reduce_by_key_impl_wrapped_configILNS1_25lookback_scan_determinismE0ES3_S7_PKdNS0_17constant_iteratorIjlEEPdPlSF_S6_NS0_8equal_toIdEEEE10hipError_tPvRmT2_T3_mT4_T5_T6_T7_T8_P12ihipStream_tbENKUlT_T0_E_clISt17integral_constantIbLb0EESY_IbLb1EEEEDaSU_SV_EUlSU_E_NS1_11comp_targetILNS1_3genE3ELNS1_11target_archE908ELNS1_3gpuE7ELNS1_3repE0EEENS1_30default_config_static_selectorELNS0_4arch9wavefront6targetE1EEEvT1_ ; -- Begin function _ZN7rocprim17ROCPRIM_400000_NS6detail17trampoline_kernelINS0_14default_configENS1_33run_length_encode_config_selectorIdjNS0_4plusIjEEEEZZNS1_33reduce_by_key_impl_wrapped_configILNS1_25lookback_scan_determinismE0ES3_S7_PKdNS0_17constant_iteratorIjlEEPdPlSF_S6_NS0_8equal_toIdEEEE10hipError_tPvRmT2_T3_mT4_T5_T6_T7_T8_P12ihipStream_tbENKUlT_T0_E_clISt17integral_constantIbLb0EESY_IbLb1EEEEDaSU_SV_EUlSU_E_NS1_11comp_targetILNS1_3genE3ELNS1_11target_archE908ELNS1_3gpuE7ELNS1_3repE0EEENS1_30default_config_static_selectorELNS0_4arch9wavefront6targetE1EEEvT1_
	.globl	_ZN7rocprim17ROCPRIM_400000_NS6detail17trampoline_kernelINS0_14default_configENS1_33run_length_encode_config_selectorIdjNS0_4plusIjEEEEZZNS1_33reduce_by_key_impl_wrapped_configILNS1_25lookback_scan_determinismE0ES3_S7_PKdNS0_17constant_iteratorIjlEEPdPlSF_S6_NS0_8equal_toIdEEEE10hipError_tPvRmT2_T3_mT4_T5_T6_T7_T8_P12ihipStream_tbENKUlT_T0_E_clISt17integral_constantIbLb0EESY_IbLb1EEEEDaSU_SV_EUlSU_E_NS1_11comp_targetILNS1_3genE3ELNS1_11target_archE908ELNS1_3gpuE7ELNS1_3repE0EEENS1_30default_config_static_selectorELNS0_4arch9wavefront6targetE1EEEvT1_
	.p2align	8
	.type	_ZN7rocprim17ROCPRIM_400000_NS6detail17trampoline_kernelINS0_14default_configENS1_33run_length_encode_config_selectorIdjNS0_4plusIjEEEEZZNS1_33reduce_by_key_impl_wrapped_configILNS1_25lookback_scan_determinismE0ES3_S7_PKdNS0_17constant_iteratorIjlEEPdPlSF_S6_NS0_8equal_toIdEEEE10hipError_tPvRmT2_T3_mT4_T5_T6_T7_T8_P12ihipStream_tbENKUlT_T0_E_clISt17integral_constantIbLb0EESY_IbLb1EEEEDaSU_SV_EUlSU_E_NS1_11comp_targetILNS1_3genE3ELNS1_11target_archE908ELNS1_3gpuE7ELNS1_3repE0EEENS1_30default_config_static_selectorELNS0_4arch9wavefront6targetE1EEEvT1_,@function
_ZN7rocprim17ROCPRIM_400000_NS6detail17trampoline_kernelINS0_14default_configENS1_33run_length_encode_config_selectorIdjNS0_4plusIjEEEEZZNS1_33reduce_by_key_impl_wrapped_configILNS1_25lookback_scan_determinismE0ES3_S7_PKdNS0_17constant_iteratorIjlEEPdPlSF_S6_NS0_8equal_toIdEEEE10hipError_tPvRmT2_T3_mT4_T5_T6_T7_T8_P12ihipStream_tbENKUlT_T0_E_clISt17integral_constantIbLb0EESY_IbLb1EEEEDaSU_SV_EUlSU_E_NS1_11comp_targetILNS1_3genE3ELNS1_11target_archE908ELNS1_3gpuE7ELNS1_3repE0EEENS1_30default_config_static_selectorELNS0_4arch9wavefront6targetE1EEEvT1_: ; @_ZN7rocprim17ROCPRIM_400000_NS6detail17trampoline_kernelINS0_14default_configENS1_33run_length_encode_config_selectorIdjNS0_4plusIjEEEEZZNS1_33reduce_by_key_impl_wrapped_configILNS1_25lookback_scan_determinismE0ES3_S7_PKdNS0_17constant_iteratorIjlEEPdPlSF_S6_NS0_8equal_toIdEEEE10hipError_tPvRmT2_T3_mT4_T5_T6_T7_T8_P12ihipStream_tbENKUlT_T0_E_clISt17integral_constantIbLb0EESY_IbLb1EEEEDaSU_SV_EUlSU_E_NS1_11comp_targetILNS1_3genE3ELNS1_11target_archE908ELNS1_3gpuE7ELNS1_3repE0EEENS1_30default_config_static_selectorELNS0_4arch9wavefront6targetE1EEEvT1_
; %bb.0:
	.section	.rodata,"a",@progbits
	.p2align	6, 0x0
	.amdhsa_kernel _ZN7rocprim17ROCPRIM_400000_NS6detail17trampoline_kernelINS0_14default_configENS1_33run_length_encode_config_selectorIdjNS0_4plusIjEEEEZZNS1_33reduce_by_key_impl_wrapped_configILNS1_25lookback_scan_determinismE0ES3_S7_PKdNS0_17constant_iteratorIjlEEPdPlSF_S6_NS0_8equal_toIdEEEE10hipError_tPvRmT2_T3_mT4_T5_T6_T7_T8_P12ihipStream_tbENKUlT_T0_E_clISt17integral_constantIbLb0EESY_IbLb1EEEEDaSU_SV_EUlSU_E_NS1_11comp_targetILNS1_3genE3ELNS1_11target_archE908ELNS1_3gpuE7ELNS1_3repE0EEENS1_30default_config_static_selectorELNS0_4arch9wavefront6targetE1EEEvT1_
		.amdhsa_group_segment_fixed_size 0
		.amdhsa_private_segment_fixed_size 0
		.amdhsa_kernarg_size 128
		.amdhsa_user_sgpr_count 2
		.amdhsa_user_sgpr_dispatch_ptr 0
		.amdhsa_user_sgpr_queue_ptr 0
		.amdhsa_user_sgpr_kernarg_segment_ptr 1
		.amdhsa_user_sgpr_dispatch_id 0
		.amdhsa_user_sgpr_kernarg_preload_length 0
		.amdhsa_user_sgpr_kernarg_preload_offset 0
		.amdhsa_user_sgpr_private_segment_size 0
		.amdhsa_uses_dynamic_stack 0
		.amdhsa_enable_private_segment 0
		.amdhsa_system_sgpr_workgroup_id_x 1
		.amdhsa_system_sgpr_workgroup_id_y 0
		.amdhsa_system_sgpr_workgroup_id_z 0
		.amdhsa_system_sgpr_workgroup_info 0
		.amdhsa_system_vgpr_workitem_id 0
		.amdhsa_next_free_vgpr 1
		.amdhsa_next_free_sgpr 0
		.amdhsa_accum_offset 4
		.amdhsa_reserve_vcc 0
		.amdhsa_float_round_mode_32 0
		.amdhsa_float_round_mode_16_64 0
		.amdhsa_float_denorm_mode_32 3
		.amdhsa_float_denorm_mode_16_64 3
		.amdhsa_dx10_clamp 1
		.amdhsa_ieee_mode 1
		.amdhsa_fp16_overflow 0
		.amdhsa_tg_split 0
		.amdhsa_exception_fp_ieee_invalid_op 0
		.amdhsa_exception_fp_denorm_src 0
		.amdhsa_exception_fp_ieee_div_zero 0
		.amdhsa_exception_fp_ieee_overflow 0
		.amdhsa_exception_fp_ieee_underflow 0
		.amdhsa_exception_fp_ieee_inexact 0
		.amdhsa_exception_int_div_zero 0
	.end_amdhsa_kernel
	.section	.text._ZN7rocprim17ROCPRIM_400000_NS6detail17trampoline_kernelINS0_14default_configENS1_33run_length_encode_config_selectorIdjNS0_4plusIjEEEEZZNS1_33reduce_by_key_impl_wrapped_configILNS1_25lookback_scan_determinismE0ES3_S7_PKdNS0_17constant_iteratorIjlEEPdPlSF_S6_NS0_8equal_toIdEEEE10hipError_tPvRmT2_T3_mT4_T5_T6_T7_T8_P12ihipStream_tbENKUlT_T0_E_clISt17integral_constantIbLb0EESY_IbLb1EEEEDaSU_SV_EUlSU_E_NS1_11comp_targetILNS1_3genE3ELNS1_11target_archE908ELNS1_3gpuE7ELNS1_3repE0EEENS1_30default_config_static_selectorELNS0_4arch9wavefront6targetE1EEEvT1_,"axG",@progbits,_ZN7rocprim17ROCPRIM_400000_NS6detail17trampoline_kernelINS0_14default_configENS1_33run_length_encode_config_selectorIdjNS0_4plusIjEEEEZZNS1_33reduce_by_key_impl_wrapped_configILNS1_25lookback_scan_determinismE0ES3_S7_PKdNS0_17constant_iteratorIjlEEPdPlSF_S6_NS0_8equal_toIdEEEE10hipError_tPvRmT2_T3_mT4_T5_T6_T7_T8_P12ihipStream_tbENKUlT_T0_E_clISt17integral_constantIbLb0EESY_IbLb1EEEEDaSU_SV_EUlSU_E_NS1_11comp_targetILNS1_3genE3ELNS1_11target_archE908ELNS1_3gpuE7ELNS1_3repE0EEENS1_30default_config_static_selectorELNS0_4arch9wavefront6targetE1EEEvT1_,comdat
.Lfunc_end334:
	.size	_ZN7rocprim17ROCPRIM_400000_NS6detail17trampoline_kernelINS0_14default_configENS1_33run_length_encode_config_selectorIdjNS0_4plusIjEEEEZZNS1_33reduce_by_key_impl_wrapped_configILNS1_25lookback_scan_determinismE0ES3_S7_PKdNS0_17constant_iteratorIjlEEPdPlSF_S6_NS0_8equal_toIdEEEE10hipError_tPvRmT2_T3_mT4_T5_T6_T7_T8_P12ihipStream_tbENKUlT_T0_E_clISt17integral_constantIbLb0EESY_IbLb1EEEEDaSU_SV_EUlSU_E_NS1_11comp_targetILNS1_3genE3ELNS1_11target_archE908ELNS1_3gpuE7ELNS1_3repE0EEENS1_30default_config_static_selectorELNS0_4arch9wavefront6targetE1EEEvT1_, .Lfunc_end334-_ZN7rocprim17ROCPRIM_400000_NS6detail17trampoline_kernelINS0_14default_configENS1_33run_length_encode_config_selectorIdjNS0_4plusIjEEEEZZNS1_33reduce_by_key_impl_wrapped_configILNS1_25lookback_scan_determinismE0ES3_S7_PKdNS0_17constant_iteratorIjlEEPdPlSF_S6_NS0_8equal_toIdEEEE10hipError_tPvRmT2_T3_mT4_T5_T6_T7_T8_P12ihipStream_tbENKUlT_T0_E_clISt17integral_constantIbLb0EESY_IbLb1EEEEDaSU_SV_EUlSU_E_NS1_11comp_targetILNS1_3genE3ELNS1_11target_archE908ELNS1_3gpuE7ELNS1_3repE0EEENS1_30default_config_static_selectorELNS0_4arch9wavefront6targetE1EEEvT1_
                                        ; -- End function
	.section	.AMDGPU.csdata,"",@progbits
; Kernel info:
; codeLenInByte = 0
; NumSgprs: 6
; NumVgprs: 0
; NumAgprs: 0
; TotalNumVgprs: 0
; ScratchSize: 0
; MemoryBound: 0
; FloatMode: 240
; IeeeMode: 1
; LDSByteSize: 0 bytes/workgroup (compile time only)
; SGPRBlocks: 0
; VGPRBlocks: 0
; NumSGPRsForWavesPerEU: 6
; NumVGPRsForWavesPerEU: 1
; AccumOffset: 4
; Occupancy: 8
; WaveLimiterHint : 0
; COMPUTE_PGM_RSRC2:SCRATCH_EN: 0
; COMPUTE_PGM_RSRC2:USER_SGPR: 2
; COMPUTE_PGM_RSRC2:TRAP_HANDLER: 0
; COMPUTE_PGM_RSRC2:TGID_X_EN: 1
; COMPUTE_PGM_RSRC2:TGID_Y_EN: 0
; COMPUTE_PGM_RSRC2:TGID_Z_EN: 0
; COMPUTE_PGM_RSRC2:TIDIG_COMP_CNT: 0
; COMPUTE_PGM_RSRC3_GFX90A:ACCUM_OFFSET: 0
; COMPUTE_PGM_RSRC3_GFX90A:TG_SPLIT: 0
	.section	.text._ZN7rocprim17ROCPRIM_400000_NS6detail17trampoline_kernelINS0_14default_configENS1_33run_length_encode_config_selectorIdjNS0_4plusIjEEEEZZNS1_33reduce_by_key_impl_wrapped_configILNS1_25lookback_scan_determinismE0ES3_S7_PKdNS0_17constant_iteratorIjlEEPdPlSF_S6_NS0_8equal_toIdEEEE10hipError_tPvRmT2_T3_mT4_T5_T6_T7_T8_P12ihipStream_tbENKUlT_T0_E_clISt17integral_constantIbLb0EESY_IbLb1EEEEDaSU_SV_EUlSU_E_NS1_11comp_targetILNS1_3genE2ELNS1_11target_archE906ELNS1_3gpuE6ELNS1_3repE0EEENS1_30default_config_static_selectorELNS0_4arch9wavefront6targetE1EEEvT1_,"axG",@progbits,_ZN7rocprim17ROCPRIM_400000_NS6detail17trampoline_kernelINS0_14default_configENS1_33run_length_encode_config_selectorIdjNS0_4plusIjEEEEZZNS1_33reduce_by_key_impl_wrapped_configILNS1_25lookback_scan_determinismE0ES3_S7_PKdNS0_17constant_iteratorIjlEEPdPlSF_S6_NS0_8equal_toIdEEEE10hipError_tPvRmT2_T3_mT4_T5_T6_T7_T8_P12ihipStream_tbENKUlT_T0_E_clISt17integral_constantIbLb0EESY_IbLb1EEEEDaSU_SV_EUlSU_E_NS1_11comp_targetILNS1_3genE2ELNS1_11target_archE906ELNS1_3gpuE6ELNS1_3repE0EEENS1_30default_config_static_selectorELNS0_4arch9wavefront6targetE1EEEvT1_,comdat
	.protected	_ZN7rocprim17ROCPRIM_400000_NS6detail17trampoline_kernelINS0_14default_configENS1_33run_length_encode_config_selectorIdjNS0_4plusIjEEEEZZNS1_33reduce_by_key_impl_wrapped_configILNS1_25lookback_scan_determinismE0ES3_S7_PKdNS0_17constant_iteratorIjlEEPdPlSF_S6_NS0_8equal_toIdEEEE10hipError_tPvRmT2_T3_mT4_T5_T6_T7_T8_P12ihipStream_tbENKUlT_T0_E_clISt17integral_constantIbLb0EESY_IbLb1EEEEDaSU_SV_EUlSU_E_NS1_11comp_targetILNS1_3genE2ELNS1_11target_archE906ELNS1_3gpuE6ELNS1_3repE0EEENS1_30default_config_static_selectorELNS0_4arch9wavefront6targetE1EEEvT1_ ; -- Begin function _ZN7rocprim17ROCPRIM_400000_NS6detail17trampoline_kernelINS0_14default_configENS1_33run_length_encode_config_selectorIdjNS0_4plusIjEEEEZZNS1_33reduce_by_key_impl_wrapped_configILNS1_25lookback_scan_determinismE0ES3_S7_PKdNS0_17constant_iteratorIjlEEPdPlSF_S6_NS0_8equal_toIdEEEE10hipError_tPvRmT2_T3_mT4_T5_T6_T7_T8_P12ihipStream_tbENKUlT_T0_E_clISt17integral_constantIbLb0EESY_IbLb1EEEEDaSU_SV_EUlSU_E_NS1_11comp_targetILNS1_3genE2ELNS1_11target_archE906ELNS1_3gpuE6ELNS1_3repE0EEENS1_30default_config_static_selectorELNS0_4arch9wavefront6targetE1EEEvT1_
	.globl	_ZN7rocprim17ROCPRIM_400000_NS6detail17trampoline_kernelINS0_14default_configENS1_33run_length_encode_config_selectorIdjNS0_4plusIjEEEEZZNS1_33reduce_by_key_impl_wrapped_configILNS1_25lookback_scan_determinismE0ES3_S7_PKdNS0_17constant_iteratorIjlEEPdPlSF_S6_NS0_8equal_toIdEEEE10hipError_tPvRmT2_T3_mT4_T5_T6_T7_T8_P12ihipStream_tbENKUlT_T0_E_clISt17integral_constantIbLb0EESY_IbLb1EEEEDaSU_SV_EUlSU_E_NS1_11comp_targetILNS1_3genE2ELNS1_11target_archE906ELNS1_3gpuE6ELNS1_3repE0EEENS1_30default_config_static_selectorELNS0_4arch9wavefront6targetE1EEEvT1_
	.p2align	8
	.type	_ZN7rocprim17ROCPRIM_400000_NS6detail17trampoline_kernelINS0_14default_configENS1_33run_length_encode_config_selectorIdjNS0_4plusIjEEEEZZNS1_33reduce_by_key_impl_wrapped_configILNS1_25lookback_scan_determinismE0ES3_S7_PKdNS0_17constant_iteratorIjlEEPdPlSF_S6_NS0_8equal_toIdEEEE10hipError_tPvRmT2_T3_mT4_T5_T6_T7_T8_P12ihipStream_tbENKUlT_T0_E_clISt17integral_constantIbLb0EESY_IbLb1EEEEDaSU_SV_EUlSU_E_NS1_11comp_targetILNS1_3genE2ELNS1_11target_archE906ELNS1_3gpuE6ELNS1_3repE0EEENS1_30default_config_static_selectorELNS0_4arch9wavefront6targetE1EEEvT1_,@function
_ZN7rocprim17ROCPRIM_400000_NS6detail17trampoline_kernelINS0_14default_configENS1_33run_length_encode_config_selectorIdjNS0_4plusIjEEEEZZNS1_33reduce_by_key_impl_wrapped_configILNS1_25lookback_scan_determinismE0ES3_S7_PKdNS0_17constant_iteratorIjlEEPdPlSF_S6_NS0_8equal_toIdEEEE10hipError_tPvRmT2_T3_mT4_T5_T6_T7_T8_P12ihipStream_tbENKUlT_T0_E_clISt17integral_constantIbLb0EESY_IbLb1EEEEDaSU_SV_EUlSU_E_NS1_11comp_targetILNS1_3genE2ELNS1_11target_archE906ELNS1_3gpuE6ELNS1_3repE0EEENS1_30default_config_static_selectorELNS0_4arch9wavefront6targetE1EEEvT1_: ; @_ZN7rocprim17ROCPRIM_400000_NS6detail17trampoline_kernelINS0_14default_configENS1_33run_length_encode_config_selectorIdjNS0_4plusIjEEEEZZNS1_33reduce_by_key_impl_wrapped_configILNS1_25lookback_scan_determinismE0ES3_S7_PKdNS0_17constant_iteratorIjlEEPdPlSF_S6_NS0_8equal_toIdEEEE10hipError_tPvRmT2_T3_mT4_T5_T6_T7_T8_P12ihipStream_tbENKUlT_T0_E_clISt17integral_constantIbLb0EESY_IbLb1EEEEDaSU_SV_EUlSU_E_NS1_11comp_targetILNS1_3genE2ELNS1_11target_archE906ELNS1_3gpuE6ELNS1_3repE0EEENS1_30default_config_static_selectorELNS0_4arch9wavefront6targetE1EEEvT1_
; %bb.0:
	.section	.rodata,"a",@progbits
	.p2align	6, 0x0
	.amdhsa_kernel _ZN7rocprim17ROCPRIM_400000_NS6detail17trampoline_kernelINS0_14default_configENS1_33run_length_encode_config_selectorIdjNS0_4plusIjEEEEZZNS1_33reduce_by_key_impl_wrapped_configILNS1_25lookback_scan_determinismE0ES3_S7_PKdNS0_17constant_iteratorIjlEEPdPlSF_S6_NS0_8equal_toIdEEEE10hipError_tPvRmT2_T3_mT4_T5_T6_T7_T8_P12ihipStream_tbENKUlT_T0_E_clISt17integral_constantIbLb0EESY_IbLb1EEEEDaSU_SV_EUlSU_E_NS1_11comp_targetILNS1_3genE2ELNS1_11target_archE906ELNS1_3gpuE6ELNS1_3repE0EEENS1_30default_config_static_selectorELNS0_4arch9wavefront6targetE1EEEvT1_
		.amdhsa_group_segment_fixed_size 0
		.amdhsa_private_segment_fixed_size 0
		.amdhsa_kernarg_size 128
		.amdhsa_user_sgpr_count 2
		.amdhsa_user_sgpr_dispatch_ptr 0
		.amdhsa_user_sgpr_queue_ptr 0
		.amdhsa_user_sgpr_kernarg_segment_ptr 1
		.amdhsa_user_sgpr_dispatch_id 0
		.amdhsa_user_sgpr_kernarg_preload_length 0
		.amdhsa_user_sgpr_kernarg_preload_offset 0
		.amdhsa_user_sgpr_private_segment_size 0
		.amdhsa_uses_dynamic_stack 0
		.amdhsa_enable_private_segment 0
		.amdhsa_system_sgpr_workgroup_id_x 1
		.amdhsa_system_sgpr_workgroup_id_y 0
		.amdhsa_system_sgpr_workgroup_id_z 0
		.amdhsa_system_sgpr_workgroup_info 0
		.amdhsa_system_vgpr_workitem_id 0
		.amdhsa_next_free_vgpr 1
		.amdhsa_next_free_sgpr 0
		.amdhsa_accum_offset 4
		.amdhsa_reserve_vcc 0
		.amdhsa_float_round_mode_32 0
		.amdhsa_float_round_mode_16_64 0
		.amdhsa_float_denorm_mode_32 3
		.amdhsa_float_denorm_mode_16_64 3
		.amdhsa_dx10_clamp 1
		.amdhsa_ieee_mode 1
		.amdhsa_fp16_overflow 0
		.amdhsa_tg_split 0
		.amdhsa_exception_fp_ieee_invalid_op 0
		.amdhsa_exception_fp_denorm_src 0
		.amdhsa_exception_fp_ieee_div_zero 0
		.amdhsa_exception_fp_ieee_overflow 0
		.amdhsa_exception_fp_ieee_underflow 0
		.amdhsa_exception_fp_ieee_inexact 0
		.amdhsa_exception_int_div_zero 0
	.end_amdhsa_kernel
	.section	.text._ZN7rocprim17ROCPRIM_400000_NS6detail17trampoline_kernelINS0_14default_configENS1_33run_length_encode_config_selectorIdjNS0_4plusIjEEEEZZNS1_33reduce_by_key_impl_wrapped_configILNS1_25lookback_scan_determinismE0ES3_S7_PKdNS0_17constant_iteratorIjlEEPdPlSF_S6_NS0_8equal_toIdEEEE10hipError_tPvRmT2_T3_mT4_T5_T6_T7_T8_P12ihipStream_tbENKUlT_T0_E_clISt17integral_constantIbLb0EESY_IbLb1EEEEDaSU_SV_EUlSU_E_NS1_11comp_targetILNS1_3genE2ELNS1_11target_archE906ELNS1_3gpuE6ELNS1_3repE0EEENS1_30default_config_static_selectorELNS0_4arch9wavefront6targetE1EEEvT1_,"axG",@progbits,_ZN7rocprim17ROCPRIM_400000_NS6detail17trampoline_kernelINS0_14default_configENS1_33run_length_encode_config_selectorIdjNS0_4plusIjEEEEZZNS1_33reduce_by_key_impl_wrapped_configILNS1_25lookback_scan_determinismE0ES3_S7_PKdNS0_17constant_iteratorIjlEEPdPlSF_S6_NS0_8equal_toIdEEEE10hipError_tPvRmT2_T3_mT4_T5_T6_T7_T8_P12ihipStream_tbENKUlT_T0_E_clISt17integral_constantIbLb0EESY_IbLb1EEEEDaSU_SV_EUlSU_E_NS1_11comp_targetILNS1_3genE2ELNS1_11target_archE906ELNS1_3gpuE6ELNS1_3repE0EEENS1_30default_config_static_selectorELNS0_4arch9wavefront6targetE1EEEvT1_,comdat
.Lfunc_end335:
	.size	_ZN7rocprim17ROCPRIM_400000_NS6detail17trampoline_kernelINS0_14default_configENS1_33run_length_encode_config_selectorIdjNS0_4plusIjEEEEZZNS1_33reduce_by_key_impl_wrapped_configILNS1_25lookback_scan_determinismE0ES3_S7_PKdNS0_17constant_iteratorIjlEEPdPlSF_S6_NS0_8equal_toIdEEEE10hipError_tPvRmT2_T3_mT4_T5_T6_T7_T8_P12ihipStream_tbENKUlT_T0_E_clISt17integral_constantIbLb0EESY_IbLb1EEEEDaSU_SV_EUlSU_E_NS1_11comp_targetILNS1_3genE2ELNS1_11target_archE906ELNS1_3gpuE6ELNS1_3repE0EEENS1_30default_config_static_selectorELNS0_4arch9wavefront6targetE1EEEvT1_, .Lfunc_end335-_ZN7rocprim17ROCPRIM_400000_NS6detail17trampoline_kernelINS0_14default_configENS1_33run_length_encode_config_selectorIdjNS0_4plusIjEEEEZZNS1_33reduce_by_key_impl_wrapped_configILNS1_25lookback_scan_determinismE0ES3_S7_PKdNS0_17constant_iteratorIjlEEPdPlSF_S6_NS0_8equal_toIdEEEE10hipError_tPvRmT2_T3_mT4_T5_T6_T7_T8_P12ihipStream_tbENKUlT_T0_E_clISt17integral_constantIbLb0EESY_IbLb1EEEEDaSU_SV_EUlSU_E_NS1_11comp_targetILNS1_3genE2ELNS1_11target_archE906ELNS1_3gpuE6ELNS1_3repE0EEENS1_30default_config_static_selectorELNS0_4arch9wavefront6targetE1EEEvT1_
                                        ; -- End function
	.section	.AMDGPU.csdata,"",@progbits
; Kernel info:
; codeLenInByte = 0
; NumSgprs: 6
; NumVgprs: 0
; NumAgprs: 0
; TotalNumVgprs: 0
; ScratchSize: 0
; MemoryBound: 0
; FloatMode: 240
; IeeeMode: 1
; LDSByteSize: 0 bytes/workgroup (compile time only)
; SGPRBlocks: 0
; VGPRBlocks: 0
; NumSGPRsForWavesPerEU: 6
; NumVGPRsForWavesPerEU: 1
; AccumOffset: 4
; Occupancy: 8
; WaveLimiterHint : 0
; COMPUTE_PGM_RSRC2:SCRATCH_EN: 0
; COMPUTE_PGM_RSRC2:USER_SGPR: 2
; COMPUTE_PGM_RSRC2:TRAP_HANDLER: 0
; COMPUTE_PGM_RSRC2:TGID_X_EN: 1
; COMPUTE_PGM_RSRC2:TGID_Y_EN: 0
; COMPUTE_PGM_RSRC2:TGID_Z_EN: 0
; COMPUTE_PGM_RSRC2:TIDIG_COMP_CNT: 0
; COMPUTE_PGM_RSRC3_GFX90A:ACCUM_OFFSET: 0
; COMPUTE_PGM_RSRC3_GFX90A:TG_SPLIT: 0
	.section	.text._ZN7rocprim17ROCPRIM_400000_NS6detail17trampoline_kernelINS0_14default_configENS1_33run_length_encode_config_selectorIdjNS0_4plusIjEEEEZZNS1_33reduce_by_key_impl_wrapped_configILNS1_25lookback_scan_determinismE0ES3_S7_PKdNS0_17constant_iteratorIjlEEPdPlSF_S6_NS0_8equal_toIdEEEE10hipError_tPvRmT2_T3_mT4_T5_T6_T7_T8_P12ihipStream_tbENKUlT_T0_E_clISt17integral_constantIbLb0EESY_IbLb1EEEEDaSU_SV_EUlSU_E_NS1_11comp_targetILNS1_3genE10ELNS1_11target_archE1201ELNS1_3gpuE5ELNS1_3repE0EEENS1_30default_config_static_selectorELNS0_4arch9wavefront6targetE1EEEvT1_,"axG",@progbits,_ZN7rocprim17ROCPRIM_400000_NS6detail17trampoline_kernelINS0_14default_configENS1_33run_length_encode_config_selectorIdjNS0_4plusIjEEEEZZNS1_33reduce_by_key_impl_wrapped_configILNS1_25lookback_scan_determinismE0ES3_S7_PKdNS0_17constant_iteratorIjlEEPdPlSF_S6_NS0_8equal_toIdEEEE10hipError_tPvRmT2_T3_mT4_T5_T6_T7_T8_P12ihipStream_tbENKUlT_T0_E_clISt17integral_constantIbLb0EESY_IbLb1EEEEDaSU_SV_EUlSU_E_NS1_11comp_targetILNS1_3genE10ELNS1_11target_archE1201ELNS1_3gpuE5ELNS1_3repE0EEENS1_30default_config_static_selectorELNS0_4arch9wavefront6targetE1EEEvT1_,comdat
	.protected	_ZN7rocprim17ROCPRIM_400000_NS6detail17trampoline_kernelINS0_14default_configENS1_33run_length_encode_config_selectorIdjNS0_4plusIjEEEEZZNS1_33reduce_by_key_impl_wrapped_configILNS1_25lookback_scan_determinismE0ES3_S7_PKdNS0_17constant_iteratorIjlEEPdPlSF_S6_NS0_8equal_toIdEEEE10hipError_tPvRmT2_T3_mT4_T5_T6_T7_T8_P12ihipStream_tbENKUlT_T0_E_clISt17integral_constantIbLb0EESY_IbLb1EEEEDaSU_SV_EUlSU_E_NS1_11comp_targetILNS1_3genE10ELNS1_11target_archE1201ELNS1_3gpuE5ELNS1_3repE0EEENS1_30default_config_static_selectorELNS0_4arch9wavefront6targetE1EEEvT1_ ; -- Begin function _ZN7rocprim17ROCPRIM_400000_NS6detail17trampoline_kernelINS0_14default_configENS1_33run_length_encode_config_selectorIdjNS0_4plusIjEEEEZZNS1_33reduce_by_key_impl_wrapped_configILNS1_25lookback_scan_determinismE0ES3_S7_PKdNS0_17constant_iteratorIjlEEPdPlSF_S6_NS0_8equal_toIdEEEE10hipError_tPvRmT2_T3_mT4_T5_T6_T7_T8_P12ihipStream_tbENKUlT_T0_E_clISt17integral_constantIbLb0EESY_IbLb1EEEEDaSU_SV_EUlSU_E_NS1_11comp_targetILNS1_3genE10ELNS1_11target_archE1201ELNS1_3gpuE5ELNS1_3repE0EEENS1_30default_config_static_selectorELNS0_4arch9wavefront6targetE1EEEvT1_
	.globl	_ZN7rocprim17ROCPRIM_400000_NS6detail17trampoline_kernelINS0_14default_configENS1_33run_length_encode_config_selectorIdjNS0_4plusIjEEEEZZNS1_33reduce_by_key_impl_wrapped_configILNS1_25lookback_scan_determinismE0ES3_S7_PKdNS0_17constant_iteratorIjlEEPdPlSF_S6_NS0_8equal_toIdEEEE10hipError_tPvRmT2_T3_mT4_T5_T6_T7_T8_P12ihipStream_tbENKUlT_T0_E_clISt17integral_constantIbLb0EESY_IbLb1EEEEDaSU_SV_EUlSU_E_NS1_11comp_targetILNS1_3genE10ELNS1_11target_archE1201ELNS1_3gpuE5ELNS1_3repE0EEENS1_30default_config_static_selectorELNS0_4arch9wavefront6targetE1EEEvT1_
	.p2align	8
	.type	_ZN7rocprim17ROCPRIM_400000_NS6detail17trampoline_kernelINS0_14default_configENS1_33run_length_encode_config_selectorIdjNS0_4plusIjEEEEZZNS1_33reduce_by_key_impl_wrapped_configILNS1_25lookback_scan_determinismE0ES3_S7_PKdNS0_17constant_iteratorIjlEEPdPlSF_S6_NS0_8equal_toIdEEEE10hipError_tPvRmT2_T3_mT4_T5_T6_T7_T8_P12ihipStream_tbENKUlT_T0_E_clISt17integral_constantIbLb0EESY_IbLb1EEEEDaSU_SV_EUlSU_E_NS1_11comp_targetILNS1_3genE10ELNS1_11target_archE1201ELNS1_3gpuE5ELNS1_3repE0EEENS1_30default_config_static_selectorELNS0_4arch9wavefront6targetE1EEEvT1_,@function
_ZN7rocprim17ROCPRIM_400000_NS6detail17trampoline_kernelINS0_14default_configENS1_33run_length_encode_config_selectorIdjNS0_4plusIjEEEEZZNS1_33reduce_by_key_impl_wrapped_configILNS1_25lookback_scan_determinismE0ES3_S7_PKdNS0_17constant_iteratorIjlEEPdPlSF_S6_NS0_8equal_toIdEEEE10hipError_tPvRmT2_T3_mT4_T5_T6_T7_T8_P12ihipStream_tbENKUlT_T0_E_clISt17integral_constantIbLb0EESY_IbLb1EEEEDaSU_SV_EUlSU_E_NS1_11comp_targetILNS1_3genE10ELNS1_11target_archE1201ELNS1_3gpuE5ELNS1_3repE0EEENS1_30default_config_static_selectorELNS0_4arch9wavefront6targetE1EEEvT1_: ; @_ZN7rocprim17ROCPRIM_400000_NS6detail17trampoline_kernelINS0_14default_configENS1_33run_length_encode_config_selectorIdjNS0_4plusIjEEEEZZNS1_33reduce_by_key_impl_wrapped_configILNS1_25lookback_scan_determinismE0ES3_S7_PKdNS0_17constant_iteratorIjlEEPdPlSF_S6_NS0_8equal_toIdEEEE10hipError_tPvRmT2_T3_mT4_T5_T6_T7_T8_P12ihipStream_tbENKUlT_T0_E_clISt17integral_constantIbLb0EESY_IbLb1EEEEDaSU_SV_EUlSU_E_NS1_11comp_targetILNS1_3genE10ELNS1_11target_archE1201ELNS1_3gpuE5ELNS1_3repE0EEENS1_30default_config_static_selectorELNS0_4arch9wavefront6targetE1EEEvT1_
; %bb.0:
	.section	.rodata,"a",@progbits
	.p2align	6, 0x0
	.amdhsa_kernel _ZN7rocprim17ROCPRIM_400000_NS6detail17trampoline_kernelINS0_14default_configENS1_33run_length_encode_config_selectorIdjNS0_4plusIjEEEEZZNS1_33reduce_by_key_impl_wrapped_configILNS1_25lookback_scan_determinismE0ES3_S7_PKdNS0_17constant_iteratorIjlEEPdPlSF_S6_NS0_8equal_toIdEEEE10hipError_tPvRmT2_T3_mT4_T5_T6_T7_T8_P12ihipStream_tbENKUlT_T0_E_clISt17integral_constantIbLb0EESY_IbLb1EEEEDaSU_SV_EUlSU_E_NS1_11comp_targetILNS1_3genE10ELNS1_11target_archE1201ELNS1_3gpuE5ELNS1_3repE0EEENS1_30default_config_static_selectorELNS0_4arch9wavefront6targetE1EEEvT1_
		.amdhsa_group_segment_fixed_size 0
		.amdhsa_private_segment_fixed_size 0
		.amdhsa_kernarg_size 128
		.amdhsa_user_sgpr_count 2
		.amdhsa_user_sgpr_dispatch_ptr 0
		.amdhsa_user_sgpr_queue_ptr 0
		.amdhsa_user_sgpr_kernarg_segment_ptr 1
		.amdhsa_user_sgpr_dispatch_id 0
		.amdhsa_user_sgpr_kernarg_preload_length 0
		.amdhsa_user_sgpr_kernarg_preload_offset 0
		.amdhsa_user_sgpr_private_segment_size 0
		.amdhsa_uses_dynamic_stack 0
		.amdhsa_enable_private_segment 0
		.amdhsa_system_sgpr_workgroup_id_x 1
		.amdhsa_system_sgpr_workgroup_id_y 0
		.amdhsa_system_sgpr_workgroup_id_z 0
		.amdhsa_system_sgpr_workgroup_info 0
		.amdhsa_system_vgpr_workitem_id 0
		.amdhsa_next_free_vgpr 1
		.amdhsa_next_free_sgpr 0
		.amdhsa_accum_offset 4
		.amdhsa_reserve_vcc 0
		.amdhsa_float_round_mode_32 0
		.amdhsa_float_round_mode_16_64 0
		.amdhsa_float_denorm_mode_32 3
		.amdhsa_float_denorm_mode_16_64 3
		.amdhsa_dx10_clamp 1
		.amdhsa_ieee_mode 1
		.amdhsa_fp16_overflow 0
		.amdhsa_tg_split 0
		.amdhsa_exception_fp_ieee_invalid_op 0
		.amdhsa_exception_fp_denorm_src 0
		.amdhsa_exception_fp_ieee_div_zero 0
		.amdhsa_exception_fp_ieee_overflow 0
		.amdhsa_exception_fp_ieee_underflow 0
		.amdhsa_exception_fp_ieee_inexact 0
		.amdhsa_exception_int_div_zero 0
	.end_amdhsa_kernel
	.section	.text._ZN7rocprim17ROCPRIM_400000_NS6detail17trampoline_kernelINS0_14default_configENS1_33run_length_encode_config_selectorIdjNS0_4plusIjEEEEZZNS1_33reduce_by_key_impl_wrapped_configILNS1_25lookback_scan_determinismE0ES3_S7_PKdNS0_17constant_iteratorIjlEEPdPlSF_S6_NS0_8equal_toIdEEEE10hipError_tPvRmT2_T3_mT4_T5_T6_T7_T8_P12ihipStream_tbENKUlT_T0_E_clISt17integral_constantIbLb0EESY_IbLb1EEEEDaSU_SV_EUlSU_E_NS1_11comp_targetILNS1_3genE10ELNS1_11target_archE1201ELNS1_3gpuE5ELNS1_3repE0EEENS1_30default_config_static_selectorELNS0_4arch9wavefront6targetE1EEEvT1_,"axG",@progbits,_ZN7rocprim17ROCPRIM_400000_NS6detail17trampoline_kernelINS0_14default_configENS1_33run_length_encode_config_selectorIdjNS0_4plusIjEEEEZZNS1_33reduce_by_key_impl_wrapped_configILNS1_25lookback_scan_determinismE0ES3_S7_PKdNS0_17constant_iteratorIjlEEPdPlSF_S6_NS0_8equal_toIdEEEE10hipError_tPvRmT2_T3_mT4_T5_T6_T7_T8_P12ihipStream_tbENKUlT_T0_E_clISt17integral_constantIbLb0EESY_IbLb1EEEEDaSU_SV_EUlSU_E_NS1_11comp_targetILNS1_3genE10ELNS1_11target_archE1201ELNS1_3gpuE5ELNS1_3repE0EEENS1_30default_config_static_selectorELNS0_4arch9wavefront6targetE1EEEvT1_,comdat
.Lfunc_end336:
	.size	_ZN7rocprim17ROCPRIM_400000_NS6detail17trampoline_kernelINS0_14default_configENS1_33run_length_encode_config_selectorIdjNS0_4plusIjEEEEZZNS1_33reduce_by_key_impl_wrapped_configILNS1_25lookback_scan_determinismE0ES3_S7_PKdNS0_17constant_iteratorIjlEEPdPlSF_S6_NS0_8equal_toIdEEEE10hipError_tPvRmT2_T3_mT4_T5_T6_T7_T8_P12ihipStream_tbENKUlT_T0_E_clISt17integral_constantIbLb0EESY_IbLb1EEEEDaSU_SV_EUlSU_E_NS1_11comp_targetILNS1_3genE10ELNS1_11target_archE1201ELNS1_3gpuE5ELNS1_3repE0EEENS1_30default_config_static_selectorELNS0_4arch9wavefront6targetE1EEEvT1_, .Lfunc_end336-_ZN7rocprim17ROCPRIM_400000_NS6detail17trampoline_kernelINS0_14default_configENS1_33run_length_encode_config_selectorIdjNS0_4plusIjEEEEZZNS1_33reduce_by_key_impl_wrapped_configILNS1_25lookback_scan_determinismE0ES3_S7_PKdNS0_17constant_iteratorIjlEEPdPlSF_S6_NS0_8equal_toIdEEEE10hipError_tPvRmT2_T3_mT4_T5_T6_T7_T8_P12ihipStream_tbENKUlT_T0_E_clISt17integral_constantIbLb0EESY_IbLb1EEEEDaSU_SV_EUlSU_E_NS1_11comp_targetILNS1_3genE10ELNS1_11target_archE1201ELNS1_3gpuE5ELNS1_3repE0EEENS1_30default_config_static_selectorELNS0_4arch9wavefront6targetE1EEEvT1_
                                        ; -- End function
	.section	.AMDGPU.csdata,"",@progbits
; Kernel info:
; codeLenInByte = 0
; NumSgprs: 6
; NumVgprs: 0
; NumAgprs: 0
; TotalNumVgprs: 0
; ScratchSize: 0
; MemoryBound: 0
; FloatMode: 240
; IeeeMode: 1
; LDSByteSize: 0 bytes/workgroup (compile time only)
; SGPRBlocks: 0
; VGPRBlocks: 0
; NumSGPRsForWavesPerEU: 6
; NumVGPRsForWavesPerEU: 1
; AccumOffset: 4
; Occupancy: 8
; WaveLimiterHint : 0
; COMPUTE_PGM_RSRC2:SCRATCH_EN: 0
; COMPUTE_PGM_RSRC2:USER_SGPR: 2
; COMPUTE_PGM_RSRC2:TRAP_HANDLER: 0
; COMPUTE_PGM_RSRC2:TGID_X_EN: 1
; COMPUTE_PGM_RSRC2:TGID_Y_EN: 0
; COMPUTE_PGM_RSRC2:TGID_Z_EN: 0
; COMPUTE_PGM_RSRC2:TIDIG_COMP_CNT: 0
; COMPUTE_PGM_RSRC3_GFX90A:ACCUM_OFFSET: 0
; COMPUTE_PGM_RSRC3_GFX90A:TG_SPLIT: 0
	.section	.text._ZN7rocprim17ROCPRIM_400000_NS6detail17trampoline_kernelINS0_14default_configENS1_33run_length_encode_config_selectorIdjNS0_4plusIjEEEEZZNS1_33reduce_by_key_impl_wrapped_configILNS1_25lookback_scan_determinismE0ES3_S7_PKdNS0_17constant_iteratorIjlEEPdPlSF_S6_NS0_8equal_toIdEEEE10hipError_tPvRmT2_T3_mT4_T5_T6_T7_T8_P12ihipStream_tbENKUlT_T0_E_clISt17integral_constantIbLb0EESY_IbLb1EEEEDaSU_SV_EUlSU_E_NS1_11comp_targetILNS1_3genE10ELNS1_11target_archE1200ELNS1_3gpuE4ELNS1_3repE0EEENS1_30default_config_static_selectorELNS0_4arch9wavefront6targetE1EEEvT1_,"axG",@progbits,_ZN7rocprim17ROCPRIM_400000_NS6detail17trampoline_kernelINS0_14default_configENS1_33run_length_encode_config_selectorIdjNS0_4plusIjEEEEZZNS1_33reduce_by_key_impl_wrapped_configILNS1_25lookback_scan_determinismE0ES3_S7_PKdNS0_17constant_iteratorIjlEEPdPlSF_S6_NS0_8equal_toIdEEEE10hipError_tPvRmT2_T3_mT4_T5_T6_T7_T8_P12ihipStream_tbENKUlT_T0_E_clISt17integral_constantIbLb0EESY_IbLb1EEEEDaSU_SV_EUlSU_E_NS1_11comp_targetILNS1_3genE10ELNS1_11target_archE1200ELNS1_3gpuE4ELNS1_3repE0EEENS1_30default_config_static_selectorELNS0_4arch9wavefront6targetE1EEEvT1_,comdat
	.protected	_ZN7rocprim17ROCPRIM_400000_NS6detail17trampoline_kernelINS0_14default_configENS1_33run_length_encode_config_selectorIdjNS0_4plusIjEEEEZZNS1_33reduce_by_key_impl_wrapped_configILNS1_25lookback_scan_determinismE0ES3_S7_PKdNS0_17constant_iteratorIjlEEPdPlSF_S6_NS0_8equal_toIdEEEE10hipError_tPvRmT2_T3_mT4_T5_T6_T7_T8_P12ihipStream_tbENKUlT_T0_E_clISt17integral_constantIbLb0EESY_IbLb1EEEEDaSU_SV_EUlSU_E_NS1_11comp_targetILNS1_3genE10ELNS1_11target_archE1200ELNS1_3gpuE4ELNS1_3repE0EEENS1_30default_config_static_selectorELNS0_4arch9wavefront6targetE1EEEvT1_ ; -- Begin function _ZN7rocprim17ROCPRIM_400000_NS6detail17trampoline_kernelINS0_14default_configENS1_33run_length_encode_config_selectorIdjNS0_4plusIjEEEEZZNS1_33reduce_by_key_impl_wrapped_configILNS1_25lookback_scan_determinismE0ES3_S7_PKdNS0_17constant_iteratorIjlEEPdPlSF_S6_NS0_8equal_toIdEEEE10hipError_tPvRmT2_T3_mT4_T5_T6_T7_T8_P12ihipStream_tbENKUlT_T0_E_clISt17integral_constantIbLb0EESY_IbLb1EEEEDaSU_SV_EUlSU_E_NS1_11comp_targetILNS1_3genE10ELNS1_11target_archE1200ELNS1_3gpuE4ELNS1_3repE0EEENS1_30default_config_static_selectorELNS0_4arch9wavefront6targetE1EEEvT1_
	.globl	_ZN7rocprim17ROCPRIM_400000_NS6detail17trampoline_kernelINS0_14default_configENS1_33run_length_encode_config_selectorIdjNS0_4plusIjEEEEZZNS1_33reduce_by_key_impl_wrapped_configILNS1_25lookback_scan_determinismE0ES3_S7_PKdNS0_17constant_iteratorIjlEEPdPlSF_S6_NS0_8equal_toIdEEEE10hipError_tPvRmT2_T3_mT4_T5_T6_T7_T8_P12ihipStream_tbENKUlT_T0_E_clISt17integral_constantIbLb0EESY_IbLb1EEEEDaSU_SV_EUlSU_E_NS1_11comp_targetILNS1_3genE10ELNS1_11target_archE1200ELNS1_3gpuE4ELNS1_3repE0EEENS1_30default_config_static_selectorELNS0_4arch9wavefront6targetE1EEEvT1_
	.p2align	8
	.type	_ZN7rocprim17ROCPRIM_400000_NS6detail17trampoline_kernelINS0_14default_configENS1_33run_length_encode_config_selectorIdjNS0_4plusIjEEEEZZNS1_33reduce_by_key_impl_wrapped_configILNS1_25lookback_scan_determinismE0ES3_S7_PKdNS0_17constant_iteratorIjlEEPdPlSF_S6_NS0_8equal_toIdEEEE10hipError_tPvRmT2_T3_mT4_T5_T6_T7_T8_P12ihipStream_tbENKUlT_T0_E_clISt17integral_constantIbLb0EESY_IbLb1EEEEDaSU_SV_EUlSU_E_NS1_11comp_targetILNS1_3genE10ELNS1_11target_archE1200ELNS1_3gpuE4ELNS1_3repE0EEENS1_30default_config_static_selectorELNS0_4arch9wavefront6targetE1EEEvT1_,@function
_ZN7rocprim17ROCPRIM_400000_NS6detail17trampoline_kernelINS0_14default_configENS1_33run_length_encode_config_selectorIdjNS0_4plusIjEEEEZZNS1_33reduce_by_key_impl_wrapped_configILNS1_25lookback_scan_determinismE0ES3_S7_PKdNS0_17constant_iteratorIjlEEPdPlSF_S6_NS0_8equal_toIdEEEE10hipError_tPvRmT2_T3_mT4_T5_T6_T7_T8_P12ihipStream_tbENKUlT_T0_E_clISt17integral_constantIbLb0EESY_IbLb1EEEEDaSU_SV_EUlSU_E_NS1_11comp_targetILNS1_3genE10ELNS1_11target_archE1200ELNS1_3gpuE4ELNS1_3repE0EEENS1_30default_config_static_selectorELNS0_4arch9wavefront6targetE1EEEvT1_: ; @_ZN7rocprim17ROCPRIM_400000_NS6detail17trampoline_kernelINS0_14default_configENS1_33run_length_encode_config_selectorIdjNS0_4plusIjEEEEZZNS1_33reduce_by_key_impl_wrapped_configILNS1_25lookback_scan_determinismE0ES3_S7_PKdNS0_17constant_iteratorIjlEEPdPlSF_S6_NS0_8equal_toIdEEEE10hipError_tPvRmT2_T3_mT4_T5_T6_T7_T8_P12ihipStream_tbENKUlT_T0_E_clISt17integral_constantIbLb0EESY_IbLb1EEEEDaSU_SV_EUlSU_E_NS1_11comp_targetILNS1_3genE10ELNS1_11target_archE1200ELNS1_3gpuE4ELNS1_3repE0EEENS1_30default_config_static_selectorELNS0_4arch9wavefront6targetE1EEEvT1_
; %bb.0:
	.section	.rodata,"a",@progbits
	.p2align	6, 0x0
	.amdhsa_kernel _ZN7rocprim17ROCPRIM_400000_NS6detail17trampoline_kernelINS0_14default_configENS1_33run_length_encode_config_selectorIdjNS0_4plusIjEEEEZZNS1_33reduce_by_key_impl_wrapped_configILNS1_25lookback_scan_determinismE0ES3_S7_PKdNS0_17constant_iteratorIjlEEPdPlSF_S6_NS0_8equal_toIdEEEE10hipError_tPvRmT2_T3_mT4_T5_T6_T7_T8_P12ihipStream_tbENKUlT_T0_E_clISt17integral_constantIbLb0EESY_IbLb1EEEEDaSU_SV_EUlSU_E_NS1_11comp_targetILNS1_3genE10ELNS1_11target_archE1200ELNS1_3gpuE4ELNS1_3repE0EEENS1_30default_config_static_selectorELNS0_4arch9wavefront6targetE1EEEvT1_
		.amdhsa_group_segment_fixed_size 0
		.amdhsa_private_segment_fixed_size 0
		.amdhsa_kernarg_size 128
		.amdhsa_user_sgpr_count 2
		.amdhsa_user_sgpr_dispatch_ptr 0
		.amdhsa_user_sgpr_queue_ptr 0
		.amdhsa_user_sgpr_kernarg_segment_ptr 1
		.amdhsa_user_sgpr_dispatch_id 0
		.amdhsa_user_sgpr_kernarg_preload_length 0
		.amdhsa_user_sgpr_kernarg_preload_offset 0
		.amdhsa_user_sgpr_private_segment_size 0
		.amdhsa_uses_dynamic_stack 0
		.amdhsa_enable_private_segment 0
		.amdhsa_system_sgpr_workgroup_id_x 1
		.amdhsa_system_sgpr_workgroup_id_y 0
		.amdhsa_system_sgpr_workgroup_id_z 0
		.amdhsa_system_sgpr_workgroup_info 0
		.amdhsa_system_vgpr_workitem_id 0
		.amdhsa_next_free_vgpr 1
		.amdhsa_next_free_sgpr 0
		.amdhsa_accum_offset 4
		.amdhsa_reserve_vcc 0
		.amdhsa_float_round_mode_32 0
		.amdhsa_float_round_mode_16_64 0
		.amdhsa_float_denorm_mode_32 3
		.amdhsa_float_denorm_mode_16_64 3
		.amdhsa_dx10_clamp 1
		.amdhsa_ieee_mode 1
		.amdhsa_fp16_overflow 0
		.amdhsa_tg_split 0
		.amdhsa_exception_fp_ieee_invalid_op 0
		.amdhsa_exception_fp_denorm_src 0
		.amdhsa_exception_fp_ieee_div_zero 0
		.amdhsa_exception_fp_ieee_overflow 0
		.amdhsa_exception_fp_ieee_underflow 0
		.amdhsa_exception_fp_ieee_inexact 0
		.amdhsa_exception_int_div_zero 0
	.end_amdhsa_kernel
	.section	.text._ZN7rocprim17ROCPRIM_400000_NS6detail17trampoline_kernelINS0_14default_configENS1_33run_length_encode_config_selectorIdjNS0_4plusIjEEEEZZNS1_33reduce_by_key_impl_wrapped_configILNS1_25lookback_scan_determinismE0ES3_S7_PKdNS0_17constant_iteratorIjlEEPdPlSF_S6_NS0_8equal_toIdEEEE10hipError_tPvRmT2_T3_mT4_T5_T6_T7_T8_P12ihipStream_tbENKUlT_T0_E_clISt17integral_constantIbLb0EESY_IbLb1EEEEDaSU_SV_EUlSU_E_NS1_11comp_targetILNS1_3genE10ELNS1_11target_archE1200ELNS1_3gpuE4ELNS1_3repE0EEENS1_30default_config_static_selectorELNS0_4arch9wavefront6targetE1EEEvT1_,"axG",@progbits,_ZN7rocprim17ROCPRIM_400000_NS6detail17trampoline_kernelINS0_14default_configENS1_33run_length_encode_config_selectorIdjNS0_4plusIjEEEEZZNS1_33reduce_by_key_impl_wrapped_configILNS1_25lookback_scan_determinismE0ES3_S7_PKdNS0_17constant_iteratorIjlEEPdPlSF_S6_NS0_8equal_toIdEEEE10hipError_tPvRmT2_T3_mT4_T5_T6_T7_T8_P12ihipStream_tbENKUlT_T0_E_clISt17integral_constantIbLb0EESY_IbLb1EEEEDaSU_SV_EUlSU_E_NS1_11comp_targetILNS1_3genE10ELNS1_11target_archE1200ELNS1_3gpuE4ELNS1_3repE0EEENS1_30default_config_static_selectorELNS0_4arch9wavefront6targetE1EEEvT1_,comdat
.Lfunc_end337:
	.size	_ZN7rocprim17ROCPRIM_400000_NS6detail17trampoline_kernelINS0_14default_configENS1_33run_length_encode_config_selectorIdjNS0_4plusIjEEEEZZNS1_33reduce_by_key_impl_wrapped_configILNS1_25lookback_scan_determinismE0ES3_S7_PKdNS0_17constant_iteratorIjlEEPdPlSF_S6_NS0_8equal_toIdEEEE10hipError_tPvRmT2_T3_mT4_T5_T6_T7_T8_P12ihipStream_tbENKUlT_T0_E_clISt17integral_constantIbLb0EESY_IbLb1EEEEDaSU_SV_EUlSU_E_NS1_11comp_targetILNS1_3genE10ELNS1_11target_archE1200ELNS1_3gpuE4ELNS1_3repE0EEENS1_30default_config_static_selectorELNS0_4arch9wavefront6targetE1EEEvT1_, .Lfunc_end337-_ZN7rocprim17ROCPRIM_400000_NS6detail17trampoline_kernelINS0_14default_configENS1_33run_length_encode_config_selectorIdjNS0_4plusIjEEEEZZNS1_33reduce_by_key_impl_wrapped_configILNS1_25lookback_scan_determinismE0ES3_S7_PKdNS0_17constant_iteratorIjlEEPdPlSF_S6_NS0_8equal_toIdEEEE10hipError_tPvRmT2_T3_mT4_T5_T6_T7_T8_P12ihipStream_tbENKUlT_T0_E_clISt17integral_constantIbLb0EESY_IbLb1EEEEDaSU_SV_EUlSU_E_NS1_11comp_targetILNS1_3genE10ELNS1_11target_archE1200ELNS1_3gpuE4ELNS1_3repE0EEENS1_30default_config_static_selectorELNS0_4arch9wavefront6targetE1EEEvT1_
                                        ; -- End function
	.section	.AMDGPU.csdata,"",@progbits
; Kernel info:
; codeLenInByte = 0
; NumSgprs: 6
; NumVgprs: 0
; NumAgprs: 0
; TotalNumVgprs: 0
; ScratchSize: 0
; MemoryBound: 0
; FloatMode: 240
; IeeeMode: 1
; LDSByteSize: 0 bytes/workgroup (compile time only)
; SGPRBlocks: 0
; VGPRBlocks: 0
; NumSGPRsForWavesPerEU: 6
; NumVGPRsForWavesPerEU: 1
; AccumOffset: 4
; Occupancy: 8
; WaveLimiterHint : 0
; COMPUTE_PGM_RSRC2:SCRATCH_EN: 0
; COMPUTE_PGM_RSRC2:USER_SGPR: 2
; COMPUTE_PGM_RSRC2:TRAP_HANDLER: 0
; COMPUTE_PGM_RSRC2:TGID_X_EN: 1
; COMPUTE_PGM_RSRC2:TGID_Y_EN: 0
; COMPUTE_PGM_RSRC2:TGID_Z_EN: 0
; COMPUTE_PGM_RSRC2:TIDIG_COMP_CNT: 0
; COMPUTE_PGM_RSRC3_GFX90A:ACCUM_OFFSET: 0
; COMPUTE_PGM_RSRC3_GFX90A:TG_SPLIT: 0
	.section	.text._ZN7rocprim17ROCPRIM_400000_NS6detail17trampoline_kernelINS0_14default_configENS1_33run_length_encode_config_selectorIdjNS0_4plusIjEEEEZZNS1_33reduce_by_key_impl_wrapped_configILNS1_25lookback_scan_determinismE0ES3_S7_PKdNS0_17constant_iteratorIjlEEPdPlSF_S6_NS0_8equal_toIdEEEE10hipError_tPvRmT2_T3_mT4_T5_T6_T7_T8_P12ihipStream_tbENKUlT_T0_E_clISt17integral_constantIbLb0EESY_IbLb1EEEEDaSU_SV_EUlSU_E_NS1_11comp_targetILNS1_3genE9ELNS1_11target_archE1100ELNS1_3gpuE3ELNS1_3repE0EEENS1_30default_config_static_selectorELNS0_4arch9wavefront6targetE1EEEvT1_,"axG",@progbits,_ZN7rocprim17ROCPRIM_400000_NS6detail17trampoline_kernelINS0_14default_configENS1_33run_length_encode_config_selectorIdjNS0_4plusIjEEEEZZNS1_33reduce_by_key_impl_wrapped_configILNS1_25lookback_scan_determinismE0ES3_S7_PKdNS0_17constant_iteratorIjlEEPdPlSF_S6_NS0_8equal_toIdEEEE10hipError_tPvRmT2_T3_mT4_T5_T6_T7_T8_P12ihipStream_tbENKUlT_T0_E_clISt17integral_constantIbLb0EESY_IbLb1EEEEDaSU_SV_EUlSU_E_NS1_11comp_targetILNS1_3genE9ELNS1_11target_archE1100ELNS1_3gpuE3ELNS1_3repE0EEENS1_30default_config_static_selectorELNS0_4arch9wavefront6targetE1EEEvT1_,comdat
	.protected	_ZN7rocprim17ROCPRIM_400000_NS6detail17trampoline_kernelINS0_14default_configENS1_33run_length_encode_config_selectorIdjNS0_4plusIjEEEEZZNS1_33reduce_by_key_impl_wrapped_configILNS1_25lookback_scan_determinismE0ES3_S7_PKdNS0_17constant_iteratorIjlEEPdPlSF_S6_NS0_8equal_toIdEEEE10hipError_tPvRmT2_T3_mT4_T5_T6_T7_T8_P12ihipStream_tbENKUlT_T0_E_clISt17integral_constantIbLb0EESY_IbLb1EEEEDaSU_SV_EUlSU_E_NS1_11comp_targetILNS1_3genE9ELNS1_11target_archE1100ELNS1_3gpuE3ELNS1_3repE0EEENS1_30default_config_static_selectorELNS0_4arch9wavefront6targetE1EEEvT1_ ; -- Begin function _ZN7rocprim17ROCPRIM_400000_NS6detail17trampoline_kernelINS0_14default_configENS1_33run_length_encode_config_selectorIdjNS0_4plusIjEEEEZZNS1_33reduce_by_key_impl_wrapped_configILNS1_25lookback_scan_determinismE0ES3_S7_PKdNS0_17constant_iteratorIjlEEPdPlSF_S6_NS0_8equal_toIdEEEE10hipError_tPvRmT2_T3_mT4_T5_T6_T7_T8_P12ihipStream_tbENKUlT_T0_E_clISt17integral_constantIbLb0EESY_IbLb1EEEEDaSU_SV_EUlSU_E_NS1_11comp_targetILNS1_3genE9ELNS1_11target_archE1100ELNS1_3gpuE3ELNS1_3repE0EEENS1_30default_config_static_selectorELNS0_4arch9wavefront6targetE1EEEvT1_
	.globl	_ZN7rocprim17ROCPRIM_400000_NS6detail17trampoline_kernelINS0_14default_configENS1_33run_length_encode_config_selectorIdjNS0_4plusIjEEEEZZNS1_33reduce_by_key_impl_wrapped_configILNS1_25lookback_scan_determinismE0ES3_S7_PKdNS0_17constant_iteratorIjlEEPdPlSF_S6_NS0_8equal_toIdEEEE10hipError_tPvRmT2_T3_mT4_T5_T6_T7_T8_P12ihipStream_tbENKUlT_T0_E_clISt17integral_constantIbLb0EESY_IbLb1EEEEDaSU_SV_EUlSU_E_NS1_11comp_targetILNS1_3genE9ELNS1_11target_archE1100ELNS1_3gpuE3ELNS1_3repE0EEENS1_30default_config_static_selectorELNS0_4arch9wavefront6targetE1EEEvT1_
	.p2align	8
	.type	_ZN7rocprim17ROCPRIM_400000_NS6detail17trampoline_kernelINS0_14default_configENS1_33run_length_encode_config_selectorIdjNS0_4plusIjEEEEZZNS1_33reduce_by_key_impl_wrapped_configILNS1_25lookback_scan_determinismE0ES3_S7_PKdNS0_17constant_iteratorIjlEEPdPlSF_S6_NS0_8equal_toIdEEEE10hipError_tPvRmT2_T3_mT4_T5_T6_T7_T8_P12ihipStream_tbENKUlT_T0_E_clISt17integral_constantIbLb0EESY_IbLb1EEEEDaSU_SV_EUlSU_E_NS1_11comp_targetILNS1_3genE9ELNS1_11target_archE1100ELNS1_3gpuE3ELNS1_3repE0EEENS1_30default_config_static_selectorELNS0_4arch9wavefront6targetE1EEEvT1_,@function
_ZN7rocprim17ROCPRIM_400000_NS6detail17trampoline_kernelINS0_14default_configENS1_33run_length_encode_config_selectorIdjNS0_4plusIjEEEEZZNS1_33reduce_by_key_impl_wrapped_configILNS1_25lookback_scan_determinismE0ES3_S7_PKdNS0_17constant_iteratorIjlEEPdPlSF_S6_NS0_8equal_toIdEEEE10hipError_tPvRmT2_T3_mT4_T5_T6_T7_T8_P12ihipStream_tbENKUlT_T0_E_clISt17integral_constantIbLb0EESY_IbLb1EEEEDaSU_SV_EUlSU_E_NS1_11comp_targetILNS1_3genE9ELNS1_11target_archE1100ELNS1_3gpuE3ELNS1_3repE0EEENS1_30default_config_static_selectorELNS0_4arch9wavefront6targetE1EEEvT1_: ; @_ZN7rocprim17ROCPRIM_400000_NS6detail17trampoline_kernelINS0_14default_configENS1_33run_length_encode_config_selectorIdjNS0_4plusIjEEEEZZNS1_33reduce_by_key_impl_wrapped_configILNS1_25lookback_scan_determinismE0ES3_S7_PKdNS0_17constant_iteratorIjlEEPdPlSF_S6_NS0_8equal_toIdEEEE10hipError_tPvRmT2_T3_mT4_T5_T6_T7_T8_P12ihipStream_tbENKUlT_T0_E_clISt17integral_constantIbLb0EESY_IbLb1EEEEDaSU_SV_EUlSU_E_NS1_11comp_targetILNS1_3genE9ELNS1_11target_archE1100ELNS1_3gpuE3ELNS1_3repE0EEENS1_30default_config_static_selectorELNS0_4arch9wavefront6targetE1EEEvT1_
; %bb.0:
	.section	.rodata,"a",@progbits
	.p2align	6, 0x0
	.amdhsa_kernel _ZN7rocprim17ROCPRIM_400000_NS6detail17trampoline_kernelINS0_14default_configENS1_33run_length_encode_config_selectorIdjNS0_4plusIjEEEEZZNS1_33reduce_by_key_impl_wrapped_configILNS1_25lookback_scan_determinismE0ES3_S7_PKdNS0_17constant_iteratorIjlEEPdPlSF_S6_NS0_8equal_toIdEEEE10hipError_tPvRmT2_T3_mT4_T5_T6_T7_T8_P12ihipStream_tbENKUlT_T0_E_clISt17integral_constantIbLb0EESY_IbLb1EEEEDaSU_SV_EUlSU_E_NS1_11comp_targetILNS1_3genE9ELNS1_11target_archE1100ELNS1_3gpuE3ELNS1_3repE0EEENS1_30default_config_static_selectorELNS0_4arch9wavefront6targetE1EEEvT1_
		.amdhsa_group_segment_fixed_size 0
		.amdhsa_private_segment_fixed_size 0
		.amdhsa_kernarg_size 128
		.amdhsa_user_sgpr_count 2
		.amdhsa_user_sgpr_dispatch_ptr 0
		.amdhsa_user_sgpr_queue_ptr 0
		.amdhsa_user_sgpr_kernarg_segment_ptr 1
		.amdhsa_user_sgpr_dispatch_id 0
		.amdhsa_user_sgpr_kernarg_preload_length 0
		.amdhsa_user_sgpr_kernarg_preload_offset 0
		.amdhsa_user_sgpr_private_segment_size 0
		.amdhsa_uses_dynamic_stack 0
		.amdhsa_enable_private_segment 0
		.amdhsa_system_sgpr_workgroup_id_x 1
		.amdhsa_system_sgpr_workgroup_id_y 0
		.amdhsa_system_sgpr_workgroup_id_z 0
		.amdhsa_system_sgpr_workgroup_info 0
		.amdhsa_system_vgpr_workitem_id 0
		.amdhsa_next_free_vgpr 1
		.amdhsa_next_free_sgpr 0
		.amdhsa_accum_offset 4
		.amdhsa_reserve_vcc 0
		.amdhsa_float_round_mode_32 0
		.amdhsa_float_round_mode_16_64 0
		.amdhsa_float_denorm_mode_32 3
		.amdhsa_float_denorm_mode_16_64 3
		.amdhsa_dx10_clamp 1
		.amdhsa_ieee_mode 1
		.amdhsa_fp16_overflow 0
		.amdhsa_tg_split 0
		.amdhsa_exception_fp_ieee_invalid_op 0
		.amdhsa_exception_fp_denorm_src 0
		.amdhsa_exception_fp_ieee_div_zero 0
		.amdhsa_exception_fp_ieee_overflow 0
		.amdhsa_exception_fp_ieee_underflow 0
		.amdhsa_exception_fp_ieee_inexact 0
		.amdhsa_exception_int_div_zero 0
	.end_amdhsa_kernel
	.section	.text._ZN7rocprim17ROCPRIM_400000_NS6detail17trampoline_kernelINS0_14default_configENS1_33run_length_encode_config_selectorIdjNS0_4plusIjEEEEZZNS1_33reduce_by_key_impl_wrapped_configILNS1_25lookback_scan_determinismE0ES3_S7_PKdNS0_17constant_iteratorIjlEEPdPlSF_S6_NS0_8equal_toIdEEEE10hipError_tPvRmT2_T3_mT4_T5_T6_T7_T8_P12ihipStream_tbENKUlT_T0_E_clISt17integral_constantIbLb0EESY_IbLb1EEEEDaSU_SV_EUlSU_E_NS1_11comp_targetILNS1_3genE9ELNS1_11target_archE1100ELNS1_3gpuE3ELNS1_3repE0EEENS1_30default_config_static_selectorELNS0_4arch9wavefront6targetE1EEEvT1_,"axG",@progbits,_ZN7rocprim17ROCPRIM_400000_NS6detail17trampoline_kernelINS0_14default_configENS1_33run_length_encode_config_selectorIdjNS0_4plusIjEEEEZZNS1_33reduce_by_key_impl_wrapped_configILNS1_25lookback_scan_determinismE0ES3_S7_PKdNS0_17constant_iteratorIjlEEPdPlSF_S6_NS0_8equal_toIdEEEE10hipError_tPvRmT2_T3_mT4_T5_T6_T7_T8_P12ihipStream_tbENKUlT_T0_E_clISt17integral_constantIbLb0EESY_IbLb1EEEEDaSU_SV_EUlSU_E_NS1_11comp_targetILNS1_3genE9ELNS1_11target_archE1100ELNS1_3gpuE3ELNS1_3repE0EEENS1_30default_config_static_selectorELNS0_4arch9wavefront6targetE1EEEvT1_,comdat
.Lfunc_end338:
	.size	_ZN7rocprim17ROCPRIM_400000_NS6detail17trampoline_kernelINS0_14default_configENS1_33run_length_encode_config_selectorIdjNS0_4plusIjEEEEZZNS1_33reduce_by_key_impl_wrapped_configILNS1_25lookback_scan_determinismE0ES3_S7_PKdNS0_17constant_iteratorIjlEEPdPlSF_S6_NS0_8equal_toIdEEEE10hipError_tPvRmT2_T3_mT4_T5_T6_T7_T8_P12ihipStream_tbENKUlT_T0_E_clISt17integral_constantIbLb0EESY_IbLb1EEEEDaSU_SV_EUlSU_E_NS1_11comp_targetILNS1_3genE9ELNS1_11target_archE1100ELNS1_3gpuE3ELNS1_3repE0EEENS1_30default_config_static_selectorELNS0_4arch9wavefront6targetE1EEEvT1_, .Lfunc_end338-_ZN7rocprim17ROCPRIM_400000_NS6detail17trampoline_kernelINS0_14default_configENS1_33run_length_encode_config_selectorIdjNS0_4plusIjEEEEZZNS1_33reduce_by_key_impl_wrapped_configILNS1_25lookback_scan_determinismE0ES3_S7_PKdNS0_17constant_iteratorIjlEEPdPlSF_S6_NS0_8equal_toIdEEEE10hipError_tPvRmT2_T3_mT4_T5_T6_T7_T8_P12ihipStream_tbENKUlT_T0_E_clISt17integral_constantIbLb0EESY_IbLb1EEEEDaSU_SV_EUlSU_E_NS1_11comp_targetILNS1_3genE9ELNS1_11target_archE1100ELNS1_3gpuE3ELNS1_3repE0EEENS1_30default_config_static_selectorELNS0_4arch9wavefront6targetE1EEEvT1_
                                        ; -- End function
	.section	.AMDGPU.csdata,"",@progbits
; Kernel info:
; codeLenInByte = 0
; NumSgprs: 6
; NumVgprs: 0
; NumAgprs: 0
; TotalNumVgprs: 0
; ScratchSize: 0
; MemoryBound: 0
; FloatMode: 240
; IeeeMode: 1
; LDSByteSize: 0 bytes/workgroup (compile time only)
; SGPRBlocks: 0
; VGPRBlocks: 0
; NumSGPRsForWavesPerEU: 6
; NumVGPRsForWavesPerEU: 1
; AccumOffset: 4
; Occupancy: 8
; WaveLimiterHint : 0
; COMPUTE_PGM_RSRC2:SCRATCH_EN: 0
; COMPUTE_PGM_RSRC2:USER_SGPR: 2
; COMPUTE_PGM_RSRC2:TRAP_HANDLER: 0
; COMPUTE_PGM_RSRC2:TGID_X_EN: 1
; COMPUTE_PGM_RSRC2:TGID_Y_EN: 0
; COMPUTE_PGM_RSRC2:TGID_Z_EN: 0
; COMPUTE_PGM_RSRC2:TIDIG_COMP_CNT: 0
; COMPUTE_PGM_RSRC3_GFX90A:ACCUM_OFFSET: 0
; COMPUTE_PGM_RSRC3_GFX90A:TG_SPLIT: 0
	.section	.text._ZN7rocprim17ROCPRIM_400000_NS6detail17trampoline_kernelINS0_14default_configENS1_33run_length_encode_config_selectorIdjNS0_4plusIjEEEEZZNS1_33reduce_by_key_impl_wrapped_configILNS1_25lookback_scan_determinismE0ES3_S7_PKdNS0_17constant_iteratorIjlEEPdPlSF_S6_NS0_8equal_toIdEEEE10hipError_tPvRmT2_T3_mT4_T5_T6_T7_T8_P12ihipStream_tbENKUlT_T0_E_clISt17integral_constantIbLb0EESY_IbLb1EEEEDaSU_SV_EUlSU_E_NS1_11comp_targetILNS1_3genE8ELNS1_11target_archE1030ELNS1_3gpuE2ELNS1_3repE0EEENS1_30default_config_static_selectorELNS0_4arch9wavefront6targetE1EEEvT1_,"axG",@progbits,_ZN7rocprim17ROCPRIM_400000_NS6detail17trampoline_kernelINS0_14default_configENS1_33run_length_encode_config_selectorIdjNS0_4plusIjEEEEZZNS1_33reduce_by_key_impl_wrapped_configILNS1_25lookback_scan_determinismE0ES3_S7_PKdNS0_17constant_iteratorIjlEEPdPlSF_S6_NS0_8equal_toIdEEEE10hipError_tPvRmT2_T3_mT4_T5_T6_T7_T8_P12ihipStream_tbENKUlT_T0_E_clISt17integral_constantIbLb0EESY_IbLb1EEEEDaSU_SV_EUlSU_E_NS1_11comp_targetILNS1_3genE8ELNS1_11target_archE1030ELNS1_3gpuE2ELNS1_3repE0EEENS1_30default_config_static_selectorELNS0_4arch9wavefront6targetE1EEEvT1_,comdat
	.protected	_ZN7rocprim17ROCPRIM_400000_NS6detail17trampoline_kernelINS0_14default_configENS1_33run_length_encode_config_selectorIdjNS0_4plusIjEEEEZZNS1_33reduce_by_key_impl_wrapped_configILNS1_25lookback_scan_determinismE0ES3_S7_PKdNS0_17constant_iteratorIjlEEPdPlSF_S6_NS0_8equal_toIdEEEE10hipError_tPvRmT2_T3_mT4_T5_T6_T7_T8_P12ihipStream_tbENKUlT_T0_E_clISt17integral_constantIbLb0EESY_IbLb1EEEEDaSU_SV_EUlSU_E_NS1_11comp_targetILNS1_3genE8ELNS1_11target_archE1030ELNS1_3gpuE2ELNS1_3repE0EEENS1_30default_config_static_selectorELNS0_4arch9wavefront6targetE1EEEvT1_ ; -- Begin function _ZN7rocprim17ROCPRIM_400000_NS6detail17trampoline_kernelINS0_14default_configENS1_33run_length_encode_config_selectorIdjNS0_4plusIjEEEEZZNS1_33reduce_by_key_impl_wrapped_configILNS1_25lookback_scan_determinismE0ES3_S7_PKdNS0_17constant_iteratorIjlEEPdPlSF_S6_NS0_8equal_toIdEEEE10hipError_tPvRmT2_T3_mT4_T5_T6_T7_T8_P12ihipStream_tbENKUlT_T0_E_clISt17integral_constantIbLb0EESY_IbLb1EEEEDaSU_SV_EUlSU_E_NS1_11comp_targetILNS1_3genE8ELNS1_11target_archE1030ELNS1_3gpuE2ELNS1_3repE0EEENS1_30default_config_static_selectorELNS0_4arch9wavefront6targetE1EEEvT1_
	.globl	_ZN7rocprim17ROCPRIM_400000_NS6detail17trampoline_kernelINS0_14default_configENS1_33run_length_encode_config_selectorIdjNS0_4plusIjEEEEZZNS1_33reduce_by_key_impl_wrapped_configILNS1_25lookback_scan_determinismE0ES3_S7_PKdNS0_17constant_iteratorIjlEEPdPlSF_S6_NS0_8equal_toIdEEEE10hipError_tPvRmT2_T3_mT4_T5_T6_T7_T8_P12ihipStream_tbENKUlT_T0_E_clISt17integral_constantIbLb0EESY_IbLb1EEEEDaSU_SV_EUlSU_E_NS1_11comp_targetILNS1_3genE8ELNS1_11target_archE1030ELNS1_3gpuE2ELNS1_3repE0EEENS1_30default_config_static_selectorELNS0_4arch9wavefront6targetE1EEEvT1_
	.p2align	8
	.type	_ZN7rocprim17ROCPRIM_400000_NS6detail17trampoline_kernelINS0_14default_configENS1_33run_length_encode_config_selectorIdjNS0_4plusIjEEEEZZNS1_33reduce_by_key_impl_wrapped_configILNS1_25lookback_scan_determinismE0ES3_S7_PKdNS0_17constant_iteratorIjlEEPdPlSF_S6_NS0_8equal_toIdEEEE10hipError_tPvRmT2_T3_mT4_T5_T6_T7_T8_P12ihipStream_tbENKUlT_T0_E_clISt17integral_constantIbLb0EESY_IbLb1EEEEDaSU_SV_EUlSU_E_NS1_11comp_targetILNS1_3genE8ELNS1_11target_archE1030ELNS1_3gpuE2ELNS1_3repE0EEENS1_30default_config_static_selectorELNS0_4arch9wavefront6targetE1EEEvT1_,@function
_ZN7rocprim17ROCPRIM_400000_NS6detail17trampoline_kernelINS0_14default_configENS1_33run_length_encode_config_selectorIdjNS0_4plusIjEEEEZZNS1_33reduce_by_key_impl_wrapped_configILNS1_25lookback_scan_determinismE0ES3_S7_PKdNS0_17constant_iteratorIjlEEPdPlSF_S6_NS0_8equal_toIdEEEE10hipError_tPvRmT2_T3_mT4_T5_T6_T7_T8_P12ihipStream_tbENKUlT_T0_E_clISt17integral_constantIbLb0EESY_IbLb1EEEEDaSU_SV_EUlSU_E_NS1_11comp_targetILNS1_3genE8ELNS1_11target_archE1030ELNS1_3gpuE2ELNS1_3repE0EEENS1_30default_config_static_selectorELNS0_4arch9wavefront6targetE1EEEvT1_: ; @_ZN7rocprim17ROCPRIM_400000_NS6detail17trampoline_kernelINS0_14default_configENS1_33run_length_encode_config_selectorIdjNS0_4plusIjEEEEZZNS1_33reduce_by_key_impl_wrapped_configILNS1_25lookback_scan_determinismE0ES3_S7_PKdNS0_17constant_iteratorIjlEEPdPlSF_S6_NS0_8equal_toIdEEEE10hipError_tPvRmT2_T3_mT4_T5_T6_T7_T8_P12ihipStream_tbENKUlT_T0_E_clISt17integral_constantIbLb0EESY_IbLb1EEEEDaSU_SV_EUlSU_E_NS1_11comp_targetILNS1_3genE8ELNS1_11target_archE1030ELNS1_3gpuE2ELNS1_3repE0EEENS1_30default_config_static_selectorELNS0_4arch9wavefront6targetE1EEEvT1_
; %bb.0:
	.section	.rodata,"a",@progbits
	.p2align	6, 0x0
	.amdhsa_kernel _ZN7rocprim17ROCPRIM_400000_NS6detail17trampoline_kernelINS0_14default_configENS1_33run_length_encode_config_selectorIdjNS0_4plusIjEEEEZZNS1_33reduce_by_key_impl_wrapped_configILNS1_25lookback_scan_determinismE0ES3_S7_PKdNS0_17constant_iteratorIjlEEPdPlSF_S6_NS0_8equal_toIdEEEE10hipError_tPvRmT2_T3_mT4_T5_T6_T7_T8_P12ihipStream_tbENKUlT_T0_E_clISt17integral_constantIbLb0EESY_IbLb1EEEEDaSU_SV_EUlSU_E_NS1_11comp_targetILNS1_3genE8ELNS1_11target_archE1030ELNS1_3gpuE2ELNS1_3repE0EEENS1_30default_config_static_selectorELNS0_4arch9wavefront6targetE1EEEvT1_
		.amdhsa_group_segment_fixed_size 0
		.amdhsa_private_segment_fixed_size 0
		.amdhsa_kernarg_size 128
		.amdhsa_user_sgpr_count 2
		.amdhsa_user_sgpr_dispatch_ptr 0
		.amdhsa_user_sgpr_queue_ptr 0
		.amdhsa_user_sgpr_kernarg_segment_ptr 1
		.amdhsa_user_sgpr_dispatch_id 0
		.amdhsa_user_sgpr_kernarg_preload_length 0
		.amdhsa_user_sgpr_kernarg_preload_offset 0
		.amdhsa_user_sgpr_private_segment_size 0
		.amdhsa_uses_dynamic_stack 0
		.amdhsa_enable_private_segment 0
		.amdhsa_system_sgpr_workgroup_id_x 1
		.amdhsa_system_sgpr_workgroup_id_y 0
		.amdhsa_system_sgpr_workgroup_id_z 0
		.amdhsa_system_sgpr_workgroup_info 0
		.amdhsa_system_vgpr_workitem_id 0
		.amdhsa_next_free_vgpr 1
		.amdhsa_next_free_sgpr 0
		.amdhsa_accum_offset 4
		.amdhsa_reserve_vcc 0
		.amdhsa_float_round_mode_32 0
		.amdhsa_float_round_mode_16_64 0
		.amdhsa_float_denorm_mode_32 3
		.amdhsa_float_denorm_mode_16_64 3
		.amdhsa_dx10_clamp 1
		.amdhsa_ieee_mode 1
		.amdhsa_fp16_overflow 0
		.amdhsa_tg_split 0
		.amdhsa_exception_fp_ieee_invalid_op 0
		.amdhsa_exception_fp_denorm_src 0
		.amdhsa_exception_fp_ieee_div_zero 0
		.amdhsa_exception_fp_ieee_overflow 0
		.amdhsa_exception_fp_ieee_underflow 0
		.amdhsa_exception_fp_ieee_inexact 0
		.amdhsa_exception_int_div_zero 0
	.end_amdhsa_kernel
	.section	.text._ZN7rocprim17ROCPRIM_400000_NS6detail17trampoline_kernelINS0_14default_configENS1_33run_length_encode_config_selectorIdjNS0_4plusIjEEEEZZNS1_33reduce_by_key_impl_wrapped_configILNS1_25lookback_scan_determinismE0ES3_S7_PKdNS0_17constant_iteratorIjlEEPdPlSF_S6_NS0_8equal_toIdEEEE10hipError_tPvRmT2_T3_mT4_T5_T6_T7_T8_P12ihipStream_tbENKUlT_T0_E_clISt17integral_constantIbLb0EESY_IbLb1EEEEDaSU_SV_EUlSU_E_NS1_11comp_targetILNS1_3genE8ELNS1_11target_archE1030ELNS1_3gpuE2ELNS1_3repE0EEENS1_30default_config_static_selectorELNS0_4arch9wavefront6targetE1EEEvT1_,"axG",@progbits,_ZN7rocprim17ROCPRIM_400000_NS6detail17trampoline_kernelINS0_14default_configENS1_33run_length_encode_config_selectorIdjNS0_4plusIjEEEEZZNS1_33reduce_by_key_impl_wrapped_configILNS1_25lookback_scan_determinismE0ES3_S7_PKdNS0_17constant_iteratorIjlEEPdPlSF_S6_NS0_8equal_toIdEEEE10hipError_tPvRmT2_T3_mT4_T5_T6_T7_T8_P12ihipStream_tbENKUlT_T0_E_clISt17integral_constantIbLb0EESY_IbLb1EEEEDaSU_SV_EUlSU_E_NS1_11comp_targetILNS1_3genE8ELNS1_11target_archE1030ELNS1_3gpuE2ELNS1_3repE0EEENS1_30default_config_static_selectorELNS0_4arch9wavefront6targetE1EEEvT1_,comdat
.Lfunc_end339:
	.size	_ZN7rocprim17ROCPRIM_400000_NS6detail17trampoline_kernelINS0_14default_configENS1_33run_length_encode_config_selectorIdjNS0_4plusIjEEEEZZNS1_33reduce_by_key_impl_wrapped_configILNS1_25lookback_scan_determinismE0ES3_S7_PKdNS0_17constant_iteratorIjlEEPdPlSF_S6_NS0_8equal_toIdEEEE10hipError_tPvRmT2_T3_mT4_T5_T6_T7_T8_P12ihipStream_tbENKUlT_T0_E_clISt17integral_constantIbLb0EESY_IbLb1EEEEDaSU_SV_EUlSU_E_NS1_11comp_targetILNS1_3genE8ELNS1_11target_archE1030ELNS1_3gpuE2ELNS1_3repE0EEENS1_30default_config_static_selectorELNS0_4arch9wavefront6targetE1EEEvT1_, .Lfunc_end339-_ZN7rocprim17ROCPRIM_400000_NS6detail17trampoline_kernelINS0_14default_configENS1_33run_length_encode_config_selectorIdjNS0_4plusIjEEEEZZNS1_33reduce_by_key_impl_wrapped_configILNS1_25lookback_scan_determinismE0ES3_S7_PKdNS0_17constant_iteratorIjlEEPdPlSF_S6_NS0_8equal_toIdEEEE10hipError_tPvRmT2_T3_mT4_T5_T6_T7_T8_P12ihipStream_tbENKUlT_T0_E_clISt17integral_constantIbLb0EESY_IbLb1EEEEDaSU_SV_EUlSU_E_NS1_11comp_targetILNS1_3genE8ELNS1_11target_archE1030ELNS1_3gpuE2ELNS1_3repE0EEENS1_30default_config_static_selectorELNS0_4arch9wavefront6targetE1EEEvT1_
                                        ; -- End function
	.section	.AMDGPU.csdata,"",@progbits
; Kernel info:
; codeLenInByte = 0
; NumSgprs: 6
; NumVgprs: 0
; NumAgprs: 0
; TotalNumVgprs: 0
; ScratchSize: 0
; MemoryBound: 0
; FloatMode: 240
; IeeeMode: 1
; LDSByteSize: 0 bytes/workgroup (compile time only)
; SGPRBlocks: 0
; VGPRBlocks: 0
; NumSGPRsForWavesPerEU: 6
; NumVGPRsForWavesPerEU: 1
; AccumOffset: 4
; Occupancy: 8
; WaveLimiterHint : 0
; COMPUTE_PGM_RSRC2:SCRATCH_EN: 0
; COMPUTE_PGM_RSRC2:USER_SGPR: 2
; COMPUTE_PGM_RSRC2:TRAP_HANDLER: 0
; COMPUTE_PGM_RSRC2:TGID_X_EN: 1
; COMPUTE_PGM_RSRC2:TGID_Y_EN: 0
; COMPUTE_PGM_RSRC2:TGID_Z_EN: 0
; COMPUTE_PGM_RSRC2:TIDIG_COMP_CNT: 0
; COMPUTE_PGM_RSRC3_GFX90A:ACCUM_OFFSET: 0
; COMPUTE_PGM_RSRC3_GFX90A:TG_SPLIT: 0
	.section	.text._ZN2at6native8internal12_GLOBAL__N_126adjacent_difference_kernelIPKfEEvlT_Pi,"axG",@progbits,_ZN2at6native8internal12_GLOBAL__N_126adjacent_difference_kernelIPKfEEvlT_Pi,comdat
	.globl	_ZN2at6native8internal12_GLOBAL__N_126adjacent_difference_kernelIPKfEEvlT_Pi ; -- Begin function _ZN2at6native8internal12_GLOBAL__N_126adjacent_difference_kernelIPKfEEvlT_Pi
	.p2align	8
	.type	_ZN2at6native8internal12_GLOBAL__N_126adjacent_difference_kernelIPKfEEvlT_Pi,@function
_ZN2at6native8internal12_GLOBAL__N_126adjacent_difference_kernelIPKfEEvlT_Pi: ; @_ZN2at6native8internal12_GLOBAL__N_126adjacent_difference_kernelIPKfEEvlT_Pi
; %bb.0:
	s_load_dword s3, s[0:1], 0x24
	s_load_dwordx4 s[4:7], s[0:1], 0x0
	s_add_u32 s10, s0, 24
	s_addc_u32 s11, s1, 0
	v_mov_b32_e32 v1, 0
	s_waitcnt lgkmcnt(0)
	s_and_b32 s12, s3, 0xffff
	v_mov_b32_e32 v2, s2
	v_mad_u64_u32 v[4:5], s[8:9], s12, v2, v[0:1]
	v_cmp_gt_i64_e32 vcc, s[4:5], v[4:5]
	s_and_saveexec_b64 s[8:9], vcc
	s_cbranch_execz .LBB340_5
; %bb.1:
	s_load_dword s13, s[10:11], 0x0
	s_load_dwordx2 s[8:9], s[0:1], 0x10
	s_mul_hi_u32 s1, s12, s2
	s_mul_i32 s0, s12, s2
	s_mov_b32 s3, 0
	s_waitcnt lgkmcnt(0)
	s_mul_i32 s2, s13, s12
	v_mov_b32_e32 v2, v1
	v_mov_b32_e32 v3, v4
	s_mov_b32 s10, s3
	s_mov_b32 s11, s2
	s_mov_b64 s[12:13], 0
	v_mov_b64_e32 v[4:5], v[0:1]
	s_branch .LBB340_3
.LBB340_2:                              ;   in Loop: Header=BB340_3 Depth=1
	s_or_b64 exec, exec, s[14:15]
	v_ashrrev_i64 v[6:7], 30, v[2:3]
	v_lshl_add_u64 v[6:7], s[8:9], 0, v[6:7]
	v_lshl_add_u64 v[4:5], v[4:5], 0, s[2:3]
	global_store_dword v[6:7], v0, off
	v_lshl_add_u64 v[6:7], s[0:1], 0, v[4:5]
	v_cmp_le_i64_e32 vcc, s[4:5], v[6:7]
	s_or_b64 s[12:13], vcc, s[12:13]
	v_lshl_add_u64 v[2:3], v[2:3], 0, s[10:11]
	s_andn2_b64 exec, exec, s[12:13]
	s_cbranch_execz .LBB340_5
.LBB340_3:                              ; =>This Inner Loop Header: Depth=1
	v_add_u32_e32 v0, s0, v4
	v_cmp_lt_i32_e32 vcc, 0, v0
	v_mov_b32_e32 v0, 0
	s_and_saveexec_b64 s[14:15], vcc
	s_cbranch_execz .LBB340_2
; %bb.4:                                ;   in Loop: Header=BB340_3 Depth=1
	v_add_u32_e32 v8, s0, v4
	v_and_b32_e32 v0, 0x7fffffff, v8
	v_lshl_add_u64 v[6:7], v[0:1], 2, s[6:7]
	v_add_u32_e32 v0, -1, v8
	v_lshl_add_u64 v[8:9], v[0:1], 2, s[6:7]
	global_load_dword v0, v[6:7], off
	global_load_dword v10, v[8:9], off
	s_waitcnt vmcnt(0)
	v_cmp_neq_f32_e32 vcc, v0, v10
	s_nop 1
	v_cndmask_b32_e64 v0, 0, 1, vcc
	s_branch .LBB340_2
.LBB340_5:
	s_endpgm
	.section	.rodata,"a",@progbits
	.p2align	6, 0x0
	.amdhsa_kernel _ZN2at6native8internal12_GLOBAL__N_126adjacent_difference_kernelIPKfEEvlT_Pi
		.amdhsa_group_segment_fixed_size 0
		.amdhsa_private_segment_fixed_size 0
		.amdhsa_kernarg_size 280
		.amdhsa_user_sgpr_count 2
		.amdhsa_user_sgpr_dispatch_ptr 0
		.amdhsa_user_sgpr_queue_ptr 0
		.amdhsa_user_sgpr_kernarg_segment_ptr 1
		.amdhsa_user_sgpr_dispatch_id 0
		.amdhsa_user_sgpr_kernarg_preload_length 0
		.amdhsa_user_sgpr_kernarg_preload_offset 0
		.amdhsa_user_sgpr_private_segment_size 0
		.amdhsa_uses_dynamic_stack 0
		.amdhsa_enable_private_segment 0
		.amdhsa_system_sgpr_workgroup_id_x 1
		.amdhsa_system_sgpr_workgroup_id_y 0
		.amdhsa_system_sgpr_workgroup_id_z 0
		.amdhsa_system_sgpr_workgroup_info 0
		.amdhsa_system_vgpr_workitem_id 0
		.amdhsa_next_free_vgpr 11
		.amdhsa_next_free_sgpr 16
		.amdhsa_accum_offset 12
		.amdhsa_reserve_vcc 1
		.amdhsa_float_round_mode_32 0
		.amdhsa_float_round_mode_16_64 0
		.amdhsa_float_denorm_mode_32 3
		.amdhsa_float_denorm_mode_16_64 3
		.amdhsa_dx10_clamp 1
		.amdhsa_ieee_mode 1
		.amdhsa_fp16_overflow 0
		.amdhsa_tg_split 0
		.amdhsa_exception_fp_ieee_invalid_op 0
		.amdhsa_exception_fp_denorm_src 0
		.amdhsa_exception_fp_ieee_div_zero 0
		.amdhsa_exception_fp_ieee_overflow 0
		.amdhsa_exception_fp_ieee_underflow 0
		.amdhsa_exception_fp_ieee_inexact 0
		.amdhsa_exception_int_div_zero 0
	.end_amdhsa_kernel
	.section	.text._ZN2at6native8internal12_GLOBAL__N_126adjacent_difference_kernelIPKfEEvlT_Pi,"axG",@progbits,_ZN2at6native8internal12_GLOBAL__N_126adjacent_difference_kernelIPKfEEvlT_Pi,comdat
.Lfunc_end340:
	.size	_ZN2at6native8internal12_GLOBAL__N_126adjacent_difference_kernelIPKfEEvlT_Pi, .Lfunc_end340-_ZN2at6native8internal12_GLOBAL__N_126adjacent_difference_kernelIPKfEEvlT_Pi
                                        ; -- End function
	.section	.AMDGPU.csdata,"",@progbits
; Kernel info:
; codeLenInByte = 292
; NumSgprs: 22
; NumVgprs: 11
; NumAgprs: 0
; TotalNumVgprs: 11
; ScratchSize: 0
; MemoryBound: 0
; FloatMode: 240
; IeeeMode: 1
; LDSByteSize: 0 bytes/workgroup (compile time only)
; SGPRBlocks: 2
; VGPRBlocks: 1
; NumSGPRsForWavesPerEU: 22
; NumVGPRsForWavesPerEU: 11
; AccumOffset: 12
; Occupancy: 8
; WaveLimiterHint : 0
; COMPUTE_PGM_RSRC2:SCRATCH_EN: 0
; COMPUTE_PGM_RSRC2:USER_SGPR: 2
; COMPUTE_PGM_RSRC2:TRAP_HANDLER: 0
; COMPUTE_PGM_RSRC2:TGID_X_EN: 1
; COMPUTE_PGM_RSRC2:TGID_Y_EN: 0
; COMPUTE_PGM_RSRC2:TGID_Z_EN: 0
; COMPUTE_PGM_RSRC2:TIDIG_COMP_CNT: 0
; COMPUTE_PGM_RSRC3_GFX90A:ACCUM_OFFSET: 2
; COMPUTE_PGM_RSRC3_GFX90A:TG_SPLIT: 0
	.section	.text._ZN7rocprim17ROCPRIM_400000_NS6detail17trampoline_kernelINS0_14default_configENS1_25partition_config_selectorILNS1_17partition_subalgoE8EfNS0_10empty_typeEbEEZZNS1_14partition_implILS5_8ELb0ES3_jPKfPS6_PKS6_NS0_5tupleIJPfS6_EEENSE_IJSB_SB_EEENS0_18inequality_wrapperIN6hipcub16HIPCUB_304000_NS8EqualityEEEPlJS6_EEE10hipError_tPvRmT3_T4_T5_T6_T7_T9_mT8_P12ihipStream_tbDpT10_ENKUlT_T0_E_clISt17integral_constantIbLb0EES17_EEDaS12_S13_EUlS12_E_NS1_11comp_targetILNS1_3genE0ELNS1_11target_archE4294967295ELNS1_3gpuE0ELNS1_3repE0EEENS1_30default_config_static_selectorELNS0_4arch9wavefront6targetE1EEEvT1_,"axG",@progbits,_ZN7rocprim17ROCPRIM_400000_NS6detail17trampoline_kernelINS0_14default_configENS1_25partition_config_selectorILNS1_17partition_subalgoE8EfNS0_10empty_typeEbEEZZNS1_14partition_implILS5_8ELb0ES3_jPKfPS6_PKS6_NS0_5tupleIJPfS6_EEENSE_IJSB_SB_EEENS0_18inequality_wrapperIN6hipcub16HIPCUB_304000_NS8EqualityEEEPlJS6_EEE10hipError_tPvRmT3_T4_T5_T6_T7_T9_mT8_P12ihipStream_tbDpT10_ENKUlT_T0_E_clISt17integral_constantIbLb0EES17_EEDaS12_S13_EUlS12_E_NS1_11comp_targetILNS1_3genE0ELNS1_11target_archE4294967295ELNS1_3gpuE0ELNS1_3repE0EEENS1_30default_config_static_selectorELNS0_4arch9wavefront6targetE1EEEvT1_,comdat
	.protected	_ZN7rocprim17ROCPRIM_400000_NS6detail17trampoline_kernelINS0_14default_configENS1_25partition_config_selectorILNS1_17partition_subalgoE8EfNS0_10empty_typeEbEEZZNS1_14partition_implILS5_8ELb0ES3_jPKfPS6_PKS6_NS0_5tupleIJPfS6_EEENSE_IJSB_SB_EEENS0_18inequality_wrapperIN6hipcub16HIPCUB_304000_NS8EqualityEEEPlJS6_EEE10hipError_tPvRmT3_T4_T5_T6_T7_T9_mT8_P12ihipStream_tbDpT10_ENKUlT_T0_E_clISt17integral_constantIbLb0EES17_EEDaS12_S13_EUlS12_E_NS1_11comp_targetILNS1_3genE0ELNS1_11target_archE4294967295ELNS1_3gpuE0ELNS1_3repE0EEENS1_30default_config_static_selectorELNS0_4arch9wavefront6targetE1EEEvT1_ ; -- Begin function _ZN7rocprim17ROCPRIM_400000_NS6detail17trampoline_kernelINS0_14default_configENS1_25partition_config_selectorILNS1_17partition_subalgoE8EfNS0_10empty_typeEbEEZZNS1_14partition_implILS5_8ELb0ES3_jPKfPS6_PKS6_NS0_5tupleIJPfS6_EEENSE_IJSB_SB_EEENS0_18inequality_wrapperIN6hipcub16HIPCUB_304000_NS8EqualityEEEPlJS6_EEE10hipError_tPvRmT3_T4_T5_T6_T7_T9_mT8_P12ihipStream_tbDpT10_ENKUlT_T0_E_clISt17integral_constantIbLb0EES17_EEDaS12_S13_EUlS12_E_NS1_11comp_targetILNS1_3genE0ELNS1_11target_archE4294967295ELNS1_3gpuE0ELNS1_3repE0EEENS1_30default_config_static_selectorELNS0_4arch9wavefront6targetE1EEEvT1_
	.globl	_ZN7rocprim17ROCPRIM_400000_NS6detail17trampoline_kernelINS0_14default_configENS1_25partition_config_selectorILNS1_17partition_subalgoE8EfNS0_10empty_typeEbEEZZNS1_14partition_implILS5_8ELb0ES3_jPKfPS6_PKS6_NS0_5tupleIJPfS6_EEENSE_IJSB_SB_EEENS0_18inequality_wrapperIN6hipcub16HIPCUB_304000_NS8EqualityEEEPlJS6_EEE10hipError_tPvRmT3_T4_T5_T6_T7_T9_mT8_P12ihipStream_tbDpT10_ENKUlT_T0_E_clISt17integral_constantIbLb0EES17_EEDaS12_S13_EUlS12_E_NS1_11comp_targetILNS1_3genE0ELNS1_11target_archE4294967295ELNS1_3gpuE0ELNS1_3repE0EEENS1_30default_config_static_selectorELNS0_4arch9wavefront6targetE1EEEvT1_
	.p2align	8
	.type	_ZN7rocprim17ROCPRIM_400000_NS6detail17trampoline_kernelINS0_14default_configENS1_25partition_config_selectorILNS1_17partition_subalgoE8EfNS0_10empty_typeEbEEZZNS1_14partition_implILS5_8ELb0ES3_jPKfPS6_PKS6_NS0_5tupleIJPfS6_EEENSE_IJSB_SB_EEENS0_18inequality_wrapperIN6hipcub16HIPCUB_304000_NS8EqualityEEEPlJS6_EEE10hipError_tPvRmT3_T4_T5_T6_T7_T9_mT8_P12ihipStream_tbDpT10_ENKUlT_T0_E_clISt17integral_constantIbLb0EES17_EEDaS12_S13_EUlS12_E_NS1_11comp_targetILNS1_3genE0ELNS1_11target_archE4294967295ELNS1_3gpuE0ELNS1_3repE0EEENS1_30default_config_static_selectorELNS0_4arch9wavefront6targetE1EEEvT1_,@function
_ZN7rocprim17ROCPRIM_400000_NS6detail17trampoline_kernelINS0_14default_configENS1_25partition_config_selectorILNS1_17partition_subalgoE8EfNS0_10empty_typeEbEEZZNS1_14partition_implILS5_8ELb0ES3_jPKfPS6_PKS6_NS0_5tupleIJPfS6_EEENSE_IJSB_SB_EEENS0_18inequality_wrapperIN6hipcub16HIPCUB_304000_NS8EqualityEEEPlJS6_EEE10hipError_tPvRmT3_T4_T5_T6_T7_T9_mT8_P12ihipStream_tbDpT10_ENKUlT_T0_E_clISt17integral_constantIbLb0EES17_EEDaS12_S13_EUlS12_E_NS1_11comp_targetILNS1_3genE0ELNS1_11target_archE4294967295ELNS1_3gpuE0ELNS1_3repE0EEENS1_30default_config_static_selectorELNS0_4arch9wavefront6targetE1EEEvT1_: ; @_ZN7rocprim17ROCPRIM_400000_NS6detail17trampoline_kernelINS0_14default_configENS1_25partition_config_selectorILNS1_17partition_subalgoE8EfNS0_10empty_typeEbEEZZNS1_14partition_implILS5_8ELb0ES3_jPKfPS6_PKS6_NS0_5tupleIJPfS6_EEENSE_IJSB_SB_EEENS0_18inequality_wrapperIN6hipcub16HIPCUB_304000_NS8EqualityEEEPlJS6_EEE10hipError_tPvRmT3_T4_T5_T6_T7_T9_mT8_P12ihipStream_tbDpT10_ENKUlT_T0_E_clISt17integral_constantIbLb0EES17_EEDaS12_S13_EUlS12_E_NS1_11comp_targetILNS1_3genE0ELNS1_11target_archE4294967295ELNS1_3gpuE0ELNS1_3repE0EEENS1_30default_config_static_selectorELNS0_4arch9wavefront6targetE1EEEvT1_
; %bb.0:
	.section	.rodata,"a",@progbits
	.p2align	6, 0x0
	.amdhsa_kernel _ZN7rocprim17ROCPRIM_400000_NS6detail17trampoline_kernelINS0_14default_configENS1_25partition_config_selectorILNS1_17partition_subalgoE8EfNS0_10empty_typeEbEEZZNS1_14partition_implILS5_8ELb0ES3_jPKfPS6_PKS6_NS0_5tupleIJPfS6_EEENSE_IJSB_SB_EEENS0_18inequality_wrapperIN6hipcub16HIPCUB_304000_NS8EqualityEEEPlJS6_EEE10hipError_tPvRmT3_T4_T5_T6_T7_T9_mT8_P12ihipStream_tbDpT10_ENKUlT_T0_E_clISt17integral_constantIbLb0EES17_EEDaS12_S13_EUlS12_E_NS1_11comp_targetILNS1_3genE0ELNS1_11target_archE4294967295ELNS1_3gpuE0ELNS1_3repE0EEENS1_30default_config_static_selectorELNS0_4arch9wavefront6targetE1EEEvT1_
		.amdhsa_group_segment_fixed_size 0
		.amdhsa_private_segment_fixed_size 0
		.amdhsa_kernarg_size 112
		.amdhsa_user_sgpr_count 2
		.amdhsa_user_sgpr_dispatch_ptr 0
		.amdhsa_user_sgpr_queue_ptr 0
		.amdhsa_user_sgpr_kernarg_segment_ptr 1
		.amdhsa_user_sgpr_dispatch_id 0
		.amdhsa_user_sgpr_kernarg_preload_length 0
		.amdhsa_user_sgpr_kernarg_preload_offset 0
		.amdhsa_user_sgpr_private_segment_size 0
		.amdhsa_uses_dynamic_stack 0
		.amdhsa_enable_private_segment 0
		.amdhsa_system_sgpr_workgroup_id_x 1
		.amdhsa_system_sgpr_workgroup_id_y 0
		.amdhsa_system_sgpr_workgroup_id_z 0
		.amdhsa_system_sgpr_workgroup_info 0
		.amdhsa_system_vgpr_workitem_id 0
		.amdhsa_next_free_vgpr 1
		.amdhsa_next_free_sgpr 0
		.amdhsa_accum_offset 4
		.amdhsa_reserve_vcc 0
		.amdhsa_float_round_mode_32 0
		.amdhsa_float_round_mode_16_64 0
		.amdhsa_float_denorm_mode_32 3
		.amdhsa_float_denorm_mode_16_64 3
		.amdhsa_dx10_clamp 1
		.amdhsa_ieee_mode 1
		.amdhsa_fp16_overflow 0
		.amdhsa_tg_split 0
		.amdhsa_exception_fp_ieee_invalid_op 0
		.amdhsa_exception_fp_denorm_src 0
		.amdhsa_exception_fp_ieee_div_zero 0
		.amdhsa_exception_fp_ieee_overflow 0
		.amdhsa_exception_fp_ieee_underflow 0
		.amdhsa_exception_fp_ieee_inexact 0
		.amdhsa_exception_int_div_zero 0
	.end_amdhsa_kernel
	.section	.text._ZN7rocprim17ROCPRIM_400000_NS6detail17trampoline_kernelINS0_14default_configENS1_25partition_config_selectorILNS1_17partition_subalgoE8EfNS0_10empty_typeEbEEZZNS1_14partition_implILS5_8ELb0ES3_jPKfPS6_PKS6_NS0_5tupleIJPfS6_EEENSE_IJSB_SB_EEENS0_18inequality_wrapperIN6hipcub16HIPCUB_304000_NS8EqualityEEEPlJS6_EEE10hipError_tPvRmT3_T4_T5_T6_T7_T9_mT8_P12ihipStream_tbDpT10_ENKUlT_T0_E_clISt17integral_constantIbLb0EES17_EEDaS12_S13_EUlS12_E_NS1_11comp_targetILNS1_3genE0ELNS1_11target_archE4294967295ELNS1_3gpuE0ELNS1_3repE0EEENS1_30default_config_static_selectorELNS0_4arch9wavefront6targetE1EEEvT1_,"axG",@progbits,_ZN7rocprim17ROCPRIM_400000_NS6detail17trampoline_kernelINS0_14default_configENS1_25partition_config_selectorILNS1_17partition_subalgoE8EfNS0_10empty_typeEbEEZZNS1_14partition_implILS5_8ELb0ES3_jPKfPS6_PKS6_NS0_5tupleIJPfS6_EEENSE_IJSB_SB_EEENS0_18inequality_wrapperIN6hipcub16HIPCUB_304000_NS8EqualityEEEPlJS6_EEE10hipError_tPvRmT3_T4_T5_T6_T7_T9_mT8_P12ihipStream_tbDpT10_ENKUlT_T0_E_clISt17integral_constantIbLb0EES17_EEDaS12_S13_EUlS12_E_NS1_11comp_targetILNS1_3genE0ELNS1_11target_archE4294967295ELNS1_3gpuE0ELNS1_3repE0EEENS1_30default_config_static_selectorELNS0_4arch9wavefront6targetE1EEEvT1_,comdat
.Lfunc_end341:
	.size	_ZN7rocprim17ROCPRIM_400000_NS6detail17trampoline_kernelINS0_14default_configENS1_25partition_config_selectorILNS1_17partition_subalgoE8EfNS0_10empty_typeEbEEZZNS1_14partition_implILS5_8ELb0ES3_jPKfPS6_PKS6_NS0_5tupleIJPfS6_EEENSE_IJSB_SB_EEENS0_18inequality_wrapperIN6hipcub16HIPCUB_304000_NS8EqualityEEEPlJS6_EEE10hipError_tPvRmT3_T4_T5_T6_T7_T9_mT8_P12ihipStream_tbDpT10_ENKUlT_T0_E_clISt17integral_constantIbLb0EES17_EEDaS12_S13_EUlS12_E_NS1_11comp_targetILNS1_3genE0ELNS1_11target_archE4294967295ELNS1_3gpuE0ELNS1_3repE0EEENS1_30default_config_static_selectorELNS0_4arch9wavefront6targetE1EEEvT1_, .Lfunc_end341-_ZN7rocprim17ROCPRIM_400000_NS6detail17trampoline_kernelINS0_14default_configENS1_25partition_config_selectorILNS1_17partition_subalgoE8EfNS0_10empty_typeEbEEZZNS1_14partition_implILS5_8ELb0ES3_jPKfPS6_PKS6_NS0_5tupleIJPfS6_EEENSE_IJSB_SB_EEENS0_18inequality_wrapperIN6hipcub16HIPCUB_304000_NS8EqualityEEEPlJS6_EEE10hipError_tPvRmT3_T4_T5_T6_T7_T9_mT8_P12ihipStream_tbDpT10_ENKUlT_T0_E_clISt17integral_constantIbLb0EES17_EEDaS12_S13_EUlS12_E_NS1_11comp_targetILNS1_3genE0ELNS1_11target_archE4294967295ELNS1_3gpuE0ELNS1_3repE0EEENS1_30default_config_static_selectorELNS0_4arch9wavefront6targetE1EEEvT1_
                                        ; -- End function
	.section	.AMDGPU.csdata,"",@progbits
; Kernel info:
; codeLenInByte = 0
; NumSgprs: 6
; NumVgprs: 0
; NumAgprs: 0
; TotalNumVgprs: 0
; ScratchSize: 0
; MemoryBound: 0
; FloatMode: 240
; IeeeMode: 1
; LDSByteSize: 0 bytes/workgroup (compile time only)
; SGPRBlocks: 0
; VGPRBlocks: 0
; NumSGPRsForWavesPerEU: 6
; NumVGPRsForWavesPerEU: 1
; AccumOffset: 4
; Occupancy: 8
; WaveLimiterHint : 0
; COMPUTE_PGM_RSRC2:SCRATCH_EN: 0
; COMPUTE_PGM_RSRC2:USER_SGPR: 2
; COMPUTE_PGM_RSRC2:TRAP_HANDLER: 0
; COMPUTE_PGM_RSRC2:TGID_X_EN: 1
; COMPUTE_PGM_RSRC2:TGID_Y_EN: 0
; COMPUTE_PGM_RSRC2:TGID_Z_EN: 0
; COMPUTE_PGM_RSRC2:TIDIG_COMP_CNT: 0
; COMPUTE_PGM_RSRC3_GFX90A:ACCUM_OFFSET: 0
; COMPUTE_PGM_RSRC3_GFX90A:TG_SPLIT: 0
	.section	.text._ZN7rocprim17ROCPRIM_400000_NS6detail17trampoline_kernelINS0_14default_configENS1_25partition_config_selectorILNS1_17partition_subalgoE8EfNS0_10empty_typeEbEEZZNS1_14partition_implILS5_8ELb0ES3_jPKfPS6_PKS6_NS0_5tupleIJPfS6_EEENSE_IJSB_SB_EEENS0_18inequality_wrapperIN6hipcub16HIPCUB_304000_NS8EqualityEEEPlJS6_EEE10hipError_tPvRmT3_T4_T5_T6_T7_T9_mT8_P12ihipStream_tbDpT10_ENKUlT_T0_E_clISt17integral_constantIbLb0EES17_EEDaS12_S13_EUlS12_E_NS1_11comp_targetILNS1_3genE5ELNS1_11target_archE942ELNS1_3gpuE9ELNS1_3repE0EEENS1_30default_config_static_selectorELNS0_4arch9wavefront6targetE1EEEvT1_,"axG",@progbits,_ZN7rocprim17ROCPRIM_400000_NS6detail17trampoline_kernelINS0_14default_configENS1_25partition_config_selectorILNS1_17partition_subalgoE8EfNS0_10empty_typeEbEEZZNS1_14partition_implILS5_8ELb0ES3_jPKfPS6_PKS6_NS0_5tupleIJPfS6_EEENSE_IJSB_SB_EEENS0_18inequality_wrapperIN6hipcub16HIPCUB_304000_NS8EqualityEEEPlJS6_EEE10hipError_tPvRmT3_T4_T5_T6_T7_T9_mT8_P12ihipStream_tbDpT10_ENKUlT_T0_E_clISt17integral_constantIbLb0EES17_EEDaS12_S13_EUlS12_E_NS1_11comp_targetILNS1_3genE5ELNS1_11target_archE942ELNS1_3gpuE9ELNS1_3repE0EEENS1_30default_config_static_selectorELNS0_4arch9wavefront6targetE1EEEvT1_,comdat
	.protected	_ZN7rocprim17ROCPRIM_400000_NS6detail17trampoline_kernelINS0_14default_configENS1_25partition_config_selectorILNS1_17partition_subalgoE8EfNS0_10empty_typeEbEEZZNS1_14partition_implILS5_8ELb0ES3_jPKfPS6_PKS6_NS0_5tupleIJPfS6_EEENSE_IJSB_SB_EEENS0_18inequality_wrapperIN6hipcub16HIPCUB_304000_NS8EqualityEEEPlJS6_EEE10hipError_tPvRmT3_T4_T5_T6_T7_T9_mT8_P12ihipStream_tbDpT10_ENKUlT_T0_E_clISt17integral_constantIbLb0EES17_EEDaS12_S13_EUlS12_E_NS1_11comp_targetILNS1_3genE5ELNS1_11target_archE942ELNS1_3gpuE9ELNS1_3repE0EEENS1_30default_config_static_selectorELNS0_4arch9wavefront6targetE1EEEvT1_ ; -- Begin function _ZN7rocprim17ROCPRIM_400000_NS6detail17trampoline_kernelINS0_14default_configENS1_25partition_config_selectorILNS1_17partition_subalgoE8EfNS0_10empty_typeEbEEZZNS1_14partition_implILS5_8ELb0ES3_jPKfPS6_PKS6_NS0_5tupleIJPfS6_EEENSE_IJSB_SB_EEENS0_18inequality_wrapperIN6hipcub16HIPCUB_304000_NS8EqualityEEEPlJS6_EEE10hipError_tPvRmT3_T4_T5_T6_T7_T9_mT8_P12ihipStream_tbDpT10_ENKUlT_T0_E_clISt17integral_constantIbLb0EES17_EEDaS12_S13_EUlS12_E_NS1_11comp_targetILNS1_3genE5ELNS1_11target_archE942ELNS1_3gpuE9ELNS1_3repE0EEENS1_30default_config_static_selectorELNS0_4arch9wavefront6targetE1EEEvT1_
	.globl	_ZN7rocprim17ROCPRIM_400000_NS6detail17trampoline_kernelINS0_14default_configENS1_25partition_config_selectorILNS1_17partition_subalgoE8EfNS0_10empty_typeEbEEZZNS1_14partition_implILS5_8ELb0ES3_jPKfPS6_PKS6_NS0_5tupleIJPfS6_EEENSE_IJSB_SB_EEENS0_18inequality_wrapperIN6hipcub16HIPCUB_304000_NS8EqualityEEEPlJS6_EEE10hipError_tPvRmT3_T4_T5_T6_T7_T9_mT8_P12ihipStream_tbDpT10_ENKUlT_T0_E_clISt17integral_constantIbLb0EES17_EEDaS12_S13_EUlS12_E_NS1_11comp_targetILNS1_3genE5ELNS1_11target_archE942ELNS1_3gpuE9ELNS1_3repE0EEENS1_30default_config_static_selectorELNS0_4arch9wavefront6targetE1EEEvT1_
	.p2align	8
	.type	_ZN7rocprim17ROCPRIM_400000_NS6detail17trampoline_kernelINS0_14default_configENS1_25partition_config_selectorILNS1_17partition_subalgoE8EfNS0_10empty_typeEbEEZZNS1_14partition_implILS5_8ELb0ES3_jPKfPS6_PKS6_NS0_5tupleIJPfS6_EEENSE_IJSB_SB_EEENS0_18inequality_wrapperIN6hipcub16HIPCUB_304000_NS8EqualityEEEPlJS6_EEE10hipError_tPvRmT3_T4_T5_T6_T7_T9_mT8_P12ihipStream_tbDpT10_ENKUlT_T0_E_clISt17integral_constantIbLb0EES17_EEDaS12_S13_EUlS12_E_NS1_11comp_targetILNS1_3genE5ELNS1_11target_archE942ELNS1_3gpuE9ELNS1_3repE0EEENS1_30default_config_static_selectorELNS0_4arch9wavefront6targetE1EEEvT1_,@function
_ZN7rocprim17ROCPRIM_400000_NS6detail17trampoline_kernelINS0_14default_configENS1_25partition_config_selectorILNS1_17partition_subalgoE8EfNS0_10empty_typeEbEEZZNS1_14partition_implILS5_8ELb0ES3_jPKfPS6_PKS6_NS0_5tupleIJPfS6_EEENSE_IJSB_SB_EEENS0_18inequality_wrapperIN6hipcub16HIPCUB_304000_NS8EqualityEEEPlJS6_EEE10hipError_tPvRmT3_T4_T5_T6_T7_T9_mT8_P12ihipStream_tbDpT10_ENKUlT_T0_E_clISt17integral_constantIbLb0EES17_EEDaS12_S13_EUlS12_E_NS1_11comp_targetILNS1_3genE5ELNS1_11target_archE942ELNS1_3gpuE9ELNS1_3repE0EEENS1_30default_config_static_selectorELNS0_4arch9wavefront6targetE1EEEvT1_: ; @_ZN7rocprim17ROCPRIM_400000_NS6detail17trampoline_kernelINS0_14default_configENS1_25partition_config_selectorILNS1_17partition_subalgoE8EfNS0_10empty_typeEbEEZZNS1_14partition_implILS5_8ELb0ES3_jPKfPS6_PKS6_NS0_5tupleIJPfS6_EEENSE_IJSB_SB_EEENS0_18inequality_wrapperIN6hipcub16HIPCUB_304000_NS8EqualityEEEPlJS6_EEE10hipError_tPvRmT3_T4_T5_T6_T7_T9_mT8_P12ihipStream_tbDpT10_ENKUlT_T0_E_clISt17integral_constantIbLb0EES17_EEDaS12_S13_EUlS12_E_NS1_11comp_targetILNS1_3genE5ELNS1_11target_archE942ELNS1_3gpuE9ELNS1_3repE0EEENS1_30default_config_static_selectorELNS0_4arch9wavefront6targetE1EEEvT1_
; %bb.0:
	s_load_dwordx2 s[8:9], s[0:1], 0x50
	s_load_dwordx4 s[4:7], s[0:1], 0x8
	s_load_dwordx4 s[36:39], s[0:1], 0x40
	s_load_dword s3, s[0:1], 0x68
	s_waitcnt lgkmcnt(0)
	v_mov_b32_e32 v3, s9
	s_lshl_b64 s[10:11], s[6:7], 2
	s_add_u32 s10, s4, s10
	s_mul_i32 s9, s3, 0x1e00
	s_addc_u32 s11, s5, s11
	s_add_i32 s12, s3, -1
	s_add_i32 s3, s9, s6
	s_sub_i32 s3, s8, s3
	v_mov_b32_e32 v2, s8
	s_add_u32 s8, s6, s9
	s_addc_u32 s9, s7, 0
	s_cmp_eq_u32 s2, s12
	s_load_dwordx2 s[34:35], s[38:39], 0x0
	v_cmp_ge_u64_e32 vcc, s[8:9], v[2:3]
	s_cselect_b64 s[38:39], -1, 0
	s_mul_i32 s4, s2, 0x1e00
	s_mov_b32 s5, 0
	s_and_b64 s[42:43], s[38:39], vcc
	s_xor_b64 s[40:41], s[42:43], -1
	s_lshl_b64 s[4:5], s[4:5], 2
	s_add_u32 s4, s10, s4
	s_mov_b64 s[8:9], -1
	s_addc_u32 s5, s11, s5
	s_and_b64 vcc, exec, s[40:41]
	s_cbranch_vccz .LBB342_2
; %bb.1:
	v_lshlrev_b32_e32 v2, 2, v0
	v_mov_b32_e32 v3, 0
	v_lshl_add_u64 v[4:5], s[4:5], 0, v[2:3]
	v_add_co_u32_e32 v6, vcc, 0x1000, v4
	global_load_dword v1, v2, s[4:5]
	global_load_dword v3, v2, s[4:5] offset:2048
	v_addc_co_u32_e32 v7, vcc, 0, v5, vcc
	v_add_co_u32_e32 v8, vcc, 0x2000, v4
	s_mov_b64 s[8:9], 0
	s_nop 0
	v_addc_co_u32_e32 v9, vcc, 0, v5, vcc
	v_add_co_u32_e32 v10, vcc, 0x3000, v4
	s_nop 1
	v_addc_co_u32_e32 v11, vcc, 0, v5, vcc
	v_add_co_u32_e32 v12, vcc, 0x4000, v4
	s_nop 1
	v_addc_co_u32_e32 v13, vcc, 0, v5, vcc
	global_load_dword v14, v[6:7], off
	global_load_dword v15, v[6:7], off offset:2048
	global_load_dword v16, v[8:9], off
	global_load_dword v17, v[8:9], off offset:2048
	;; [unrolled: 2-line block ×4, first 2 shown]
	v_add_co_u32_e32 v6, vcc, 0x5000, v4
	s_nop 1
	v_addc_co_u32_e32 v7, vcc, 0, v5, vcc
	v_add_co_u32_e32 v8, vcc, 0x6000, v4
	s_nop 1
	v_addc_co_u32_e32 v9, vcc, 0, v5, vcc
	global_load_dword v10, v[6:7], off
	global_load_dword v11, v[6:7], off offset:2048
	global_load_dword v12, v[8:9], off
	global_load_dword v13, v[8:9], off offset:2048
	v_add_co_u32_e32 v4, vcc, 0x7000, v4
	s_nop 1
	v_addc_co_u32_e32 v5, vcc, 0, v5, vcc
	global_load_dword v4, v[4:5], off
	s_waitcnt vmcnt(13)
	ds_write2st64_b32 v2, v1, v3 offset1:8
	s_waitcnt vmcnt(11)
	ds_write2st64_b32 v2, v14, v15 offset0:16 offset1:24
	s_waitcnt vmcnt(9)
	ds_write2st64_b32 v2, v16, v17 offset0:32 offset1:40
	;; [unrolled: 2-line block ×6, first 2 shown]
	s_waitcnt vmcnt(0)
	ds_write_b32 v2, v4 offset:28672
	s_waitcnt lgkmcnt(0)
	s_barrier
.LBB342_2:
	s_andn2_b64 vcc, exec, s[8:9]
	s_addk_i32 s3, 0x1e00
	s_cbranch_vccnz .LBB342_34
; %bb.3:
	v_cmp_gt_u32_e32 vcc, s3, v0
                                        ; implicit-def: $vgpr2_vgpr3_vgpr4_vgpr5_vgpr6_vgpr7_vgpr8_vgpr9_vgpr10_vgpr11_vgpr12_vgpr13_vgpr14_vgpr15_vgpr16_vgpr17
	s_and_saveexec_b64 s[8:9], vcc
	s_cbranch_execz .LBB342_5
; %bb.4:
	v_lshlrev_b32_e32 v1, 2, v0
	global_load_dword v2, v1, s[4:5]
.LBB342_5:
	s_or_b64 exec, exec, s[8:9]
	v_or_b32_e32 v1, 0x200, v0
	v_cmp_gt_u32_e32 vcc, s3, v1
	s_and_saveexec_b64 s[8:9], vcc
	s_cbranch_execz .LBB342_7
; %bb.6:
	v_lshlrev_b32_e32 v1, 2, v0
	global_load_dword v3, v1, s[4:5] offset:2048
.LBB342_7:
	s_or_b64 exec, exec, s[8:9]
	v_or_b32_e32 v1, 0x400, v0
	v_cmp_gt_u32_e32 vcc, s3, v1
	s_and_saveexec_b64 s[8:9], vcc
	s_cbranch_execz .LBB342_9
; %bb.8:
	v_lshlrev_b32_e32 v1, 2, v1
	global_load_dword v4, v1, s[4:5]
.LBB342_9:
	s_or_b64 exec, exec, s[8:9]
	v_or_b32_e32 v1, 0x600, v0
	v_cmp_gt_u32_e32 vcc, s3, v1
	s_and_saveexec_b64 s[8:9], vcc
	s_cbranch_execz .LBB342_11
; %bb.10:
	v_lshlrev_b32_e32 v1, 2, v1
	global_load_dword v5, v1, s[4:5]
.LBB342_11:
	;; [unrolled: 9-line block ×13, first 2 shown]
	s_or_b64 exec, exec, s[8:9]
	v_lshlrev_b32_e32 v1, 2, v0
	s_waitcnt vmcnt(0)
	ds_write2st64_b32 v1, v2, v3 offset1:8
	ds_write2st64_b32 v1, v4, v5 offset0:16 offset1:24
	ds_write2st64_b32 v1, v6, v7 offset0:32 offset1:40
	;; [unrolled: 1-line block ×6, first 2 shown]
	ds_write_b32 v1, v16 offset:28672
	s_waitcnt lgkmcnt(0)
	s_barrier
.LBB342_34:
	v_mul_u32_u24_e32 v10, 15, v0
	v_lshlrev_b32_e32 v17, 2, v10
	s_waitcnt lgkmcnt(0)
	ds_read2_b32 v[30:31], v17 offset1:1
	ds_read2_b32 v[28:29], v17 offset0:2 offset1:3
	ds_read2_b32 v[26:27], v17 offset0:4 offset1:5
	ds_read2_b32 v[24:25], v17 offset0:6 offset1:7
	ds_read2_b32 v[22:23], v17 offset0:8 offset1:9
	ds_read2_b32 v[20:21], v17 offset0:10 offset1:11
	ds_read2_b32 v[18:19], v17 offset0:12 offset1:13
	ds_read_b32 v1, v17 offset:56
	s_cmp_lg_u32 s2, 0
	s_cselect_b64 s[44:45], -1, 0
	s_cmp_lg_u64 s[6:7], 0
	s_cselect_b64 s[6:7], -1, 0
	s_or_b64 s[6:7], s[44:45], s[6:7]
	v_mad_u32_u24 v15, v0, 15, 1
	v_mad_u32_u24 v11, v0, 15, 2
	;; [unrolled: 1-line block ×14, first 2 shown]
	s_mov_b64 s[46:47], 0
	s_and_b64 vcc, exec, s[6:7]
	s_waitcnt lgkmcnt(0)
	s_barrier
	s_cbranch_vccz .LBB342_39
; %bb.35:
	s_add_u32 s4, s4, -4
	s_addc_u32 s5, s5, -1
	s_load_dword s8, s[4:5], 0x0
	v_lshlrev_b32_e32 v32, 2, v0
	s_and_b64 vcc, exec, s[40:41]
	ds_write_b32 v32, v1
	s_cbranch_vccz .LBB342_41
; %bb.36:
	v_cmp_ne_u32_e32 vcc, 0, v0
	s_waitcnt lgkmcnt(0)
	v_mov_b32_e32 v33, s8
	s_barrier
	s_and_saveexec_b64 s[4:5], vcc
	s_cbranch_execz .LBB342_38
; %bb.37:
	v_add_u32_e32 v33, -4, v32
	ds_read_b32 v33, v33
.LBB342_38:
	s_or_b64 exec, exec, s[4:5]
	v_cmp_neq_f32_e32 vcc, v19, v1
	s_waitcnt lgkmcnt(0)
	v_cmp_neq_f32_e64 s[4:5], v33, v30
	v_cndmask_b32_e64 v35, 0, 1, vcc
	v_cmp_neq_f32_e32 vcc, v18, v19
	s_nop 1
	v_cndmask_b32_e64 v36, 0, 1, vcc
	v_cmp_neq_f32_e32 vcc, v21, v18
	s_nop 1
	;; [unrolled: 3-line block ×13, first 2 shown]
	v_cndmask_b32_e64 v48, 0, 1, vcc
	s_branch .LBB342_45
.LBB342_39:
                                        ; implicit-def: $sgpr4_sgpr5
                                        ; implicit-def: $vgpr35
                                        ; implicit-def: $vgpr36
                                        ; implicit-def: $vgpr37
                                        ; implicit-def: $vgpr38
                                        ; implicit-def: $vgpr39
                                        ; implicit-def: $vgpr40
                                        ; implicit-def: $vgpr41
                                        ; implicit-def: $vgpr42
                                        ; implicit-def: $vgpr48
                                        ; implicit-def: $vgpr47
                                        ; implicit-def: $vgpr46
                                        ; implicit-def: $vgpr45
                                        ; implicit-def: $vgpr44
                                        ; implicit-def: $vgpr43
	s_branch .LBB342_46
.LBB342_40:
                                        ; implicit-def: $sgpr8
	s_branch .LBB342_54
.LBB342_41:
                                        ; implicit-def: $sgpr4_sgpr5
                                        ; implicit-def: $vgpr35
                                        ; implicit-def: $vgpr36
                                        ; implicit-def: $vgpr37
                                        ; implicit-def: $vgpr38
                                        ; implicit-def: $vgpr39
                                        ; implicit-def: $vgpr40
                                        ; implicit-def: $vgpr41
                                        ; implicit-def: $vgpr42
                                        ; implicit-def: $vgpr48
                                        ; implicit-def: $vgpr47
                                        ; implicit-def: $vgpr46
                                        ; implicit-def: $vgpr45
                                        ; implicit-def: $vgpr44
                                        ; implicit-def: $vgpr43
	s_cbranch_execz .LBB342_45
; %bb.42:
	v_cmp_ne_u32_e32 vcc, 0, v0
	s_waitcnt lgkmcnt(0)
	v_mov_b32_e32 v33, s8
	s_barrier
	s_and_saveexec_b64 s[4:5], vcc
	s_cbranch_execz .LBB342_44
; %bb.43:
	v_add_u32_e32 v32, -4, v32
	ds_read_b32 v33, v32
.LBB342_44:
	s_or_b64 exec, exec, s[4:5]
	v_cmp_gt_u32_e32 vcc, s3, v2
	v_cmp_neq_f32_e64 s[4:5], v19, v1
	s_and_b64 s[4:5], vcc, s[4:5]
	v_cmp_gt_u32_e32 vcc, s3, v5
	v_cndmask_b32_e64 v35, 0, 1, s[4:5]
	v_cmp_neq_f32_e64 s[4:5], v18, v19
	s_and_b64 s[4:5], vcc, s[4:5]
	v_cmp_gt_u32_e32 vcc, s3, v4
	v_cndmask_b32_e64 v36, 0, 1, s[4:5]
	;; [unrolled: 4-line block ×14, first 2 shown]
	s_waitcnt lgkmcnt(0)
	v_cmp_neq_f32_e64 s[4:5], v33, v30
	s_and_b64 s[4:5], vcc, s[4:5]
.LBB342_45:
	s_mov_b64 s[46:47], -1
	s_cbranch_execnz .LBB342_40
.LBB342_46:
	s_movk_i32 s4, 0xffc8
	v_mad_i32_i24 v17, v0, s4, v17
	s_and_b64 vcc, exec, s[40:41]
	v_cmp_neq_f32_e64 s[30:31], v19, v1
	v_cmp_neq_f32_e64 s[4:5], v18, v19
	;; [unrolled: 1-line block ×3, first 2 shown]
	s_waitcnt lgkmcnt(0)
	v_cmp_neq_f32_e64 s[8:9], v20, v21
	v_cmp_neq_f32_e64 s[10:11], v23, v20
	;; [unrolled: 1-line block ×11, first 2 shown]
	ds_write_b32 v17, v1
	s_cbranch_vccz .LBB342_50
; %bb.47:
	v_cndmask_b32_e64 v35, 0, 1, s[30:31]
	v_cndmask_b32_e64 v36, 0, 1, s[4:5]
	;; [unrolled: 1-line block ×14, first 2 shown]
	v_cmp_ne_u32_e32 vcc, 0, v0
	s_waitcnt lgkmcnt(0)
	s_barrier
	s_waitcnt lgkmcnt(0)
                                        ; implicit-def: $sgpr4_sgpr5
	s_and_saveexec_b64 s[6:7], vcc
	s_xor_b64 s[6:7], exec, s[6:7]
	s_cbranch_execz .LBB342_49
; %bb.48:
	v_add_u32_e32 v32, -4, v17
	ds_read_b32 v32, v32
	s_or_b64 s[46:47], s[46:47], exec
	s_waitcnt lgkmcnt(0)
	v_cmp_neq_f32_e32 vcc, v32, v30
	s_and_b64 s[4:5], vcc, exec
.LBB342_49:
	s_or_b64 exec, exec, s[6:7]
	s_mov_b32 s8, 1
	s_branch .LBB342_54
.LBB342_50:
                                        ; implicit-def: $sgpr4_sgpr5
                                        ; implicit-def: $vgpr35
                                        ; implicit-def: $vgpr36
                                        ; implicit-def: $vgpr37
                                        ; implicit-def: $vgpr38
                                        ; implicit-def: $vgpr39
                                        ; implicit-def: $vgpr40
                                        ; implicit-def: $vgpr41
                                        ; implicit-def: $vgpr42
                                        ; implicit-def: $vgpr48
                                        ; implicit-def: $vgpr47
                                        ; implicit-def: $vgpr46
                                        ; implicit-def: $vgpr45
                                        ; implicit-def: $vgpr44
                                        ; implicit-def: $vgpr43
                                        ; implicit-def: $sgpr8
	s_cbranch_execz .LBB342_54
; %bb.51:
	v_cmp_gt_u32_e32 vcc, s3, v2
	v_cmp_neq_f32_e64 s[4:5], v19, v1
	s_and_b64 s[4:5], vcc, s[4:5]
	v_cmp_gt_u32_e32 vcc, s3, v5
	v_cndmask_b32_e64 v35, 0, 1, s[4:5]
	v_cmp_neq_f32_e64 s[4:5], v18, v19
	s_and_b64 s[4:5], vcc, s[4:5]
	v_cmp_gt_u32_e32 vcc, s3, v4
	v_cndmask_b32_e64 v36, 0, 1, s[4:5]
	;; [unrolled: 4-line block ×13, first 2 shown]
	v_cmp_neq_f32_e64 s[4:5], v30, v31
	s_and_b64 s[4:5], vcc, s[4:5]
	v_cmp_ne_u32_e32 vcc, 0, v0
	v_cndmask_b32_e64 v48, 0, 1, s[4:5]
	s_waitcnt lgkmcnt(0)
	s_barrier
	s_waitcnt lgkmcnt(0)
                                        ; implicit-def: $sgpr4_sgpr5
	s_and_saveexec_b64 s[6:7], vcc
	s_cbranch_execz .LBB342_53
; %bb.52:
	v_add_u32_e32 v17, -4, v17
	ds_read_b32 v17, v17
	v_cmp_gt_u32_e32 vcc, s3, v10
	s_or_b64 s[46:47], s[46:47], exec
	s_waitcnt lgkmcnt(0)
	v_cmp_neq_f32_e64 s[4:5], v17, v30
	s_and_b64 s[4:5], vcc, s[4:5]
	s_and_b64 s[4:5], s[4:5], exec
.LBB342_53:
	s_or_b64 exec, exec, s[6:7]
	s_mov_b32 s8, 1
.LBB342_54:
	s_waitcnt lgkmcnt(0)
	v_mov_b32_e32 v49, s8
	s_and_saveexec_b64 s[6:7], s[46:47]
; %bb.55:
	v_cndmask_b32_e64 v49, 0, 1, s[4:5]
; %bb.56:
	s_or_b64 exec, exec, s[6:7]
	s_load_dwordx2 s[20:21], s[0:1], 0x60
	s_andn2_b64 vcc, exec, s[42:43]
	s_cbranch_vccnz .LBB342_58
; %bb.57:
	v_cmp_gt_u32_e32 vcc, s3, v10
	s_nop 1
	v_cndmask_b32_e32 v49, 0, v49, vcc
	v_cmp_gt_u32_e32 vcc, s3, v15
	s_nop 1
	v_cndmask_b32_e32 v48, 0, v48, vcc
	;; [unrolled: 3-line block ×15, first 2 shown]
.LBB342_58:
	v_and_b32_e32 v54, 0xff, v45
	v_and_b32_e32 v55, 0xff, v44
	;; [unrolled: 1-line block ×5, first 2 shown]
	v_add3_u32 v3, v55, v56, v54
	v_and_b32_e32 v50, 0xff, v49
	v_and_b32_e32 v51, 0xff, v48
	v_add3_u32 v3, v3, v53, v52
	v_and_b32_e32 v57, 0xff, v42
	v_and_b32_e32 v58, 0xff, v41
	;; [unrolled: 3-line block ×5, first 2 shown]
	v_add3_u32 v3, v3, v61, v62
	v_add3_u32 v66, v3, v63, v2
	v_mbcnt_lo_u32_b32 v2, -1, 0
	v_mbcnt_hi_u32_b32 v64, -1, v2
	v_and_b32_e32 v2, 15, v64
	v_cmp_eq_u32_e64 s[14:15], 0, v2
	v_cmp_lt_u32_e64 s[12:13], 1, v2
	v_cmp_lt_u32_e64 s[10:11], 3, v2
	v_cmp_lt_u32_e64 s[8:9], 7, v2
	v_and_b32_e32 v2, 16, v64
	v_cmp_eq_u32_e64 s[6:7], 0, v2
	v_or_b32_e32 v2, 63, v0
	v_cmp_lt_u32_e64 s[18:19], 31, v64
	v_lshrrev_b32_e32 v65, 6, v0
	v_cmp_eq_u32_e64 s[4:5], v2, v0
	s_and_b64 vcc, exec, s[44:45]
	s_waitcnt lgkmcnt(0)
	s_barrier
	s_cbranch_vccz .LBB342_85
; %bb.59:
	v_mov_b32_dpp v2, v66 row_shr:1 row_mask:0xf bank_mask:0xf
	v_cndmask_b32_e64 v2, v2, 0, s[14:15]
	v_add_u32_e32 v2, v2, v66
	s_nop 1
	v_mov_b32_dpp v3, v2 row_shr:2 row_mask:0xf bank_mask:0xf
	v_cndmask_b32_e64 v3, 0, v3, s[12:13]
	v_add_u32_e32 v2, v2, v3
	s_nop 1
	;; [unrolled: 4-line block ×4, first 2 shown]
	v_mov_b32_dpp v3, v2 row_bcast:15 row_mask:0xf bank_mask:0xf
	v_cndmask_b32_e64 v3, v3, 0, s[6:7]
	v_add_u32_e32 v2, v2, v3
	s_nop 1
	v_mov_b32_dpp v3, v2 row_bcast:31 row_mask:0xf bank_mask:0xf
	v_cndmask_b32_e64 v3, 0, v3, s[18:19]
	v_add_u32_e32 v2, v2, v3
	s_and_saveexec_b64 s[16:17], s[4:5]
	s_cbranch_execz .LBB342_61
; %bb.60:
	v_lshlrev_b32_e32 v3, 2, v65
	ds_write_b32 v3, v2
.LBB342_61:
	s_or_b64 exec, exec, s[16:17]
	v_cmp_gt_u32_e32 vcc, 8, v0
	s_waitcnt lgkmcnt(0)
	s_barrier
	s_and_saveexec_b64 s[16:17], vcc
	s_cbranch_execz .LBB342_63
; %bb.62:
	v_lshlrev_b32_e32 v3, 2, v0
	ds_read_b32 v4, v3
	v_and_b32_e32 v5, 7, v64
	v_cmp_ne_u32_e32 vcc, 0, v5
	s_waitcnt lgkmcnt(0)
	v_mov_b32_dpp v6, v4 row_shr:1 row_mask:0xf bank_mask:0xf
	v_cndmask_b32_e32 v6, 0, v6, vcc
	v_add_u32_e32 v4, v6, v4
	v_cmp_lt_u32_e32 vcc, 1, v5
	s_nop 0
	v_mov_b32_dpp v6, v4 row_shr:2 row_mask:0xf bank_mask:0xf
	v_cndmask_b32_e32 v6, 0, v6, vcc
	v_add_u32_e32 v4, v4, v6
	v_cmp_lt_u32_e32 vcc, 3, v5
	s_nop 0
	v_mov_b32_dpp v6, v4 row_shr:4 row_mask:0xf bank_mask:0xf
	v_cndmask_b32_e32 v5, 0, v6, vcc
	v_add_u32_e32 v4, v4, v5
	ds_write_b32 v3, v4
.LBB342_63:
	s_or_b64 exec, exec, s[16:17]
	v_cmp_gt_u32_e32 vcc, 64, v0
	v_cmp_lt_u32_e64 s[16:17], 63, v0
	s_waitcnt lgkmcnt(0)
	s_barrier
	s_waitcnt lgkmcnt(0)
                                        ; implicit-def: $vgpr12
	s_and_saveexec_b64 s[22:23], s[16:17]
	s_cbranch_execz .LBB342_65
; %bb.64:
	v_lshl_add_u32 v3, v65, 2, -4
	ds_read_b32 v12, v3
	s_waitcnt lgkmcnt(0)
	v_add_u32_e32 v2, v12, v2
.LBB342_65:
	s_or_b64 exec, exec, s[22:23]
	v_add_u32_e32 v3, -1, v64
	v_and_b32_e32 v4, 64, v64
	v_cmp_lt_i32_e64 s[16:17], v3, v4
	s_nop 1
	v_cndmask_b32_e64 v3, v3, v64, s[16:17]
	v_lshlrev_b32_e32 v3, 2, v3
	ds_bpermute_b32 v13, v3, v2
	v_cmp_eq_u32_e64 s[16:17], 0, v64
	s_and_saveexec_b64 s[22:23], vcc
	s_cbranch_execz .LBB342_84
; %bb.66:
	v_mov_b32_e32 v9, 0
	ds_read_b32 v2, v9 offset:28
	s_and_saveexec_b64 s[24:25], s[16:17]
	s_cbranch_execz .LBB342_68
; %bb.67:
	s_add_i32 s26, s2, 64
	s_mov_b32 s27, 0
	s_lshl_b64 s[26:27], s[26:27], 3
	s_add_u32 s26, s20, s26
	v_mov_b32_e32 v3, 1
	s_addc_u32 s27, s21, s27
	s_waitcnt lgkmcnt(0)
	global_store_dwordx2 v9, v[2:3], s[26:27] sc1
.LBB342_68:
	s_or_b64 exec, exec, s[24:25]
	v_xad_u32 v4, v64, -1, s2
	v_add_u32_e32 v8, 64, v4
	v_lshl_add_u64 v[10:11], v[8:9], 3, s[20:21]
	global_load_dwordx2 v[6:7], v[10:11], off sc1
	s_waitcnt vmcnt(0)
	v_cmp_eq_u16_sdwa s[26:27], v7, v9 src0_sel:BYTE_0 src1_sel:DWORD
	s_and_saveexec_b64 s[24:25], s[26:27]
	s_cbranch_execz .LBB342_72
; %bb.69:
	s_mov_b64 s[26:27], 0
	v_mov_b32_e32 v3, 0
.LBB342_70:                             ; =>This Inner Loop Header: Depth=1
	global_load_dwordx2 v[6:7], v[10:11], off sc1
	s_waitcnt vmcnt(0)
	v_cmp_ne_u16_sdwa s[28:29], v7, v3 src0_sel:BYTE_0 src1_sel:DWORD
	s_or_b64 s[26:27], s[28:29], s[26:27]
	s_andn2_b64 exec, exec, s[26:27]
	s_cbranch_execnz .LBB342_70
; %bb.71:
	s_or_b64 exec, exec, s[26:27]
.LBB342_72:
	s_or_b64 exec, exec, s[24:25]
	v_and_b32_e32 v15, 63, v64
	v_mov_b32_e32 v14, 2
	v_cmp_ne_u32_e32 vcc, 63, v15
	v_cmp_eq_u16_sdwa s[24:25], v7, v14 src0_sel:BYTE_0 src1_sel:DWORD
	v_lshlrev_b64 v[8:9], v64, -1
	v_addc_co_u32_e32 v10, vcc, 0, v64, vcc
	v_and_b32_e32 v3, s25, v9
	v_lshlrev_b32_e32 v16, 2, v10
	v_or_b32_e32 v3, 0x80000000, v3
	ds_bpermute_b32 v10, v16, v6
	v_and_b32_e32 v5, s24, v8
	v_ffbl_b32_e32 v3, v3
	v_add_u32_e32 v3, 32, v3
	v_ffbl_b32_e32 v5, v5
	v_min_u32_e32 v3, v5, v3
	v_cmp_lt_u32_e32 vcc, v15, v3
	v_add_u32_e32 v32, 2, v15
	v_add_u32_e32 v34, 4, v15
	s_waitcnt lgkmcnt(0)
	v_cndmask_b32_e32 v5, 0, v10, vcc
	v_cmp_gt_u32_e32 vcc, 62, v15
	v_add_u32_e32 v5, v5, v6
	v_add_u32_e32 v68, 8, v15
	v_cndmask_b32_e64 v6, 0, 1, vcc
	v_lshlrev_b32_e32 v6, 1, v6
	v_add_lshl_u32 v17, v6, v64, 2
	ds_bpermute_b32 v6, v17, v5
	v_cmp_le_u32_e32 vcc, v32, v3
	v_add_u32_e32 v70, 16, v15
	v_add_u32_e32 v72, 32, v15
	s_waitcnt lgkmcnt(0)
	v_cndmask_b32_e32 v6, 0, v6, vcc
	v_cmp_gt_u32_e32 vcc, 60, v15
	v_add_u32_e32 v5, v5, v6
	s_nop 0
	v_cndmask_b32_e64 v6, 0, 1, vcc
	v_lshlrev_b32_e32 v6, 2, v6
	v_add_lshl_u32 v33, v6, v64, 2
	ds_bpermute_b32 v6, v33, v5
	v_cmp_le_u32_e32 vcc, v34, v3
	s_waitcnt lgkmcnt(0)
	s_nop 0
	v_cndmask_b32_e32 v6, 0, v6, vcc
	v_cmp_gt_u32_e32 vcc, 56, v15
	v_add_u32_e32 v5, v5, v6
	s_nop 0
	v_cndmask_b32_e64 v6, 0, 1, vcc
	v_lshlrev_b32_e32 v6, 3, v6
	v_add_lshl_u32 v67, v6, v64, 2
	ds_bpermute_b32 v6, v67, v5
	v_cmp_le_u32_e32 vcc, v68, v3
	s_waitcnt lgkmcnt(0)
	s_nop 0
	;; [unrolled: 11-line block ×4, first 2 shown]
	v_cndmask_b32_e32 v3, 0, v6, vcc
	v_add_u32_e32 v6, v5, v3
	v_mov_b32_e32 v5, 0
	s_branch .LBB342_74
.LBB342_73:                             ;   in Loop: Header=BB342_74 Depth=1
	s_or_b64 exec, exec, s[24:25]
	v_cmp_eq_u16_sdwa s[24:25], v7, v14 src0_sel:BYTE_0 src1_sel:DWORD
	ds_bpermute_b32 v73, v16, v6
	v_subrev_u32_e32 v4, 64, v4
	v_and_b32_e32 v10, s25, v9
	v_or_b32_e32 v10, 0x80000000, v10
	v_and_b32_e32 v11, s24, v8
	v_ffbl_b32_e32 v10, v10
	v_add_u32_e32 v10, 32, v10
	v_ffbl_b32_e32 v11, v11
	v_min_u32_e32 v10, v11, v10
	v_cmp_lt_u32_e32 vcc, v15, v10
	s_waitcnt lgkmcnt(0)
	s_nop 0
	v_cndmask_b32_e32 v11, 0, v73, vcc
	v_add_u32_e32 v6, v11, v6
	ds_bpermute_b32 v11, v17, v6
	v_cmp_le_u32_e32 vcc, v32, v10
	s_waitcnt lgkmcnt(0)
	s_nop 0
	v_cndmask_b32_e32 v11, 0, v11, vcc
	v_add_u32_e32 v6, v6, v11
	ds_bpermute_b32 v11, v33, v6
	v_cmp_le_u32_e32 vcc, v34, v10
	;; [unrolled: 6-line block ×5, first 2 shown]
	s_waitcnt lgkmcnt(0)
	s_nop 0
	v_cndmask_b32_e32 v10, 0, v11, vcc
	v_add3_u32 v6, v10, v3, v6
.LBB342_74:                             ; =>This Loop Header: Depth=1
                                        ;     Child Loop BB342_77 Depth 2
	v_cmp_ne_u16_sdwa s[24:25], v7, v14 src0_sel:BYTE_0 src1_sel:DWORD
	s_nop 1
	v_cndmask_b32_e64 v3, 0, 1, s[24:25]
	;;#ASMSTART
	;;#ASMEND
	s_nop 0
	v_cmp_ne_u32_e32 vcc, 0, v3
	s_cmp_lg_u64 vcc, exec
	v_mov_b32_e32 v3, v6
	s_cbranch_scc1 .LBB342_79
; %bb.75:                               ;   in Loop: Header=BB342_74 Depth=1
	v_lshl_add_u64 v[10:11], v[4:5], 3, s[20:21]
	global_load_dwordx2 v[6:7], v[10:11], off sc1
	s_waitcnt vmcnt(0)
	v_cmp_eq_u16_sdwa s[26:27], v7, v5 src0_sel:BYTE_0 src1_sel:DWORD
	s_and_saveexec_b64 s[24:25], s[26:27]
	s_cbranch_execz .LBB342_73
; %bb.76:                               ;   in Loop: Header=BB342_74 Depth=1
	s_mov_b64 s[26:27], 0
.LBB342_77:                             ;   Parent Loop BB342_74 Depth=1
                                        ; =>  This Inner Loop Header: Depth=2
	global_load_dwordx2 v[6:7], v[10:11], off sc1
	s_waitcnt vmcnt(0)
	v_cmp_ne_u16_sdwa s[28:29], v7, v5 src0_sel:BYTE_0 src1_sel:DWORD
	s_or_b64 s[26:27], s[28:29], s[26:27]
	s_andn2_b64 exec, exec, s[26:27]
	s_cbranch_execnz .LBB342_77
; %bb.78:                               ;   in Loop: Header=BB342_74 Depth=1
	s_or_b64 exec, exec, s[26:27]
	s_branch .LBB342_73
.LBB342_79:                             ;   in Loop: Header=BB342_74 Depth=1
                                        ; implicit-def: $vgpr6
                                        ; implicit-def: $vgpr7
	s_cbranch_execz .LBB342_74
; %bb.80:
	s_and_saveexec_b64 s[24:25], s[16:17]
	s_cbranch_execz .LBB342_82
; %bb.81:
	s_add_i32 s2, s2, 64
	s_mov_b32 s3, 0
	s_lshl_b64 s[2:3], s[2:3], 3
	s_add_u32 s2, s20, s2
	v_add_u32_e32 v4, v3, v2
	v_mov_b32_e32 v5, 2
	s_addc_u32 s3, s21, s3
	v_mov_b32_e32 v6, 0
	global_store_dwordx2 v6, v[4:5], s[2:3] sc1
	ds_write_b64 v6, v[2:3] offset:30720
.LBB342_82:
	s_or_b64 exec, exec, s[24:25]
	v_cmp_eq_u32_e32 vcc, 0, v0
	s_and_b64 exec, exec, vcc
	s_cbranch_execz .LBB342_84
; %bb.83:
	v_mov_b32_e32 v2, 0
	ds_write_b32 v2, v3 offset:28
.LBB342_84:
	s_or_b64 exec, exec, s[22:23]
	v_mov_b32_e32 v14, 0
	s_waitcnt lgkmcnt(0)
	s_barrier
	ds_read_b32 v2, v14 offset:28
	v_cndmask_b32_e64 v3, v13, v12, s[16:17]
	v_cmp_ne_u32_e32 vcc, 0, v0
	s_waitcnt lgkmcnt(0)
	s_barrier
	v_cndmask_b32_e32 v3, 0, v3, vcc
	v_add_u32_e32 v2, v2, v3
	v_add_u32_e32 v3, v2, v50
	;; [unrolled: 1-line block ×10, first 2 shown]
	ds_read_b64 v[32:33], v14 offset:30720
	v_add_u32_e32 v12, v11, v59
	v_add_u32_e32 v13, v12, v60
	;; [unrolled: 1-line block ×5, first 2 shown]
	s_waitcnt lgkmcnt(0)
	v_mov_b32_e32 v34, v33
	s_load_dwordx2 s[2:3], s[0:1], 0x28
	s_branch .LBB342_95
.LBB342_85:
                                        ; implicit-def: $vgpr34
                                        ; implicit-def: $vgpr32
                                        ; implicit-def: $vgpr2_vgpr3_vgpr4_vgpr5_vgpr6_vgpr7_vgpr8_vgpr9_vgpr10_vgpr11_vgpr12_vgpr13_vgpr14_vgpr15_vgpr16_vgpr17
	s_load_dwordx2 s[2:3], s[0:1], 0x28
	s_cbranch_execz .LBB342_95
; %bb.86:
	v_mov_b32_dpp v2, v66 row_shr:1 row_mask:0xf bank_mask:0xf
	v_cndmask_b32_e64 v2, v2, 0, s[14:15]
	v_add_u32_e32 v2, v2, v66
	s_nop 1
	v_mov_b32_dpp v3, v2 row_shr:2 row_mask:0xf bank_mask:0xf
	v_cndmask_b32_e64 v3, 0, v3, s[12:13]
	v_add_u32_e32 v2, v2, v3
	s_nop 1
	;; [unrolled: 4-line block ×4, first 2 shown]
	v_mov_b32_dpp v3, v2 row_bcast:15 row_mask:0xf bank_mask:0xf
	v_cndmask_b32_e64 v3, v3, 0, s[6:7]
	v_add_u32_e32 v2, v2, v3
	s_nop 1
	v_mov_b32_dpp v3, v2 row_bcast:31 row_mask:0xf bank_mask:0xf
	v_cndmask_b32_e64 v3, 0, v3, s[18:19]
	v_add_u32_e32 v2, v2, v3
	s_and_saveexec_b64 s[0:1], s[4:5]
	s_cbranch_execz .LBB342_88
; %bb.87:
	v_lshlrev_b32_e32 v3, 2, v65
	ds_write_b32 v3, v2
.LBB342_88:
	s_or_b64 exec, exec, s[0:1]
	v_cmp_gt_u32_e32 vcc, 8, v0
	s_waitcnt lgkmcnt(0)
	s_barrier
	s_and_saveexec_b64 s[0:1], vcc
	s_cbranch_execz .LBB342_90
; %bb.89:
	v_lshlrev_b32_e32 v3, 2, v0
	ds_read_b32 v4, v3
	v_and_b32_e32 v5, 7, v64
	v_cmp_ne_u32_e32 vcc, 0, v5
	s_waitcnt lgkmcnt(0)
	v_mov_b32_dpp v6, v4 row_shr:1 row_mask:0xf bank_mask:0xf
	v_cndmask_b32_e32 v6, 0, v6, vcc
	v_add_u32_e32 v4, v6, v4
	v_cmp_lt_u32_e32 vcc, 1, v5
	s_nop 0
	v_mov_b32_dpp v6, v4 row_shr:2 row_mask:0xf bank_mask:0xf
	v_cndmask_b32_e32 v6, 0, v6, vcc
	v_add_u32_e32 v4, v4, v6
	v_cmp_lt_u32_e32 vcc, 3, v5
	s_nop 0
	v_mov_b32_dpp v6, v4 row_shr:4 row_mask:0xf bank_mask:0xf
	v_cndmask_b32_e32 v5, 0, v6, vcc
	v_add_u32_e32 v4, v4, v5
	ds_write_b32 v3, v4
.LBB342_90:
	s_or_b64 exec, exec, s[0:1]
	v_cmp_lt_u32_e32 vcc, 63, v0
	v_mov_b32_e32 v4, 0
	v_mov_b32_e32 v3, 0
	s_waitcnt lgkmcnt(0)
	s_barrier
	s_and_saveexec_b64 s[0:1], vcc
	s_cbranch_execz .LBB342_92
; %bb.91:
	v_lshl_add_u32 v3, v65, 2, -4
	ds_read_b32 v3, v3
.LBB342_92:
	s_or_b64 exec, exec, s[0:1]
	v_add_u32_e32 v5, -1, v64
	v_and_b32_e32 v6, 64, v64
	v_cmp_lt_i32_e32 vcc, v5, v6
	s_waitcnt lgkmcnt(0)
	v_add_u32_e32 v2, v3, v2
	ds_read_b32 v32, v4 offset:28
	v_cndmask_b32_e32 v5, v5, v64, vcc
	v_lshlrev_b32_e32 v5, 2, v5
	ds_bpermute_b32 v2, v5, v2
	v_cmp_eq_u32_e32 vcc, 0, v0
	s_and_saveexec_b64 s[0:1], vcc
	s_cbranch_execz .LBB342_94
; %bb.93:
	v_mov_b32_e32 v4, 0
	v_mov_b32_e32 v33, 2
	s_waitcnt lgkmcnt(1)
	global_store_dwordx2 v4, v[32:33], s[20:21] offset:512 sc1
.LBB342_94:
	s_or_b64 exec, exec, s[0:1]
	v_cmp_eq_u32_e64 s[0:1], 0, v64
	v_mov_b32_e32 v34, 0
	s_waitcnt lgkmcnt(0)
	v_cndmask_b32_e64 v2, v2, v3, s[0:1]
	v_cndmask_b32_e64 v2, v2, 0, vcc
	v_add_u32_e32 v3, v2, v50
	v_add_u32_e32 v4, v3, v51
	v_add_u32_e32 v5, v4, v52
	v_add_u32_e32 v6, v5, v53
	v_add_u32_e32 v7, v6, v54
	v_add_u32_e32 v8, v7, v55
	v_add_u32_e32 v9, v8, v56
	v_add_u32_e32 v10, v9, v57
	v_add_u32_e32 v11, v10, v58
	v_add_u32_e32 v12, v11, v59
	v_add_u32_e32 v13, v12, v60
	v_add_u32_e32 v14, v13, v61
	v_add_u32_e32 v15, v14, v62
	v_add_u32_e32 v16, v15, v63
	s_barrier
.LBB342_95:
	s_movk_i32 s0, 0x201
	v_cmp_gt_u32_e32 vcc, s0, v32
	s_mov_b64 s[0:1], -1
	s_cbranch_vccnz .LBB342_99
; %bb.96:
	s_and_b64 vcc, exec, s[0:1]
	s_cbranch_vccnz .LBB342_145
.LBB342_97:
	v_cmp_eq_u32_e32 vcc, 0, v0
	s_and_b64 s[0:1], vcc, s[38:39]
	s_waitcnt lgkmcnt(0)
	s_and_saveexec_b64 s[2:3], s[0:1]
	s_cbranch_execnz .LBB342_189
.LBB342_98:
	s_endpgm
.LBB342_99:
	v_add_u32_e32 v17, v34, v32
	s_lshl_b64 s[0:1], s[34:35], 2
	s_waitcnt lgkmcnt(0)
	s_add_u32 s0, s2, s0
	v_cmp_lt_u32_e32 vcc, v2, v17
	s_addc_u32 s1, s3, s1
	s_or_b64 s[6:7], s[40:41], vcc
	s_and_saveexec_b64 s[4:5], s[6:7]
	s_cbranch_execz .LBB342_102
; %bb.100:
	v_and_b32_e32 v33, 1, v49
	v_cmp_eq_u32_e32 vcc, 1, v33
	s_and_b64 exec, exec, vcc
	s_cbranch_execz .LBB342_102
; %bb.101:
	v_mov_b32_e32 v51, 0
	v_mov_b32_e32 v50, v2
	v_lshl_add_u64 v[50:51], v[50:51], 2, s[0:1]
	global_store_dword v[50:51], v30, off
.LBB342_102:
	s_or_b64 exec, exec, s[4:5]
	v_cmp_lt_u32_e32 vcc, v3, v17
	s_or_b64 s[6:7], s[40:41], vcc
	s_and_saveexec_b64 s[4:5], s[6:7]
	s_cbranch_execz .LBB342_105
; %bb.103:
	v_and_b32_e32 v33, 1, v48
	v_cmp_eq_u32_e32 vcc, 1, v33
	s_and_b64 exec, exec, vcc
	s_cbranch_execz .LBB342_105
; %bb.104:
	v_mov_b32_e32 v51, 0
	v_mov_b32_e32 v50, v3
	v_lshl_add_u64 v[50:51], v[50:51], 2, s[0:1]
	global_store_dword v[50:51], v31, off
.LBB342_105:
	s_or_b64 exec, exec, s[4:5]
	v_cmp_lt_u32_e32 vcc, v4, v17
	;; [unrolled: 16-line block ×14, first 2 shown]
	s_or_b64 s[6:7], s[40:41], vcc
	s_and_saveexec_b64 s[4:5], s[6:7]
	s_cbranch_execz .LBB342_144
; %bb.142:
	v_and_b32_e32 v17, 1, v35
	v_cmp_eq_u32_e32 vcc, 1, v17
	s_and_b64 exec, exec, vcc
	s_cbranch_execz .LBB342_144
; %bb.143:
	v_mov_b32_e32 v17, 0
	v_lshl_add_u64 v[50:51], v[16:17], 2, s[0:1]
	global_store_dword v[50:51], v1, off
.LBB342_144:
	s_or_b64 exec, exec, s[4:5]
	s_branch .LBB342_97
.LBB342_145:
	v_and_b32_e32 v17, 1, v49
	v_cmp_eq_u32_e32 vcc, 1, v17
	s_and_saveexec_b64 s[0:1], vcc
	s_cbranch_execz .LBB342_147
; %bb.146:
	v_sub_u32_e32 v2, v2, v34
	v_lshlrev_b32_e32 v2, 2, v2
	ds_write_b32 v2, v30
.LBB342_147:
	s_or_b64 exec, exec, s[0:1]
	v_and_b32_e32 v2, 1, v48
	v_cmp_eq_u32_e32 vcc, 1, v2
	s_and_saveexec_b64 s[0:1], vcc
	s_cbranch_execz .LBB342_149
; %bb.148:
	v_sub_u32_e32 v2, v3, v34
	v_lshlrev_b32_e32 v2, 2, v2
	ds_write_b32 v2, v31
.LBB342_149:
	s_or_b64 exec, exec, s[0:1]
	v_and_b32_e32 v2, 1, v47
	v_cmp_eq_u32_e32 vcc, 1, v2
	s_and_saveexec_b64 s[0:1], vcc
	s_cbranch_execz .LBB342_151
; %bb.150:
	v_sub_u32_e32 v2, v4, v34
	v_lshlrev_b32_e32 v2, 2, v2
	ds_write_b32 v2, v28
.LBB342_151:
	s_or_b64 exec, exec, s[0:1]
	v_and_b32_e32 v2, 1, v46
	v_cmp_eq_u32_e32 vcc, 1, v2
	s_and_saveexec_b64 s[0:1], vcc
	s_cbranch_execz .LBB342_153
; %bb.152:
	v_sub_u32_e32 v2, v5, v34
	v_lshlrev_b32_e32 v2, 2, v2
	ds_write_b32 v2, v29
.LBB342_153:
	s_or_b64 exec, exec, s[0:1]
	v_and_b32_e32 v2, 1, v45
	v_cmp_eq_u32_e32 vcc, 1, v2
	s_and_saveexec_b64 s[0:1], vcc
	s_cbranch_execz .LBB342_155
; %bb.154:
	v_sub_u32_e32 v2, v6, v34
	v_lshlrev_b32_e32 v2, 2, v2
	ds_write_b32 v2, v26
.LBB342_155:
	s_or_b64 exec, exec, s[0:1]
	v_and_b32_e32 v2, 1, v44
	v_cmp_eq_u32_e32 vcc, 1, v2
	s_and_saveexec_b64 s[0:1], vcc
	s_cbranch_execz .LBB342_157
; %bb.156:
	v_sub_u32_e32 v2, v7, v34
	v_lshlrev_b32_e32 v2, 2, v2
	ds_write_b32 v2, v27
.LBB342_157:
	s_or_b64 exec, exec, s[0:1]
	v_and_b32_e32 v2, 1, v43
	v_cmp_eq_u32_e32 vcc, 1, v2
	s_and_saveexec_b64 s[0:1], vcc
	s_cbranch_execz .LBB342_159
; %bb.158:
	v_sub_u32_e32 v2, v8, v34
	v_lshlrev_b32_e32 v2, 2, v2
	ds_write_b32 v2, v24
.LBB342_159:
	s_or_b64 exec, exec, s[0:1]
	v_and_b32_e32 v2, 1, v42
	v_cmp_eq_u32_e32 vcc, 1, v2
	s_and_saveexec_b64 s[0:1], vcc
	s_cbranch_execz .LBB342_161
; %bb.160:
	v_sub_u32_e32 v2, v9, v34
	v_lshlrev_b32_e32 v2, 2, v2
	ds_write_b32 v2, v25
.LBB342_161:
	s_or_b64 exec, exec, s[0:1]
	v_and_b32_e32 v2, 1, v41
	v_cmp_eq_u32_e32 vcc, 1, v2
	s_and_saveexec_b64 s[0:1], vcc
	s_cbranch_execz .LBB342_163
; %bb.162:
	v_sub_u32_e32 v2, v10, v34
	v_lshlrev_b32_e32 v2, 2, v2
	ds_write_b32 v2, v22
.LBB342_163:
	s_or_b64 exec, exec, s[0:1]
	v_and_b32_e32 v2, 1, v40
	v_cmp_eq_u32_e32 vcc, 1, v2
	s_and_saveexec_b64 s[0:1], vcc
	s_cbranch_execz .LBB342_165
; %bb.164:
	v_sub_u32_e32 v2, v11, v34
	v_lshlrev_b32_e32 v2, 2, v2
	ds_write_b32 v2, v23
.LBB342_165:
	s_or_b64 exec, exec, s[0:1]
	v_and_b32_e32 v2, 1, v39
	v_cmp_eq_u32_e32 vcc, 1, v2
	s_and_saveexec_b64 s[0:1], vcc
	s_cbranch_execz .LBB342_167
; %bb.166:
	v_sub_u32_e32 v2, v12, v34
	v_lshlrev_b32_e32 v2, 2, v2
	ds_write_b32 v2, v20
.LBB342_167:
	s_or_b64 exec, exec, s[0:1]
	v_and_b32_e32 v2, 1, v38
	v_cmp_eq_u32_e32 vcc, 1, v2
	s_and_saveexec_b64 s[0:1], vcc
	s_cbranch_execz .LBB342_169
; %bb.168:
	v_sub_u32_e32 v2, v13, v34
	v_lshlrev_b32_e32 v2, 2, v2
	ds_write_b32 v2, v21
.LBB342_169:
	s_or_b64 exec, exec, s[0:1]
	v_and_b32_e32 v2, 1, v37
	v_cmp_eq_u32_e32 vcc, 1, v2
	s_and_saveexec_b64 s[0:1], vcc
	s_cbranch_execz .LBB342_171
; %bb.170:
	v_sub_u32_e32 v2, v14, v34
	v_lshlrev_b32_e32 v2, 2, v2
	ds_write_b32 v2, v18
.LBB342_171:
	s_or_b64 exec, exec, s[0:1]
	v_and_b32_e32 v2, 1, v36
	v_cmp_eq_u32_e32 vcc, 1, v2
	s_and_saveexec_b64 s[0:1], vcc
	s_cbranch_execz .LBB342_173
; %bb.172:
	v_sub_u32_e32 v2, v15, v34
	v_lshlrev_b32_e32 v2, 2, v2
	ds_write_b32 v2, v19
.LBB342_173:
	s_or_b64 exec, exec, s[0:1]
	v_and_b32_e32 v2, 1, v35
	v_cmp_eq_u32_e32 vcc, 1, v2
	s_and_saveexec_b64 s[0:1], vcc
	s_cbranch_execz .LBB342_175
; %bb.174:
	v_sub_u32_e32 v2, v16, v34
	v_lshlrev_b32_e32 v2, 2, v2
	ds_write_b32 v2, v1
.LBB342_175:
	s_or_b64 exec, exec, s[0:1]
	v_cmp_lt_u32_e32 vcc, v0, v32
	s_waitcnt lgkmcnt(0)
	s_barrier
	s_and_saveexec_b64 s[0:1], vcc
	s_cbranch_execz .LBB342_188
; %bb.176:
	s_lshl_b64 s[4:5], s[34:35], 2
	v_mov_b32_e32 v35, 0
	s_add_u32 s2, s2, s4
	s_addc_u32 s3, s3, s5
	v_lshlrev_b64 v[2:3], 2, v[34:35]
	v_lshl_add_u64 v[2:3], s[2:3], 0, v[2:3]
	v_xad_u32 v1, v0, -1, v32
	s_movk_i32 s2, 0x1ff
	v_cmp_lt_u32_e32 vcc, s2, v1
	s_mov_b64 s[4:5], -1
	v_mov_b32_e32 v4, v0
	s_and_saveexec_b64 s[2:3], vcc
	s_cbranch_execz .LBB342_185
; %bb.177:
	v_lshrrev_b32_e32 v8, 9, v1
	v_add_u32_e32 v4, -1, v8
	v_or_b32_e32 v1, 0x200, v0
	v_lshrrev_b32_e32 v5, 1, v4
	v_add_u32_e32 v10, 1, v5
	v_cmp_lt_u32_e32 vcc, 13, v4
	v_lshlrev_b32_e32 v9, 2, v0
	v_mov_b64_e32 v[4:5], v[0:1]
	s_and_saveexec_b64 s[4:5], vcc
	s_cbranch_execz .LBB342_181
; %bb.178:
	v_and_b32_e32 v11, -8, v10
	s_mov_b32 s8, 0
	s_mov_b64 s[6:7], 0
	v_mov_b32_e32 v7, 0
	v_mov_b32_e32 v12, v9
	v_mov_b64_e32 v[4:5], v[0:1]
.LBB342_179:                            ; =>This Inner Loop Header: Depth=1
	ds_read2st64_b32 v[14:15], v12 offset1:8
	v_mov_b32_e32 v6, v4
	ds_read2st64_b32 v[26:27], v12 offset0:48 offset1:56
	v_lshl_add_u64 v[48:49], v[6:7], 2, v[2:3]
	v_mov_b32_e32 v6, v5
	ds_read2st64_b32 v[18:19], v12 offset0:16 offset1:24
	ds_read2st64_b32 v[30:31], v12 offset0:64 offset1:72
	v_lshl_add_u64 v[50:51], v[6:7], 2, v[2:3]
	v_add_u32_e32 v6, 0x400, v4
	ds_read2st64_b32 v[38:39], v12 offset0:80 offset1:88
	v_lshl_add_u64 v[52:53], v[6:7], 2, v[2:3]
	v_add_u32_e32 v6, 0x800, v4
	v_add_u32_e32 v16, 0x400, v5
	v_mov_b32_e32 v17, v7
	v_add_u32_e32 v20, 0x800, v5
	ds_read2st64_b32 v[22:23], v12 offset0:32 offset1:40
	v_mov_b32_e32 v21, v7
	ds_read2st64_b32 v[42:43], v12 offset0:96 offset1:104
	v_lshl_add_u64 v[54:55], v[6:7], 2, v[2:3]
	v_add_u32_e32 v6, 0xc00, v4
	v_add_u32_e32 v24, 0xc00, v5
	v_mov_b32_e32 v25, v7
	ds_read2st64_b32 v[46:47], v12 offset0:112 offset1:120
	v_lshl_add_u64 v[16:17], v[16:17], 2, v[2:3]
	v_lshl_add_u64 v[20:21], v[20:21], 2, v[2:3]
	s_waitcnt lgkmcnt(7)
	global_store_dword v[48:49], v14, off
	global_store_dword v[50:51], v15, off
	s_waitcnt lgkmcnt(5)
	global_store_dword v[52:53], v18, off
	global_store_dword v[16:17], v19, off
	;; [unrolled: 3-line block ×3, first 2 shown]
	v_lshl_add_u64 v[14:15], v[6:7], 2, v[2:3]
	v_add_u32_e32 v6, 0x1000, v4
	v_add_u32_e32 v28, 0x1000, v5
	v_mov_b32_e32 v29, v7
	v_lshl_add_u64 v[24:25], v[24:25], 2, v[2:3]
	global_store_dword v[14:15], v26, off
	global_store_dword v[24:25], v27, off
	v_lshl_add_u64 v[14:15], v[6:7], 2, v[2:3]
	v_add_u32_e32 v6, 0x1400, v4
	v_add_u32_e32 v36, 0x1400, v5
	v_mov_b32_e32 v37, v7
	v_add_u32_e32 v11, -8, v11
	v_lshl_add_u64 v[28:29], v[28:29], 2, v[2:3]
	global_store_dword v[14:15], v30, off
	global_store_dword v[28:29], v31, off
	v_lshl_add_u64 v[14:15], v[6:7], 2, v[2:3]
	v_add_u32_e32 v6, 0x1800, v4
	v_add_u32_e32 v40, 0x1800, v5
	v_mov_b32_e32 v41, v7
	s_add_i32 s8, s8, 16
	v_lshl_add_u64 v[36:37], v[36:37], 2, v[2:3]
	v_cmp_eq_u32_e32 vcc, 0, v11
	global_store_dword v[14:15], v38, off
	global_store_dword v[36:37], v39, off
	v_lshl_add_u64 v[14:15], v[6:7], 2, v[2:3]
	v_add_u32_e32 v6, 0x1c00, v4
	v_add_u32_e32 v44, 0x1c00, v5
	v_mov_b32_e32 v45, v7
	v_add_u32_e32 v12, 0x8000, v12
	v_lshl_add_u64 v[40:41], v[40:41], 2, v[2:3]
	v_add_u32_e32 v5, 0x2000, v5
	v_mov_b32_e32 v35, s8
	s_or_b64 s[6:7], vcc, s[6:7]
	v_add_u32_e32 v4, 0x2000, v4
	s_waitcnt lgkmcnt(1)
	global_store_dword v[14:15], v42, off
	global_store_dword v[40:41], v43, off
	v_lshl_add_u64 v[14:15], v[6:7], 2, v[2:3]
	v_lshl_add_u64 v[44:45], v[44:45], 2, v[2:3]
	s_waitcnt lgkmcnt(0)
	global_store_dword v[14:15], v46, off
	global_store_dword v[44:45], v47, off
	s_andn2_b64 exec, exec, s[6:7]
	s_cbranch_execnz .LBB342_179
; %bb.180:
	s_or_b64 exec, exec, s[6:7]
.LBB342_181:
	s_or_b64 exec, exec, s[4:5]
	v_and_b32_e32 v1, 7, v10
	v_cmp_ne_u32_e32 vcc, 0, v1
	s_and_saveexec_b64 s[4:5], vcc
	s_cbranch_execz .LBB342_184
; %bb.182:
	v_lshl_or_b32 v9, v35, 11, v9
	s_mov_b64 s[6:7], 0
	v_mov_b32_e32 v7, 0
.LBB342_183:                            ; =>This Inner Loop Header: Depth=1
	ds_read2st64_b32 v[10:11], v9 offset1:8
	v_add_u32_e32 v1, -1, v1
	v_mov_b32_e32 v6, v4
	v_cmp_eq_u32_e32 vcc, 0, v1
	v_add_u32_e32 v4, 0x400, v4
	v_add_u32_e32 v9, 0x1000, v9
	v_lshl_add_u64 v[12:13], v[6:7], 2, v[2:3]
	v_mov_b32_e32 v6, v5
	v_add_u32_e32 v5, 0x400, v5
	s_or_b64 s[6:7], vcc, s[6:7]
	v_lshl_add_u64 v[14:15], v[6:7], 2, v[2:3]
	s_waitcnt lgkmcnt(0)
	global_store_dword v[12:13], v10, off
	global_store_dword v[14:15], v11, off
	s_andn2_b64 exec, exec, s[6:7]
	s_cbranch_execnz .LBB342_183
.LBB342_184:
	s_or_b64 exec, exec, s[4:5]
	v_add_u32_e32 v1, 1, v8
	v_and_b32_e32 v5, 0xfffffe, v1
	v_cmp_ne_u32_e32 vcc, v1, v5
	v_lshl_or_b32 v4, v5, 9, v0
	s_orn2_b64 s[4:5], vcc, exec
.LBB342_185:
	s_or_b64 exec, exec, s[2:3]
	s_and_b64 exec, exec, s[4:5]
	s_cbranch_execz .LBB342_188
; %bb.186:
	v_lshlrev_b32_e32 v1, 2, v4
	s_mov_b64 s[2:3], 0
	v_mov_b32_e32 v5, 0
.LBB342_187:                            ; =>This Inner Loop Header: Depth=1
	ds_read_b32 v8, v1
	v_lshl_add_u64 v[6:7], v[4:5], 2, v[2:3]
	v_add_u32_e32 v4, 0x200, v4
	v_cmp_ge_u32_e32 vcc, v4, v32
	v_add_u32_e32 v1, 0x800, v1
	s_or_b64 s[2:3], vcc, s[2:3]
	s_waitcnt lgkmcnt(0)
	global_store_dword v[6:7], v8, off
	s_andn2_b64 exec, exec, s[2:3]
	s_cbranch_execnz .LBB342_187
.LBB342_188:
	s_or_b64 exec, exec, s[0:1]
	v_cmp_eq_u32_e32 vcc, 0, v0
	s_and_b64 s[0:1], vcc, s[38:39]
	s_and_saveexec_b64 s[2:3], s[0:1]
	s_cbranch_execz .LBB342_98
.LBB342_189:
	v_mov_b32_e32 v33, 0
	v_lshl_add_u64 v[0:1], s[34:35], 0, v[32:33]
	v_mov_b32_e32 v35, v33
	v_lshl_add_u64 v[0:1], v[0:1], 0, v[34:35]
	global_store_dwordx2 v33, v[0:1], s[36:37]
	s_endpgm
	.section	.rodata,"a",@progbits
	.p2align	6, 0x0
	.amdhsa_kernel _ZN7rocprim17ROCPRIM_400000_NS6detail17trampoline_kernelINS0_14default_configENS1_25partition_config_selectorILNS1_17partition_subalgoE8EfNS0_10empty_typeEbEEZZNS1_14partition_implILS5_8ELb0ES3_jPKfPS6_PKS6_NS0_5tupleIJPfS6_EEENSE_IJSB_SB_EEENS0_18inequality_wrapperIN6hipcub16HIPCUB_304000_NS8EqualityEEEPlJS6_EEE10hipError_tPvRmT3_T4_T5_T6_T7_T9_mT8_P12ihipStream_tbDpT10_ENKUlT_T0_E_clISt17integral_constantIbLb0EES17_EEDaS12_S13_EUlS12_E_NS1_11comp_targetILNS1_3genE5ELNS1_11target_archE942ELNS1_3gpuE9ELNS1_3repE0EEENS1_30default_config_static_selectorELNS0_4arch9wavefront6targetE1EEEvT1_
		.amdhsa_group_segment_fixed_size 30728
		.amdhsa_private_segment_fixed_size 0
		.amdhsa_kernarg_size 112
		.amdhsa_user_sgpr_count 2
		.amdhsa_user_sgpr_dispatch_ptr 0
		.amdhsa_user_sgpr_queue_ptr 0
		.amdhsa_user_sgpr_kernarg_segment_ptr 1
		.amdhsa_user_sgpr_dispatch_id 0
		.amdhsa_user_sgpr_kernarg_preload_length 0
		.amdhsa_user_sgpr_kernarg_preload_offset 0
		.amdhsa_user_sgpr_private_segment_size 0
		.amdhsa_uses_dynamic_stack 0
		.amdhsa_enable_private_segment 0
		.amdhsa_system_sgpr_workgroup_id_x 1
		.amdhsa_system_sgpr_workgroup_id_y 0
		.amdhsa_system_sgpr_workgroup_id_z 0
		.amdhsa_system_sgpr_workgroup_info 0
		.amdhsa_system_vgpr_workitem_id 0
		.amdhsa_next_free_vgpr 74
		.amdhsa_next_free_sgpr 48
		.amdhsa_accum_offset 76
		.amdhsa_reserve_vcc 1
		.amdhsa_float_round_mode_32 0
		.amdhsa_float_round_mode_16_64 0
		.amdhsa_float_denorm_mode_32 3
		.amdhsa_float_denorm_mode_16_64 3
		.amdhsa_dx10_clamp 1
		.amdhsa_ieee_mode 1
		.amdhsa_fp16_overflow 0
		.amdhsa_tg_split 0
		.amdhsa_exception_fp_ieee_invalid_op 0
		.amdhsa_exception_fp_denorm_src 0
		.amdhsa_exception_fp_ieee_div_zero 0
		.amdhsa_exception_fp_ieee_overflow 0
		.amdhsa_exception_fp_ieee_underflow 0
		.amdhsa_exception_fp_ieee_inexact 0
		.amdhsa_exception_int_div_zero 0
	.end_amdhsa_kernel
	.section	.text._ZN7rocprim17ROCPRIM_400000_NS6detail17trampoline_kernelINS0_14default_configENS1_25partition_config_selectorILNS1_17partition_subalgoE8EfNS0_10empty_typeEbEEZZNS1_14partition_implILS5_8ELb0ES3_jPKfPS6_PKS6_NS0_5tupleIJPfS6_EEENSE_IJSB_SB_EEENS0_18inequality_wrapperIN6hipcub16HIPCUB_304000_NS8EqualityEEEPlJS6_EEE10hipError_tPvRmT3_T4_T5_T6_T7_T9_mT8_P12ihipStream_tbDpT10_ENKUlT_T0_E_clISt17integral_constantIbLb0EES17_EEDaS12_S13_EUlS12_E_NS1_11comp_targetILNS1_3genE5ELNS1_11target_archE942ELNS1_3gpuE9ELNS1_3repE0EEENS1_30default_config_static_selectorELNS0_4arch9wavefront6targetE1EEEvT1_,"axG",@progbits,_ZN7rocprim17ROCPRIM_400000_NS6detail17trampoline_kernelINS0_14default_configENS1_25partition_config_selectorILNS1_17partition_subalgoE8EfNS0_10empty_typeEbEEZZNS1_14partition_implILS5_8ELb0ES3_jPKfPS6_PKS6_NS0_5tupleIJPfS6_EEENSE_IJSB_SB_EEENS0_18inequality_wrapperIN6hipcub16HIPCUB_304000_NS8EqualityEEEPlJS6_EEE10hipError_tPvRmT3_T4_T5_T6_T7_T9_mT8_P12ihipStream_tbDpT10_ENKUlT_T0_E_clISt17integral_constantIbLb0EES17_EEDaS12_S13_EUlS12_E_NS1_11comp_targetILNS1_3genE5ELNS1_11target_archE942ELNS1_3gpuE9ELNS1_3repE0EEENS1_30default_config_static_selectorELNS0_4arch9wavefront6targetE1EEEvT1_,comdat
.Lfunc_end342:
	.size	_ZN7rocprim17ROCPRIM_400000_NS6detail17trampoline_kernelINS0_14default_configENS1_25partition_config_selectorILNS1_17partition_subalgoE8EfNS0_10empty_typeEbEEZZNS1_14partition_implILS5_8ELb0ES3_jPKfPS6_PKS6_NS0_5tupleIJPfS6_EEENSE_IJSB_SB_EEENS0_18inequality_wrapperIN6hipcub16HIPCUB_304000_NS8EqualityEEEPlJS6_EEE10hipError_tPvRmT3_T4_T5_T6_T7_T9_mT8_P12ihipStream_tbDpT10_ENKUlT_T0_E_clISt17integral_constantIbLb0EES17_EEDaS12_S13_EUlS12_E_NS1_11comp_targetILNS1_3genE5ELNS1_11target_archE942ELNS1_3gpuE9ELNS1_3repE0EEENS1_30default_config_static_selectorELNS0_4arch9wavefront6targetE1EEEvT1_, .Lfunc_end342-_ZN7rocprim17ROCPRIM_400000_NS6detail17trampoline_kernelINS0_14default_configENS1_25partition_config_selectorILNS1_17partition_subalgoE8EfNS0_10empty_typeEbEEZZNS1_14partition_implILS5_8ELb0ES3_jPKfPS6_PKS6_NS0_5tupleIJPfS6_EEENSE_IJSB_SB_EEENS0_18inequality_wrapperIN6hipcub16HIPCUB_304000_NS8EqualityEEEPlJS6_EEE10hipError_tPvRmT3_T4_T5_T6_T7_T9_mT8_P12ihipStream_tbDpT10_ENKUlT_T0_E_clISt17integral_constantIbLb0EES17_EEDaS12_S13_EUlS12_E_NS1_11comp_targetILNS1_3genE5ELNS1_11target_archE942ELNS1_3gpuE9ELNS1_3repE0EEENS1_30default_config_static_selectorELNS0_4arch9wavefront6targetE1EEEvT1_
                                        ; -- End function
	.section	.AMDGPU.csdata,"",@progbits
; Kernel info:
; codeLenInByte = 7852
; NumSgprs: 54
; NumVgprs: 74
; NumAgprs: 0
; TotalNumVgprs: 74
; ScratchSize: 0
; MemoryBound: 0
; FloatMode: 240
; IeeeMode: 1
; LDSByteSize: 30728 bytes/workgroup (compile time only)
; SGPRBlocks: 6
; VGPRBlocks: 9
; NumSGPRsForWavesPerEU: 54
; NumVGPRsForWavesPerEU: 74
; AccumOffset: 76
; Occupancy: 4
; WaveLimiterHint : 1
; COMPUTE_PGM_RSRC2:SCRATCH_EN: 0
; COMPUTE_PGM_RSRC2:USER_SGPR: 2
; COMPUTE_PGM_RSRC2:TRAP_HANDLER: 0
; COMPUTE_PGM_RSRC2:TGID_X_EN: 1
; COMPUTE_PGM_RSRC2:TGID_Y_EN: 0
; COMPUTE_PGM_RSRC2:TGID_Z_EN: 0
; COMPUTE_PGM_RSRC2:TIDIG_COMP_CNT: 0
; COMPUTE_PGM_RSRC3_GFX90A:ACCUM_OFFSET: 18
; COMPUTE_PGM_RSRC3_GFX90A:TG_SPLIT: 0
	.section	.text._ZN7rocprim17ROCPRIM_400000_NS6detail17trampoline_kernelINS0_14default_configENS1_25partition_config_selectorILNS1_17partition_subalgoE8EfNS0_10empty_typeEbEEZZNS1_14partition_implILS5_8ELb0ES3_jPKfPS6_PKS6_NS0_5tupleIJPfS6_EEENSE_IJSB_SB_EEENS0_18inequality_wrapperIN6hipcub16HIPCUB_304000_NS8EqualityEEEPlJS6_EEE10hipError_tPvRmT3_T4_T5_T6_T7_T9_mT8_P12ihipStream_tbDpT10_ENKUlT_T0_E_clISt17integral_constantIbLb0EES17_EEDaS12_S13_EUlS12_E_NS1_11comp_targetILNS1_3genE4ELNS1_11target_archE910ELNS1_3gpuE8ELNS1_3repE0EEENS1_30default_config_static_selectorELNS0_4arch9wavefront6targetE1EEEvT1_,"axG",@progbits,_ZN7rocprim17ROCPRIM_400000_NS6detail17trampoline_kernelINS0_14default_configENS1_25partition_config_selectorILNS1_17partition_subalgoE8EfNS0_10empty_typeEbEEZZNS1_14partition_implILS5_8ELb0ES3_jPKfPS6_PKS6_NS0_5tupleIJPfS6_EEENSE_IJSB_SB_EEENS0_18inequality_wrapperIN6hipcub16HIPCUB_304000_NS8EqualityEEEPlJS6_EEE10hipError_tPvRmT3_T4_T5_T6_T7_T9_mT8_P12ihipStream_tbDpT10_ENKUlT_T0_E_clISt17integral_constantIbLb0EES17_EEDaS12_S13_EUlS12_E_NS1_11comp_targetILNS1_3genE4ELNS1_11target_archE910ELNS1_3gpuE8ELNS1_3repE0EEENS1_30default_config_static_selectorELNS0_4arch9wavefront6targetE1EEEvT1_,comdat
	.protected	_ZN7rocprim17ROCPRIM_400000_NS6detail17trampoline_kernelINS0_14default_configENS1_25partition_config_selectorILNS1_17partition_subalgoE8EfNS0_10empty_typeEbEEZZNS1_14partition_implILS5_8ELb0ES3_jPKfPS6_PKS6_NS0_5tupleIJPfS6_EEENSE_IJSB_SB_EEENS0_18inequality_wrapperIN6hipcub16HIPCUB_304000_NS8EqualityEEEPlJS6_EEE10hipError_tPvRmT3_T4_T5_T6_T7_T9_mT8_P12ihipStream_tbDpT10_ENKUlT_T0_E_clISt17integral_constantIbLb0EES17_EEDaS12_S13_EUlS12_E_NS1_11comp_targetILNS1_3genE4ELNS1_11target_archE910ELNS1_3gpuE8ELNS1_3repE0EEENS1_30default_config_static_selectorELNS0_4arch9wavefront6targetE1EEEvT1_ ; -- Begin function _ZN7rocprim17ROCPRIM_400000_NS6detail17trampoline_kernelINS0_14default_configENS1_25partition_config_selectorILNS1_17partition_subalgoE8EfNS0_10empty_typeEbEEZZNS1_14partition_implILS5_8ELb0ES3_jPKfPS6_PKS6_NS0_5tupleIJPfS6_EEENSE_IJSB_SB_EEENS0_18inequality_wrapperIN6hipcub16HIPCUB_304000_NS8EqualityEEEPlJS6_EEE10hipError_tPvRmT3_T4_T5_T6_T7_T9_mT8_P12ihipStream_tbDpT10_ENKUlT_T0_E_clISt17integral_constantIbLb0EES17_EEDaS12_S13_EUlS12_E_NS1_11comp_targetILNS1_3genE4ELNS1_11target_archE910ELNS1_3gpuE8ELNS1_3repE0EEENS1_30default_config_static_selectorELNS0_4arch9wavefront6targetE1EEEvT1_
	.globl	_ZN7rocprim17ROCPRIM_400000_NS6detail17trampoline_kernelINS0_14default_configENS1_25partition_config_selectorILNS1_17partition_subalgoE8EfNS0_10empty_typeEbEEZZNS1_14partition_implILS5_8ELb0ES3_jPKfPS6_PKS6_NS0_5tupleIJPfS6_EEENSE_IJSB_SB_EEENS0_18inequality_wrapperIN6hipcub16HIPCUB_304000_NS8EqualityEEEPlJS6_EEE10hipError_tPvRmT3_T4_T5_T6_T7_T9_mT8_P12ihipStream_tbDpT10_ENKUlT_T0_E_clISt17integral_constantIbLb0EES17_EEDaS12_S13_EUlS12_E_NS1_11comp_targetILNS1_3genE4ELNS1_11target_archE910ELNS1_3gpuE8ELNS1_3repE0EEENS1_30default_config_static_selectorELNS0_4arch9wavefront6targetE1EEEvT1_
	.p2align	8
	.type	_ZN7rocprim17ROCPRIM_400000_NS6detail17trampoline_kernelINS0_14default_configENS1_25partition_config_selectorILNS1_17partition_subalgoE8EfNS0_10empty_typeEbEEZZNS1_14partition_implILS5_8ELb0ES3_jPKfPS6_PKS6_NS0_5tupleIJPfS6_EEENSE_IJSB_SB_EEENS0_18inequality_wrapperIN6hipcub16HIPCUB_304000_NS8EqualityEEEPlJS6_EEE10hipError_tPvRmT3_T4_T5_T6_T7_T9_mT8_P12ihipStream_tbDpT10_ENKUlT_T0_E_clISt17integral_constantIbLb0EES17_EEDaS12_S13_EUlS12_E_NS1_11comp_targetILNS1_3genE4ELNS1_11target_archE910ELNS1_3gpuE8ELNS1_3repE0EEENS1_30default_config_static_selectorELNS0_4arch9wavefront6targetE1EEEvT1_,@function
_ZN7rocprim17ROCPRIM_400000_NS6detail17trampoline_kernelINS0_14default_configENS1_25partition_config_selectorILNS1_17partition_subalgoE8EfNS0_10empty_typeEbEEZZNS1_14partition_implILS5_8ELb0ES3_jPKfPS6_PKS6_NS0_5tupleIJPfS6_EEENSE_IJSB_SB_EEENS0_18inequality_wrapperIN6hipcub16HIPCUB_304000_NS8EqualityEEEPlJS6_EEE10hipError_tPvRmT3_T4_T5_T6_T7_T9_mT8_P12ihipStream_tbDpT10_ENKUlT_T0_E_clISt17integral_constantIbLb0EES17_EEDaS12_S13_EUlS12_E_NS1_11comp_targetILNS1_3genE4ELNS1_11target_archE910ELNS1_3gpuE8ELNS1_3repE0EEENS1_30default_config_static_selectorELNS0_4arch9wavefront6targetE1EEEvT1_: ; @_ZN7rocprim17ROCPRIM_400000_NS6detail17trampoline_kernelINS0_14default_configENS1_25partition_config_selectorILNS1_17partition_subalgoE8EfNS0_10empty_typeEbEEZZNS1_14partition_implILS5_8ELb0ES3_jPKfPS6_PKS6_NS0_5tupleIJPfS6_EEENSE_IJSB_SB_EEENS0_18inequality_wrapperIN6hipcub16HIPCUB_304000_NS8EqualityEEEPlJS6_EEE10hipError_tPvRmT3_T4_T5_T6_T7_T9_mT8_P12ihipStream_tbDpT10_ENKUlT_T0_E_clISt17integral_constantIbLb0EES17_EEDaS12_S13_EUlS12_E_NS1_11comp_targetILNS1_3genE4ELNS1_11target_archE910ELNS1_3gpuE8ELNS1_3repE0EEENS1_30default_config_static_selectorELNS0_4arch9wavefront6targetE1EEEvT1_
; %bb.0:
	.section	.rodata,"a",@progbits
	.p2align	6, 0x0
	.amdhsa_kernel _ZN7rocprim17ROCPRIM_400000_NS6detail17trampoline_kernelINS0_14default_configENS1_25partition_config_selectorILNS1_17partition_subalgoE8EfNS0_10empty_typeEbEEZZNS1_14partition_implILS5_8ELb0ES3_jPKfPS6_PKS6_NS0_5tupleIJPfS6_EEENSE_IJSB_SB_EEENS0_18inequality_wrapperIN6hipcub16HIPCUB_304000_NS8EqualityEEEPlJS6_EEE10hipError_tPvRmT3_T4_T5_T6_T7_T9_mT8_P12ihipStream_tbDpT10_ENKUlT_T0_E_clISt17integral_constantIbLb0EES17_EEDaS12_S13_EUlS12_E_NS1_11comp_targetILNS1_3genE4ELNS1_11target_archE910ELNS1_3gpuE8ELNS1_3repE0EEENS1_30default_config_static_selectorELNS0_4arch9wavefront6targetE1EEEvT1_
		.amdhsa_group_segment_fixed_size 0
		.amdhsa_private_segment_fixed_size 0
		.amdhsa_kernarg_size 112
		.amdhsa_user_sgpr_count 2
		.amdhsa_user_sgpr_dispatch_ptr 0
		.amdhsa_user_sgpr_queue_ptr 0
		.amdhsa_user_sgpr_kernarg_segment_ptr 1
		.amdhsa_user_sgpr_dispatch_id 0
		.amdhsa_user_sgpr_kernarg_preload_length 0
		.amdhsa_user_sgpr_kernarg_preload_offset 0
		.amdhsa_user_sgpr_private_segment_size 0
		.amdhsa_uses_dynamic_stack 0
		.amdhsa_enable_private_segment 0
		.amdhsa_system_sgpr_workgroup_id_x 1
		.amdhsa_system_sgpr_workgroup_id_y 0
		.amdhsa_system_sgpr_workgroup_id_z 0
		.amdhsa_system_sgpr_workgroup_info 0
		.amdhsa_system_vgpr_workitem_id 0
		.amdhsa_next_free_vgpr 1
		.amdhsa_next_free_sgpr 0
		.amdhsa_accum_offset 4
		.amdhsa_reserve_vcc 0
		.amdhsa_float_round_mode_32 0
		.amdhsa_float_round_mode_16_64 0
		.amdhsa_float_denorm_mode_32 3
		.amdhsa_float_denorm_mode_16_64 3
		.amdhsa_dx10_clamp 1
		.amdhsa_ieee_mode 1
		.amdhsa_fp16_overflow 0
		.amdhsa_tg_split 0
		.amdhsa_exception_fp_ieee_invalid_op 0
		.amdhsa_exception_fp_denorm_src 0
		.amdhsa_exception_fp_ieee_div_zero 0
		.amdhsa_exception_fp_ieee_overflow 0
		.amdhsa_exception_fp_ieee_underflow 0
		.amdhsa_exception_fp_ieee_inexact 0
		.amdhsa_exception_int_div_zero 0
	.end_amdhsa_kernel
	.section	.text._ZN7rocprim17ROCPRIM_400000_NS6detail17trampoline_kernelINS0_14default_configENS1_25partition_config_selectorILNS1_17partition_subalgoE8EfNS0_10empty_typeEbEEZZNS1_14partition_implILS5_8ELb0ES3_jPKfPS6_PKS6_NS0_5tupleIJPfS6_EEENSE_IJSB_SB_EEENS0_18inequality_wrapperIN6hipcub16HIPCUB_304000_NS8EqualityEEEPlJS6_EEE10hipError_tPvRmT3_T4_T5_T6_T7_T9_mT8_P12ihipStream_tbDpT10_ENKUlT_T0_E_clISt17integral_constantIbLb0EES17_EEDaS12_S13_EUlS12_E_NS1_11comp_targetILNS1_3genE4ELNS1_11target_archE910ELNS1_3gpuE8ELNS1_3repE0EEENS1_30default_config_static_selectorELNS0_4arch9wavefront6targetE1EEEvT1_,"axG",@progbits,_ZN7rocprim17ROCPRIM_400000_NS6detail17trampoline_kernelINS0_14default_configENS1_25partition_config_selectorILNS1_17partition_subalgoE8EfNS0_10empty_typeEbEEZZNS1_14partition_implILS5_8ELb0ES3_jPKfPS6_PKS6_NS0_5tupleIJPfS6_EEENSE_IJSB_SB_EEENS0_18inequality_wrapperIN6hipcub16HIPCUB_304000_NS8EqualityEEEPlJS6_EEE10hipError_tPvRmT3_T4_T5_T6_T7_T9_mT8_P12ihipStream_tbDpT10_ENKUlT_T0_E_clISt17integral_constantIbLb0EES17_EEDaS12_S13_EUlS12_E_NS1_11comp_targetILNS1_3genE4ELNS1_11target_archE910ELNS1_3gpuE8ELNS1_3repE0EEENS1_30default_config_static_selectorELNS0_4arch9wavefront6targetE1EEEvT1_,comdat
.Lfunc_end343:
	.size	_ZN7rocprim17ROCPRIM_400000_NS6detail17trampoline_kernelINS0_14default_configENS1_25partition_config_selectorILNS1_17partition_subalgoE8EfNS0_10empty_typeEbEEZZNS1_14partition_implILS5_8ELb0ES3_jPKfPS6_PKS6_NS0_5tupleIJPfS6_EEENSE_IJSB_SB_EEENS0_18inequality_wrapperIN6hipcub16HIPCUB_304000_NS8EqualityEEEPlJS6_EEE10hipError_tPvRmT3_T4_T5_T6_T7_T9_mT8_P12ihipStream_tbDpT10_ENKUlT_T0_E_clISt17integral_constantIbLb0EES17_EEDaS12_S13_EUlS12_E_NS1_11comp_targetILNS1_3genE4ELNS1_11target_archE910ELNS1_3gpuE8ELNS1_3repE0EEENS1_30default_config_static_selectorELNS0_4arch9wavefront6targetE1EEEvT1_, .Lfunc_end343-_ZN7rocprim17ROCPRIM_400000_NS6detail17trampoline_kernelINS0_14default_configENS1_25partition_config_selectorILNS1_17partition_subalgoE8EfNS0_10empty_typeEbEEZZNS1_14partition_implILS5_8ELb0ES3_jPKfPS6_PKS6_NS0_5tupleIJPfS6_EEENSE_IJSB_SB_EEENS0_18inequality_wrapperIN6hipcub16HIPCUB_304000_NS8EqualityEEEPlJS6_EEE10hipError_tPvRmT3_T4_T5_T6_T7_T9_mT8_P12ihipStream_tbDpT10_ENKUlT_T0_E_clISt17integral_constantIbLb0EES17_EEDaS12_S13_EUlS12_E_NS1_11comp_targetILNS1_3genE4ELNS1_11target_archE910ELNS1_3gpuE8ELNS1_3repE0EEENS1_30default_config_static_selectorELNS0_4arch9wavefront6targetE1EEEvT1_
                                        ; -- End function
	.section	.AMDGPU.csdata,"",@progbits
; Kernel info:
; codeLenInByte = 0
; NumSgprs: 6
; NumVgprs: 0
; NumAgprs: 0
; TotalNumVgprs: 0
; ScratchSize: 0
; MemoryBound: 0
; FloatMode: 240
; IeeeMode: 1
; LDSByteSize: 0 bytes/workgroup (compile time only)
; SGPRBlocks: 0
; VGPRBlocks: 0
; NumSGPRsForWavesPerEU: 6
; NumVGPRsForWavesPerEU: 1
; AccumOffset: 4
; Occupancy: 8
; WaveLimiterHint : 0
; COMPUTE_PGM_RSRC2:SCRATCH_EN: 0
; COMPUTE_PGM_RSRC2:USER_SGPR: 2
; COMPUTE_PGM_RSRC2:TRAP_HANDLER: 0
; COMPUTE_PGM_RSRC2:TGID_X_EN: 1
; COMPUTE_PGM_RSRC2:TGID_Y_EN: 0
; COMPUTE_PGM_RSRC2:TGID_Z_EN: 0
; COMPUTE_PGM_RSRC2:TIDIG_COMP_CNT: 0
; COMPUTE_PGM_RSRC3_GFX90A:ACCUM_OFFSET: 0
; COMPUTE_PGM_RSRC3_GFX90A:TG_SPLIT: 0
	.section	.text._ZN7rocprim17ROCPRIM_400000_NS6detail17trampoline_kernelINS0_14default_configENS1_25partition_config_selectorILNS1_17partition_subalgoE8EfNS0_10empty_typeEbEEZZNS1_14partition_implILS5_8ELb0ES3_jPKfPS6_PKS6_NS0_5tupleIJPfS6_EEENSE_IJSB_SB_EEENS0_18inequality_wrapperIN6hipcub16HIPCUB_304000_NS8EqualityEEEPlJS6_EEE10hipError_tPvRmT3_T4_T5_T6_T7_T9_mT8_P12ihipStream_tbDpT10_ENKUlT_T0_E_clISt17integral_constantIbLb0EES17_EEDaS12_S13_EUlS12_E_NS1_11comp_targetILNS1_3genE3ELNS1_11target_archE908ELNS1_3gpuE7ELNS1_3repE0EEENS1_30default_config_static_selectorELNS0_4arch9wavefront6targetE1EEEvT1_,"axG",@progbits,_ZN7rocprim17ROCPRIM_400000_NS6detail17trampoline_kernelINS0_14default_configENS1_25partition_config_selectorILNS1_17partition_subalgoE8EfNS0_10empty_typeEbEEZZNS1_14partition_implILS5_8ELb0ES3_jPKfPS6_PKS6_NS0_5tupleIJPfS6_EEENSE_IJSB_SB_EEENS0_18inequality_wrapperIN6hipcub16HIPCUB_304000_NS8EqualityEEEPlJS6_EEE10hipError_tPvRmT3_T4_T5_T6_T7_T9_mT8_P12ihipStream_tbDpT10_ENKUlT_T0_E_clISt17integral_constantIbLb0EES17_EEDaS12_S13_EUlS12_E_NS1_11comp_targetILNS1_3genE3ELNS1_11target_archE908ELNS1_3gpuE7ELNS1_3repE0EEENS1_30default_config_static_selectorELNS0_4arch9wavefront6targetE1EEEvT1_,comdat
	.protected	_ZN7rocprim17ROCPRIM_400000_NS6detail17trampoline_kernelINS0_14default_configENS1_25partition_config_selectorILNS1_17partition_subalgoE8EfNS0_10empty_typeEbEEZZNS1_14partition_implILS5_8ELb0ES3_jPKfPS6_PKS6_NS0_5tupleIJPfS6_EEENSE_IJSB_SB_EEENS0_18inequality_wrapperIN6hipcub16HIPCUB_304000_NS8EqualityEEEPlJS6_EEE10hipError_tPvRmT3_T4_T5_T6_T7_T9_mT8_P12ihipStream_tbDpT10_ENKUlT_T0_E_clISt17integral_constantIbLb0EES17_EEDaS12_S13_EUlS12_E_NS1_11comp_targetILNS1_3genE3ELNS1_11target_archE908ELNS1_3gpuE7ELNS1_3repE0EEENS1_30default_config_static_selectorELNS0_4arch9wavefront6targetE1EEEvT1_ ; -- Begin function _ZN7rocprim17ROCPRIM_400000_NS6detail17trampoline_kernelINS0_14default_configENS1_25partition_config_selectorILNS1_17partition_subalgoE8EfNS0_10empty_typeEbEEZZNS1_14partition_implILS5_8ELb0ES3_jPKfPS6_PKS6_NS0_5tupleIJPfS6_EEENSE_IJSB_SB_EEENS0_18inequality_wrapperIN6hipcub16HIPCUB_304000_NS8EqualityEEEPlJS6_EEE10hipError_tPvRmT3_T4_T5_T6_T7_T9_mT8_P12ihipStream_tbDpT10_ENKUlT_T0_E_clISt17integral_constantIbLb0EES17_EEDaS12_S13_EUlS12_E_NS1_11comp_targetILNS1_3genE3ELNS1_11target_archE908ELNS1_3gpuE7ELNS1_3repE0EEENS1_30default_config_static_selectorELNS0_4arch9wavefront6targetE1EEEvT1_
	.globl	_ZN7rocprim17ROCPRIM_400000_NS6detail17trampoline_kernelINS0_14default_configENS1_25partition_config_selectorILNS1_17partition_subalgoE8EfNS0_10empty_typeEbEEZZNS1_14partition_implILS5_8ELb0ES3_jPKfPS6_PKS6_NS0_5tupleIJPfS6_EEENSE_IJSB_SB_EEENS0_18inequality_wrapperIN6hipcub16HIPCUB_304000_NS8EqualityEEEPlJS6_EEE10hipError_tPvRmT3_T4_T5_T6_T7_T9_mT8_P12ihipStream_tbDpT10_ENKUlT_T0_E_clISt17integral_constantIbLb0EES17_EEDaS12_S13_EUlS12_E_NS1_11comp_targetILNS1_3genE3ELNS1_11target_archE908ELNS1_3gpuE7ELNS1_3repE0EEENS1_30default_config_static_selectorELNS0_4arch9wavefront6targetE1EEEvT1_
	.p2align	8
	.type	_ZN7rocprim17ROCPRIM_400000_NS6detail17trampoline_kernelINS0_14default_configENS1_25partition_config_selectorILNS1_17partition_subalgoE8EfNS0_10empty_typeEbEEZZNS1_14partition_implILS5_8ELb0ES3_jPKfPS6_PKS6_NS0_5tupleIJPfS6_EEENSE_IJSB_SB_EEENS0_18inequality_wrapperIN6hipcub16HIPCUB_304000_NS8EqualityEEEPlJS6_EEE10hipError_tPvRmT3_T4_T5_T6_T7_T9_mT8_P12ihipStream_tbDpT10_ENKUlT_T0_E_clISt17integral_constantIbLb0EES17_EEDaS12_S13_EUlS12_E_NS1_11comp_targetILNS1_3genE3ELNS1_11target_archE908ELNS1_3gpuE7ELNS1_3repE0EEENS1_30default_config_static_selectorELNS0_4arch9wavefront6targetE1EEEvT1_,@function
_ZN7rocprim17ROCPRIM_400000_NS6detail17trampoline_kernelINS0_14default_configENS1_25partition_config_selectorILNS1_17partition_subalgoE8EfNS0_10empty_typeEbEEZZNS1_14partition_implILS5_8ELb0ES3_jPKfPS6_PKS6_NS0_5tupleIJPfS6_EEENSE_IJSB_SB_EEENS0_18inequality_wrapperIN6hipcub16HIPCUB_304000_NS8EqualityEEEPlJS6_EEE10hipError_tPvRmT3_T4_T5_T6_T7_T9_mT8_P12ihipStream_tbDpT10_ENKUlT_T0_E_clISt17integral_constantIbLb0EES17_EEDaS12_S13_EUlS12_E_NS1_11comp_targetILNS1_3genE3ELNS1_11target_archE908ELNS1_3gpuE7ELNS1_3repE0EEENS1_30default_config_static_selectorELNS0_4arch9wavefront6targetE1EEEvT1_: ; @_ZN7rocprim17ROCPRIM_400000_NS6detail17trampoline_kernelINS0_14default_configENS1_25partition_config_selectorILNS1_17partition_subalgoE8EfNS0_10empty_typeEbEEZZNS1_14partition_implILS5_8ELb0ES3_jPKfPS6_PKS6_NS0_5tupleIJPfS6_EEENSE_IJSB_SB_EEENS0_18inequality_wrapperIN6hipcub16HIPCUB_304000_NS8EqualityEEEPlJS6_EEE10hipError_tPvRmT3_T4_T5_T6_T7_T9_mT8_P12ihipStream_tbDpT10_ENKUlT_T0_E_clISt17integral_constantIbLb0EES17_EEDaS12_S13_EUlS12_E_NS1_11comp_targetILNS1_3genE3ELNS1_11target_archE908ELNS1_3gpuE7ELNS1_3repE0EEENS1_30default_config_static_selectorELNS0_4arch9wavefront6targetE1EEEvT1_
; %bb.0:
	.section	.rodata,"a",@progbits
	.p2align	6, 0x0
	.amdhsa_kernel _ZN7rocprim17ROCPRIM_400000_NS6detail17trampoline_kernelINS0_14default_configENS1_25partition_config_selectorILNS1_17partition_subalgoE8EfNS0_10empty_typeEbEEZZNS1_14partition_implILS5_8ELb0ES3_jPKfPS6_PKS6_NS0_5tupleIJPfS6_EEENSE_IJSB_SB_EEENS0_18inequality_wrapperIN6hipcub16HIPCUB_304000_NS8EqualityEEEPlJS6_EEE10hipError_tPvRmT3_T4_T5_T6_T7_T9_mT8_P12ihipStream_tbDpT10_ENKUlT_T0_E_clISt17integral_constantIbLb0EES17_EEDaS12_S13_EUlS12_E_NS1_11comp_targetILNS1_3genE3ELNS1_11target_archE908ELNS1_3gpuE7ELNS1_3repE0EEENS1_30default_config_static_selectorELNS0_4arch9wavefront6targetE1EEEvT1_
		.amdhsa_group_segment_fixed_size 0
		.amdhsa_private_segment_fixed_size 0
		.amdhsa_kernarg_size 112
		.amdhsa_user_sgpr_count 2
		.amdhsa_user_sgpr_dispatch_ptr 0
		.amdhsa_user_sgpr_queue_ptr 0
		.amdhsa_user_sgpr_kernarg_segment_ptr 1
		.amdhsa_user_sgpr_dispatch_id 0
		.amdhsa_user_sgpr_kernarg_preload_length 0
		.amdhsa_user_sgpr_kernarg_preload_offset 0
		.amdhsa_user_sgpr_private_segment_size 0
		.amdhsa_uses_dynamic_stack 0
		.amdhsa_enable_private_segment 0
		.amdhsa_system_sgpr_workgroup_id_x 1
		.amdhsa_system_sgpr_workgroup_id_y 0
		.amdhsa_system_sgpr_workgroup_id_z 0
		.amdhsa_system_sgpr_workgroup_info 0
		.amdhsa_system_vgpr_workitem_id 0
		.amdhsa_next_free_vgpr 1
		.amdhsa_next_free_sgpr 0
		.amdhsa_accum_offset 4
		.amdhsa_reserve_vcc 0
		.amdhsa_float_round_mode_32 0
		.amdhsa_float_round_mode_16_64 0
		.amdhsa_float_denorm_mode_32 3
		.amdhsa_float_denorm_mode_16_64 3
		.amdhsa_dx10_clamp 1
		.amdhsa_ieee_mode 1
		.amdhsa_fp16_overflow 0
		.amdhsa_tg_split 0
		.amdhsa_exception_fp_ieee_invalid_op 0
		.amdhsa_exception_fp_denorm_src 0
		.amdhsa_exception_fp_ieee_div_zero 0
		.amdhsa_exception_fp_ieee_overflow 0
		.amdhsa_exception_fp_ieee_underflow 0
		.amdhsa_exception_fp_ieee_inexact 0
		.amdhsa_exception_int_div_zero 0
	.end_amdhsa_kernel
	.section	.text._ZN7rocprim17ROCPRIM_400000_NS6detail17trampoline_kernelINS0_14default_configENS1_25partition_config_selectorILNS1_17partition_subalgoE8EfNS0_10empty_typeEbEEZZNS1_14partition_implILS5_8ELb0ES3_jPKfPS6_PKS6_NS0_5tupleIJPfS6_EEENSE_IJSB_SB_EEENS0_18inequality_wrapperIN6hipcub16HIPCUB_304000_NS8EqualityEEEPlJS6_EEE10hipError_tPvRmT3_T4_T5_T6_T7_T9_mT8_P12ihipStream_tbDpT10_ENKUlT_T0_E_clISt17integral_constantIbLb0EES17_EEDaS12_S13_EUlS12_E_NS1_11comp_targetILNS1_3genE3ELNS1_11target_archE908ELNS1_3gpuE7ELNS1_3repE0EEENS1_30default_config_static_selectorELNS0_4arch9wavefront6targetE1EEEvT1_,"axG",@progbits,_ZN7rocprim17ROCPRIM_400000_NS6detail17trampoline_kernelINS0_14default_configENS1_25partition_config_selectorILNS1_17partition_subalgoE8EfNS0_10empty_typeEbEEZZNS1_14partition_implILS5_8ELb0ES3_jPKfPS6_PKS6_NS0_5tupleIJPfS6_EEENSE_IJSB_SB_EEENS0_18inequality_wrapperIN6hipcub16HIPCUB_304000_NS8EqualityEEEPlJS6_EEE10hipError_tPvRmT3_T4_T5_T6_T7_T9_mT8_P12ihipStream_tbDpT10_ENKUlT_T0_E_clISt17integral_constantIbLb0EES17_EEDaS12_S13_EUlS12_E_NS1_11comp_targetILNS1_3genE3ELNS1_11target_archE908ELNS1_3gpuE7ELNS1_3repE0EEENS1_30default_config_static_selectorELNS0_4arch9wavefront6targetE1EEEvT1_,comdat
.Lfunc_end344:
	.size	_ZN7rocprim17ROCPRIM_400000_NS6detail17trampoline_kernelINS0_14default_configENS1_25partition_config_selectorILNS1_17partition_subalgoE8EfNS0_10empty_typeEbEEZZNS1_14partition_implILS5_8ELb0ES3_jPKfPS6_PKS6_NS0_5tupleIJPfS6_EEENSE_IJSB_SB_EEENS0_18inequality_wrapperIN6hipcub16HIPCUB_304000_NS8EqualityEEEPlJS6_EEE10hipError_tPvRmT3_T4_T5_T6_T7_T9_mT8_P12ihipStream_tbDpT10_ENKUlT_T0_E_clISt17integral_constantIbLb0EES17_EEDaS12_S13_EUlS12_E_NS1_11comp_targetILNS1_3genE3ELNS1_11target_archE908ELNS1_3gpuE7ELNS1_3repE0EEENS1_30default_config_static_selectorELNS0_4arch9wavefront6targetE1EEEvT1_, .Lfunc_end344-_ZN7rocprim17ROCPRIM_400000_NS6detail17trampoline_kernelINS0_14default_configENS1_25partition_config_selectorILNS1_17partition_subalgoE8EfNS0_10empty_typeEbEEZZNS1_14partition_implILS5_8ELb0ES3_jPKfPS6_PKS6_NS0_5tupleIJPfS6_EEENSE_IJSB_SB_EEENS0_18inequality_wrapperIN6hipcub16HIPCUB_304000_NS8EqualityEEEPlJS6_EEE10hipError_tPvRmT3_T4_T5_T6_T7_T9_mT8_P12ihipStream_tbDpT10_ENKUlT_T0_E_clISt17integral_constantIbLb0EES17_EEDaS12_S13_EUlS12_E_NS1_11comp_targetILNS1_3genE3ELNS1_11target_archE908ELNS1_3gpuE7ELNS1_3repE0EEENS1_30default_config_static_selectorELNS0_4arch9wavefront6targetE1EEEvT1_
                                        ; -- End function
	.section	.AMDGPU.csdata,"",@progbits
; Kernel info:
; codeLenInByte = 0
; NumSgprs: 6
; NumVgprs: 0
; NumAgprs: 0
; TotalNumVgprs: 0
; ScratchSize: 0
; MemoryBound: 0
; FloatMode: 240
; IeeeMode: 1
; LDSByteSize: 0 bytes/workgroup (compile time only)
; SGPRBlocks: 0
; VGPRBlocks: 0
; NumSGPRsForWavesPerEU: 6
; NumVGPRsForWavesPerEU: 1
; AccumOffset: 4
; Occupancy: 8
; WaveLimiterHint : 0
; COMPUTE_PGM_RSRC2:SCRATCH_EN: 0
; COMPUTE_PGM_RSRC2:USER_SGPR: 2
; COMPUTE_PGM_RSRC2:TRAP_HANDLER: 0
; COMPUTE_PGM_RSRC2:TGID_X_EN: 1
; COMPUTE_PGM_RSRC2:TGID_Y_EN: 0
; COMPUTE_PGM_RSRC2:TGID_Z_EN: 0
; COMPUTE_PGM_RSRC2:TIDIG_COMP_CNT: 0
; COMPUTE_PGM_RSRC3_GFX90A:ACCUM_OFFSET: 0
; COMPUTE_PGM_RSRC3_GFX90A:TG_SPLIT: 0
	.section	.text._ZN7rocprim17ROCPRIM_400000_NS6detail17trampoline_kernelINS0_14default_configENS1_25partition_config_selectorILNS1_17partition_subalgoE8EfNS0_10empty_typeEbEEZZNS1_14partition_implILS5_8ELb0ES3_jPKfPS6_PKS6_NS0_5tupleIJPfS6_EEENSE_IJSB_SB_EEENS0_18inequality_wrapperIN6hipcub16HIPCUB_304000_NS8EqualityEEEPlJS6_EEE10hipError_tPvRmT3_T4_T5_T6_T7_T9_mT8_P12ihipStream_tbDpT10_ENKUlT_T0_E_clISt17integral_constantIbLb0EES17_EEDaS12_S13_EUlS12_E_NS1_11comp_targetILNS1_3genE2ELNS1_11target_archE906ELNS1_3gpuE6ELNS1_3repE0EEENS1_30default_config_static_selectorELNS0_4arch9wavefront6targetE1EEEvT1_,"axG",@progbits,_ZN7rocprim17ROCPRIM_400000_NS6detail17trampoline_kernelINS0_14default_configENS1_25partition_config_selectorILNS1_17partition_subalgoE8EfNS0_10empty_typeEbEEZZNS1_14partition_implILS5_8ELb0ES3_jPKfPS6_PKS6_NS0_5tupleIJPfS6_EEENSE_IJSB_SB_EEENS0_18inequality_wrapperIN6hipcub16HIPCUB_304000_NS8EqualityEEEPlJS6_EEE10hipError_tPvRmT3_T4_T5_T6_T7_T9_mT8_P12ihipStream_tbDpT10_ENKUlT_T0_E_clISt17integral_constantIbLb0EES17_EEDaS12_S13_EUlS12_E_NS1_11comp_targetILNS1_3genE2ELNS1_11target_archE906ELNS1_3gpuE6ELNS1_3repE0EEENS1_30default_config_static_selectorELNS0_4arch9wavefront6targetE1EEEvT1_,comdat
	.protected	_ZN7rocprim17ROCPRIM_400000_NS6detail17trampoline_kernelINS0_14default_configENS1_25partition_config_selectorILNS1_17partition_subalgoE8EfNS0_10empty_typeEbEEZZNS1_14partition_implILS5_8ELb0ES3_jPKfPS6_PKS6_NS0_5tupleIJPfS6_EEENSE_IJSB_SB_EEENS0_18inequality_wrapperIN6hipcub16HIPCUB_304000_NS8EqualityEEEPlJS6_EEE10hipError_tPvRmT3_T4_T5_T6_T7_T9_mT8_P12ihipStream_tbDpT10_ENKUlT_T0_E_clISt17integral_constantIbLb0EES17_EEDaS12_S13_EUlS12_E_NS1_11comp_targetILNS1_3genE2ELNS1_11target_archE906ELNS1_3gpuE6ELNS1_3repE0EEENS1_30default_config_static_selectorELNS0_4arch9wavefront6targetE1EEEvT1_ ; -- Begin function _ZN7rocprim17ROCPRIM_400000_NS6detail17trampoline_kernelINS0_14default_configENS1_25partition_config_selectorILNS1_17partition_subalgoE8EfNS0_10empty_typeEbEEZZNS1_14partition_implILS5_8ELb0ES3_jPKfPS6_PKS6_NS0_5tupleIJPfS6_EEENSE_IJSB_SB_EEENS0_18inequality_wrapperIN6hipcub16HIPCUB_304000_NS8EqualityEEEPlJS6_EEE10hipError_tPvRmT3_T4_T5_T6_T7_T9_mT8_P12ihipStream_tbDpT10_ENKUlT_T0_E_clISt17integral_constantIbLb0EES17_EEDaS12_S13_EUlS12_E_NS1_11comp_targetILNS1_3genE2ELNS1_11target_archE906ELNS1_3gpuE6ELNS1_3repE0EEENS1_30default_config_static_selectorELNS0_4arch9wavefront6targetE1EEEvT1_
	.globl	_ZN7rocprim17ROCPRIM_400000_NS6detail17trampoline_kernelINS0_14default_configENS1_25partition_config_selectorILNS1_17partition_subalgoE8EfNS0_10empty_typeEbEEZZNS1_14partition_implILS5_8ELb0ES3_jPKfPS6_PKS6_NS0_5tupleIJPfS6_EEENSE_IJSB_SB_EEENS0_18inequality_wrapperIN6hipcub16HIPCUB_304000_NS8EqualityEEEPlJS6_EEE10hipError_tPvRmT3_T4_T5_T6_T7_T9_mT8_P12ihipStream_tbDpT10_ENKUlT_T0_E_clISt17integral_constantIbLb0EES17_EEDaS12_S13_EUlS12_E_NS1_11comp_targetILNS1_3genE2ELNS1_11target_archE906ELNS1_3gpuE6ELNS1_3repE0EEENS1_30default_config_static_selectorELNS0_4arch9wavefront6targetE1EEEvT1_
	.p2align	8
	.type	_ZN7rocprim17ROCPRIM_400000_NS6detail17trampoline_kernelINS0_14default_configENS1_25partition_config_selectorILNS1_17partition_subalgoE8EfNS0_10empty_typeEbEEZZNS1_14partition_implILS5_8ELb0ES3_jPKfPS6_PKS6_NS0_5tupleIJPfS6_EEENSE_IJSB_SB_EEENS0_18inequality_wrapperIN6hipcub16HIPCUB_304000_NS8EqualityEEEPlJS6_EEE10hipError_tPvRmT3_T4_T5_T6_T7_T9_mT8_P12ihipStream_tbDpT10_ENKUlT_T0_E_clISt17integral_constantIbLb0EES17_EEDaS12_S13_EUlS12_E_NS1_11comp_targetILNS1_3genE2ELNS1_11target_archE906ELNS1_3gpuE6ELNS1_3repE0EEENS1_30default_config_static_selectorELNS0_4arch9wavefront6targetE1EEEvT1_,@function
_ZN7rocprim17ROCPRIM_400000_NS6detail17trampoline_kernelINS0_14default_configENS1_25partition_config_selectorILNS1_17partition_subalgoE8EfNS0_10empty_typeEbEEZZNS1_14partition_implILS5_8ELb0ES3_jPKfPS6_PKS6_NS0_5tupleIJPfS6_EEENSE_IJSB_SB_EEENS0_18inequality_wrapperIN6hipcub16HIPCUB_304000_NS8EqualityEEEPlJS6_EEE10hipError_tPvRmT3_T4_T5_T6_T7_T9_mT8_P12ihipStream_tbDpT10_ENKUlT_T0_E_clISt17integral_constantIbLb0EES17_EEDaS12_S13_EUlS12_E_NS1_11comp_targetILNS1_3genE2ELNS1_11target_archE906ELNS1_3gpuE6ELNS1_3repE0EEENS1_30default_config_static_selectorELNS0_4arch9wavefront6targetE1EEEvT1_: ; @_ZN7rocprim17ROCPRIM_400000_NS6detail17trampoline_kernelINS0_14default_configENS1_25partition_config_selectorILNS1_17partition_subalgoE8EfNS0_10empty_typeEbEEZZNS1_14partition_implILS5_8ELb0ES3_jPKfPS6_PKS6_NS0_5tupleIJPfS6_EEENSE_IJSB_SB_EEENS0_18inequality_wrapperIN6hipcub16HIPCUB_304000_NS8EqualityEEEPlJS6_EEE10hipError_tPvRmT3_T4_T5_T6_T7_T9_mT8_P12ihipStream_tbDpT10_ENKUlT_T0_E_clISt17integral_constantIbLb0EES17_EEDaS12_S13_EUlS12_E_NS1_11comp_targetILNS1_3genE2ELNS1_11target_archE906ELNS1_3gpuE6ELNS1_3repE0EEENS1_30default_config_static_selectorELNS0_4arch9wavefront6targetE1EEEvT1_
; %bb.0:
	.section	.rodata,"a",@progbits
	.p2align	6, 0x0
	.amdhsa_kernel _ZN7rocprim17ROCPRIM_400000_NS6detail17trampoline_kernelINS0_14default_configENS1_25partition_config_selectorILNS1_17partition_subalgoE8EfNS0_10empty_typeEbEEZZNS1_14partition_implILS5_8ELb0ES3_jPKfPS6_PKS6_NS0_5tupleIJPfS6_EEENSE_IJSB_SB_EEENS0_18inequality_wrapperIN6hipcub16HIPCUB_304000_NS8EqualityEEEPlJS6_EEE10hipError_tPvRmT3_T4_T5_T6_T7_T9_mT8_P12ihipStream_tbDpT10_ENKUlT_T0_E_clISt17integral_constantIbLb0EES17_EEDaS12_S13_EUlS12_E_NS1_11comp_targetILNS1_3genE2ELNS1_11target_archE906ELNS1_3gpuE6ELNS1_3repE0EEENS1_30default_config_static_selectorELNS0_4arch9wavefront6targetE1EEEvT1_
		.amdhsa_group_segment_fixed_size 0
		.amdhsa_private_segment_fixed_size 0
		.amdhsa_kernarg_size 112
		.amdhsa_user_sgpr_count 2
		.amdhsa_user_sgpr_dispatch_ptr 0
		.amdhsa_user_sgpr_queue_ptr 0
		.amdhsa_user_sgpr_kernarg_segment_ptr 1
		.amdhsa_user_sgpr_dispatch_id 0
		.amdhsa_user_sgpr_kernarg_preload_length 0
		.amdhsa_user_sgpr_kernarg_preload_offset 0
		.amdhsa_user_sgpr_private_segment_size 0
		.amdhsa_uses_dynamic_stack 0
		.amdhsa_enable_private_segment 0
		.amdhsa_system_sgpr_workgroup_id_x 1
		.amdhsa_system_sgpr_workgroup_id_y 0
		.amdhsa_system_sgpr_workgroup_id_z 0
		.amdhsa_system_sgpr_workgroup_info 0
		.amdhsa_system_vgpr_workitem_id 0
		.amdhsa_next_free_vgpr 1
		.amdhsa_next_free_sgpr 0
		.amdhsa_accum_offset 4
		.amdhsa_reserve_vcc 0
		.amdhsa_float_round_mode_32 0
		.amdhsa_float_round_mode_16_64 0
		.amdhsa_float_denorm_mode_32 3
		.amdhsa_float_denorm_mode_16_64 3
		.amdhsa_dx10_clamp 1
		.amdhsa_ieee_mode 1
		.amdhsa_fp16_overflow 0
		.amdhsa_tg_split 0
		.amdhsa_exception_fp_ieee_invalid_op 0
		.amdhsa_exception_fp_denorm_src 0
		.amdhsa_exception_fp_ieee_div_zero 0
		.amdhsa_exception_fp_ieee_overflow 0
		.amdhsa_exception_fp_ieee_underflow 0
		.amdhsa_exception_fp_ieee_inexact 0
		.amdhsa_exception_int_div_zero 0
	.end_amdhsa_kernel
	.section	.text._ZN7rocprim17ROCPRIM_400000_NS6detail17trampoline_kernelINS0_14default_configENS1_25partition_config_selectorILNS1_17partition_subalgoE8EfNS0_10empty_typeEbEEZZNS1_14partition_implILS5_8ELb0ES3_jPKfPS6_PKS6_NS0_5tupleIJPfS6_EEENSE_IJSB_SB_EEENS0_18inequality_wrapperIN6hipcub16HIPCUB_304000_NS8EqualityEEEPlJS6_EEE10hipError_tPvRmT3_T4_T5_T6_T7_T9_mT8_P12ihipStream_tbDpT10_ENKUlT_T0_E_clISt17integral_constantIbLb0EES17_EEDaS12_S13_EUlS12_E_NS1_11comp_targetILNS1_3genE2ELNS1_11target_archE906ELNS1_3gpuE6ELNS1_3repE0EEENS1_30default_config_static_selectorELNS0_4arch9wavefront6targetE1EEEvT1_,"axG",@progbits,_ZN7rocprim17ROCPRIM_400000_NS6detail17trampoline_kernelINS0_14default_configENS1_25partition_config_selectorILNS1_17partition_subalgoE8EfNS0_10empty_typeEbEEZZNS1_14partition_implILS5_8ELb0ES3_jPKfPS6_PKS6_NS0_5tupleIJPfS6_EEENSE_IJSB_SB_EEENS0_18inequality_wrapperIN6hipcub16HIPCUB_304000_NS8EqualityEEEPlJS6_EEE10hipError_tPvRmT3_T4_T5_T6_T7_T9_mT8_P12ihipStream_tbDpT10_ENKUlT_T0_E_clISt17integral_constantIbLb0EES17_EEDaS12_S13_EUlS12_E_NS1_11comp_targetILNS1_3genE2ELNS1_11target_archE906ELNS1_3gpuE6ELNS1_3repE0EEENS1_30default_config_static_selectorELNS0_4arch9wavefront6targetE1EEEvT1_,comdat
.Lfunc_end345:
	.size	_ZN7rocprim17ROCPRIM_400000_NS6detail17trampoline_kernelINS0_14default_configENS1_25partition_config_selectorILNS1_17partition_subalgoE8EfNS0_10empty_typeEbEEZZNS1_14partition_implILS5_8ELb0ES3_jPKfPS6_PKS6_NS0_5tupleIJPfS6_EEENSE_IJSB_SB_EEENS0_18inequality_wrapperIN6hipcub16HIPCUB_304000_NS8EqualityEEEPlJS6_EEE10hipError_tPvRmT3_T4_T5_T6_T7_T9_mT8_P12ihipStream_tbDpT10_ENKUlT_T0_E_clISt17integral_constantIbLb0EES17_EEDaS12_S13_EUlS12_E_NS1_11comp_targetILNS1_3genE2ELNS1_11target_archE906ELNS1_3gpuE6ELNS1_3repE0EEENS1_30default_config_static_selectorELNS0_4arch9wavefront6targetE1EEEvT1_, .Lfunc_end345-_ZN7rocprim17ROCPRIM_400000_NS6detail17trampoline_kernelINS0_14default_configENS1_25partition_config_selectorILNS1_17partition_subalgoE8EfNS0_10empty_typeEbEEZZNS1_14partition_implILS5_8ELb0ES3_jPKfPS6_PKS6_NS0_5tupleIJPfS6_EEENSE_IJSB_SB_EEENS0_18inequality_wrapperIN6hipcub16HIPCUB_304000_NS8EqualityEEEPlJS6_EEE10hipError_tPvRmT3_T4_T5_T6_T7_T9_mT8_P12ihipStream_tbDpT10_ENKUlT_T0_E_clISt17integral_constantIbLb0EES17_EEDaS12_S13_EUlS12_E_NS1_11comp_targetILNS1_3genE2ELNS1_11target_archE906ELNS1_3gpuE6ELNS1_3repE0EEENS1_30default_config_static_selectorELNS0_4arch9wavefront6targetE1EEEvT1_
                                        ; -- End function
	.section	.AMDGPU.csdata,"",@progbits
; Kernel info:
; codeLenInByte = 0
; NumSgprs: 6
; NumVgprs: 0
; NumAgprs: 0
; TotalNumVgprs: 0
; ScratchSize: 0
; MemoryBound: 0
; FloatMode: 240
; IeeeMode: 1
; LDSByteSize: 0 bytes/workgroup (compile time only)
; SGPRBlocks: 0
; VGPRBlocks: 0
; NumSGPRsForWavesPerEU: 6
; NumVGPRsForWavesPerEU: 1
; AccumOffset: 4
; Occupancy: 8
; WaveLimiterHint : 0
; COMPUTE_PGM_RSRC2:SCRATCH_EN: 0
; COMPUTE_PGM_RSRC2:USER_SGPR: 2
; COMPUTE_PGM_RSRC2:TRAP_HANDLER: 0
; COMPUTE_PGM_RSRC2:TGID_X_EN: 1
; COMPUTE_PGM_RSRC2:TGID_Y_EN: 0
; COMPUTE_PGM_RSRC2:TGID_Z_EN: 0
; COMPUTE_PGM_RSRC2:TIDIG_COMP_CNT: 0
; COMPUTE_PGM_RSRC3_GFX90A:ACCUM_OFFSET: 0
; COMPUTE_PGM_RSRC3_GFX90A:TG_SPLIT: 0
	.section	.text._ZN7rocprim17ROCPRIM_400000_NS6detail17trampoline_kernelINS0_14default_configENS1_25partition_config_selectorILNS1_17partition_subalgoE8EfNS0_10empty_typeEbEEZZNS1_14partition_implILS5_8ELb0ES3_jPKfPS6_PKS6_NS0_5tupleIJPfS6_EEENSE_IJSB_SB_EEENS0_18inequality_wrapperIN6hipcub16HIPCUB_304000_NS8EqualityEEEPlJS6_EEE10hipError_tPvRmT3_T4_T5_T6_T7_T9_mT8_P12ihipStream_tbDpT10_ENKUlT_T0_E_clISt17integral_constantIbLb0EES17_EEDaS12_S13_EUlS12_E_NS1_11comp_targetILNS1_3genE10ELNS1_11target_archE1200ELNS1_3gpuE4ELNS1_3repE0EEENS1_30default_config_static_selectorELNS0_4arch9wavefront6targetE1EEEvT1_,"axG",@progbits,_ZN7rocprim17ROCPRIM_400000_NS6detail17trampoline_kernelINS0_14default_configENS1_25partition_config_selectorILNS1_17partition_subalgoE8EfNS0_10empty_typeEbEEZZNS1_14partition_implILS5_8ELb0ES3_jPKfPS6_PKS6_NS0_5tupleIJPfS6_EEENSE_IJSB_SB_EEENS0_18inequality_wrapperIN6hipcub16HIPCUB_304000_NS8EqualityEEEPlJS6_EEE10hipError_tPvRmT3_T4_T5_T6_T7_T9_mT8_P12ihipStream_tbDpT10_ENKUlT_T0_E_clISt17integral_constantIbLb0EES17_EEDaS12_S13_EUlS12_E_NS1_11comp_targetILNS1_3genE10ELNS1_11target_archE1200ELNS1_3gpuE4ELNS1_3repE0EEENS1_30default_config_static_selectorELNS0_4arch9wavefront6targetE1EEEvT1_,comdat
	.protected	_ZN7rocprim17ROCPRIM_400000_NS6detail17trampoline_kernelINS0_14default_configENS1_25partition_config_selectorILNS1_17partition_subalgoE8EfNS0_10empty_typeEbEEZZNS1_14partition_implILS5_8ELb0ES3_jPKfPS6_PKS6_NS0_5tupleIJPfS6_EEENSE_IJSB_SB_EEENS0_18inequality_wrapperIN6hipcub16HIPCUB_304000_NS8EqualityEEEPlJS6_EEE10hipError_tPvRmT3_T4_T5_T6_T7_T9_mT8_P12ihipStream_tbDpT10_ENKUlT_T0_E_clISt17integral_constantIbLb0EES17_EEDaS12_S13_EUlS12_E_NS1_11comp_targetILNS1_3genE10ELNS1_11target_archE1200ELNS1_3gpuE4ELNS1_3repE0EEENS1_30default_config_static_selectorELNS0_4arch9wavefront6targetE1EEEvT1_ ; -- Begin function _ZN7rocprim17ROCPRIM_400000_NS6detail17trampoline_kernelINS0_14default_configENS1_25partition_config_selectorILNS1_17partition_subalgoE8EfNS0_10empty_typeEbEEZZNS1_14partition_implILS5_8ELb0ES3_jPKfPS6_PKS6_NS0_5tupleIJPfS6_EEENSE_IJSB_SB_EEENS0_18inequality_wrapperIN6hipcub16HIPCUB_304000_NS8EqualityEEEPlJS6_EEE10hipError_tPvRmT3_T4_T5_T6_T7_T9_mT8_P12ihipStream_tbDpT10_ENKUlT_T0_E_clISt17integral_constantIbLb0EES17_EEDaS12_S13_EUlS12_E_NS1_11comp_targetILNS1_3genE10ELNS1_11target_archE1200ELNS1_3gpuE4ELNS1_3repE0EEENS1_30default_config_static_selectorELNS0_4arch9wavefront6targetE1EEEvT1_
	.globl	_ZN7rocprim17ROCPRIM_400000_NS6detail17trampoline_kernelINS0_14default_configENS1_25partition_config_selectorILNS1_17partition_subalgoE8EfNS0_10empty_typeEbEEZZNS1_14partition_implILS5_8ELb0ES3_jPKfPS6_PKS6_NS0_5tupleIJPfS6_EEENSE_IJSB_SB_EEENS0_18inequality_wrapperIN6hipcub16HIPCUB_304000_NS8EqualityEEEPlJS6_EEE10hipError_tPvRmT3_T4_T5_T6_T7_T9_mT8_P12ihipStream_tbDpT10_ENKUlT_T0_E_clISt17integral_constantIbLb0EES17_EEDaS12_S13_EUlS12_E_NS1_11comp_targetILNS1_3genE10ELNS1_11target_archE1200ELNS1_3gpuE4ELNS1_3repE0EEENS1_30default_config_static_selectorELNS0_4arch9wavefront6targetE1EEEvT1_
	.p2align	8
	.type	_ZN7rocprim17ROCPRIM_400000_NS6detail17trampoline_kernelINS0_14default_configENS1_25partition_config_selectorILNS1_17partition_subalgoE8EfNS0_10empty_typeEbEEZZNS1_14partition_implILS5_8ELb0ES3_jPKfPS6_PKS6_NS0_5tupleIJPfS6_EEENSE_IJSB_SB_EEENS0_18inequality_wrapperIN6hipcub16HIPCUB_304000_NS8EqualityEEEPlJS6_EEE10hipError_tPvRmT3_T4_T5_T6_T7_T9_mT8_P12ihipStream_tbDpT10_ENKUlT_T0_E_clISt17integral_constantIbLb0EES17_EEDaS12_S13_EUlS12_E_NS1_11comp_targetILNS1_3genE10ELNS1_11target_archE1200ELNS1_3gpuE4ELNS1_3repE0EEENS1_30default_config_static_selectorELNS0_4arch9wavefront6targetE1EEEvT1_,@function
_ZN7rocprim17ROCPRIM_400000_NS6detail17trampoline_kernelINS0_14default_configENS1_25partition_config_selectorILNS1_17partition_subalgoE8EfNS0_10empty_typeEbEEZZNS1_14partition_implILS5_8ELb0ES3_jPKfPS6_PKS6_NS0_5tupleIJPfS6_EEENSE_IJSB_SB_EEENS0_18inequality_wrapperIN6hipcub16HIPCUB_304000_NS8EqualityEEEPlJS6_EEE10hipError_tPvRmT3_T4_T5_T6_T7_T9_mT8_P12ihipStream_tbDpT10_ENKUlT_T0_E_clISt17integral_constantIbLb0EES17_EEDaS12_S13_EUlS12_E_NS1_11comp_targetILNS1_3genE10ELNS1_11target_archE1200ELNS1_3gpuE4ELNS1_3repE0EEENS1_30default_config_static_selectorELNS0_4arch9wavefront6targetE1EEEvT1_: ; @_ZN7rocprim17ROCPRIM_400000_NS6detail17trampoline_kernelINS0_14default_configENS1_25partition_config_selectorILNS1_17partition_subalgoE8EfNS0_10empty_typeEbEEZZNS1_14partition_implILS5_8ELb0ES3_jPKfPS6_PKS6_NS0_5tupleIJPfS6_EEENSE_IJSB_SB_EEENS0_18inequality_wrapperIN6hipcub16HIPCUB_304000_NS8EqualityEEEPlJS6_EEE10hipError_tPvRmT3_T4_T5_T6_T7_T9_mT8_P12ihipStream_tbDpT10_ENKUlT_T0_E_clISt17integral_constantIbLb0EES17_EEDaS12_S13_EUlS12_E_NS1_11comp_targetILNS1_3genE10ELNS1_11target_archE1200ELNS1_3gpuE4ELNS1_3repE0EEENS1_30default_config_static_selectorELNS0_4arch9wavefront6targetE1EEEvT1_
; %bb.0:
	.section	.rodata,"a",@progbits
	.p2align	6, 0x0
	.amdhsa_kernel _ZN7rocprim17ROCPRIM_400000_NS6detail17trampoline_kernelINS0_14default_configENS1_25partition_config_selectorILNS1_17partition_subalgoE8EfNS0_10empty_typeEbEEZZNS1_14partition_implILS5_8ELb0ES3_jPKfPS6_PKS6_NS0_5tupleIJPfS6_EEENSE_IJSB_SB_EEENS0_18inequality_wrapperIN6hipcub16HIPCUB_304000_NS8EqualityEEEPlJS6_EEE10hipError_tPvRmT3_T4_T5_T6_T7_T9_mT8_P12ihipStream_tbDpT10_ENKUlT_T0_E_clISt17integral_constantIbLb0EES17_EEDaS12_S13_EUlS12_E_NS1_11comp_targetILNS1_3genE10ELNS1_11target_archE1200ELNS1_3gpuE4ELNS1_3repE0EEENS1_30default_config_static_selectorELNS0_4arch9wavefront6targetE1EEEvT1_
		.amdhsa_group_segment_fixed_size 0
		.amdhsa_private_segment_fixed_size 0
		.amdhsa_kernarg_size 112
		.amdhsa_user_sgpr_count 2
		.amdhsa_user_sgpr_dispatch_ptr 0
		.amdhsa_user_sgpr_queue_ptr 0
		.amdhsa_user_sgpr_kernarg_segment_ptr 1
		.amdhsa_user_sgpr_dispatch_id 0
		.amdhsa_user_sgpr_kernarg_preload_length 0
		.amdhsa_user_sgpr_kernarg_preload_offset 0
		.amdhsa_user_sgpr_private_segment_size 0
		.amdhsa_uses_dynamic_stack 0
		.amdhsa_enable_private_segment 0
		.amdhsa_system_sgpr_workgroup_id_x 1
		.amdhsa_system_sgpr_workgroup_id_y 0
		.amdhsa_system_sgpr_workgroup_id_z 0
		.amdhsa_system_sgpr_workgroup_info 0
		.amdhsa_system_vgpr_workitem_id 0
		.amdhsa_next_free_vgpr 1
		.amdhsa_next_free_sgpr 0
		.amdhsa_accum_offset 4
		.amdhsa_reserve_vcc 0
		.amdhsa_float_round_mode_32 0
		.amdhsa_float_round_mode_16_64 0
		.amdhsa_float_denorm_mode_32 3
		.amdhsa_float_denorm_mode_16_64 3
		.amdhsa_dx10_clamp 1
		.amdhsa_ieee_mode 1
		.amdhsa_fp16_overflow 0
		.amdhsa_tg_split 0
		.amdhsa_exception_fp_ieee_invalid_op 0
		.amdhsa_exception_fp_denorm_src 0
		.amdhsa_exception_fp_ieee_div_zero 0
		.amdhsa_exception_fp_ieee_overflow 0
		.amdhsa_exception_fp_ieee_underflow 0
		.amdhsa_exception_fp_ieee_inexact 0
		.amdhsa_exception_int_div_zero 0
	.end_amdhsa_kernel
	.section	.text._ZN7rocprim17ROCPRIM_400000_NS6detail17trampoline_kernelINS0_14default_configENS1_25partition_config_selectorILNS1_17partition_subalgoE8EfNS0_10empty_typeEbEEZZNS1_14partition_implILS5_8ELb0ES3_jPKfPS6_PKS6_NS0_5tupleIJPfS6_EEENSE_IJSB_SB_EEENS0_18inequality_wrapperIN6hipcub16HIPCUB_304000_NS8EqualityEEEPlJS6_EEE10hipError_tPvRmT3_T4_T5_T6_T7_T9_mT8_P12ihipStream_tbDpT10_ENKUlT_T0_E_clISt17integral_constantIbLb0EES17_EEDaS12_S13_EUlS12_E_NS1_11comp_targetILNS1_3genE10ELNS1_11target_archE1200ELNS1_3gpuE4ELNS1_3repE0EEENS1_30default_config_static_selectorELNS0_4arch9wavefront6targetE1EEEvT1_,"axG",@progbits,_ZN7rocprim17ROCPRIM_400000_NS6detail17trampoline_kernelINS0_14default_configENS1_25partition_config_selectorILNS1_17partition_subalgoE8EfNS0_10empty_typeEbEEZZNS1_14partition_implILS5_8ELb0ES3_jPKfPS6_PKS6_NS0_5tupleIJPfS6_EEENSE_IJSB_SB_EEENS0_18inequality_wrapperIN6hipcub16HIPCUB_304000_NS8EqualityEEEPlJS6_EEE10hipError_tPvRmT3_T4_T5_T6_T7_T9_mT8_P12ihipStream_tbDpT10_ENKUlT_T0_E_clISt17integral_constantIbLb0EES17_EEDaS12_S13_EUlS12_E_NS1_11comp_targetILNS1_3genE10ELNS1_11target_archE1200ELNS1_3gpuE4ELNS1_3repE0EEENS1_30default_config_static_selectorELNS0_4arch9wavefront6targetE1EEEvT1_,comdat
.Lfunc_end346:
	.size	_ZN7rocprim17ROCPRIM_400000_NS6detail17trampoline_kernelINS0_14default_configENS1_25partition_config_selectorILNS1_17partition_subalgoE8EfNS0_10empty_typeEbEEZZNS1_14partition_implILS5_8ELb0ES3_jPKfPS6_PKS6_NS0_5tupleIJPfS6_EEENSE_IJSB_SB_EEENS0_18inequality_wrapperIN6hipcub16HIPCUB_304000_NS8EqualityEEEPlJS6_EEE10hipError_tPvRmT3_T4_T5_T6_T7_T9_mT8_P12ihipStream_tbDpT10_ENKUlT_T0_E_clISt17integral_constantIbLb0EES17_EEDaS12_S13_EUlS12_E_NS1_11comp_targetILNS1_3genE10ELNS1_11target_archE1200ELNS1_3gpuE4ELNS1_3repE0EEENS1_30default_config_static_selectorELNS0_4arch9wavefront6targetE1EEEvT1_, .Lfunc_end346-_ZN7rocprim17ROCPRIM_400000_NS6detail17trampoline_kernelINS0_14default_configENS1_25partition_config_selectorILNS1_17partition_subalgoE8EfNS0_10empty_typeEbEEZZNS1_14partition_implILS5_8ELb0ES3_jPKfPS6_PKS6_NS0_5tupleIJPfS6_EEENSE_IJSB_SB_EEENS0_18inequality_wrapperIN6hipcub16HIPCUB_304000_NS8EqualityEEEPlJS6_EEE10hipError_tPvRmT3_T4_T5_T6_T7_T9_mT8_P12ihipStream_tbDpT10_ENKUlT_T0_E_clISt17integral_constantIbLb0EES17_EEDaS12_S13_EUlS12_E_NS1_11comp_targetILNS1_3genE10ELNS1_11target_archE1200ELNS1_3gpuE4ELNS1_3repE0EEENS1_30default_config_static_selectorELNS0_4arch9wavefront6targetE1EEEvT1_
                                        ; -- End function
	.section	.AMDGPU.csdata,"",@progbits
; Kernel info:
; codeLenInByte = 0
; NumSgprs: 6
; NumVgprs: 0
; NumAgprs: 0
; TotalNumVgprs: 0
; ScratchSize: 0
; MemoryBound: 0
; FloatMode: 240
; IeeeMode: 1
; LDSByteSize: 0 bytes/workgroup (compile time only)
; SGPRBlocks: 0
; VGPRBlocks: 0
; NumSGPRsForWavesPerEU: 6
; NumVGPRsForWavesPerEU: 1
; AccumOffset: 4
; Occupancy: 8
; WaveLimiterHint : 0
; COMPUTE_PGM_RSRC2:SCRATCH_EN: 0
; COMPUTE_PGM_RSRC2:USER_SGPR: 2
; COMPUTE_PGM_RSRC2:TRAP_HANDLER: 0
; COMPUTE_PGM_RSRC2:TGID_X_EN: 1
; COMPUTE_PGM_RSRC2:TGID_Y_EN: 0
; COMPUTE_PGM_RSRC2:TGID_Z_EN: 0
; COMPUTE_PGM_RSRC2:TIDIG_COMP_CNT: 0
; COMPUTE_PGM_RSRC3_GFX90A:ACCUM_OFFSET: 0
; COMPUTE_PGM_RSRC3_GFX90A:TG_SPLIT: 0
	.section	.text._ZN7rocprim17ROCPRIM_400000_NS6detail17trampoline_kernelINS0_14default_configENS1_25partition_config_selectorILNS1_17partition_subalgoE8EfNS0_10empty_typeEbEEZZNS1_14partition_implILS5_8ELb0ES3_jPKfPS6_PKS6_NS0_5tupleIJPfS6_EEENSE_IJSB_SB_EEENS0_18inequality_wrapperIN6hipcub16HIPCUB_304000_NS8EqualityEEEPlJS6_EEE10hipError_tPvRmT3_T4_T5_T6_T7_T9_mT8_P12ihipStream_tbDpT10_ENKUlT_T0_E_clISt17integral_constantIbLb0EES17_EEDaS12_S13_EUlS12_E_NS1_11comp_targetILNS1_3genE9ELNS1_11target_archE1100ELNS1_3gpuE3ELNS1_3repE0EEENS1_30default_config_static_selectorELNS0_4arch9wavefront6targetE1EEEvT1_,"axG",@progbits,_ZN7rocprim17ROCPRIM_400000_NS6detail17trampoline_kernelINS0_14default_configENS1_25partition_config_selectorILNS1_17partition_subalgoE8EfNS0_10empty_typeEbEEZZNS1_14partition_implILS5_8ELb0ES3_jPKfPS6_PKS6_NS0_5tupleIJPfS6_EEENSE_IJSB_SB_EEENS0_18inequality_wrapperIN6hipcub16HIPCUB_304000_NS8EqualityEEEPlJS6_EEE10hipError_tPvRmT3_T4_T5_T6_T7_T9_mT8_P12ihipStream_tbDpT10_ENKUlT_T0_E_clISt17integral_constantIbLb0EES17_EEDaS12_S13_EUlS12_E_NS1_11comp_targetILNS1_3genE9ELNS1_11target_archE1100ELNS1_3gpuE3ELNS1_3repE0EEENS1_30default_config_static_selectorELNS0_4arch9wavefront6targetE1EEEvT1_,comdat
	.protected	_ZN7rocprim17ROCPRIM_400000_NS6detail17trampoline_kernelINS0_14default_configENS1_25partition_config_selectorILNS1_17partition_subalgoE8EfNS0_10empty_typeEbEEZZNS1_14partition_implILS5_8ELb0ES3_jPKfPS6_PKS6_NS0_5tupleIJPfS6_EEENSE_IJSB_SB_EEENS0_18inequality_wrapperIN6hipcub16HIPCUB_304000_NS8EqualityEEEPlJS6_EEE10hipError_tPvRmT3_T4_T5_T6_T7_T9_mT8_P12ihipStream_tbDpT10_ENKUlT_T0_E_clISt17integral_constantIbLb0EES17_EEDaS12_S13_EUlS12_E_NS1_11comp_targetILNS1_3genE9ELNS1_11target_archE1100ELNS1_3gpuE3ELNS1_3repE0EEENS1_30default_config_static_selectorELNS0_4arch9wavefront6targetE1EEEvT1_ ; -- Begin function _ZN7rocprim17ROCPRIM_400000_NS6detail17trampoline_kernelINS0_14default_configENS1_25partition_config_selectorILNS1_17partition_subalgoE8EfNS0_10empty_typeEbEEZZNS1_14partition_implILS5_8ELb0ES3_jPKfPS6_PKS6_NS0_5tupleIJPfS6_EEENSE_IJSB_SB_EEENS0_18inequality_wrapperIN6hipcub16HIPCUB_304000_NS8EqualityEEEPlJS6_EEE10hipError_tPvRmT3_T4_T5_T6_T7_T9_mT8_P12ihipStream_tbDpT10_ENKUlT_T0_E_clISt17integral_constantIbLb0EES17_EEDaS12_S13_EUlS12_E_NS1_11comp_targetILNS1_3genE9ELNS1_11target_archE1100ELNS1_3gpuE3ELNS1_3repE0EEENS1_30default_config_static_selectorELNS0_4arch9wavefront6targetE1EEEvT1_
	.globl	_ZN7rocprim17ROCPRIM_400000_NS6detail17trampoline_kernelINS0_14default_configENS1_25partition_config_selectorILNS1_17partition_subalgoE8EfNS0_10empty_typeEbEEZZNS1_14partition_implILS5_8ELb0ES3_jPKfPS6_PKS6_NS0_5tupleIJPfS6_EEENSE_IJSB_SB_EEENS0_18inequality_wrapperIN6hipcub16HIPCUB_304000_NS8EqualityEEEPlJS6_EEE10hipError_tPvRmT3_T4_T5_T6_T7_T9_mT8_P12ihipStream_tbDpT10_ENKUlT_T0_E_clISt17integral_constantIbLb0EES17_EEDaS12_S13_EUlS12_E_NS1_11comp_targetILNS1_3genE9ELNS1_11target_archE1100ELNS1_3gpuE3ELNS1_3repE0EEENS1_30default_config_static_selectorELNS0_4arch9wavefront6targetE1EEEvT1_
	.p2align	8
	.type	_ZN7rocprim17ROCPRIM_400000_NS6detail17trampoline_kernelINS0_14default_configENS1_25partition_config_selectorILNS1_17partition_subalgoE8EfNS0_10empty_typeEbEEZZNS1_14partition_implILS5_8ELb0ES3_jPKfPS6_PKS6_NS0_5tupleIJPfS6_EEENSE_IJSB_SB_EEENS0_18inequality_wrapperIN6hipcub16HIPCUB_304000_NS8EqualityEEEPlJS6_EEE10hipError_tPvRmT3_T4_T5_T6_T7_T9_mT8_P12ihipStream_tbDpT10_ENKUlT_T0_E_clISt17integral_constantIbLb0EES17_EEDaS12_S13_EUlS12_E_NS1_11comp_targetILNS1_3genE9ELNS1_11target_archE1100ELNS1_3gpuE3ELNS1_3repE0EEENS1_30default_config_static_selectorELNS0_4arch9wavefront6targetE1EEEvT1_,@function
_ZN7rocprim17ROCPRIM_400000_NS6detail17trampoline_kernelINS0_14default_configENS1_25partition_config_selectorILNS1_17partition_subalgoE8EfNS0_10empty_typeEbEEZZNS1_14partition_implILS5_8ELb0ES3_jPKfPS6_PKS6_NS0_5tupleIJPfS6_EEENSE_IJSB_SB_EEENS0_18inequality_wrapperIN6hipcub16HIPCUB_304000_NS8EqualityEEEPlJS6_EEE10hipError_tPvRmT3_T4_T5_T6_T7_T9_mT8_P12ihipStream_tbDpT10_ENKUlT_T0_E_clISt17integral_constantIbLb0EES17_EEDaS12_S13_EUlS12_E_NS1_11comp_targetILNS1_3genE9ELNS1_11target_archE1100ELNS1_3gpuE3ELNS1_3repE0EEENS1_30default_config_static_selectorELNS0_4arch9wavefront6targetE1EEEvT1_: ; @_ZN7rocprim17ROCPRIM_400000_NS6detail17trampoline_kernelINS0_14default_configENS1_25partition_config_selectorILNS1_17partition_subalgoE8EfNS0_10empty_typeEbEEZZNS1_14partition_implILS5_8ELb0ES3_jPKfPS6_PKS6_NS0_5tupleIJPfS6_EEENSE_IJSB_SB_EEENS0_18inequality_wrapperIN6hipcub16HIPCUB_304000_NS8EqualityEEEPlJS6_EEE10hipError_tPvRmT3_T4_T5_T6_T7_T9_mT8_P12ihipStream_tbDpT10_ENKUlT_T0_E_clISt17integral_constantIbLb0EES17_EEDaS12_S13_EUlS12_E_NS1_11comp_targetILNS1_3genE9ELNS1_11target_archE1100ELNS1_3gpuE3ELNS1_3repE0EEENS1_30default_config_static_selectorELNS0_4arch9wavefront6targetE1EEEvT1_
; %bb.0:
	.section	.rodata,"a",@progbits
	.p2align	6, 0x0
	.amdhsa_kernel _ZN7rocprim17ROCPRIM_400000_NS6detail17trampoline_kernelINS0_14default_configENS1_25partition_config_selectorILNS1_17partition_subalgoE8EfNS0_10empty_typeEbEEZZNS1_14partition_implILS5_8ELb0ES3_jPKfPS6_PKS6_NS0_5tupleIJPfS6_EEENSE_IJSB_SB_EEENS0_18inequality_wrapperIN6hipcub16HIPCUB_304000_NS8EqualityEEEPlJS6_EEE10hipError_tPvRmT3_T4_T5_T6_T7_T9_mT8_P12ihipStream_tbDpT10_ENKUlT_T0_E_clISt17integral_constantIbLb0EES17_EEDaS12_S13_EUlS12_E_NS1_11comp_targetILNS1_3genE9ELNS1_11target_archE1100ELNS1_3gpuE3ELNS1_3repE0EEENS1_30default_config_static_selectorELNS0_4arch9wavefront6targetE1EEEvT1_
		.amdhsa_group_segment_fixed_size 0
		.amdhsa_private_segment_fixed_size 0
		.amdhsa_kernarg_size 112
		.amdhsa_user_sgpr_count 2
		.amdhsa_user_sgpr_dispatch_ptr 0
		.amdhsa_user_sgpr_queue_ptr 0
		.amdhsa_user_sgpr_kernarg_segment_ptr 1
		.amdhsa_user_sgpr_dispatch_id 0
		.amdhsa_user_sgpr_kernarg_preload_length 0
		.amdhsa_user_sgpr_kernarg_preload_offset 0
		.amdhsa_user_sgpr_private_segment_size 0
		.amdhsa_uses_dynamic_stack 0
		.amdhsa_enable_private_segment 0
		.amdhsa_system_sgpr_workgroup_id_x 1
		.amdhsa_system_sgpr_workgroup_id_y 0
		.amdhsa_system_sgpr_workgroup_id_z 0
		.amdhsa_system_sgpr_workgroup_info 0
		.amdhsa_system_vgpr_workitem_id 0
		.amdhsa_next_free_vgpr 1
		.amdhsa_next_free_sgpr 0
		.amdhsa_accum_offset 4
		.amdhsa_reserve_vcc 0
		.amdhsa_float_round_mode_32 0
		.amdhsa_float_round_mode_16_64 0
		.amdhsa_float_denorm_mode_32 3
		.amdhsa_float_denorm_mode_16_64 3
		.amdhsa_dx10_clamp 1
		.amdhsa_ieee_mode 1
		.amdhsa_fp16_overflow 0
		.amdhsa_tg_split 0
		.amdhsa_exception_fp_ieee_invalid_op 0
		.amdhsa_exception_fp_denorm_src 0
		.amdhsa_exception_fp_ieee_div_zero 0
		.amdhsa_exception_fp_ieee_overflow 0
		.amdhsa_exception_fp_ieee_underflow 0
		.amdhsa_exception_fp_ieee_inexact 0
		.amdhsa_exception_int_div_zero 0
	.end_amdhsa_kernel
	.section	.text._ZN7rocprim17ROCPRIM_400000_NS6detail17trampoline_kernelINS0_14default_configENS1_25partition_config_selectorILNS1_17partition_subalgoE8EfNS0_10empty_typeEbEEZZNS1_14partition_implILS5_8ELb0ES3_jPKfPS6_PKS6_NS0_5tupleIJPfS6_EEENSE_IJSB_SB_EEENS0_18inequality_wrapperIN6hipcub16HIPCUB_304000_NS8EqualityEEEPlJS6_EEE10hipError_tPvRmT3_T4_T5_T6_T7_T9_mT8_P12ihipStream_tbDpT10_ENKUlT_T0_E_clISt17integral_constantIbLb0EES17_EEDaS12_S13_EUlS12_E_NS1_11comp_targetILNS1_3genE9ELNS1_11target_archE1100ELNS1_3gpuE3ELNS1_3repE0EEENS1_30default_config_static_selectorELNS0_4arch9wavefront6targetE1EEEvT1_,"axG",@progbits,_ZN7rocprim17ROCPRIM_400000_NS6detail17trampoline_kernelINS0_14default_configENS1_25partition_config_selectorILNS1_17partition_subalgoE8EfNS0_10empty_typeEbEEZZNS1_14partition_implILS5_8ELb0ES3_jPKfPS6_PKS6_NS0_5tupleIJPfS6_EEENSE_IJSB_SB_EEENS0_18inequality_wrapperIN6hipcub16HIPCUB_304000_NS8EqualityEEEPlJS6_EEE10hipError_tPvRmT3_T4_T5_T6_T7_T9_mT8_P12ihipStream_tbDpT10_ENKUlT_T0_E_clISt17integral_constantIbLb0EES17_EEDaS12_S13_EUlS12_E_NS1_11comp_targetILNS1_3genE9ELNS1_11target_archE1100ELNS1_3gpuE3ELNS1_3repE0EEENS1_30default_config_static_selectorELNS0_4arch9wavefront6targetE1EEEvT1_,comdat
.Lfunc_end347:
	.size	_ZN7rocprim17ROCPRIM_400000_NS6detail17trampoline_kernelINS0_14default_configENS1_25partition_config_selectorILNS1_17partition_subalgoE8EfNS0_10empty_typeEbEEZZNS1_14partition_implILS5_8ELb0ES3_jPKfPS6_PKS6_NS0_5tupleIJPfS6_EEENSE_IJSB_SB_EEENS0_18inequality_wrapperIN6hipcub16HIPCUB_304000_NS8EqualityEEEPlJS6_EEE10hipError_tPvRmT3_T4_T5_T6_T7_T9_mT8_P12ihipStream_tbDpT10_ENKUlT_T0_E_clISt17integral_constantIbLb0EES17_EEDaS12_S13_EUlS12_E_NS1_11comp_targetILNS1_3genE9ELNS1_11target_archE1100ELNS1_3gpuE3ELNS1_3repE0EEENS1_30default_config_static_selectorELNS0_4arch9wavefront6targetE1EEEvT1_, .Lfunc_end347-_ZN7rocprim17ROCPRIM_400000_NS6detail17trampoline_kernelINS0_14default_configENS1_25partition_config_selectorILNS1_17partition_subalgoE8EfNS0_10empty_typeEbEEZZNS1_14partition_implILS5_8ELb0ES3_jPKfPS6_PKS6_NS0_5tupleIJPfS6_EEENSE_IJSB_SB_EEENS0_18inequality_wrapperIN6hipcub16HIPCUB_304000_NS8EqualityEEEPlJS6_EEE10hipError_tPvRmT3_T4_T5_T6_T7_T9_mT8_P12ihipStream_tbDpT10_ENKUlT_T0_E_clISt17integral_constantIbLb0EES17_EEDaS12_S13_EUlS12_E_NS1_11comp_targetILNS1_3genE9ELNS1_11target_archE1100ELNS1_3gpuE3ELNS1_3repE0EEENS1_30default_config_static_selectorELNS0_4arch9wavefront6targetE1EEEvT1_
                                        ; -- End function
	.section	.AMDGPU.csdata,"",@progbits
; Kernel info:
; codeLenInByte = 0
; NumSgprs: 6
; NumVgprs: 0
; NumAgprs: 0
; TotalNumVgprs: 0
; ScratchSize: 0
; MemoryBound: 0
; FloatMode: 240
; IeeeMode: 1
; LDSByteSize: 0 bytes/workgroup (compile time only)
; SGPRBlocks: 0
; VGPRBlocks: 0
; NumSGPRsForWavesPerEU: 6
; NumVGPRsForWavesPerEU: 1
; AccumOffset: 4
; Occupancy: 8
; WaveLimiterHint : 0
; COMPUTE_PGM_RSRC2:SCRATCH_EN: 0
; COMPUTE_PGM_RSRC2:USER_SGPR: 2
; COMPUTE_PGM_RSRC2:TRAP_HANDLER: 0
; COMPUTE_PGM_RSRC2:TGID_X_EN: 1
; COMPUTE_PGM_RSRC2:TGID_Y_EN: 0
; COMPUTE_PGM_RSRC2:TGID_Z_EN: 0
; COMPUTE_PGM_RSRC2:TIDIG_COMP_CNT: 0
; COMPUTE_PGM_RSRC3_GFX90A:ACCUM_OFFSET: 0
; COMPUTE_PGM_RSRC3_GFX90A:TG_SPLIT: 0
	.section	.text._ZN7rocprim17ROCPRIM_400000_NS6detail17trampoline_kernelINS0_14default_configENS1_25partition_config_selectorILNS1_17partition_subalgoE8EfNS0_10empty_typeEbEEZZNS1_14partition_implILS5_8ELb0ES3_jPKfPS6_PKS6_NS0_5tupleIJPfS6_EEENSE_IJSB_SB_EEENS0_18inequality_wrapperIN6hipcub16HIPCUB_304000_NS8EqualityEEEPlJS6_EEE10hipError_tPvRmT3_T4_T5_T6_T7_T9_mT8_P12ihipStream_tbDpT10_ENKUlT_T0_E_clISt17integral_constantIbLb0EES17_EEDaS12_S13_EUlS12_E_NS1_11comp_targetILNS1_3genE8ELNS1_11target_archE1030ELNS1_3gpuE2ELNS1_3repE0EEENS1_30default_config_static_selectorELNS0_4arch9wavefront6targetE1EEEvT1_,"axG",@progbits,_ZN7rocprim17ROCPRIM_400000_NS6detail17trampoline_kernelINS0_14default_configENS1_25partition_config_selectorILNS1_17partition_subalgoE8EfNS0_10empty_typeEbEEZZNS1_14partition_implILS5_8ELb0ES3_jPKfPS6_PKS6_NS0_5tupleIJPfS6_EEENSE_IJSB_SB_EEENS0_18inequality_wrapperIN6hipcub16HIPCUB_304000_NS8EqualityEEEPlJS6_EEE10hipError_tPvRmT3_T4_T5_T6_T7_T9_mT8_P12ihipStream_tbDpT10_ENKUlT_T0_E_clISt17integral_constantIbLb0EES17_EEDaS12_S13_EUlS12_E_NS1_11comp_targetILNS1_3genE8ELNS1_11target_archE1030ELNS1_3gpuE2ELNS1_3repE0EEENS1_30default_config_static_selectorELNS0_4arch9wavefront6targetE1EEEvT1_,comdat
	.protected	_ZN7rocprim17ROCPRIM_400000_NS6detail17trampoline_kernelINS0_14default_configENS1_25partition_config_selectorILNS1_17partition_subalgoE8EfNS0_10empty_typeEbEEZZNS1_14partition_implILS5_8ELb0ES3_jPKfPS6_PKS6_NS0_5tupleIJPfS6_EEENSE_IJSB_SB_EEENS0_18inequality_wrapperIN6hipcub16HIPCUB_304000_NS8EqualityEEEPlJS6_EEE10hipError_tPvRmT3_T4_T5_T6_T7_T9_mT8_P12ihipStream_tbDpT10_ENKUlT_T0_E_clISt17integral_constantIbLb0EES17_EEDaS12_S13_EUlS12_E_NS1_11comp_targetILNS1_3genE8ELNS1_11target_archE1030ELNS1_3gpuE2ELNS1_3repE0EEENS1_30default_config_static_selectorELNS0_4arch9wavefront6targetE1EEEvT1_ ; -- Begin function _ZN7rocprim17ROCPRIM_400000_NS6detail17trampoline_kernelINS0_14default_configENS1_25partition_config_selectorILNS1_17partition_subalgoE8EfNS0_10empty_typeEbEEZZNS1_14partition_implILS5_8ELb0ES3_jPKfPS6_PKS6_NS0_5tupleIJPfS6_EEENSE_IJSB_SB_EEENS0_18inequality_wrapperIN6hipcub16HIPCUB_304000_NS8EqualityEEEPlJS6_EEE10hipError_tPvRmT3_T4_T5_T6_T7_T9_mT8_P12ihipStream_tbDpT10_ENKUlT_T0_E_clISt17integral_constantIbLb0EES17_EEDaS12_S13_EUlS12_E_NS1_11comp_targetILNS1_3genE8ELNS1_11target_archE1030ELNS1_3gpuE2ELNS1_3repE0EEENS1_30default_config_static_selectorELNS0_4arch9wavefront6targetE1EEEvT1_
	.globl	_ZN7rocprim17ROCPRIM_400000_NS6detail17trampoline_kernelINS0_14default_configENS1_25partition_config_selectorILNS1_17partition_subalgoE8EfNS0_10empty_typeEbEEZZNS1_14partition_implILS5_8ELb0ES3_jPKfPS6_PKS6_NS0_5tupleIJPfS6_EEENSE_IJSB_SB_EEENS0_18inequality_wrapperIN6hipcub16HIPCUB_304000_NS8EqualityEEEPlJS6_EEE10hipError_tPvRmT3_T4_T5_T6_T7_T9_mT8_P12ihipStream_tbDpT10_ENKUlT_T0_E_clISt17integral_constantIbLb0EES17_EEDaS12_S13_EUlS12_E_NS1_11comp_targetILNS1_3genE8ELNS1_11target_archE1030ELNS1_3gpuE2ELNS1_3repE0EEENS1_30default_config_static_selectorELNS0_4arch9wavefront6targetE1EEEvT1_
	.p2align	8
	.type	_ZN7rocprim17ROCPRIM_400000_NS6detail17trampoline_kernelINS0_14default_configENS1_25partition_config_selectorILNS1_17partition_subalgoE8EfNS0_10empty_typeEbEEZZNS1_14partition_implILS5_8ELb0ES3_jPKfPS6_PKS6_NS0_5tupleIJPfS6_EEENSE_IJSB_SB_EEENS0_18inequality_wrapperIN6hipcub16HIPCUB_304000_NS8EqualityEEEPlJS6_EEE10hipError_tPvRmT3_T4_T5_T6_T7_T9_mT8_P12ihipStream_tbDpT10_ENKUlT_T0_E_clISt17integral_constantIbLb0EES17_EEDaS12_S13_EUlS12_E_NS1_11comp_targetILNS1_3genE8ELNS1_11target_archE1030ELNS1_3gpuE2ELNS1_3repE0EEENS1_30default_config_static_selectorELNS0_4arch9wavefront6targetE1EEEvT1_,@function
_ZN7rocprim17ROCPRIM_400000_NS6detail17trampoline_kernelINS0_14default_configENS1_25partition_config_selectorILNS1_17partition_subalgoE8EfNS0_10empty_typeEbEEZZNS1_14partition_implILS5_8ELb0ES3_jPKfPS6_PKS6_NS0_5tupleIJPfS6_EEENSE_IJSB_SB_EEENS0_18inequality_wrapperIN6hipcub16HIPCUB_304000_NS8EqualityEEEPlJS6_EEE10hipError_tPvRmT3_T4_T5_T6_T7_T9_mT8_P12ihipStream_tbDpT10_ENKUlT_T0_E_clISt17integral_constantIbLb0EES17_EEDaS12_S13_EUlS12_E_NS1_11comp_targetILNS1_3genE8ELNS1_11target_archE1030ELNS1_3gpuE2ELNS1_3repE0EEENS1_30default_config_static_selectorELNS0_4arch9wavefront6targetE1EEEvT1_: ; @_ZN7rocprim17ROCPRIM_400000_NS6detail17trampoline_kernelINS0_14default_configENS1_25partition_config_selectorILNS1_17partition_subalgoE8EfNS0_10empty_typeEbEEZZNS1_14partition_implILS5_8ELb0ES3_jPKfPS6_PKS6_NS0_5tupleIJPfS6_EEENSE_IJSB_SB_EEENS0_18inequality_wrapperIN6hipcub16HIPCUB_304000_NS8EqualityEEEPlJS6_EEE10hipError_tPvRmT3_T4_T5_T6_T7_T9_mT8_P12ihipStream_tbDpT10_ENKUlT_T0_E_clISt17integral_constantIbLb0EES17_EEDaS12_S13_EUlS12_E_NS1_11comp_targetILNS1_3genE8ELNS1_11target_archE1030ELNS1_3gpuE2ELNS1_3repE0EEENS1_30default_config_static_selectorELNS0_4arch9wavefront6targetE1EEEvT1_
; %bb.0:
	.section	.rodata,"a",@progbits
	.p2align	6, 0x0
	.amdhsa_kernel _ZN7rocprim17ROCPRIM_400000_NS6detail17trampoline_kernelINS0_14default_configENS1_25partition_config_selectorILNS1_17partition_subalgoE8EfNS0_10empty_typeEbEEZZNS1_14partition_implILS5_8ELb0ES3_jPKfPS6_PKS6_NS0_5tupleIJPfS6_EEENSE_IJSB_SB_EEENS0_18inequality_wrapperIN6hipcub16HIPCUB_304000_NS8EqualityEEEPlJS6_EEE10hipError_tPvRmT3_T4_T5_T6_T7_T9_mT8_P12ihipStream_tbDpT10_ENKUlT_T0_E_clISt17integral_constantIbLb0EES17_EEDaS12_S13_EUlS12_E_NS1_11comp_targetILNS1_3genE8ELNS1_11target_archE1030ELNS1_3gpuE2ELNS1_3repE0EEENS1_30default_config_static_selectorELNS0_4arch9wavefront6targetE1EEEvT1_
		.amdhsa_group_segment_fixed_size 0
		.amdhsa_private_segment_fixed_size 0
		.amdhsa_kernarg_size 112
		.amdhsa_user_sgpr_count 2
		.amdhsa_user_sgpr_dispatch_ptr 0
		.amdhsa_user_sgpr_queue_ptr 0
		.amdhsa_user_sgpr_kernarg_segment_ptr 1
		.amdhsa_user_sgpr_dispatch_id 0
		.amdhsa_user_sgpr_kernarg_preload_length 0
		.amdhsa_user_sgpr_kernarg_preload_offset 0
		.amdhsa_user_sgpr_private_segment_size 0
		.amdhsa_uses_dynamic_stack 0
		.amdhsa_enable_private_segment 0
		.amdhsa_system_sgpr_workgroup_id_x 1
		.amdhsa_system_sgpr_workgroup_id_y 0
		.amdhsa_system_sgpr_workgroup_id_z 0
		.amdhsa_system_sgpr_workgroup_info 0
		.amdhsa_system_vgpr_workitem_id 0
		.amdhsa_next_free_vgpr 1
		.amdhsa_next_free_sgpr 0
		.amdhsa_accum_offset 4
		.amdhsa_reserve_vcc 0
		.amdhsa_float_round_mode_32 0
		.amdhsa_float_round_mode_16_64 0
		.amdhsa_float_denorm_mode_32 3
		.amdhsa_float_denorm_mode_16_64 3
		.amdhsa_dx10_clamp 1
		.amdhsa_ieee_mode 1
		.amdhsa_fp16_overflow 0
		.amdhsa_tg_split 0
		.amdhsa_exception_fp_ieee_invalid_op 0
		.amdhsa_exception_fp_denorm_src 0
		.amdhsa_exception_fp_ieee_div_zero 0
		.amdhsa_exception_fp_ieee_overflow 0
		.amdhsa_exception_fp_ieee_underflow 0
		.amdhsa_exception_fp_ieee_inexact 0
		.amdhsa_exception_int_div_zero 0
	.end_amdhsa_kernel
	.section	.text._ZN7rocprim17ROCPRIM_400000_NS6detail17trampoline_kernelINS0_14default_configENS1_25partition_config_selectorILNS1_17partition_subalgoE8EfNS0_10empty_typeEbEEZZNS1_14partition_implILS5_8ELb0ES3_jPKfPS6_PKS6_NS0_5tupleIJPfS6_EEENSE_IJSB_SB_EEENS0_18inequality_wrapperIN6hipcub16HIPCUB_304000_NS8EqualityEEEPlJS6_EEE10hipError_tPvRmT3_T4_T5_T6_T7_T9_mT8_P12ihipStream_tbDpT10_ENKUlT_T0_E_clISt17integral_constantIbLb0EES17_EEDaS12_S13_EUlS12_E_NS1_11comp_targetILNS1_3genE8ELNS1_11target_archE1030ELNS1_3gpuE2ELNS1_3repE0EEENS1_30default_config_static_selectorELNS0_4arch9wavefront6targetE1EEEvT1_,"axG",@progbits,_ZN7rocprim17ROCPRIM_400000_NS6detail17trampoline_kernelINS0_14default_configENS1_25partition_config_selectorILNS1_17partition_subalgoE8EfNS0_10empty_typeEbEEZZNS1_14partition_implILS5_8ELb0ES3_jPKfPS6_PKS6_NS0_5tupleIJPfS6_EEENSE_IJSB_SB_EEENS0_18inequality_wrapperIN6hipcub16HIPCUB_304000_NS8EqualityEEEPlJS6_EEE10hipError_tPvRmT3_T4_T5_T6_T7_T9_mT8_P12ihipStream_tbDpT10_ENKUlT_T0_E_clISt17integral_constantIbLb0EES17_EEDaS12_S13_EUlS12_E_NS1_11comp_targetILNS1_3genE8ELNS1_11target_archE1030ELNS1_3gpuE2ELNS1_3repE0EEENS1_30default_config_static_selectorELNS0_4arch9wavefront6targetE1EEEvT1_,comdat
.Lfunc_end348:
	.size	_ZN7rocprim17ROCPRIM_400000_NS6detail17trampoline_kernelINS0_14default_configENS1_25partition_config_selectorILNS1_17partition_subalgoE8EfNS0_10empty_typeEbEEZZNS1_14partition_implILS5_8ELb0ES3_jPKfPS6_PKS6_NS0_5tupleIJPfS6_EEENSE_IJSB_SB_EEENS0_18inequality_wrapperIN6hipcub16HIPCUB_304000_NS8EqualityEEEPlJS6_EEE10hipError_tPvRmT3_T4_T5_T6_T7_T9_mT8_P12ihipStream_tbDpT10_ENKUlT_T0_E_clISt17integral_constantIbLb0EES17_EEDaS12_S13_EUlS12_E_NS1_11comp_targetILNS1_3genE8ELNS1_11target_archE1030ELNS1_3gpuE2ELNS1_3repE0EEENS1_30default_config_static_selectorELNS0_4arch9wavefront6targetE1EEEvT1_, .Lfunc_end348-_ZN7rocprim17ROCPRIM_400000_NS6detail17trampoline_kernelINS0_14default_configENS1_25partition_config_selectorILNS1_17partition_subalgoE8EfNS0_10empty_typeEbEEZZNS1_14partition_implILS5_8ELb0ES3_jPKfPS6_PKS6_NS0_5tupleIJPfS6_EEENSE_IJSB_SB_EEENS0_18inequality_wrapperIN6hipcub16HIPCUB_304000_NS8EqualityEEEPlJS6_EEE10hipError_tPvRmT3_T4_T5_T6_T7_T9_mT8_P12ihipStream_tbDpT10_ENKUlT_T0_E_clISt17integral_constantIbLb0EES17_EEDaS12_S13_EUlS12_E_NS1_11comp_targetILNS1_3genE8ELNS1_11target_archE1030ELNS1_3gpuE2ELNS1_3repE0EEENS1_30default_config_static_selectorELNS0_4arch9wavefront6targetE1EEEvT1_
                                        ; -- End function
	.section	.AMDGPU.csdata,"",@progbits
; Kernel info:
; codeLenInByte = 0
; NumSgprs: 6
; NumVgprs: 0
; NumAgprs: 0
; TotalNumVgprs: 0
; ScratchSize: 0
; MemoryBound: 0
; FloatMode: 240
; IeeeMode: 1
; LDSByteSize: 0 bytes/workgroup (compile time only)
; SGPRBlocks: 0
; VGPRBlocks: 0
; NumSGPRsForWavesPerEU: 6
; NumVGPRsForWavesPerEU: 1
; AccumOffset: 4
; Occupancy: 8
; WaveLimiterHint : 0
; COMPUTE_PGM_RSRC2:SCRATCH_EN: 0
; COMPUTE_PGM_RSRC2:USER_SGPR: 2
; COMPUTE_PGM_RSRC2:TRAP_HANDLER: 0
; COMPUTE_PGM_RSRC2:TGID_X_EN: 1
; COMPUTE_PGM_RSRC2:TGID_Y_EN: 0
; COMPUTE_PGM_RSRC2:TGID_Z_EN: 0
; COMPUTE_PGM_RSRC2:TIDIG_COMP_CNT: 0
; COMPUTE_PGM_RSRC3_GFX90A:ACCUM_OFFSET: 0
; COMPUTE_PGM_RSRC3_GFX90A:TG_SPLIT: 0
	.section	.text._ZN7rocprim17ROCPRIM_400000_NS6detail17trampoline_kernelINS0_14default_configENS1_25partition_config_selectorILNS1_17partition_subalgoE8EfNS0_10empty_typeEbEEZZNS1_14partition_implILS5_8ELb0ES3_jPKfPS6_PKS6_NS0_5tupleIJPfS6_EEENSE_IJSB_SB_EEENS0_18inequality_wrapperIN6hipcub16HIPCUB_304000_NS8EqualityEEEPlJS6_EEE10hipError_tPvRmT3_T4_T5_T6_T7_T9_mT8_P12ihipStream_tbDpT10_ENKUlT_T0_E_clISt17integral_constantIbLb1EES17_EEDaS12_S13_EUlS12_E_NS1_11comp_targetILNS1_3genE0ELNS1_11target_archE4294967295ELNS1_3gpuE0ELNS1_3repE0EEENS1_30default_config_static_selectorELNS0_4arch9wavefront6targetE1EEEvT1_,"axG",@progbits,_ZN7rocprim17ROCPRIM_400000_NS6detail17trampoline_kernelINS0_14default_configENS1_25partition_config_selectorILNS1_17partition_subalgoE8EfNS0_10empty_typeEbEEZZNS1_14partition_implILS5_8ELb0ES3_jPKfPS6_PKS6_NS0_5tupleIJPfS6_EEENSE_IJSB_SB_EEENS0_18inequality_wrapperIN6hipcub16HIPCUB_304000_NS8EqualityEEEPlJS6_EEE10hipError_tPvRmT3_T4_T5_T6_T7_T9_mT8_P12ihipStream_tbDpT10_ENKUlT_T0_E_clISt17integral_constantIbLb1EES17_EEDaS12_S13_EUlS12_E_NS1_11comp_targetILNS1_3genE0ELNS1_11target_archE4294967295ELNS1_3gpuE0ELNS1_3repE0EEENS1_30default_config_static_selectorELNS0_4arch9wavefront6targetE1EEEvT1_,comdat
	.protected	_ZN7rocprim17ROCPRIM_400000_NS6detail17trampoline_kernelINS0_14default_configENS1_25partition_config_selectorILNS1_17partition_subalgoE8EfNS0_10empty_typeEbEEZZNS1_14partition_implILS5_8ELb0ES3_jPKfPS6_PKS6_NS0_5tupleIJPfS6_EEENSE_IJSB_SB_EEENS0_18inequality_wrapperIN6hipcub16HIPCUB_304000_NS8EqualityEEEPlJS6_EEE10hipError_tPvRmT3_T4_T5_T6_T7_T9_mT8_P12ihipStream_tbDpT10_ENKUlT_T0_E_clISt17integral_constantIbLb1EES17_EEDaS12_S13_EUlS12_E_NS1_11comp_targetILNS1_3genE0ELNS1_11target_archE4294967295ELNS1_3gpuE0ELNS1_3repE0EEENS1_30default_config_static_selectorELNS0_4arch9wavefront6targetE1EEEvT1_ ; -- Begin function _ZN7rocprim17ROCPRIM_400000_NS6detail17trampoline_kernelINS0_14default_configENS1_25partition_config_selectorILNS1_17partition_subalgoE8EfNS0_10empty_typeEbEEZZNS1_14partition_implILS5_8ELb0ES3_jPKfPS6_PKS6_NS0_5tupleIJPfS6_EEENSE_IJSB_SB_EEENS0_18inequality_wrapperIN6hipcub16HIPCUB_304000_NS8EqualityEEEPlJS6_EEE10hipError_tPvRmT3_T4_T5_T6_T7_T9_mT8_P12ihipStream_tbDpT10_ENKUlT_T0_E_clISt17integral_constantIbLb1EES17_EEDaS12_S13_EUlS12_E_NS1_11comp_targetILNS1_3genE0ELNS1_11target_archE4294967295ELNS1_3gpuE0ELNS1_3repE0EEENS1_30default_config_static_selectorELNS0_4arch9wavefront6targetE1EEEvT1_
	.globl	_ZN7rocprim17ROCPRIM_400000_NS6detail17trampoline_kernelINS0_14default_configENS1_25partition_config_selectorILNS1_17partition_subalgoE8EfNS0_10empty_typeEbEEZZNS1_14partition_implILS5_8ELb0ES3_jPKfPS6_PKS6_NS0_5tupleIJPfS6_EEENSE_IJSB_SB_EEENS0_18inequality_wrapperIN6hipcub16HIPCUB_304000_NS8EqualityEEEPlJS6_EEE10hipError_tPvRmT3_T4_T5_T6_T7_T9_mT8_P12ihipStream_tbDpT10_ENKUlT_T0_E_clISt17integral_constantIbLb1EES17_EEDaS12_S13_EUlS12_E_NS1_11comp_targetILNS1_3genE0ELNS1_11target_archE4294967295ELNS1_3gpuE0ELNS1_3repE0EEENS1_30default_config_static_selectorELNS0_4arch9wavefront6targetE1EEEvT1_
	.p2align	8
	.type	_ZN7rocprim17ROCPRIM_400000_NS6detail17trampoline_kernelINS0_14default_configENS1_25partition_config_selectorILNS1_17partition_subalgoE8EfNS0_10empty_typeEbEEZZNS1_14partition_implILS5_8ELb0ES3_jPKfPS6_PKS6_NS0_5tupleIJPfS6_EEENSE_IJSB_SB_EEENS0_18inequality_wrapperIN6hipcub16HIPCUB_304000_NS8EqualityEEEPlJS6_EEE10hipError_tPvRmT3_T4_T5_T6_T7_T9_mT8_P12ihipStream_tbDpT10_ENKUlT_T0_E_clISt17integral_constantIbLb1EES17_EEDaS12_S13_EUlS12_E_NS1_11comp_targetILNS1_3genE0ELNS1_11target_archE4294967295ELNS1_3gpuE0ELNS1_3repE0EEENS1_30default_config_static_selectorELNS0_4arch9wavefront6targetE1EEEvT1_,@function
_ZN7rocprim17ROCPRIM_400000_NS6detail17trampoline_kernelINS0_14default_configENS1_25partition_config_selectorILNS1_17partition_subalgoE8EfNS0_10empty_typeEbEEZZNS1_14partition_implILS5_8ELb0ES3_jPKfPS6_PKS6_NS0_5tupleIJPfS6_EEENSE_IJSB_SB_EEENS0_18inequality_wrapperIN6hipcub16HIPCUB_304000_NS8EqualityEEEPlJS6_EEE10hipError_tPvRmT3_T4_T5_T6_T7_T9_mT8_P12ihipStream_tbDpT10_ENKUlT_T0_E_clISt17integral_constantIbLb1EES17_EEDaS12_S13_EUlS12_E_NS1_11comp_targetILNS1_3genE0ELNS1_11target_archE4294967295ELNS1_3gpuE0ELNS1_3repE0EEENS1_30default_config_static_selectorELNS0_4arch9wavefront6targetE1EEEvT1_: ; @_ZN7rocprim17ROCPRIM_400000_NS6detail17trampoline_kernelINS0_14default_configENS1_25partition_config_selectorILNS1_17partition_subalgoE8EfNS0_10empty_typeEbEEZZNS1_14partition_implILS5_8ELb0ES3_jPKfPS6_PKS6_NS0_5tupleIJPfS6_EEENSE_IJSB_SB_EEENS0_18inequality_wrapperIN6hipcub16HIPCUB_304000_NS8EqualityEEEPlJS6_EEE10hipError_tPvRmT3_T4_T5_T6_T7_T9_mT8_P12ihipStream_tbDpT10_ENKUlT_T0_E_clISt17integral_constantIbLb1EES17_EEDaS12_S13_EUlS12_E_NS1_11comp_targetILNS1_3genE0ELNS1_11target_archE4294967295ELNS1_3gpuE0ELNS1_3repE0EEENS1_30default_config_static_selectorELNS0_4arch9wavefront6targetE1EEEvT1_
; %bb.0:
	.section	.rodata,"a",@progbits
	.p2align	6, 0x0
	.amdhsa_kernel _ZN7rocprim17ROCPRIM_400000_NS6detail17trampoline_kernelINS0_14default_configENS1_25partition_config_selectorILNS1_17partition_subalgoE8EfNS0_10empty_typeEbEEZZNS1_14partition_implILS5_8ELb0ES3_jPKfPS6_PKS6_NS0_5tupleIJPfS6_EEENSE_IJSB_SB_EEENS0_18inequality_wrapperIN6hipcub16HIPCUB_304000_NS8EqualityEEEPlJS6_EEE10hipError_tPvRmT3_T4_T5_T6_T7_T9_mT8_P12ihipStream_tbDpT10_ENKUlT_T0_E_clISt17integral_constantIbLb1EES17_EEDaS12_S13_EUlS12_E_NS1_11comp_targetILNS1_3genE0ELNS1_11target_archE4294967295ELNS1_3gpuE0ELNS1_3repE0EEENS1_30default_config_static_selectorELNS0_4arch9wavefront6targetE1EEEvT1_
		.amdhsa_group_segment_fixed_size 0
		.amdhsa_private_segment_fixed_size 0
		.amdhsa_kernarg_size 128
		.amdhsa_user_sgpr_count 2
		.amdhsa_user_sgpr_dispatch_ptr 0
		.amdhsa_user_sgpr_queue_ptr 0
		.amdhsa_user_sgpr_kernarg_segment_ptr 1
		.amdhsa_user_sgpr_dispatch_id 0
		.amdhsa_user_sgpr_kernarg_preload_length 0
		.amdhsa_user_sgpr_kernarg_preload_offset 0
		.amdhsa_user_sgpr_private_segment_size 0
		.amdhsa_uses_dynamic_stack 0
		.amdhsa_enable_private_segment 0
		.amdhsa_system_sgpr_workgroup_id_x 1
		.amdhsa_system_sgpr_workgroup_id_y 0
		.amdhsa_system_sgpr_workgroup_id_z 0
		.amdhsa_system_sgpr_workgroup_info 0
		.amdhsa_system_vgpr_workitem_id 0
		.amdhsa_next_free_vgpr 1
		.amdhsa_next_free_sgpr 0
		.amdhsa_accum_offset 4
		.amdhsa_reserve_vcc 0
		.amdhsa_float_round_mode_32 0
		.amdhsa_float_round_mode_16_64 0
		.amdhsa_float_denorm_mode_32 3
		.amdhsa_float_denorm_mode_16_64 3
		.amdhsa_dx10_clamp 1
		.amdhsa_ieee_mode 1
		.amdhsa_fp16_overflow 0
		.amdhsa_tg_split 0
		.amdhsa_exception_fp_ieee_invalid_op 0
		.amdhsa_exception_fp_denorm_src 0
		.amdhsa_exception_fp_ieee_div_zero 0
		.amdhsa_exception_fp_ieee_overflow 0
		.amdhsa_exception_fp_ieee_underflow 0
		.amdhsa_exception_fp_ieee_inexact 0
		.amdhsa_exception_int_div_zero 0
	.end_amdhsa_kernel
	.section	.text._ZN7rocprim17ROCPRIM_400000_NS6detail17trampoline_kernelINS0_14default_configENS1_25partition_config_selectorILNS1_17partition_subalgoE8EfNS0_10empty_typeEbEEZZNS1_14partition_implILS5_8ELb0ES3_jPKfPS6_PKS6_NS0_5tupleIJPfS6_EEENSE_IJSB_SB_EEENS0_18inequality_wrapperIN6hipcub16HIPCUB_304000_NS8EqualityEEEPlJS6_EEE10hipError_tPvRmT3_T4_T5_T6_T7_T9_mT8_P12ihipStream_tbDpT10_ENKUlT_T0_E_clISt17integral_constantIbLb1EES17_EEDaS12_S13_EUlS12_E_NS1_11comp_targetILNS1_3genE0ELNS1_11target_archE4294967295ELNS1_3gpuE0ELNS1_3repE0EEENS1_30default_config_static_selectorELNS0_4arch9wavefront6targetE1EEEvT1_,"axG",@progbits,_ZN7rocprim17ROCPRIM_400000_NS6detail17trampoline_kernelINS0_14default_configENS1_25partition_config_selectorILNS1_17partition_subalgoE8EfNS0_10empty_typeEbEEZZNS1_14partition_implILS5_8ELb0ES3_jPKfPS6_PKS6_NS0_5tupleIJPfS6_EEENSE_IJSB_SB_EEENS0_18inequality_wrapperIN6hipcub16HIPCUB_304000_NS8EqualityEEEPlJS6_EEE10hipError_tPvRmT3_T4_T5_T6_T7_T9_mT8_P12ihipStream_tbDpT10_ENKUlT_T0_E_clISt17integral_constantIbLb1EES17_EEDaS12_S13_EUlS12_E_NS1_11comp_targetILNS1_3genE0ELNS1_11target_archE4294967295ELNS1_3gpuE0ELNS1_3repE0EEENS1_30default_config_static_selectorELNS0_4arch9wavefront6targetE1EEEvT1_,comdat
.Lfunc_end349:
	.size	_ZN7rocprim17ROCPRIM_400000_NS6detail17trampoline_kernelINS0_14default_configENS1_25partition_config_selectorILNS1_17partition_subalgoE8EfNS0_10empty_typeEbEEZZNS1_14partition_implILS5_8ELb0ES3_jPKfPS6_PKS6_NS0_5tupleIJPfS6_EEENSE_IJSB_SB_EEENS0_18inequality_wrapperIN6hipcub16HIPCUB_304000_NS8EqualityEEEPlJS6_EEE10hipError_tPvRmT3_T4_T5_T6_T7_T9_mT8_P12ihipStream_tbDpT10_ENKUlT_T0_E_clISt17integral_constantIbLb1EES17_EEDaS12_S13_EUlS12_E_NS1_11comp_targetILNS1_3genE0ELNS1_11target_archE4294967295ELNS1_3gpuE0ELNS1_3repE0EEENS1_30default_config_static_selectorELNS0_4arch9wavefront6targetE1EEEvT1_, .Lfunc_end349-_ZN7rocprim17ROCPRIM_400000_NS6detail17trampoline_kernelINS0_14default_configENS1_25partition_config_selectorILNS1_17partition_subalgoE8EfNS0_10empty_typeEbEEZZNS1_14partition_implILS5_8ELb0ES3_jPKfPS6_PKS6_NS0_5tupleIJPfS6_EEENSE_IJSB_SB_EEENS0_18inequality_wrapperIN6hipcub16HIPCUB_304000_NS8EqualityEEEPlJS6_EEE10hipError_tPvRmT3_T4_T5_T6_T7_T9_mT8_P12ihipStream_tbDpT10_ENKUlT_T0_E_clISt17integral_constantIbLb1EES17_EEDaS12_S13_EUlS12_E_NS1_11comp_targetILNS1_3genE0ELNS1_11target_archE4294967295ELNS1_3gpuE0ELNS1_3repE0EEENS1_30default_config_static_selectorELNS0_4arch9wavefront6targetE1EEEvT1_
                                        ; -- End function
	.section	.AMDGPU.csdata,"",@progbits
; Kernel info:
; codeLenInByte = 0
; NumSgprs: 6
; NumVgprs: 0
; NumAgprs: 0
; TotalNumVgprs: 0
; ScratchSize: 0
; MemoryBound: 0
; FloatMode: 240
; IeeeMode: 1
; LDSByteSize: 0 bytes/workgroup (compile time only)
; SGPRBlocks: 0
; VGPRBlocks: 0
; NumSGPRsForWavesPerEU: 6
; NumVGPRsForWavesPerEU: 1
; AccumOffset: 4
; Occupancy: 8
; WaveLimiterHint : 0
; COMPUTE_PGM_RSRC2:SCRATCH_EN: 0
; COMPUTE_PGM_RSRC2:USER_SGPR: 2
; COMPUTE_PGM_RSRC2:TRAP_HANDLER: 0
; COMPUTE_PGM_RSRC2:TGID_X_EN: 1
; COMPUTE_PGM_RSRC2:TGID_Y_EN: 0
; COMPUTE_PGM_RSRC2:TGID_Z_EN: 0
; COMPUTE_PGM_RSRC2:TIDIG_COMP_CNT: 0
; COMPUTE_PGM_RSRC3_GFX90A:ACCUM_OFFSET: 0
; COMPUTE_PGM_RSRC3_GFX90A:TG_SPLIT: 0
	.section	.text._ZN7rocprim17ROCPRIM_400000_NS6detail17trampoline_kernelINS0_14default_configENS1_25partition_config_selectorILNS1_17partition_subalgoE8EfNS0_10empty_typeEbEEZZNS1_14partition_implILS5_8ELb0ES3_jPKfPS6_PKS6_NS0_5tupleIJPfS6_EEENSE_IJSB_SB_EEENS0_18inequality_wrapperIN6hipcub16HIPCUB_304000_NS8EqualityEEEPlJS6_EEE10hipError_tPvRmT3_T4_T5_T6_T7_T9_mT8_P12ihipStream_tbDpT10_ENKUlT_T0_E_clISt17integral_constantIbLb1EES17_EEDaS12_S13_EUlS12_E_NS1_11comp_targetILNS1_3genE5ELNS1_11target_archE942ELNS1_3gpuE9ELNS1_3repE0EEENS1_30default_config_static_selectorELNS0_4arch9wavefront6targetE1EEEvT1_,"axG",@progbits,_ZN7rocprim17ROCPRIM_400000_NS6detail17trampoline_kernelINS0_14default_configENS1_25partition_config_selectorILNS1_17partition_subalgoE8EfNS0_10empty_typeEbEEZZNS1_14partition_implILS5_8ELb0ES3_jPKfPS6_PKS6_NS0_5tupleIJPfS6_EEENSE_IJSB_SB_EEENS0_18inequality_wrapperIN6hipcub16HIPCUB_304000_NS8EqualityEEEPlJS6_EEE10hipError_tPvRmT3_T4_T5_T6_T7_T9_mT8_P12ihipStream_tbDpT10_ENKUlT_T0_E_clISt17integral_constantIbLb1EES17_EEDaS12_S13_EUlS12_E_NS1_11comp_targetILNS1_3genE5ELNS1_11target_archE942ELNS1_3gpuE9ELNS1_3repE0EEENS1_30default_config_static_selectorELNS0_4arch9wavefront6targetE1EEEvT1_,comdat
	.protected	_ZN7rocprim17ROCPRIM_400000_NS6detail17trampoline_kernelINS0_14default_configENS1_25partition_config_selectorILNS1_17partition_subalgoE8EfNS0_10empty_typeEbEEZZNS1_14partition_implILS5_8ELb0ES3_jPKfPS6_PKS6_NS0_5tupleIJPfS6_EEENSE_IJSB_SB_EEENS0_18inequality_wrapperIN6hipcub16HIPCUB_304000_NS8EqualityEEEPlJS6_EEE10hipError_tPvRmT3_T4_T5_T6_T7_T9_mT8_P12ihipStream_tbDpT10_ENKUlT_T0_E_clISt17integral_constantIbLb1EES17_EEDaS12_S13_EUlS12_E_NS1_11comp_targetILNS1_3genE5ELNS1_11target_archE942ELNS1_3gpuE9ELNS1_3repE0EEENS1_30default_config_static_selectorELNS0_4arch9wavefront6targetE1EEEvT1_ ; -- Begin function _ZN7rocprim17ROCPRIM_400000_NS6detail17trampoline_kernelINS0_14default_configENS1_25partition_config_selectorILNS1_17partition_subalgoE8EfNS0_10empty_typeEbEEZZNS1_14partition_implILS5_8ELb0ES3_jPKfPS6_PKS6_NS0_5tupleIJPfS6_EEENSE_IJSB_SB_EEENS0_18inequality_wrapperIN6hipcub16HIPCUB_304000_NS8EqualityEEEPlJS6_EEE10hipError_tPvRmT3_T4_T5_T6_T7_T9_mT8_P12ihipStream_tbDpT10_ENKUlT_T0_E_clISt17integral_constantIbLb1EES17_EEDaS12_S13_EUlS12_E_NS1_11comp_targetILNS1_3genE5ELNS1_11target_archE942ELNS1_3gpuE9ELNS1_3repE0EEENS1_30default_config_static_selectorELNS0_4arch9wavefront6targetE1EEEvT1_
	.globl	_ZN7rocprim17ROCPRIM_400000_NS6detail17trampoline_kernelINS0_14default_configENS1_25partition_config_selectorILNS1_17partition_subalgoE8EfNS0_10empty_typeEbEEZZNS1_14partition_implILS5_8ELb0ES3_jPKfPS6_PKS6_NS0_5tupleIJPfS6_EEENSE_IJSB_SB_EEENS0_18inequality_wrapperIN6hipcub16HIPCUB_304000_NS8EqualityEEEPlJS6_EEE10hipError_tPvRmT3_T4_T5_T6_T7_T9_mT8_P12ihipStream_tbDpT10_ENKUlT_T0_E_clISt17integral_constantIbLb1EES17_EEDaS12_S13_EUlS12_E_NS1_11comp_targetILNS1_3genE5ELNS1_11target_archE942ELNS1_3gpuE9ELNS1_3repE0EEENS1_30default_config_static_selectorELNS0_4arch9wavefront6targetE1EEEvT1_
	.p2align	8
	.type	_ZN7rocprim17ROCPRIM_400000_NS6detail17trampoline_kernelINS0_14default_configENS1_25partition_config_selectorILNS1_17partition_subalgoE8EfNS0_10empty_typeEbEEZZNS1_14partition_implILS5_8ELb0ES3_jPKfPS6_PKS6_NS0_5tupleIJPfS6_EEENSE_IJSB_SB_EEENS0_18inequality_wrapperIN6hipcub16HIPCUB_304000_NS8EqualityEEEPlJS6_EEE10hipError_tPvRmT3_T4_T5_T6_T7_T9_mT8_P12ihipStream_tbDpT10_ENKUlT_T0_E_clISt17integral_constantIbLb1EES17_EEDaS12_S13_EUlS12_E_NS1_11comp_targetILNS1_3genE5ELNS1_11target_archE942ELNS1_3gpuE9ELNS1_3repE0EEENS1_30default_config_static_selectorELNS0_4arch9wavefront6targetE1EEEvT1_,@function
_ZN7rocprim17ROCPRIM_400000_NS6detail17trampoline_kernelINS0_14default_configENS1_25partition_config_selectorILNS1_17partition_subalgoE8EfNS0_10empty_typeEbEEZZNS1_14partition_implILS5_8ELb0ES3_jPKfPS6_PKS6_NS0_5tupleIJPfS6_EEENSE_IJSB_SB_EEENS0_18inequality_wrapperIN6hipcub16HIPCUB_304000_NS8EqualityEEEPlJS6_EEE10hipError_tPvRmT3_T4_T5_T6_T7_T9_mT8_P12ihipStream_tbDpT10_ENKUlT_T0_E_clISt17integral_constantIbLb1EES17_EEDaS12_S13_EUlS12_E_NS1_11comp_targetILNS1_3genE5ELNS1_11target_archE942ELNS1_3gpuE9ELNS1_3repE0EEENS1_30default_config_static_selectorELNS0_4arch9wavefront6targetE1EEEvT1_: ; @_ZN7rocprim17ROCPRIM_400000_NS6detail17trampoline_kernelINS0_14default_configENS1_25partition_config_selectorILNS1_17partition_subalgoE8EfNS0_10empty_typeEbEEZZNS1_14partition_implILS5_8ELb0ES3_jPKfPS6_PKS6_NS0_5tupleIJPfS6_EEENSE_IJSB_SB_EEENS0_18inequality_wrapperIN6hipcub16HIPCUB_304000_NS8EqualityEEEPlJS6_EEE10hipError_tPvRmT3_T4_T5_T6_T7_T9_mT8_P12ihipStream_tbDpT10_ENKUlT_T0_E_clISt17integral_constantIbLb1EES17_EEDaS12_S13_EUlS12_E_NS1_11comp_targetILNS1_3genE5ELNS1_11target_archE942ELNS1_3gpuE9ELNS1_3repE0EEENS1_30default_config_static_selectorELNS0_4arch9wavefront6targetE1EEEvT1_
; %bb.0:
	s_load_dwordx4 s[36:39], s[0:1], 0x40
	s_load_dwordx2 s[8:9], s[0:1], 0x50
	s_load_dwordx2 s[42:43], s[0:1], 0x60
	v_cmp_ne_u32_e64 s[2:3], 0, v0
	v_cmp_eq_u32_e64 s[18:19], 0, v0
	s_and_saveexec_b64 s[4:5], s[18:19]
	s_cbranch_execz .LBB350_4
; %bb.1:
	s_mov_b64 s[10:11], exec
	v_mbcnt_lo_u32_b32 v1, s10, 0
	v_mbcnt_hi_u32_b32 v1, s11, v1
	v_cmp_eq_u32_e32 vcc, 0, v1
                                        ; implicit-def: $vgpr2
	s_and_saveexec_b64 s[6:7], vcc
	s_cbranch_execz .LBB350_3
; %bb.2:
	s_load_dwordx2 s[12:13], s[0:1], 0x70
	s_bcnt1_i32_b64 s10, s[10:11]
	v_mov_b32_e32 v2, 0
	v_mov_b32_e32 v3, s10
	s_waitcnt lgkmcnt(0)
	global_atomic_add v2, v2, v3, s[12:13] sc0
.LBB350_3:
	s_or_b64 exec, exec, s[6:7]
	s_waitcnt vmcnt(0)
	v_readfirstlane_b32 s6, v2
	v_mov_b32_e32 v2, 0
	s_nop 0
	v_add_u32_e32 v1, s6, v1
	ds_write_b32 v2, v1
.LBB350_4:
	s_or_b64 exec, exec, s[4:5]
	v_mov_b32_e32 v3, 0
	s_load_dwordx4 s[4:7], s[0:1], 0x8
	s_load_dwordx2 s[40:41], s[0:1], 0x28
	s_load_dword s10, s[0:1], 0x68
	s_waitcnt lgkmcnt(0)
	s_barrier
	ds_read_b32 v1, v3
	s_waitcnt lgkmcnt(0)
	s_barrier
	global_load_dwordx2 v[18:19], v3, s[38:39]
	s_lshl_b64 s[0:1], s[6:7], 2
	s_add_u32 s4, s4, s0
	s_movk_i32 s0, 0x1e00
	v_mul_lo_u32 v2, v1, s0
	s_mul_i32 s0, s10, 0x1e00
	s_addc_u32 s5, s5, s1
	s_add_i32 s1, s0, s6
	v_mov_b32_e32 v5, s9
	s_add_i32 s9, s10, -1
	s_sub_i32 s50, s8, s1
	s_add_u32 s0, s6, s0
	v_readfirstlane_b32 s33, v1
	s_addc_u32 s1, s7, 0
	v_mov_b32_e32 v4, s8
	s_cmp_eq_u32 s33, s9
	v_cmp_ge_u64_e32 vcc, s[0:1], v[4:5]
	s_cselect_b64 s[34:35], -1, 0
	s_and_b64 s[44:45], vcc, s[34:35]
	s_xor_b64 s[38:39], s[44:45], -1
	v_lshlrev_b64 v[4:5], 2, v[2:3]
	s_mov_b64 s[0:1], -1
	v_lshl_add_u64 v[34:35], s[4:5], 0, v[4:5]
	s_and_b64 vcc, exec, s[38:39]
	s_cbranch_vccz .LBB350_6
; %bb.5:
	v_lshlrev_b32_e32 v2, 2, v0
	v_lshl_add_u64 v[4:5], v[34:35], 0, v[2:3]
	v_add_co_u32_e32 v6, vcc, 0x1000, v4
	v_readfirstlane_b32 s0, v34
	s_nop 0
	v_addc_co_u32_e32 v7, vcc, 0, v5, vcc
	v_add_co_u32_e32 v8, vcc, 0x2000, v4
	v_readfirstlane_b32 s1, v35
	s_nop 0
	v_addc_co_u32_e32 v9, vcc, 0, v5, vcc
	v_add_co_u32_e32 v10, vcc, 0x3000, v4
	s_nop 1
	global_load_dword v1, v2, s[0:1]
	global_load_dword v3, v2, s[0:1] offset:2048
	v_addc_co_u32_e32 v11, vcc, 0, v5, vcc
	v_add_co_u32_e32 v12, vcc, 0x4000, v4
	s_mov_b64 s[0:1], 0
	s_nop 0
	v_addc_co_u32_e32 v13, vcc, 0, v5, vcc
	global_load_dword v14, v[6:7], off
	global_load_dword v15, v[6:7], off offset:2048
	global_load_dword v16, v[8:9], off
	global_load_dword v17, v[8:9], off offset:2048
	;; [unrolled: 2-line block ×4, first 2 shown]
	v_add_co_u32_e32 v6, vcc, 0x5000, v4
	s_nop 1
	v_addc_co_u32_e32 v7, vcc, 0, v5, vcc
	v_add_co_u32_e32 v8, vcc, 0x6000, v4
	s_nop 1
	v_addc_co_u32_e32 v9, vcc, 0, v5, vcc
	global_load_dword v10, v[6:7], off
	global_load_dword v11, v[6:7], off offset:2048
	global_load_dword v12, v[8:9], off
	global_load_dword v13, v[8:9], off offset:2048
	v_add_co_u32_e32 v4, vcc, 0x7000, v4
	s_nop 1
	v_addc_co_u32_e32 v5, vcc, 0, v5, vcc
	global_load_dword v4, v[4:5], off
	s_waitcnt vmcnt(13)
	ds_write2st64_b32 v2, v1, v3 offset1:8
	s_waitcnt vmcnt(11)
	ds_write2st64_b32 v2, v14, v15 offset0:16 offset1:24
	s_waitcnt vmcnt(9)
	ds_write2st64_b32 v2, v16, v17 offset0:32 offset1:40
	;; [unrolled: 2-line block ×6, first 2 shown]
	s_waitcnt vmcnt(0)
	ds_write_b32 v2, v4 offset:28672
	s_waitcnt lgkmcnt(0)
	s_barrier
.LBB350_6:
	s_andn2_b64 vcc, exec, s[0:1]
	s_addk_i32 s50, 0x1e00
	s_cbranch_vccnz .LBB350_38
; %bb.7:
	v_cmp_gt_u32_e32 vcc, s50, v0
                                        ; implicit-def: $vgpr2_vgpr3_vgpr4_vgpr5_vgpr6_vgpr7_vgpr8_vgpr9_vgpr10_vgpr11_vgpr12_vgpr13_vgpr14_vgpr15_vgpr16_vgpr17
	s_and_saveexec_b64 s[0:1], vcc
	s_cbranch_execz .LBB350_9
; %bb.8:
	v_lshlrev_b32_e32 v1, 2, v0
	v_readfirstlane_b32 s4, v34
	v_readfirstlane_b32 s5, v35
	s_nop 4
	global_load_dword v2, v1, s[4:5]
.LBB350_9:
	s_or_b64 exec, exec, s[0:1]
	v_or_b32_e32 v1, 0x200, v0
	v_cmp_gt_u32_e32 vcc, s50, v1
	s_and_saveexec_b64 s[0:1], vcc
	s_cbranch_execz .LBB350_11
; %bb.10:
	v_lshlrev_b32_e32 v1, 2, v0
	v_readfirstlane_b32 s4, v34
	v_readfirstlane_b32 s5, v35
	s_nop 4
	global_load_dword v3, v1, s[4:5] offset:2048
.LBB350_11:
	s_or_b64 exec, exec, s[0:1]
	v_or_b32_e32 v1, 0x400, v0
	v_cmp_gt_u32_e32 vcc, s50, v1
	s_and_saveexec_b64 s[0:1], vcc
	s_cbranch_execz .LBB350_13
; %bb.12:
	v_lshlrev_b32_e32 v1, 2, v1
	v_readfirstlane_b32 s4, v34
	v_readfirstlane_b32 s5, v35
	s_nop 4
	global_load_dword v4, v1, s[4:5]
.LBB350_13:
	s_or_b64 exec, exec, s[0:1]
	v_or_b32_e32 v1, 0x600, v0
	v_cmp_gt_u32_e32 vcc, s50, v1
	s_and_saveexec_b64 s[0:1], vcc
	s_cbranch_execz .LBB350_15
; %bb.14:
	v_lshlrev_b32_e32 v1, 2, v1
	v_readfirstlane_b32 s4, v34
	v_readfirstlane_b32 s5, v35
	s_nop 4
	global_load_dword v5, v1, s[4:5]
.LBB350_15:
	;; [unrolled: 12-line block ×13, first 2 shown]
	s_or_b64 exec, exec, s[0:1]
	v_lshlrev_b32_e32 v1, 2, v0
	s_waitcnt vmcnt(0)
	ds_write2st64_b32 v1, v2, v3 offset1:8
	ds_write2st64_b32 v1, v4, v5 offset0:16 offset1:24
	ds_write2st64_b32 v1, v6, v7 offset0:32 offset1:40
	;; [unrolled: 1-line block ×6, first 2 shown]
	ds_write_b32 v1, v16 offset:28672
	s_waitcnt lgkmcnt(0)
	s_barrier
.LBB350_38:
	v_mul_u32_u24_e32 v10, 15, v0
	v_lshlrev_b32_e32 v17, 2, v10
	ds_read2_b32 v[32:33], v17 offset1:1
	ds_read2_b32 v[30:31], v17 offset0:2 offset1:3
	ds_read2_b32 v[28:29], v17 offset0:4 offset1:5
	;; [unrolled: 1-line block ×6, first 2 shown]
	ds_read_b32 v1, v17 offset:56
	s_cmp_lg_u32 s33, 0
	s_cselect_b64 s[46:47], -1, 0
	s_cmp_lg_u64 s[6:7], 0
	s_cselect_b64 s[0:1], -1, 0
	s_or_b64 s[0:1], s[0:1], s[46:47]
	v_mad_u32_u24 v15, v0, 15, 1
	v_mad_u32_u24 v11, v0, 15, 2
	;; [unrolled: 1-line block ×14, first 2 shown]
	s_mov_b64 s[48:49], 0
	s_and_b64 vcc, exec, s[0:1]
	s_waitcnt lgkmcnt(0)
	s_barrier
	s_cbranch_vccz .LBB350_43
; %bb.39:
	global_load_dword v34, v[34:35], off offset:-4
	v_lshlrev_b32_e32 v35, 2, v0
	s_and_b64 vcc, exec, s[38:39]
	ds_write_b32 v35, v1
	s_cbranch_vccz .LBB350_45
; %bb.40:
	s_waitcnt vmcnt(0)
	v_mov_b32_e32 v36, v34
	s_waitcnt lgkmcnt(0)
	s_barrier
	s_and_saveexec_b64 s[0:1], s[2:3]
	s_cbranch_execz .LBB350_42
; %bb.41:
	v_add_u32_e32 v36, -4, v35
	ds_read_b32 v36, v36
.LBB350_42:
	s_or_b64 exec, exec, s[0:1]
	v_cmp_neq_f32_e32 vcc, v21, v1
	s_waitcnt lgkmcnt(0)
	v_cmp_neq_f32_e64 s[0:1], v36, v32
	v_cndmask_b32_e64 v37, 0, 1, vcc
	v_cmp_neq_f32_e32 vcc, v20, v21
	s_nop 1
	v_cndmask_b32_e64 v40, 0, 1, vcc
	v_cmp_neq_f32_e32 vcc, v23, v20
	s_nop 1
	;; [unrolled: 3-line block ×13, first 2 shown]
	v_cndmask_b32_e64 v52, 0, 1, vcc
	s_branch .LBB350_49
.LBB350_43:
                                        ; implicit-def: $sgpr0_sgpr1
                                        ; implicit-def: $vgpr37
                                        ; implicit-def: $vgpr40
                                        ; implicit-def: $vgpr41
                                        ; implicit-def: $vgpr42
                                        ; implicit-def: $vgpr43
                                        ; implicit-def: $vgpr44
                                        ; implicit-def: $vgpr45
                                        ; implicit-def: $vgpr46
                                        ; implicit-def: $vgpr52
                                        ; implicit-def: $vgpr51
                                        ; implicit-def: $vgpr50
                                        ; implicit-def: $vgpr49
                                        ; implicit-def: $vgpr48
                                        ; implicit-def: $vgpr47
	s_branch .LBB350_50
.LBB350_44:
                                        ; implicit-def: $sgpr6
	s_branch .LBB350_58
.LBB350_45:
                                        ; implicit-def: $sgpr0_sgpr1
                                        ; implicit-def: $vgpr37
                                        ; implicit-def: $vgpr40
                                        ; implicit-def: $vgpr41
                                        ; implicit-def: $vgpr42
                                        ; implicit-def: $vgpr43
                                        ; implicit-def: $vgpr44
                                        ; implicit-def: $vgpr45
                                        ; implicit-def: $vgpr46
                                        ; implicit-def: $vgpr52
                                        ; implicit-def: $vgpr51
                                        ; implicit-def: $vgpr50
                                        ; implicit-def: $vgpr49
                                        ; implicit-def: $vgpr48
                                        ; implicit-def: $vgpr47
	s_cbranch_execz .LBB350_49
; %bb.46:
	s_waitcnt lgkmcnt(0)
	s_barrier
	s_and_saveexec_b64 s[0:1], s[2:3]
	s_cbranch_execz .LBB350_48
; %bb.47:
	s_waitcnt vmcnt(0)
	v_add_u32_e32 v34, -4, v35
	ds_read_b32 v34, v34
.LBB350_48:
	s_or_b64 exec, exec, s[0:1]
	v_cmp_gt_u32_e32 vcc, s50, v2
	v_cmp_neq_f32_e64 s[0:1], v21, v1
	s_and_b64 s[0:1], vcc, s[0:1]
	v_cmp_gt_u32_e32 vcc, s50, v5
	v_cndmask_b32_e64 v37, 0, 1, s[0:1]
	v_cmp_neq_f32_e64 s[0:1], v20, v21
	s_and_b64 s[0:1], vcc, s[0:1]
	v_cmp_gt_u32_e32 vcc, s50, v4
	v_cndmask_b32_e64 v40, 0, 1, s[0:1]
	;; [unrolled: 4-line block ×14, first 2 shown]
	s_waitcnt vmcnt(0) lgkmcnt(0)
	v_cmp_neq_f32_e64 s[0:1], v34, v32
	s_and_b64 s[0:1], vcc, s[0:1]
.LBB350_49:
	s_mov_b64 s[48:49], -1
	s_cbranch_execnz .LBB350_44
.LBB350_50:
	s_movk_i32 s0, 0xffc8
	v_mad_i32_i24 v17, v0, s0, v17
	s_and_b64 vcc, exec, s[38:39]
	v_cmp_neq_f32_e64 s[0:1], v21, v1
	v_cmp_neq_f32_e64 s[4:5], v20, v21
	;; [unrolled: 1-line block ×14, first 2 shown]
	ds_write_b32 v17, v1
	s_cbranch_vccz .LBB350_54
; %bb.51:
	v_cndmask_b32_e64 v37, 0, 1, s[0:1]
	v_cndmask_b32_e64 v40, 0, 1, s[4:5]
	;; [unrolled: 1-line block ×14, first 2 shown]
	s_waitcnt lgkmcnt(0)
	s_barrier
	s_waitcnt lgkmcnt(0)
                                        ; implicit-def: $sgpr0_sgpr1
	s_and_saveexec_b64 s[4:5], s[2:3]
	s_xor_b64 s[4:5], exec, s[4:5]
	s_cbranch_execz .LBB350_53
; %bb.52:
	s_waitcnt vmcnt(0)
	v_add_u32_e32 v34, -4, v17
	ds_read_b32 v34, v34
	s_or_b64 s[48:49], s[48:49], exec
	s_waitcnt lgkmcnt(0)
	v_cmp_neq_f32_e32 vcc, v34, v32
	s_and_b64 s[0:1], vcc, exec
.LBB350_53:
	s_or_b64 exec, exec, s[4:5]
	s_mov_b32 s6, 1
	s_branch .LBB350_58
.LBB350_54:
                                        ; implicit-def: $sgpr0_sgpr1
                                        ; implicit-def: $vgpr37
                                        ; implicit-def: $vgpr40
                                        ; implicit-def: $vgpr41
                                        ; implicit-def: $vgpr42
                                        ; implicit-def: $vgpr43
                                        ; implicit-def: $vgpr44
                                        ; implicit-def: $vgpr45
                                        ; implicit-def: $vgpr46
                                        ; implicit-def: $vgpr52
                                        ; implicit-def: $vgpr51
                                        ; implicit-def: $vgpr50
                                        ; implicit-def: $vgpr49
                                        ; implicit-def: $vgpr48
                                        ; implicit-def: $vgpr47
                                        ; implicit-def: $sgpr6
	s_cbranch_execz .LBB350_58
; %bb.55:
	v_cmp_gt_u32_e32 vcc, s50, v2
	v_cmp_neq_f32_e64 s[0:1], v21, v1
	s_and_b64 s[0:1], vcc, s[0:1]
	v_cmp_gt_u32_e32 vcc, s50, v5
	v_cndmask_b32_e64 v37, 0, 1, s[0:1]
	v_cmp_neq_f32_e64 s[0:1], v20, v21
	s_and_b64 s[0:1], vcc, s[0:1]
	v_cmp_gt_u32_e32 vcc, s50, v4
	v_cndmask_b32_e64 v40, 0, 1, s[0:1]
	;; [unrolled: 4-line block ×13, first 2 shown]
	v_cmp_neq_f32_e64 s[0:1], v32, v33
	s_and_b64 s[0:1], vcc, s[0:1]
	s_waitcnt lgkmcnt(0)
	v_cndmask_b32_e64 v52, 0, 1, s[0:1]
	s_barrier
	s_waitcnt lgkmcnt(0)
                                        ; implicit-def: $sgpr0_sgpr1
	s_and_saveexec_b64 s[4:5], s[2:3]
	s_cbranch_execz .LBB350_57
; %bb.56:
	v_add_u32_e32 v17, -4, v17
	ds_read_b32 v17, v17
	v_cmp_gt_u32_e32 vcc, s50, v10
	s_or_b64 s[48:49], s[48:49], exec
	s_waitcnt lgkmcnt(0)
	v_cmp_neq_f32_e64 s[0:1], v17, v32
	s_and_b64 s[0:1], vcc, s[0:1]
	s_and_b64 s[0:1], s[0:1], exec
.LBB350_57:
	s_or_b64 exec, exec, s[4:5]
	s_mov_b32 s6, 1
.LBB350_58:
	v_mov_b32_e32 v53, s6
	s_and_saveexec_b64 s[2:3], s[48:49]
; %bb.59:
	v_cndmask_b32_e64 v53, 0, 1, s[0:1]
; %bb.60:
	s_or_b64 exec, exec, s[2:3]
	s_andn2_b64 vcc, exec, s[44:45]
	s_cbranch_vccnz .LBB350_62
; %bb.61:
	v_cmp_gt_u32_e32 vcc, s50, v10
	s_nop 1
	v_cndmask_b32_e32 v53, 0, v53, vcc
	v_cmp_gt_u32_e32 vcc, s50, v15
	s_nop 1
	v_cndmask_b32_e32 v52, 0, v52, vcc
	;; [unrolled: 3-line block ×15, first 2 shown]
.LBB350_62:
	v_and_b32_e32 v56, 0xff, v49
	v_and_b32_e32 v57, 0xff, v48
	;; [unrolled: 1-line block ×5, first 2 shown]
	v_add3_u32 v3, v57, v58, v56
	v_and_b32_e32 v38, 0xff, v53
	v_and_b32_e32 v39, 0xff, v52
	v_add3_u32 v3, v3, v55, v54
	v_and_b32_e32 v59, 0xff, v46
	v_and_b32_e32 v60, 0xff, v45
	;; [unrolled: 3-line block ×5, first 2 shown]
	v_add3_u32 v3, v3, v63, v64
	v_add3_u32 v68, v3, v65, v2
	v_mbcnt_lo_u32_b32 v2, -1, 0
	v_mbcnt_hi_u32_b32 v66, -1, v2
	v_and_b32_e32 v2, 15, v66
	v_cmp_eq_u32_e64 s[14:15], 0, v2
	v_cmp_lt_u32_e64 s[12:13], 1, v2
	v_cmp_lt_u32_e64 s[10:11], 3, v2
	;; [unrolled: 1-line block ×3, first 2 shown]
	v_and_b32_e32 v2, 16, v66
	v_cmp_eq_u32_e64 s[6:7], 0, v2
	v_or_b32_e32 v2, 63, v0
	v_cmp_lt_u32_e64 s[2:3], 31, v66
	v_lshrrev_b32_e32 v67, 6, v0
	v_cmp_eq_u32_e64 s[4:5], v2, v0
	s_and_b64 vcc, exec, s[46:47]
	s_waitcnt lgkmcnt(0)
	s_barrier
	s_cbranch_vccz .LBB350_93
; %bb.63:
	v_mov_b32_dpp v2, v68 row_shr:1 row_mask:0xf bank_mask:0xf
	v_cndmask_b32_e64 v2, v2, 0, s[14:15]
	v_add_u32_e32 v2, v2, v68
	s_nop 1
	v_mov_b32_dpp v3, v2 row_shr:2 row_mask:0xf bank_mask:0xf
	v_cndmask_b32_e64 v3, 0, v3, s[12:13]
	v_add_u32_e32 v2, v2, v3
	s_nop 1
	v_mov_b32_dpp v3, v2 row_shr:4 row_mask:0xf bank_mask:0xf
	v_cndmask_b32_e64 v3, 0, v3, s[10:11]
	v_add_u32_e32 v2, v2, v3
	s_nop 1
	v_mov_b32_dpp v3, v2 row_shr:8 row_mask:0xf bank_mask:0xf
	v_cndmask_b32_e64 v3, 0, v3, s[8:9]
	v_add_u32_e32 v2, v2, v3
	s_nop 1
	v_mov_b32_dpp v3, v2 row_bcast:15 row_mask:0xf bank_mask:0xf
	v_cndmask_b32_e64 v3, v3, 0, s[6:7]
	v_add_u32_e32 v2, v2, v3
	s_nop 1
	v_mov_b32_dpp v3, v2 row_bcast:31 row_mask:0xf bank_mask:0xf
	v_cndmask_b32_e64 v3, 0, v3, s[2:3]
	v_add_u32_e32 v2, v2, v3
	s_and_saveexec_b64 s[0:1], s[4:5]
	s_cbranch_execz .LBB350_65
; %bb.64:
	v_lshlrev_b32_e32 v3, 2, v67
	ds_write_b32 v3, v2
.LBB350_65:
	s_or_b64 exec, exec, s[0:1]
	v_cmp_gt_u32_e32 vcc, 8, v0
	s_waitcnt lgkmcnt(0)
	s_barrier
	s_and_saveexec_b64 s[0:1], vcc
	s_cbranch_execz .LBB350_67
; %bb.66:
	v_lshlrev_b32_e32 v3, 2, v0
	ds_read_b32 v4, v3
	v_and_b32_e32 v5, 7, v66
	v_cmp_ne_u32_e32 vcc, 0, v5
	s_waitcnt lgkmcnt(0)
	v_mov_b32_dpp v6, v4 row_shr:1 row_mask:0xf bank_mask:0xf
	v_cndmask_b32_e32 v6, 0, v6, vcc
	v_add_u32_e32 v4, v6, v4
	v_cmp_lt_u32_e32 vcc, 1, v5
	s_nop 0
	v_mov_b32_dpp v6, v4 row_shr:2 row_mask:0xf bank_mask:0xf
	v_cndmask_b32_e32 v6, 0, v6, vcc
	v_add_u32_e32 v4, v4, v6
	v_cmp_lt_u32_e32 vcc, 3, v5
	s_nop 0
	v_mov_b32_dpp v6, v4 row_shr:4 row_mask:0xf bank_mask:0xf
	v_cndmask_b32_e32 v5, 0, v6, vcc
	v_add_u32_e32 v4, v4, v5
	ds_write_b32 v3, v4
.LBB350_67:
	s_or_b64 exec, exec, s[0:1]
	v_cmp_gt_u32_e32 vcc, 64, v0
	v_cmp_lt_u32_e64 s[0:1], 63, v0
	s_waitcnt lgkmcnt(0)
	s_barrier
	s_waitcnt lgkmcnt(0)
                                        ; implicit-def: $vgpr12
	s_and_saveexec_b64 s[16:17], s[0:1]
	s_cbranch_execz .LBB350_69
; %bb.68:
	v_lshl_add_u32 v3, v67, 2, -4
	ds_read_b32 v12, v3
	s_waitcnt lgkmcnt(0)
	v_add_u32_e32 v2, v12, v2
.LBB350_69:
	s_or_b64 exec, exec, s[16:17]
	v_add_u32_e32 v3, -1, v66
	v_and_b32_e32 v4, 64, v66
	v_cmp_lt_i32_e64 s[0:1], v3, v4
	v_cmp_eq_u32_e64 s[16:17], 0, v66
	s_nop 0
	v_cndmask_b32_e64 v3, v3, v66, s[0:1]
	v_lshlrev_b32_e32 v3, 2, v3
	ds_bpermute_b32 v13, v3, v2
	s_and_saveexec_b64 s[0:1], vcc
	s_cbranch_execz .LBB350_92
; %bb.70:
	v_mov_b32_e32 v11, 0
	ds_read_b32 v2, v11 offset:28
	s_and_saveexec_b64 s[20:21], s[16:17]
	s_cbranch_execz .LBB350_72
; %bb.71:
	s_add_i32 s22, s33, 64
	s_mov_b32 s23, 0
	s_lshl_b64 s[22:23], s[22:23], 3
	s_add_u32 s22, s42, s22
	v_mov_b32_e32 v3, 1
	s_addc_u32 s23, s43, s23
	s_waitcnt lgkmcnt(0)
	global_store_dwordx2 v11, v[2:3], s[22:23] sc1
.LBB350_72:
	s_or_b64 exec, exec, s[20:21]
	v_xad_u32 v4, v66, -1, s33
	v_add_u32_e32 v10, 64, v4
	v_lshl_add_u64 v[6:7], v[10:11], 3, s[42:43]
	global_load_dwordx2 v[8:9], v[6:7], off sc1
	s_waitcnt vmcnt(0)
	v_cmp_eq_u16_sdwa s[22:23], v9, v11 src0_sel:BYTE_0 src1_sel:DWORD
	s_and_saveexec_b64 s[20:21], s[22:23]
	s_cbranch_execz .LBB350_78
; %bb.73:
	s_mov_b32 s24, 1
	s_mov_b64 s[22:23], 0
	v_mov_b32_e32 v3, 0
.LBB350_74:                             ; =>This Loop Header: Depth=1
                                        ;     Child Loop BB350_75 Depth 2
	s_max_u32 s25, s24, 1
.LBB350_75:                             ;   Parent Loop BB350_74 Depth=1
                                        ; =>  This Inner Loop Header: Depth=2
	s_add_i32 s25, s25, -1
	s_cmp_eq_u32 s25, 0
	s_sleep 1
	s_cbranch_scc0 .LBB350_75
; %bb.76:                               ;   in Loop: Header=BB350_74 Depth=1
	global_load_dwordx2 v[8:9], v[6:7], off sc1
	s_cmp_lt_u32 s24, 32
	s_cselect_b64 s[26:27], -1, 0
	s_cmp_lg_u64 s[26:27], 0
	s_addc_u32 s24, s24, 0
	s_waitcnt vmcnt(0)
	v_cmp_ne_u16_sdwa s[26:27], v9, v3 src0_sel:BYTE_0 src1_sel:DWORD
	s_or_b64 s[22:23], s[26:27], s[22:23]
	s_andn2_b64 exec, exec, s[22:23]
	s_cbranch_execnz .LBB350_74
; %bb.77:
	s_or_b64 exec, exec, s[22:23]
.LBB350_78:
	s_or_b64 exec, exec, s[20:21]
	v_and_b32_e32 v15, 63, v66
	v_mov_b32_e32 v14, 2
	v_cmp_ne_u32_e32 vcc, 63, v15
	v_cmp_eq_u16_sdwa s[20:21], v9, v14 src0_sel:BYTE_0 src1_sel:DWORD
	v_lshlrev_b64 v[6:7], v66, -1
	v_addc_co_u32_e32 v10, vcc, 0, v66, vcc
	v_and_b32_e32 v3, s21, v7
	v_lshlrev_b32_e32 v16, 2, v10
	v_or_b32_e32 v3, 0x80000000, v3
	ds_bpermute_b32 v10, v16, v8
	v_and_b32_e32 v5, s20, v6
	v_ffbl_b32_e32 v3, v3
	v_add_u32_e32 v3, 32, v3
	v_ffbl_b32_e32 v5, v5
	v_min_u32_e32 v3, v5, v3
	v_cmp_lt_u32_e32 vcc, v15, v3
	v_add_u32_e32 v34, 2, v15
	v_add_u32_e32 v36, 4, v15
	s_waitcnt lgkmcnt(0)
	v_cndmask_b32_e32 v5, 0, v10, vcc
	v_cmp_gt_u32_e32 vcc, 62, v15
	v_add_u32_e32 v5, v5, v8
	v_add_u32_e32 v70, 8, v15
	v_cndmask_b32_e64 v8, 0, 1, vcc
	v_lshlrev_b32_e32 v8, 1, v8
	v_add_lshl_u32 v17, v8, v66, 2
	ds_bpermute_b32 v8, v17, v5
	v_cmp_le_u32_e32 vcc, v34, v3
	v_add_u32_e32 v72, 16, v15
	v_add_u32_e32 v74, 32, v15
	s_waitcnt lgkmcnt(0)
	v_cndmask_b32_e32 v8, 0, v8, vcc
	v_cmp_gt_u32_e32 vcc, 60, v15
	v_add_u32_e32 v5, v5, v8
	s_nop 0
	v_cndmask_b32_e64 v8, 0, 1, vcc
	v_lshlrev_b32_e32 v8, 2, v8
	v_add_lshl_u32 v35, v8, v66, 2
	ds_bpermute_b32 v8, v35, v5
	v_cmp_le_u32_e32 vcc, v36, v3
	s_waitcnt lgkmcnt(0)
	s_nop 0
	v_cndmask_b32_e32 v8, 0, v8, vcc
	v_cmp_gt_u32_e32 vcc, 56, v15
	v_add_u32_e32 v5, v5, v8
	s_nop 0
	v_cndmask_b32_e64 v8, 0, 1, vcc
	v_lshlrev_b32_e32 v8, 3, v8
	v_add_lshl_u32 v69, v8, v66, 2
	ds_bpermute_b32 v8, v69, v5
	v_cmp_le_u32_e32 vcc, v70, v3
	s_waitcnt lgkmcnt(0)
	s_nop 0
	v_cndmask_b32_e32 v8, 0, v8, vcc
	v_cmp_gt_u32_e32 vcc, 48, v15
	v_add_u32_e32 v5, v5, v8
	s_nop 0
	v_cndmask_b32_e64 v8, 0, 1, vcc
	v_lshlrev_b32_e32 v8, 4, v8
	v_add_lshl_u32 v71, v8, v66, 2
	ds_bpermute_b32 v8, v71, v5
	v_cmp_le_u32_e32 vcc, v72, v3
	s_waitcnt lgkmcnt(0)
	s_nop 0
	v_cndmask_b32_e32 v8, 0, v8, vcc
	v_cmp_gt_u32_e32 vcc, 32, v15
	v_add_u32_e32 v5, v5, v8
	s_nop 0
	v_cndmask_b32_e64 v8, 0, 1, vcc
	v_lshlrev_b32_e32 v8, 5, v8
	v_add_lshl_u32 v73, v8, v66, 2
	ds_bpermute_b32 v8, v73, v5
	v_cmp_le_u32_e32 vcc, v74, v3
	s_waitcnt lgkmcnt(0)
	s_nop 0
	v_cndmask_b32_e32 v3, 0, v8, vcc
	v_add_u32_e32 v8, v5, v3
	v_mov_b32_e32 v5, 0
	s_branch .LBB350_80
.LBB350_79:                             ;   in Loop: Header=BB350_80 Depth=1
	s_or_b64 exec, exec, s[20:21]
	v_cmp_eq_u16_sdwa s[20:21], v9, v14 src0_sel:BYTE_0 src1_sel:DWORD
	ds_bpermute_b32 v75, v16, v8
	v_subrev_u32_e32 v4, 64, v4
	v_and_b32_e32 v10, s21, v7
	v_or_b32_e32 v10, 0x80000000, v10
	v_and_b32_e32 v11, s20, v6
	v_ffbl_b32_e32 v10, v10
	v_add_u32_e32 v10, 32, v10
	v_ffbl_b32_e32 v11, v11
	v_min_u32_e32 v10, v11, v10
	v_cmp_lt_u32_e32 vcc, v15, v10
	s_waitcnt lgkmcnt(0)
	s_nop 0
	v_cndmask_b32_e32 v11, 0, v75, vcc
	v_add_u32_e32 v8, v11, v8
	ds_bpermute_b32 v11, v17, v8
	v_cmp_le_u32_e32 vcc, v34, v10
	s_waitcnt lgkmcnt(0)
	s_nop 0
	v_cndmask_b32_e32 v11, 0, v11, vcc
	v_add_u32_e32 v8, v8, v11
	ds_bpermute_b32 v11, v35, v8
	v_cmp_le_u32_e32 vcc, v36, v10
	s_waitcnt lgkmcnt(0)
	s_nop 0
	v_cndmask_b32_e32 v11, 0, v11, vcc
	v_add_u32_e32 v8, v8, v11
	ds_bpermute_b32 v11, v69, v8
	v_cmp_le_u32_e32 vcc, v70, v10
	s_waitcnt lgkmcnt(0)
	s_nop 0
	v_cndmask_b32_e32 v11, 0, v11, vcc
	v_add_u32_e32 v8, v8, v11
	ds_bpermute_b32 v11, v71, v8
	v_cmp_le_u32_e32 vcc, v72, v10
	s_waitcnt lgkmcnt(0)
	s_nop 0
	v_cndmask_b32_e32 v11, 0, v11, vcc
	v_add_u32_e32 v8, v8, v11
	ds_bpermute_b32 v11, v73, v8
	v_cmp_le_u32_e32 vcc, v74, v10
	s_waitcnt lgkmcnt(0)
	s_nop 0
	v_cndmask_b32_e32 v10, 0, v11, vcc
	v_add3_u32 v8, v10, v3, v8
.LBB350_80:                             ; =>This Loop Header: Depth=1
                                        ;     Child Loop BB350_83 Depth 2
                                        ;       Child Loop BB350_84 Depth 3
	v_cmp_ne_u16_sdwa s[20:21], v9, v14 src0_sel:BYTE_0 src1_sel:DWORD
	s_nop 1
	v_cndmask_b32_e64 v3, 0, 1, s[20:21]
	;;#ASMSTART
	;;#ASMEND
	s_nop 0
	v_cmp_ne_u32_e32 vcc, 0, v3
	s_cmp_lg_u64 vcc, exec
	v_mov_b32_e32 v3, v8
	s_cbranch_scc1 .LBB350_87
; %bb.81:                               ;   in Loop: Header=BB350_80 Depth=1
	v_lshl_add_u64 v[10:11], v[4:5], 3, s[42:43]
	global_load_dwordx2 v[8:9], v[10:11], off sc1
	s_waitcnt vmcnt(0)
	v_cmp_eq_u16_sdwa s[22:23], v9, v5 src0_sel:BYTE_0 src1_sel:DWORD
	s_and_saveexec_b64 s[20:21], s[22:23]
	s_cbranch_execz .LBB350_79
; %bb.82:                               ;   in Loop: Header=BB350_80 Depth=1
	s_mov_b32 s24, 1
	s_mov_b64 s[22:23], 0
.LBB350_83:                             ;   Parent Loop BB350_80 Depth=1
                                        ; =>  This Loop Header: Depth=2
                                        ;       Child Loop BB350_84 Depth 3
	s_max_u32 s25, s24, 1
.LBB350_84:                             ;   Parent Loop BB350_80 Depth=1
                                        ;     Parent Loop BB350_83 Depth=2
                                        ; =>    This Inner Loop Header: Depth=3
	s_add_i32 s25, s25, -1
	s_cmp_eq_u32 s25, 0
	s_sleep 1
	s_cbranch_scc0 .LBB350_84
; %bb.85:                               ;   in Loop: Header=BB350_83 Depth=2
	global_load_dwordx2 v[8:9], v[10:11], off sc1
	s_cmp_lt_u32 s24, 32
	s_cselect_b64 s[26:27], -1, 0
	s_cmp_lg_u64 s[26:27], 0
	s_addc_u32 s24, s24, 0
	s_waitcnt vmcnt(0)
	v_cmp_ne_u16_sdwa s[26:27], v9, v5 src0_sel:BYTE_0 src1_sel:DWORD
	s_or_b64 s[22:23], s[26:27], s[22:23]
	s_andn2_b64 exec, exec, s[22:23]
	s_cbranch_execnz .LBB350_83
; %bb.86:                               ;   in Loop: Header=BB350_80 Depth=1
	s_or_b64 exec, exec, s[22:23]
	s_branch .LBB350_79
.LBB350_87:                             ;   in Loop: Header=BB350_80 Depth=1
                                        ; implicit-def: $vgpr8
                                        ; implicit-def: $vgpr9
	s_cbranch_execz .LBB350_80
; %bb.88:
	s_and_saveexec_b64 s[20:21], s[16:17]
	s_cbranch_execz .LBB350_90
; %bb.89:
	s_add_i32 s22, s33, 64
	s_mov_b32 s23, 0
	s_lshl_b64 s[22:23], s[22:23], 3
	s_add_u32 s22, s42, s22
	v_add_u32_e32 v4, v3, v2
	v_mov_b32_e32 v5, 2
	s_addc_u32 s23, s43, s23
	v_mov_b32_e32 v6, 0
	global_store_dwordx2 v6, v[4:5], s[22:23] sc1
	ds_write_b64 v6, v[2:3] offset:30720
.LBB350_90:
	s_or_b64 exec, exec, s[20:21]
	s_and_b64 exec, exec, s[18:19]
	s_cbranch_execz .LBB350_92
; %bb.91:
	v_mov_b32_e32 v2, 0
	ds_write_b32 v2, v3 offset:28
.LBB350_92:
	s_or_b64 exec, exec, s[0:1]
	v_mov_b32_e32 v14, 0
	s_waitcnt lgkmcnt(0)
	s_barrier
	ds_read_b32 v2, v14 offset:28
	v_cndmask_b32_e64 v3, v13, v12, s[16:17]
	v_cndmask_b32_e64 v3, v3, 0, s[18:19]
	s_waitcnt lgkmcnt(0)
	s_barrier
	v_add_u32_e32 v2, v2, v3
	v_add_u32_e32 v3, v2, v38
	;; [unrolled: 1-line block ×10, first 2 shown]
	s_waitcnt vmcnt(0)
	ds_read_b64 v[34:35], v14 offset:30720
	v_add_u32_e32 v12, v11, v61
	v_add_u32_e32 v13, v12, v62
	;; [unrolled: 1-line block ×5, first 2 shown]
	s_waitcnt lgkmcnt(0)
	v_mov_b32_e32 v36, v35
	s_branch .LBB350_103
.LBB350_93:
                                        ; implicit-def: $vgpr36
                                        ; implicit-def: $vgpr34
                                        ; implicit-def: $vgpr2_vgpr3_vgpr4_vgpr5_vgpr6_vgpr7_vgpr8_vgpr9_vgpr10_vgpr11_vgpr12_vgpr13_vgpr14_vgpr15_vgpr16_vgpr17
	s_cbranch_execz .LBB350_103
; %bb.94:
	s_nop 0
	v_mov_b32_dpp v2, v68 row_shr:1 row_mask:0xf bank_mask:0xf
	v_cndmask_b32_e64 v2, v2, 0, s[14:15]
	v_add_u32_e32 v2, v2, v68
	s_nop 1
	v_mov_b32_dpp v3, v2 row_shr:2 row_mask:0xf bank_mask:0xf
	v_cndmask_b32_e64 v3, 0, v3, s[12:13]
	v_add_u32_e32 v2, v2, v3
	;; [unrolled: 4-line block ×4, first 2 shown]
	s_nop 1
	v_mov_b32_dpp v3, v2 row_bcast:15 row_mask:0xf bank_mask:0xf
	v_cndmask_b32_e64 v3, v3, 0, s[6:7]
	v_add_u32_e32 v2, v2, v3
	s_nop 1
	v_mov_b32_dpp v3, v2 row_bcast:31 row_mask:0xf bank_mask:0xf
	v_cndmask_b32_e64 v3, 0, v3, s[2:3]
	v_add_u32_e32 v2, v2, v3
	s_and_saveexec_b64 s[0:1], s[4:5]
	s_cbranch_execz .LBB350_96
; %bb.95:
	v_lshlrev_b32_e32 v3, 2, v67
	ds_write_b32 v3, v2
.LBB350_96:
	s_or_b64 exec, exec, s[0:1]
	v_cmp_gt_u32_e32 vcc, 8, v0
	s_waitcnt lgkmcnt(0)
	s_barrier
	s_and_saveexec_b64 s[0:1], vcc
	s_cbranch_execz .LBB350_98
; %bb.97:
	v_lshlrev_b32_e32 v3, 2, v0
	ds_read_b32 v4, v3
	v_and_b32_e32 v5, 7, v66
	v_cmp_ne_u32_e32 vcc, 0, v5
	s_waitcnt lgkmcnt(0)
	v_mov_b32_dpp v6, v4 row_shr:1 row_mask:0xf bank_mask:0xf
	v_cndmask_b32_e32 v6, 0, v6, vcc
	v_add_u32_e32 v4, v6, v4
	v_cmp_lt_u32_e32 vcc, 1, v5
	s_nop 0
	v_mov_b32_dpp v6, v4 row_shr:2 row_mask:0xf bank_mask:0xf
	v_cndmask_b32_e32 v6, 0, v6, vcc
	v_add_u32_e32 v4, v4, v6
	v_cmp_lt_u32_e32 vcc, 3, v5
	s_nop 0
	v_mov_b32_dpp v6, v4 row_shr:4 row_mask:0xf bank_mask:0xf
	v_cndmask_b32_e32 v5, 0, v6, vcc
	v_add_u32_e32 v4, v4, v5
	ds_write_b32 v3, v4
.LBB350_98:
	s_or_b64 exec, exec, s[0:1]
	v_cmp_lt_u32_e32 vcc, 63, v0
	v_mov_b32_e32 v4, 0
	v_mov_b32_e32 v3, 0
	s_waitcnt lgkmcnt(0)
	s_barrier
	s_and_saveexec_b64 s[0:1], vcc
	s_cbranch_execz .LBB350_100
; %bb.99:
	v_lshl_add_u32 v3, v67, 2, -4
	ds_read_b32 v3, v3
.LBB350_100:
	s_or_b64 exec, exec, s[0:1]
	v_add_u32_e32 v5, -1, v66
	v_and_b32_e32 v6, 64, v66
	v_cmp_lt_i32_e32 vcc, v5, v6
	s_waitcnt lgkmcnt(0)
	v_add_u32_e32 v2, v3, v2
	s_waitcnt vmcnt(0)
	ds_read_b32 v34, v4 offset:28
	v_cndmask_b32_e32 v5, v5, v66, vcc
	v_lshlrev_b32_e32 v5, 2, v5
	ds_bpermute_b32 v2, v5, v2
	s_and_saveexec_b64 s[0:1], s[18:19]
	s_cbranch_execz .LBB350_102
; %bb.101:
	v_mov_b32_e32 v4, 0
	v_mov_b32_e32 v35, 2
	s_waitcnt lgkmcnt(1)
	global_store_dwordx2 v4, v[34:35], s[42:43] offset:512 sc1
.LBB350_102:
	s_or_b64 exec, exec, s[0:1]
	v_cmp_eq_u32_e32 vcc, 0, v66
	v_mov_b32_e32 v36, 0
	s_waitcnt lgkmcnt(0)
	v_cndmask_b32_e32 v2, v2, v3, vcc
	v_cndmask_b32_e64 v2, v2, 0, s[18:19]
	v_add_u32_e32 v3, v2, v38
	v_add_u32_e32 v4, v3, v39
	;; [unrolled: 1-line block ×14, first 2 shown]
	s_barrier
.LBB350_103:
	s_movk_i32 s0, 0x201
	s_waitcnt vmcnt(0)
	v_cmp_gt_u32_e32 vcc, s0, v34
	s_mov_b64 s[0:1], -1
	s_cbranch_vccnz .LBB350_107
; %bb.104:
	s_and_b64 vcc, exec, s[0:1]
	s_cbranch_vccnz .LBB350_153
.LBB350_105:
	s_and_b64 s[0:1], s[18:19], s[34:35]
	s_and_saveexec_b64 s[2:3], s[0:1]
	s_cbranch_execnz .LBB350_197
.LBB350_106:
	s_endpgm
.LBB350_107:
	v_add_u32_e32 v17, v36, v34
	v_lshlrev_b64 v[38:39], 2, v[18:19]
	v_cmp_lt_u32_e32 vcc, v2, v17
	v_lshl_add_u64 v[38:39], s[40:41], 0, v[38:39]
	s_or_b64 s[2:3], s[38:39], vcc
	s_and_saveexec_b64 s[0:1], s[2:3]
	s_cbranch_execz .LBB350_110
; %bb.108:
	v_and_b32_e32 v35, 1, v53
	v_cmp_eq_u32_e32 vcc, 1, v35
	s_and_b64 exec, exec, vcc
	s_cbranch_execz .LBB350_110
; %bb.109:
	v_mov_b32_e32 v55, 0
	v_mov_b32_e32 v54, v2
	v_lshl_add_u64 v[54:55], v[54:55], 2, v[38:39]
	global_store_dword v[54:55], v32, off
.LBB350_110:
	s_or_b64 exec, exec, s[0:1]
	v_cmp_lt_u32_e32 vcc, v3, v17
	s_or_b64 s[2:3], s[38:39], vcc
	s_and_saveexec_b64 s[0:1], s[2:3]
	s_cbranch_execz .LBB350_113
; %bb.111:
	v_and_b32_e32 v35, 1, v52
	v_cmp_eq_u32_e32 vcc, 1, v35
	s_and_b64 exec, exec, vcc
	s_cbranch_execz .LBB350_113
; %bb.112:
	v_mov_b32_e32 v55, 0
	v_mov_b32_e32 v54, v3
	v_lshl_add_u64 v[54:55], v[54:55], 2, v[38:39]
	global_store_dword v[54:55], v33, off
.LBB350_113:
	s_or_b64 exec, exec, s[0:1]
	v_cmp_lt_u32_e32 vcc, v4, v17
	;; [unrolled: 16-line block ×14, first 2 shown]
	s_or_b64 s[2:3], s[38:39], vcc
	s_and_saveexec_b64 s[0:1], s[2:3]
	s_cbranch_execz .LBB350_152
; %bb.150:
	v_and_b32_e32 v17, 1, v37
	v_cmp_eq_u32_e32 vcc, 1, v17
	s_and_b64 exec, exec, vcc
	s_cbranch_execz .LBB350_152
; %bb.151:
	v_mov_b32_e32 v17, 0
	v_lshl_add_u64 v[38:39], v[16:17], 2, v[38:39]
	global_store_dword v[38:39], v1, off
.LBB350_152:
	s_or_b64 exec, exec, s[0:1]
	s_branch .LBB350_105
.LBB350_153:
	v_and_b32_e32 v17, 1, v53
	v_cmp_eq_u32_e32 vcc, 1, v17
	s_and_saveexec_b64 s[0:1], vcc
	s_cbranch_execz .LBB350_155
; %bb.154:
	v_sub_u32_e32 v2, v2, v36
	v_lshlrev_b32_e32 v2, 2, v2
	ds_write_b32 v2, v32
.LBB350_155:
	s_or_b64 exec, exec, s[0:1]
	v_and_b32_e32 v2, 1, v52
	v_cmp_eq_u32_e32 vcc, 1, v2
	s_and_saveexec_b64 s[0:1], vcc
	s_cbranch_execz .LBB350_157
; %bb.156:
	v_sub_u32_e32 v2, v3, v36
	v_lshlrev_b32_e32 v2, 2, v2
	ds_write_b32 v2, v33
.LBB350_157:
	s_or_b64 exec, exec, s[0:1]
	;; [unrolled: 10-line block ×15, first 2 shown]
	v_cmp_lt_u32_e32 vcc, v0, v34
	s_waitcnt lgkmcnt(0)
	s_barrier
	s_and_saveexec_b64 s[0:1], vcc
	s_cbranch_execz .LBB350_196
; %bb.184:
	v_mov_b32_e32 v37, 0
	v_lshlrev_b64 v[2:3], 2, v[18:19]
	v_lshl_add_u64 v[2:3], s[40:41], 0, v[2:3]
	v_lshlrev_b64 v[4:5], 2, v[36:37]
	v_xad_u32 v1, v0, -1, v34
	s_movk_i32 s2, 0x1ff
	v_lshl_add_u64 v[2:3], v[2:3], 0, v[4:5]
	v_cmp_lt_u32_e32 vcc, s2, v1
	s_mov_b64 s[4:5], -1
	s_and_saveexec_b64 s[2:3], vcc
	s_cbranch_execz .LBB350_193
; %bb.185:
	v_lshrrev_b32_e32 v8, 9, v1
	v_add_u32_e32 v4, -1, v8
	v_or_b32_e32 v1, 0x200, v0
	v_lshrrev_b32_e32 v5, 1, v4
	v_add_u32_e32 v10, 1, v5
	v_cmp_lt_u32_e32 vcc, 13, v4
	v_lshlrev_b32_e32 v9, 2, v0
	v_mov_b64_e32 v[4:5], v[0:1]
	s_and_saveexec_b64 s[4:5], vcc
	s_cbranch_execz .LBB350_189
; %bb.186:
	v_and_b32_e32 v11, -8, v10
	s_mov_b32 s8, 0
	s_mov_b64 s[6:7], 0
	v_mov_b32_e32 v7, 0
	v_mov_b32_e32 v12, v9
	v_mov_b64_e32 v[4:5], v[0:1]
.LBB350_187:                            ; =>This Inner Loop Header: Depth=1
	ds_read2st64_b32 v[14:15], v12 offset1:8
	v_mov_b32_e32 v6, v4
	ds_read2st64_b32 v[28:29], v12 offset0:48 offset1:56
	v_lshl_add_u64 v[50:51], v[6:7], 2, v[2:3]
	v_mov_b32_e32 v6, v5
	ds_read2st64_b32 v[20:21], v12 offset0:16 offset1:24
	ds_read2st64_b32 v[32:33], v12 offset0:64 offset1:72
	v_lshl_add_u64 v[52:53], v[6:7], 2, v[2:3]
	v_add_u32_e32 v6, 0x400, v4
	ds_read2st64_b32 v[40:41], v12 offset0:80 offset1:88
	v_lshl_add_u64 v[54:55], v[6:7], 2, v[2:3]
	v_add_u32_e32 v6, 0x800, v4
	v_add_u32_e32 v16, 0x400, v5
	v_mov_b32_e32 v17, v7
	v_add_u32_e32 v22, 0x800, v5
	ds_read2st64_b32 v[24:25], v12 offset0:32 offset1:40
	v_mov_b32_e32 v23, v7
	ds_read2st64_b32 v[44:45], v12 offset0:96 offset1:104
	v_lshl_add_u64 v[56:57], v[6:7], 2, v[2:3]
	v_add_u32_e32 v6, 0xc00, v4
	v_add_u32_e32 v26, 0xc00, v5
	v_mov_b32_e32 v27, v7
	ds_read2st64_b32 v[48:49], v12 offset0:112 offset1:120
	v_lshl_add_u64 v[16:17], v[16:17], 2, v[2:3]
	v_lshl_add_u64 v[22:23], v[22:23], 2, v[2:3]
	s_waitcnt lgkmcnt(7)
	global_store_dword v[50:51], v14, off
	global_store_dword v[52:53], v15, off
	s_waitcnt lgkmcnt(5)
	global_store_dword v[54:55], v20, off
	global_store_dword v[16:17], v21, off
	;; [unrolled: 3-line block ×3, first 2 shown]
	v_lshl_add_u64 v[14:15], v[6:7], 2, v[2:3]
	v_add_u32_e32 v6, 0x1000, v4
	v_add_u32_e32 v30, 0x1000, v5
	v_mov_b32_e32 v31, v7
	v_lshl_add_u64 v[26:27], v[26:27], 2, v[2:3]
	global_store_dword v[14:15], v28, off
	global_store_dword v[26:27], v29, off
	v_lshl_add_u64 v[14:15], v[6:7], 2, v[2:3]
	v_add_u32_e32 v6, 0x1400, v4
	v_add_u32_e32 v38, 0x1400, v5
	v_mov_b32_e32 v39, v7
	v_add_u32_e32 v11, -8, v11
	v_lshl_add_u64 v[30:31], v[30:31], 2, v[2:3]
	global_store_dword v[14:15], v32, off
	global_store_dword v[30:31], v33, off
	v_lshl_add_u64 v[14:15], v[6:7], 2, v[2:3]
	v_add_u32_e32 v6, 0x1800, v4
	v_add_u32_e32 v42, 0x1800, v5
	v_mov_b32_e32 v43, v7
	s_add_i32 s8, s8, 16
	v_lshl_add_u64 v[38:39], v[38:39], 2, v[2:3]
	v_cmp_eq_u32_e32 vcc, 0, v11
	global_store_dword v[14:15], v40, off
	global_store_dword v[38:39], v41, off
	v_lshl_add_u64 v[14:15], v[6:7], 2, v[2:3]
	v_add_u32_e32 v6, 0x1c00, v4
	v_add_u32_e32 v46, 0x1c00, v5
	v_mov_b32_e32 v47, v7
	v_add_u32_e32 v12, 0x8000, v12
	v_lshl_add_u64 v[42:43], v[42:43], 2, v[2:3]
	v_add_u32_e32 v5, 0x2000, v5
	v_mov_b32_e32 v37, s8
	s_or_b64 s[6:7], vcc, s[6:7]
	v_add_u32_e32 v4, 0x2000, v4
	s_waitcnt lgkmcnt(1)
	global_store_dword v[14:15], v44, off
	global_store_dword v[42:43], v45, off
	v_lshl_add_u64 v[14:15], v[6:7], 2, v[2:3]
	v_lshl_add_u64 v[46:47], v[46:47], 2, v[2:3]
	s_waitcnt lgkmcnt(0)
	global_store_dword v[14:15], v48, off
	global_store_dword v[46:47], v49, off
	s_andn2_b64 exec, exec, s[6:7]
	s_cbranch_execnz .LBB350_187
; %bb.188:
	s_or_b64 exec, exec, s[6:7]
.LBB350_189:
	s_or_b64 exec, exec, s[4:5]
	v_and_b32_e32 v1, 7, v10
	v_cmp_ne_u32_e32 vcc, 0, v1
	s_and_saveexec_b64 s[4:5], vcc
	s_cbranch_execz .LBB350_192
; %bb.190:
	v_lshl_or_b32 v9, v37, 11, v9
	s_mov_b64 s[6:7], 0
	v_mov_b32_e32 v7, 0
.LBB350_191:                            ; =>This Inner Loop Header: Depth=1
	ds_read2st64_b32 v[10:11], v9 offset1:8
	v_add_u32_e32 v1, -1, v1
	v_mov_b32_e32 v6, v4
	v_cmp_eq_u32_e32 vcc, 0, v1
	v_add_u32_e32 v4, 0x400, v4
	v_add_u32_e32 v9, 0x1000, v9
	v_lshl_add_u64 v[12:13], v[6:7], 2, v[2:3]
	v_mov_b32_e32 v6, v5
	v_add_u32_e32 v5, 0x400, v5
	s_or_b64 s[6:7], vcc, s[6:7]
	v_lshl_add_u64 v[14:15], v[6:7], 2, v[2:3]
	s_waitcnt lgkmcnt(0)
	global_store_dword v[12:13], v10, off
	global_store_dword v[14:15], v11, off
	s_andn2_b64 exec, exec, s[6:7]
	s_cbranch_execnz .LBB350_191
.LBB350_192:
	s_or_b64 exec, exec, s[4:5]
	v_add_u32_e32 v1, 1, v8
	v_and_b32_e32 v4, 0xfffffe, v1
	v_cmp_ne_u32_e32 vcc, v1, v4
	v_lshl_or_b32 v0, v4, 9, v0
	s_orn2_b64 s[4:5], vcc, exec
.LBB350_193:
	s_or_b64 exec, exec, s[2:3]
	s_and_b64 exec, exec, s[4:5]
	s_cbranch_execz .LBB350_196
; %bb.194:
	v_lshlrev_b32_e32 v4, 2, v0
	s_mov_b64 s[2:3], 0
	v_mov_b32_e32 v1, 0
.LBB350_195:                            ; =>This Inner Loop Header: Depth=1
	ds_read_b32 v5, v4
	v_lshl_add_u64 v[6:7], v[0:1], 2, v[2:3]
	v_add_u32_e32 v0, 0x200, v0
	v_cmp_ge_u32_e32 vcc, v0, v34
	v_add_u32_e32 v4, 0x800, v4
	s_or_b64 s[2:3], vcc, s[2:3]
	s_waitcnt lgkmcnt(0)
	global_store_dword v[6:7], v5, off
	s_andn2_b64 exec, exec, s[2:3]
	s_cbranch_execnz .LBB350_195
.LBB350_196:
	s_or_b64 exec, exec, s[0:1]
	s_and_b64 s[0:1], s[18:19], s[34:35]
	s_and_saveexec_b64 s[2:3], s[0:1]
	s_cbranch_execz .LBB350_106
.LBB350_197:
	v_mov_b32_e32 v35, 0
	v_lshl_add_u64 v[0:1], v[18:19], 0, v[34:35]
	v_mov_b32_e32 v37, v35
	v_lshl_add_u64 v[0:1], v[0:1], 0, v[36:37]
	global_store_dwordx2 v35, v[0:1], s[36:37]
	s_endpgm
	.section	.rodata,"a",@progbits
	.p2align	6, 0x0
	.amdhsa_kernel _ZN7rocprim17ROCPRIM_400000_NS6detail17trampoline_kernelINS0_14default_configENS1_25partition_config_selectorILNS1_17partition_subalgoE8EfNS0_10empty_typeEbEEZZNS1_14partition_implILS5_8ELb0ES3_jPKfPS6_PKS6_NS0_5tupleIJPfS6_EEENSE_IJSB_SB_EEENS0_18inequality_wrapperIN6hipcub16HIPCUB_304000_NS8EqualityEEEPlJS6_EEE10hipError_tPvRmT3_T4_T5_T6_T7_T9_mT8_P12ihipStream_tbDpT10_ENKUlT_T0_E_clISt17integral_constantIbLb1EES17_EEDaS12_S13_EUlS12_E_NS1_11comp_targetILNS1_3genE5ELNS1_11target_archE942ELNS1_3gpuE9ELNS1_3repE0EEENS1_30default_config_static_selectorELNS0_4arch9wavefront6targetE1EEEvT1_
		.amdhsa_group_segment_fixed_size 30728
		.amdhsa_private_segment_fixed_size 0
		.amdhsa_kernarg_size 128
		.amdhsa_user_sgpr_count 2
		.amdhsa_user_sgpr_dispatch_ptr 0
		.amdhsa_user_sgpr_queue_ptr 0
		.amdhsa_user_sgpr_kernarg_segment_ptr 1
		.amdhsa_user_sgpr_dispatch_id 0
		.amdhsa_user_sgpr_kernarg_preload_length 0
		.amdhsa_user_sgpr_kernarg_preload_offset 0
		.amdhsa_user_sgpr_private_segment_size 0
		.amdhsa_uses_dynamic_stack 0
		.amdhsa_enable_private_segment 0
		.amdhsa_system_sgpr_workgroup_id_x 1
		.amdhsa_system_sgpr_workgroup_id_y 0
		.amdhsa_system_sgpr_workgroup_id_z 0
		.amdhsa_system_sgpr_workgroup_info 0
		.amdhsa_system_vgpr_workitem_id 0
		.amdhsa_next_free_vgpr 76
		.amdhsa_next_free_sgpr 51
		.amdhsa_accum_offset 76
		.amdhsa_reserve_vcc 1
		.amdhsa_float_round_mode_32 0
		.amdhsa_float_round_mode_16_64 0
		.amdhsa_float_denorm_mode_32 3
		.amdhsa_float_denorm_mode_16_64 3
		.amdhsa_dx10_clamp 1
		.amdhsa_ieee_mode 1
		.amdhsa_fp16_overflow 0
		.amdhsa_tg_split 0
		.amdhsa_exception_fp_ieee_invalid_op 0
		.amdhsa_exception_fp_denorm_src 0
		.amdhsa_exception_fp_ieee_div_zero 0
		.amdhsa_exception_fp_ieee_overflow 0
		.amdhsa_exception_fp_ieee_underflow 0
		.amdhsa_exception_fp_ieee_inexact 0
		.amdhsa_exception_int_div_zero 0
	.end_amdhsa_kernel
	.section	.text._ZN7rocprim17ROCPRIM_400000_NS6detail17trampoline_kernelINS0_14default_configENS1_25partition_config_selectorILNS1_17partition_subalgoE8EfNS0_10empty_typeEbEEZZNS1_14partition_implILS5_8ELb0ES3_jPKfPS6_PKS6_NS0_5tupleIJPfS6_EEENSE_IJSB_SB_EEENS0_18inequality_wrapperIN6hipcub16HIPCUB_304000_NS8EqualityEEEPlJS6_EEE10hipError_tPvRmT3_T4_T5_T6_T7_T9_mT8_P12ihipStream_tbDpT10_ENKUlT_T0_E_clISt17integral_constantIbLb1EES17_EEDaS12_S13_EUlS12_E_NS1_11comp_targetILNS1_3genE5ELNS1_11target_archE942ELNS1_3gpuE9ELNS1_3repE0EEENS1_30default_config_static_selectorELNS0_4arch9wavefront6targetE1EEEvT1_,"axG",@progbits,_ZN7rocprim17ROCPRIM_400000_NS6detail17trampoline_kernelINS0_14default_configENS1_25partition_config_selectorILNS1_17partition_subalgoE8EfNS0_10empty_typeEbEEZZNS1_14partition_implILS5_8ELb0ES3_jPKfPS6_PKS6_NS0_5tupleIJPfS6_EEENSE_IJSB_SB_EEENS0_18inequality_wrapperIN6hipcub16HIPCUB_304000_NS8EqualityEEEPlJS6_EEE10hipError_tPvRmT3_T4_T5_T6_T7_T9_mT8_P12ihipStream_tbDpT10_ENKUlT_T0_E_clISt17integral_constantIbLb1EES17_EEDaS12_S13_EUlS12_E_NS1_11comp_targetILNS1_3genE5ELNS1_11target_archE942ELNS1_3gpuE9ELNS1_3repE0EEENS1_30default_config_static_selectorELNS0_4arch9wavefront6targetE1EEEvT1_,comdat
.Lfunc_end350:
	.size	_ZN7rocprim17ROCPRIM_400000_NS6detail17trampoline_kernelINS0_14default_configENS1_25partition_config_selectorILNS1_17partition_subalgoE8EfNS0_10empty_typeEbEEZZNS1_14partition_implILS5_8ELb0ES3_jPKfPS6_PKS6_NS0_5tupleIJPfS6_EEENSE_IJSB_SB_EEENS0_18inequality_wrapperIN6hipcub16HIPCUB_304000_NS8EqualityEEEPlJS6_EEE10hipError_tPvRmT3_T4_T5_T6_T7_T9_mT8_P12ihipStream_tbDpT10_ENKUlT_T0_E_clISt17integral_constantIbLb1EES17_EEDaS12_S13_EUlS12_E_NS1_11comp_targetILNS1_3genE5ELNS1_11target_archE942ELNS1_3gpuE9ELNS1_3repE0EEENS1_30default_config_static_selectorELNS0_4arch9wavefront6targetE1EEEvT1_, .Lfunc_end350-_ZN7rocprim17ROCPRIM_400000_NS6detail17trampoline_kernelINS0_14default_configENS1_25partition_config_selectorILNS1_17partition_subalgoE8EfNS0_10empty_typeEbEEZZNS1_14partition_implILS5_8ELb0ES3_jPKfPS6_PKS6_NS0_5tupleIJPfS6_EEENSE_IJSB_SB_EEENS0_18inequality_wrapperIN6hipcub16HIPCUB_304000_NS8EqualityEEEPlJS6_EEE10hipError_tPvRmT3_T4_T5_T6_T7_T9_mT8_P12ihipStream_tbDpT10_ENKUlT_T0_E_clISt17integral_constantIbLb1EES17_EEDaS12_S13_EUlS12_E_NS1_11comp_targetILNS1_3genE5ELNS1_11target_archE942ELNS1_3gpuE9ELNS1_3repE0EEENS1_30default_config_static_selectorELNS0_4arch9wavefront6targetE1EEEvT1_
                                        ; -- End function
	.section	.AMDGPU.csdata,"",@progbits
; Kernel info:
; codeLenInByte = 8228
; NumSgprs: 57
; NumVgprs: 76
; NumAgprs: 0
; TotalNumVgprs: 76
; ScratchSize: 0
; MemoryBound: 0
; FloatMode: 240
; IeeeMode: 1
; LDSByteSize: 30728 bytes/workgroup (compile time only)
; SGPRBlocks: 7
; VGPRBlocks: 9
; NumSGPRsForWavesPerEU: 57
; NumVGPRsForWavesPerEU: 76
; AccumOffset: 76
; Occupancy: 4
; WaveLimiterHint : 1
; COMPUTE_PGM_RSRC2:SCRATCH_EN: 0
; COMPUTE_PGM_RSRC2:USER_SGPR: 2
; COMPUTE_PGM_RSRC2:TRAP_HANDLER: 0
; COMPUTE_PGM_RSRC2:TGID_X_EN: 1
; COMPUTE_PGM_RSRC2:TGID_Y_EN: 0
; COMPUTE_PGM_RSRC2:TGID_Z_EN: 0
; COMPUTE_PGM_RSRC2:TIDIG_COMP_CNT: 0
; COMPUTE_PGM_RSRC3_GFX90A:ACCUM_OFFSET: 18
; COMPUTE_PGM_RSRC3_GFX90A:TG_SPLIT: 0
	.section	.text._ZN7rocprim17ROCPRIM_400000_NS6detail17trampoline_kernelINS0_14default_configENS1_25partition_config_selectorILNS1_17partition_subalgoE8EfNS0_10empty_typeEbEEZZNS1_14partition_implILS5_8ELb0ES3_jPKfPS6_PKS6_NS0_5tupleIJPfS6_EEENSE_IJSB_SB_EEENS0_18inequality_wrapperIN6hipcub16HIPCUB_304000_NS8EqualityEEEPlJS6_EEE10hipError_tPvRmT3_T4_T5_T6_T7_T9_mT8_P12ihipStream_tbDpT10_ENKUlT_T0_E_clISt17integral_constantIbLb1EES17_EEDaS12_S13_EUlS12_E_NS1_11comp_targetILNS1_3genE4ELNS1_11target_archE910ELNS1_3gpuE8ELNS1_3repE0EEENS1_30default_config_static_selectorELNS0_4arch9wavefront6targetE1EEEvT1_,"axG",@progbits,_ZN7rocprim17ROCPRIM_400000_NS6detail17trampoline_kernelINS0_14default_configENS1_25partition_config_selectorILNS1_17partition_subalgoE8EfNS0_10empty_typeEbEEZZNS1_14partition_implILS5_8ELb0ES3_jPKfPS6_PKS6_NS0_5tupleIJPfS6_EEENSE_IJSB_SB_EEENS0_18inequality_wrapperIN6hipcub16HIPCUB_304000_NS8EqualityEEEPlJS6_EEE10hipError_tPvRmT3_T4_T5_T6_T7_T9_mT8_P12ihipStream_tbDpT10_ENKUlT_T0_E_clISt17integral_constantIbLb1EES17_EEDaS12_S13_EUlS12_E_NS1_11comp_targetILNS1_3genE4ELNS1_11target_archE910ELNS1_3gpuE8ELNS1_3repE0EEENS1_30default_config_static_selectorELNS0_4arch9wavefront6targetE1EEEvT1_,comdat
	.protected	_ZN7rocprim17ROCPRIM_400000_NS6detail17trampoline_kernelINS0_14default_configENS1_25partition_config_selectorILNS1_17partition_subalgoE8EfNS0_10empty_typeEbEEZZNS1_14partition_implILS5_8ELb0ES3_jPKfPS6_PKS6_NS0_5tupleIJPfS6_EEENSE_IJSB_SB_EEENS0_18inequality_wrapperIN6hipcub16HIPCUB_304000_NS8EqualityEEEPlJS6_EEE10hipError_tPvRmT3_T4_T5_T6_T7_T9_mT8_P12ihipStream_tbDpT10_ENKUlT_T0_E_clISt17integral_constantIbLb1EES17_EEDaS12_S13_EUlS12_E_NS1_11comp_targetILNS1_3genE4ELNS1_11target_archE910ELNS1_3gpuE8ELNS1_3repE0EEENS1_30default_config_static_selectorELNS0_4arch9wavefront6targetE1EEEvT1_ ; -- Begin function _ZN7rocprim17ROCPRIM_400000_NS6detail17trampoline_kernelINS0_14default_configENS1_25partition_config_selectorILNS1_17partition_subalgoE8EfNS0_10empty_typeEbEEZZNS1_14partition_implILS5_8ELb0ES3_jPKfPS6_PKS6_NS0_5tupleIJPfS6_EEENSE_IJSB_SB_EEENS0_18inequality_wrapperIN6hipcub16HIPCUB_304000_NS8EqualityEEEPlJS6_EEE10hipError_tPvRmT3_T4_T5_T6_T7_T9_mT8_P12ihipStream_tbDpT10_ENKUlT_T0_E_clISt17integral_constantIbLb1EES17_EEDaS12_S13_EUlS12_E_NS1_11comp_targetILNS1_3genE4ELNS1_11target_archE910ELNS1_3gpuE8ELNS1_3repE0EEENS1_30default_config_static_selectorELNS0_4arch9wavefront6targetE1EEEvT1_
	.globl	_ZN7rocprim17ROCPRIM_400000_NS6detail17trampoline_kernelINS0_14default_configENS1_25partition_config_selectorILNS1_17partition_subalgoE8EfNS0_10empty_typeEbEEZZNS1_14partition_implILS5_8ELb0ES3_jPKfPS6_PKS6_NS0_5tupleIJPfS6_EEENSE_IJSB_SB_EEENS0_18inequality_wrapperIN6hipcub16HIPCUB_304000_NS8EqualityEEEPlJS6_EEE10hipError_tPvRmT3_T4_T5_T6_T7_T9_mT8_P12ihipStream_tbDpT10_ENKUlT_T0_E_clISt17integral_constantIbLb1EES17_EEDaS12_S13_EUlS12_E_NS1_11comp_targetILNS1_3genE4ELNS1_11target_archE910ELNS1_3gpuE8ELNS1_3repE0EEENS1_30default_config_static_selectorELNS0_4arch9wavefront6targetE1EEEvT1_
	.p2align	8
	.type	_ZN7rocprim17ROCPRIM_400000_NS6detail17trampoline_kernelINS0_14default_configENS1_25partition_config_selectorILNS1_17partition_subalgoE8EfNS0_10empty_typeEbEEZZNS1_14partition_implILS5_8ELb0ES3_jPKfPS6_PKS6_NS0_5tupleIJPfS6_EEENSE_IJSB_SB_EEENS0_18inequality_wrapperIN6hipcub16HIPCUB_304000_NS8EqualityEEEPlJS6_EEE10hipError_tPvRmT3_T4_T5_T6_T7_T9_mT8_P12ihipStream_tbDpT10_ENKUlT_T0_E_clISt17integral_constantIbLb1EES17_EEDaS12_S13_EUlS12_E_NS1_11comp_targetILNS1_3genE4ELNS1_11target_archE910ELNS1_3gpuE8ELNS1_3repE0EEENS1_30default_config_static_selectorELNS0_4arch9wavefront6targetE1EEEvT1_,@function
_ZN7rocprim17ROCPRIM_400000_NS6detail17trampoline_kernelINS0_14default_configENS1_25partition_config_selectorILNS1_17partition_subalgoE8EfNS0_10empty_typeEbEEZZNS1_14partition_implILS5_8ELb0ES3_jPKfPS6_PKS6_NS0_5tupleIJPfS6_EEENSE_IJSB_SB_EEENS0_18inequality_wrapperIN6hipcub16HIPCUB_304000_NS8EqualityEEEPlJS6_EEE10hipError_tPvRmT3_T4_T5_T6_T7_T9_mT8_P12ihipStream_tbDpT10_ENKUlT_T0_E_clISt17integral_constantIbLb1EES17_EEDaS12_S13_EUlS12_E_NS1_11comp_targetILNS1_3genE4ELNS1_11target_archE910ELNS1_3gpuE8ELNS1_3repE0EEENS1_30default_config_static_selectorELNS0_4arch9wavefront6targetE1EEEvT1_: ; @_ZN7rocprim17ROCPRIM_400000_NS6detail17trampoline_kernelINS0_14default_configENS1_25partition_config_selectorILNS1_17partition_subalgoE8EfNS0_10empty_typeEbEEZZNS1_14partition_implILS5_8ELb0ES3_jPKfPS6_PKS6_NS0_5tupleIJPfS6_EEENSE_IJSB_SB_EEENS0_18inequality_wrapperIN6hipcub16HIPCUB_304000_NS8EqualityEEEPlJS6_EEE10hipError_tPvRmT3_T4_T5_T6_T7_T9_mT8_P12ihipStream_tbDpT10_ENKUlT_T0_E_clISt17integral_constantIbLb1EES17_EEDaS12_S13_EUlS12_E_NS1_11comp_targetILNS1_3genE4ELNS1_11target_archE910ELNS1_3gpuE8ELNS1_3repE0EEENS1_30default_config_static_selectorELNS0_4arch9wavefront6targetE1EEEvT1_
; %bb.0:
	.section	.rodata,"a",@progbits
	.p2align	6, 0x0
	.amdhsa_kernel _ZN7rocprim17ROCPRIM_400000_NS6detail17trampoline_kernelINS0_14default_configENS1_25partition_config_selectorILNS1_17partition_subalgoE8EfNS0_10empty_typeEbEEZZNS1_14partition_implILS5_8ELb0ES3_jPKfPS6_PKS6_NS0_5tupleIJPfS6_EEENSE_IJSB_SB_EEENS0_18inequality_wrapperIN6hipcub16HIPCUB_304000_NS8EqualityEEEPlJS6_EEE10hipError_tPvRmT3_T4_T5_T6_T7_T9_mT8_P12ihipStream_tbDpT10_ENKUlT_T0_E_clISt17integral_constantIbLb1EES17_EEDaS12_S13_EUlS12_E_NS1_11comp_targetILNS1_3genE4ELNS1_11target_archE910ELNS1_3gpuE8ELNS1_3repE0EEENS1_30default_config_static_selectorELNS0_4arch9wavefront6targetE1EEEvT1_
		.amdhsa_group_segment_fixed_size 0
		.amdhsa_private_segment_fixed_size 0
		.amdhsa_kernarg_size 128
		.amdhsa_user_sgpr_count 2
		.amdhsa_user_sgpr_dispatch_ptr 0
		.amdhsa_user_sgpr_queue_ptr 0
		.amdhsa_user_sgpr_kernarg_segment_ptr 1
		.amdhsa_user_sgpr_dispatch_id 0
		.amdhsa_user_sgpr_kernarg_preload_length 0
		.amdhsa_user_sgpr_kernarg_preload_offset 0
		.amdhsa_user_sgpr_private_segment_size 0
		.amdhsa_uses_dynamic_stack 0
		.amdhsa_enable_private_segment 0
		.amdhsa_system_sgpr_workgroup_id_x 1
		.amdhsa_system_sgpr_workgroup_id_y 0
		.amdhsa_system_sgpr_workgroup_id_z 0
		.amdhsa_system_sgpr_workgroup_info 0
		.amdhsa_system_vgpr_workitem_id 0
		.amdhsa_next_free_vgpr 1
		.amdhsa_next_free_sgpr 0
		.amdhsa_accum_offset 4
		.amdhsa_reserve_vcc 0
		.amdhsa_float_round_mode_32 0
		.amdhsa_float_round_mode_16_64 0
		.amdhsa_float_denorm_mode_32 3
		.amdhsa_float_denorm_mode_16_64 3
		.amdhsa_dx10_clamp 1
		.amdhsa_ieee_mode 1
		.amdhsa_fp16_overflow 0
		.amdhsa_tg_split 0
		.amdhsa_exception_fp_ieee_invalid_op 0
		.amdhsa_exception_fp_denorm_src 0
		.amdhsa_exception_fp_ieee_div_zero 0
		.amdhsa_exception_fp_ieee_overflow 0
		.amdhsa_exception_fp_ieee_underflow 0
		.amdhsa_exception_fp_ieee_inexact 0
		.amdhsa_exception_int_div_zero 0
	.end_amdhsa_kernel
	.section	.text._ZN7rocprim17ROCPRIM_400000_NS6detail17trampoline_kernelINS0_14default_configENS1_25partition_config_selectorILNS1_17partition_subalgoE8EfNS0_10empty_typeEbEEZZNS1_14partition_implILS5_8ELb0ES3_jPKfPS6_PKS6_NS0_5tupleIJPfS6_EEENSE_IJSB_SB_EEENS0_18inequality_wrapperIN6hipcub16HIPCUB_304000_NS8EqualityEEEPlJS6_EEE10hipError_tPvRmT3_T4_T5_T6_T7_T9_mT8_P12ihipStream_tbDpT10_ENKUlT_T0_E_clISt17integral_constantIbLb1EES17_EEDaS12_S13_EUlS12_E_NS1_11comp_targetILNS1_3genE4ELNS1_11target_archE910ELNS1_3gpuE8ELNS1_3repE0EEENS1_30default_config_static_selectorELNS0_4arch9wavefront6targetE1EEEvT1_,"axG",@progbits,_ZN7rocprim17ROCPRIM_400000_NS6detail17trampoline_kernelINS0_14default_configENS1_25partition_config_selectorILNS1_17partition_subalgoE8EfNS0_10empty_typeEbEEZZNS1_14partition_implILS5_8ELb0ES3_jPKfPS6_PKS6_NS0_5tupleIJPfS6_EEENSE_IJSB_SB_EEENS0_18inequality_wrapperIN6hipcub16HIPCUB_304000_NS8EqualityEEEPlJS6_EEE10hipError_tPvRmT3_T4_T5_T6_T7_T9_mT8_P12ihipStream_tbDpT10_ENKUlT_T0_E_clISt17integral_constantIbLb1EES17_EEDaS12_S13_EUlS12_E_NS1_11comp_targetILNS1_3genE4ELNS1_11target_archE910ELNS1_3gpuE8ELNS1_3repE0EEENS1_30default_config_static_selectorELNS0_4arch9wavefront6targetE1EEEvT1_,comdat
.Lfunc_end351:
	.size	_ZN7rocprim17ROCPRIM_400000_NS6detail17trampoline_kernelINS0_14default_configENS1_25partition_config_selectorILNS1_17partition_subalgoE8EfNS0_10empty_typeEbEEZZNS1_14partition_implILS5_8ELb0ES3_jPKfPS6_PKS6_NS0_5tupleIJPfS6_EEENSE_IJSB_SB_EEENS0_18inequality_wrapperIN6hipcub16HIPCUB_304000_NS8EqualityEEEPlJS6_EEE10hipError_tPvRmT3_T4_T5_T6_T7_T9_mT8_P12ihipStream_tbDpT10_ENKUlT_T0_E_clISt17integral_constantIbLb1EES17_EEDaS12_S13_EUlS12_E_NS1_11comp_targetILNS1_3genE4ELNS1_11target_archE910ELNS1_3gpuE8ELNS1_3repE0EEENS1_30default_config_static_selectorELNS0_4arch9wavefront6targetE1EEEvT1_, .Lfunc_end351-_ZN7rocprim17ROCPRIM_400000_NS6detail17trampoline_kernelINS0_14default_configENS1_25partition_config_selectorILNS1_17partition_subalgoE8EfNS0_10empty_typeEbEEZZNS1_14partition_implILS5_8ELb0ES3_jPKfPS6_PKS6_NS0_5tupleIJPfS6_EEENSE_IJSB_SB_EEENS0_18inequality_wrapperIN6hipcub16HIPCUB_304000_NS8EqualityEEEPlJS6_EEE10hipError_tPvRmT3_T4_T5_T6_T7_T9_mT8_P12ihipStream_tbDpT10_ENKUlT_T0_E_clISt17integral_constantIbLb1EES17_EEDaS12_S13_EUlS12_E_NS1_11comp_targetILNS1_3genE4ELNS1_11target_archE910ELNS1_3gpuE8ELNS1_3repE0EEENS1_30default_config_static_selectorELNS0_4arch9wavefront6targetE1EEEvT1_
                                        ; -- End function
	.section	.AMDGPU.csdata,"",@progbits
; Kernel info:
; codeLenInByte = 0
; NumSgprs: 6
; NumVgprs: 0
; NumAgprs: 0
; TotalNumVgprs: 0
; ScratchSize: 0
; MemoryBound: 0
; FloatMode: 240
; IeeeMode: 1
; LDSByteSize: 0 bytes/workgroup (compile time only)
; SGPRBlocks: 0
; VGPRBlocks: 0
; NumSGPRsForWavesPerEU: 6
; NumVGPRsForWavesPerEU: 1
; AccumOffset: 4
; Occupancy: 8
; WaveLimiterHint : 0
; COMPUTE_PGM_RSRC2:SCRATCH_EN: 0
; COMPUTE_PGM_RSRC2:USER_SGPR: 2
; COMPUTE_PGM_RSRC2:TRAP_HANDLER: 0
; COMPUTE_PGM_RSRC2:TGID_X_EN: 1
; COMPUTE_PGM_RSRC2:TGID_Y_EN: 0
; COMPUTE_PGM_RSRC2:TGID_Z_EN: 0
; COMPUTE_PGM_RSRC2:TIDIG_COMP_CNT: 0
; COMPUTE_PGM_RSRC3_GFX90A:ACCUM_OFFSET: 0
; COMPUTE_PGM_RSRC3_GFX90A:TG_SPLIT: 0
	.section	.text._ZN7rocprim17ROCPRIM_400000_NS6detail17trampoline_kernelINS0_14default_configENS1_25partition_config_selectorILNS1_17partition_subalgoE8EfNS0_10empty_typeEbEEZZNS1_14partition_implILS5_8ELb0ES3_jPKfPS6_PKS6_NS0_5tupleIJPfS6_EEENSE_IJSB_SB_EEENS0_18inequality_wrapperIN6hipcub16HIPCUB_304000_NS8EqualityEEEPlJS6_EEE10hipError_tPvRmT3_T4_T5_T6_T7_T9_mT8_P12ihipStream_tbDpT10_ENKUlT_T0_E_clISt17integral_constantIbLb1EES17_EEDaS12_S13_EUlS12_E_NS1_11comp_targetILNS1_3genE3ELNS1_11target_archE908ELNS1_3gpuE7ELNS1_3repE0EEENS1_30default_config_static_selectorELNS0_4arch9wavefront6targetE1EEEvT1_,"axG",@progbits,_ZN7rocprim17ROCPRIM_400000_NS6detail17trampoline_kernelINS0_14default_configENS1_25partition_config_selectorILNS1_17partition_subalgoE8EfNS0_10empty_typeEbEEZZNS1_14partition_implILS5_8ELb0ES3_jPKfPS6_PKS6_NS0_5tupleIJPfS6_EEENSE_IJSB_SB_EEENS0_18inequality_wrapperIN6hipcub16HIPCUB_304000_NS8EqualityEEEPlJS6_EEE10hipError_tPvRmT3_T4_T5_T6_T7_T9_mT8_P12ihipStream_tbDpT10_ENKUlT_T0_E_clISt17integral_constantIbLb1EES17_EEDaS12_S13_EUlS12_E_NS1_11comp_targetILNS1_3genE3ELNS1_11target_archE908ELNS1_3gpuE7ELNS1_3repE0EEENS1_30default_config_static_selectorELNS0_4arch9wavefront6targetE1EEEvT1_,comdat
	.protected	_ZN7rocprim17ROCPRIM_400000_NS6detail17trampoline_kernelINS0_14default_configENS1_25partition_config_selectorILNS1_17partition_subalgoE8EfNS0_10empty_typeEbEEZZNS1_14partition_implILS5_8ELb0ES3_jPKfPS6_PKS6_NS0_5tupleIJPfS6_EEENSE_IJSB_SB_EEENS0_18inequality_wrapperIN6hipcub16HIPCUB_304000_NS8EqualityEEEPlJS6_EEE10hipError_tPvRmT3_T4_T5_T6_T7_T9_mT8_P12ihipStream_tbDpT10_ENKUlT_T0_E_clISt17integral_constantIbLb1EES17_EEDaS12_S13_EUlS12_E_NS1_11comp_targetILNS1_3genE3ELNS1_11target_archE908ELNS1_3gpuE7ELNS1_3repE0EEENS1_30default_config_static_selectorELNS0_4arch9wavefront6targetE1EEEvT1_ ; -- Begin function _ZN7rocprim17ROCPRIM_400000_NS6detail17trampoline_kernelINS0_14default_configENS1_25partition_config_selectorILNS1_17partition_subalgoE8EfNS0_10empty_typeEbEEZZNS1_14partition_implILS5_8ELb0ES3_jPKfPS6_PKS6_NS0_5tupleIJPfS6_EEENSE_IJSB_SB_EEENS0_18inequality_wrapperIN6hipcub16HIPCUB_304000_NS8EqualityEEEPlJS6_EEE10hipError_tPvRmT3_T4_T5_T6_T7_T9_mT8_P12ihipStream_tbDpT10_ENKUlT_T0_E_clISt17integral_constantIbLb1EES17_EEDaS12_S13_EUlS12_E_NS1_11comp_targetILNS1_3genE3ELNS1_11target_archE908ELNS1_3gpuE7ELNS1_3repE0EEENS1_30default_config_static_selectorELNS0_4arch9wavefront6targetE1EEEvT1_
	.globl	_ZN7rocprim17ROCPRIM_400000_NS6detail17trampoline_kernelINS0_14default_configENS1_25partition_config_selectorILNS1_17partition_subalgoE8EfNS0_10empty_typeEbEEZZNS1_14partition_implILS5_8ELb0ES3_jPKfPS6_PKS6_NS0_5tupleIJPfS6_EEENSE_IJSB_SB_EEENS0_18inequality_wrapperIN6hipcub16HIPCUB_304000_NS8EqualityEEEPlJS6_EEE10hipError_tPvRmT3_T4_T5_T6_T7_T9_mT8_P12ihipStream_tbDpT10_ENKUlT_T0_E_clISt17integral_constantIbLb1EES17_EEDaS12_S13_EUlS12_E_NS1_11comp_targetILNS1_3genE3ELNS1_11target_archE908ELNS1_3gpuE7ELNS1_3repE0EEENS1_30default_config_static_selectorELNS0_4arch9wavefront6targetE1EEEvT1_
	.p2align	8
	.type	_ZN7rocprim17ROCPRIM_400000_NS6detail17trampoline_kernelINS0_14default_configENS1_25partition_config_selectorILNS1_17partition_subalgoE8EfNS0_10empty_typeEbEEZZNS1_14partition_implILS5_8ELb0ES3_jPKfPS6_PKS6_NS0_5tupleIJPfS6_EEENSE_IJSB_SB_EEENS0_18inequality_wrapperIN6hipcub16HIPCUB_304000_NS8EqualityEEEPlJS6_EEE10hipError_tPvRmT3_T4_T5_T6_T7_T9_mT8_P12ihipStream_tbDpT10_ENKUlT_T0_E_clISt17integral_constantIbLb1EES17_EEDaS12_S13_EUlS12_E_NS1_11comp_targetILNS1_3genE3ELNS1_11target_archE908ELNS1_3gpuE7ELNS1_3repE0EEENS1_30default_config_static_selectorELNS0_4arch9wavefront6targetE1EEEvT1_,@function
_ZN7rocprim17ROCPRIM_400000_NS6detail17trampoline_kernelINS0_14default_configENS1_25partition_config_selectorILNS1_17partition_subalgoE8EfNS0_10empty_typeEbEEZZNS1_14partition_implILS5_8ELb0ES3_jPKfPS6_PKS6_NS0_5tupleIJPfS6_EEENSE_IJSB_SB_EEENS0_18inequality_wrapperIN6hipcub16HIPCUB_304000_NS8EqualityEEEPlJS6_EEE10hipError_tPvRmT3_T4_T5_T6_T7_T9_mT8_P12ihipStream_tbDpT10_ENKUlT_T0_E_clISt17integral_constantIbLb1EES17_EEDaS12_S13_EUlS12_E_NS1_11comp_targetILNS1_3genE3ELNS1_11target_archE908ELNS1_3gpuE7ELNS1_3repE0EEENS1_30default_config_static_selectorELNS0_4arch9wavefront6targetE1EEEvT1_: ; @_ZN7rocprim17ROCPRIM_400000_NS6detail17trampoline_kernelINS0_14default_configENS1_25partition_config_selectorILNS1_17partition_subalgoE8EfNS0_10empty_typeEbEEZZNS1_14partition_implILS5_8ELb0ES3_jPKfPS6_PKS6_NS0_5tupleIJPfS6_EEENSE_IJSB_SB_EEENS0_18inequality_wrapperIN6hipcub16HIPCUB_304000_NS8EqualityEEEPlJS6_EEE10hipError_tPvRmT3_T4_T5_T6_T7_T9_mT8_P12ihipStream_tbDpT10_ENKUlT_T0_E_clISt17integral_constantIbLb1EES17_EEDaS12_S13_EUlS12_E_NS1_11comp_targetILNS1_3genE3ELNS1_11target_archE908ELNS1_3gpuE7ELNS1_3repE0EEENS1_30default_config_static_selectorELNS0_4arch9wavefront6targetE1EEEvT1_
; %bb.0:
	.section	.rodata,"a",@progbits
	.p2align	6, 0x0
	.amdhsa_kernel _ZN7rocprim17ROCPRIM_400000_NS6detail17trampoline_kernelINS0_14default_configENS1_25partition_config_selectorILNS1_17partition_subalgoE8EfNS0_10empty_typeEbEEZZNS1_14partition_implILS5_8ELb0ES3_jPKfPS6_PKS6_NS0_5tupleIJPfS6_EEENSE_IJSB_SB_EEENS0_18inequality_wrapperIN6hipcub16HIPCUB_304000_NS8EqualityEEEPlJS6_EEE10hipError_tPvRmT3_T4_T5_T6_T7_T9_mT8_P12ihipStream_tbDpT10_ENKUlT_T0_E_clISt17integral_constantIbLb1EES17_EEDaS12_S13_EUlS12_E_NS1_11comp_targetILNS1_3genE3ELNS1_11target_archE908ELNS1_3gpuE7ELNS1_3repE0EEENS1_30default_config_static_selectorELNS0_4arch9wavefront6targetE1EEEvT1_
		.amdhsa_group_segment_fixed_size 0
		.amdhsa_private_segment_fixed_size 0
		.amdhsa_kernarg_size 128
		.amdhsa_user_sgpr_count 2
		.amdhsa_user_sgpr_dispatch_ptr 0
		.amdhsa_user_sgpr_queue_ptr 0
		.amdhsa_user_sgpr_kernarg_segment_ptr 1
		.amdhsa_user_sgpr_dispatch_id 0
		.amdhsa_user_sgpr_kernarg_preload_length 0
		.amdhsa_user_sgpr_kernarg_preload_offset 0
		.amdhsa_user_sgpr_private_segment_size 0
		.amdhsa_uses_dynamic_stack 0
		.amdhsa_enable_private_segment 0
		.amdhsa_system_sgpr_workgroup_id_x 1
		.amdhsa_system_sgpr_workgroup_id_y 0
		.amdhsa_system_sgpr_workgroup_id_z 0
		.amdhsa_system_sgpr_workgroup_info 0
		.amdhsa_system_vgpr_workitem_id 0
		.amdhsa_next_free_vgpr 1
		.amdhsa_next_free_sgpr 0
		.amdhsa_accum_offset 4
		.amdhsa_reserve_vcc 0
		.amdhsa_float_round_mode_32 0
		.amdhsa_float_round_mode_16_64 0
		.amdhsa_float_denorm_mode_32 3
		.amdhsa_float_denorm_mode_16_64 3
		.amdhsa_dx10_clamp 1
		.amdhsa_ieee_mode 1
		.amdhsa_fp16_overflow 0
		.amdhsa_tg_split 0
		.amdhsa_exception_fp_ieee_invalid_op 0
		.amdhsa_exception_fp_denorm_src 0
		.amdhsa_exception_fp_ieee_div_zero 0
		.amdhsa_exception_fp_ieee_overflow 0
		.amdhsa_exception_fp_ieee_underflow 0
		.amdhsa_exception_fp_ieee_inexact 0
		.amdhsa_exception_int_div_zero 0
	.end_amdhsa_kernel
	.section	.text._ZN7rocprim17ROCPRIM_400000_NS6detail17trampoline_kernelINS0_14default_configENS1_25partition_config_selectorILNS1_17partition_subalgoE8EfNS0_10empty_typeEbEEZZNS1_14partition_implILS5_8ELb0ES3_jPKfPS6_PKS6_NS0_5tupleIJPfS6_EEENSE_IJSB_SB_EEENS0_18inequality_wrapperIN6hipcub16HIPCUB_304000_NS8EqualityEEEPlJS6_EEE10hipError_tPvRmT3_T4_T5_T6_T7_T9_mT8_P12ihipStream_tbDpT10_ENKUlT_T0_E_clISt17integral_constantIbLb1EES17_EEDaS12_S13_EUlS12_E_NS1_11comp_targetILNS1_3genE3ELNS1_11target_archE908ELNS1_3gpuE7ELNS1_3repE0EEENS1_30default_config_static_selectorELNS0_4arch9wavefront6targetE1EEEvT1_,"axG",@progbits,_ZN7rocprim17ROCPRIM_400000_NS6detail17trampoline_kernelINS0_14default_configENS1_25partition_config_selectorILNS1_17partition_subalgoE8EfNS0_10empty_typeEbEEZZNS1_14partition_implILS5_8ELb0ES3_jPKfPS6_PKS6_NS0_5tupleIJPfS6_EEENSE_IJSB_SB_EEENS0_18inequality_wrapperIN6hipcub16HIPCUB_304000_NS8EqualityEEEPlJS6_EEE10hipError_tPvRmT3_T4_T5_T6_T7_T9_mT8_P12ihipStream_tbDpT10_ENKUlT_T0_E_clISt17integral_constantIbLb1EES17_EEDaS12_S13_EUlS12_E_NS1_11comp_targetILNS1_3genE3ELNS1_11target_archE908ELNS1_3gpuE7ELNS1_3repE0EEENS1_30default_config_static_selectorELNS0_4arch9wavefront6targetE1EEEvT1_,comdat
.Lfunc_end352:
	.size	_ZN7rocprim17ROCPRIM_400000_NS6detail17trampoline_kernelINS0_14default_configENS1_25partition_config_selectorILNS1_17partition_subalgoE8EfNS0_10empty_typeEbEEZZNS1_14partition_implILS5_8ELb0ES3_jPKfPS6_PKS6_NS0_5tupleIJPfS6_EEENSE_IJSB_SB_EEENS0_18inequality_wrapperIN6hipcub16HIPCUB_304000_NS8EqualityEEEPlJS6_EEE10hipError_tPvRmT3_T4_T5_T6_T7_T9_mT8_P12ihipStream_tbDpT10_ENKUlT_T0_E_clISt17integral_constantIbLb1EES17_EEDaS12_S13_EUlS12_E_NS1_11comp_targetILNS1_3genE3ELNS1_11target_archE908ELNS1_3gpuE7ELNS1_3repE0EEENS1_30default_config_static_selectorELNS0_4arch9wavefront6targetE1EEEvT1_, .Lfunc_end352-_ZN7rocprim17ROCPRIM_400000_NS6detail17trampoline_kernelINS0_14default_configENS1_25partition_config_selectorILNS1_17partition_subalgoE8EfNS0_10empty_typeEbEEZZNS1_14partition_implILS5_8ELb0ES3_jPKfPS6_PKS6_NS0_5tupleIJPfS6_EEENSE_IJSB_SB_EEENS0_18inequality_wrapperIN6hipcub16HIPCUB_304000_NS8EqualityEEEPlJS6_EEE10hipError_tPvRmT3_T4_T5_T6_T7_T9_mT8_P12ihipStream_tbDpT10_ENKUlT_T0_E_clISt17integral_constantIbLb1EES17_EEDaS12_S13_EUlS12_E_NS1_11comp_targetILNS1_3genE3ELNS1_11target_archE908ELNS1_3gpuE7ELNS1_3repE0EEENS1_30default_config_static_selectorELNS0_4arch9wavefront6targetE1EEEvT1_
                                        ; -- End function
	.section	.AMDGPU.csdata,"",@progbits
; Kernel info:
; codeLenInByte = 0
; NumSgprs: 6
; NumVgprs: 0
; NumAgprs: 0
; TotalNumVgprs: 0
; ScratchSize: 0
; MemoryBound: 0
; FloatMode: 240
; IeeeMode: 1
; LDSByteSize: 0 bytes/workgroup (compile time only)
; SGPRBlocks: 0
; VGPRBlocks: 0
; NumSGPRsForWavesPerEU: 6
; NumVGPRsForWavesPerEU: 1
; AccumOffset: 4
; Occupancy: 8
; WaveLimiterHint : 0
; COMPUTE_PGM_RSRC2:SCRATCH_EN: 0
; COMPUTE_PGM_RSRC2:USER_SGPR: 2
; COMPUTE_PGM_RSRC2:TRAP_HANDLER: 0
; COMPUTE_PGM_RSRC2:TGID_X_EN: 1
; COMPUTE_PGM_RSRC2:TGID_Y_EN: 0
; COMPUTE_PGM_RSRC2:TGID_Z_EN: 0
; COMPUTE_PGM_RSRC2:TIDIG_COMP_CNT: 0
; COMPUTE_PGM_RSRC3_GFX90A:ACCUM_OFFSET: 0
; COMPUTE_PGM_RSRC3_GFX90A:TG_SPLIT: 0
	.section	.text._ZN7rocprim17ROCPRIM_400000_NS6detail17trampoline_kernelINS0_14default_configENS1_25partition_config_selectorILNS1_17partition_subalgoE8EfNS0_10empty_typeEbEEZZNS1_14partition_implILS5_8ELb0ES3_jPKfPS6_PKS6_NS0_5tupleIJPfS6_EEENSE_IJSB_SB_EEENS0_18inequality_wrapperIN6hipcub16HIPCUB_304000_NS8EqualityEEEPlJS6_EEE10hipError_tPvRmT3_T4_T5_T6_T7_T9_mT8_P12ihipStream_tbDpT10_ENKUlT_T0_E_clISt17integral_constantIbLb1EES17_EEDaS12_S13_EUlS12_E_NS1_11comp_targetILNS1_3genE2ELNS1_11target_archE906ELNS1_3gpuE6ELNS1_3repE0EEENS1_30default_config_static_selectorELNS0_4arch9wavefront6targetE1EEEvT1_,"axG",@progbits,_ZN7rocprim17ROCPRIM_400000_NS6detail17trampoline_kernelINS0_14default_configENS1_25partition_config_selectorILNS1_17partition_subalgoE8EfNS0_10empty_typeEbEEZZNS1_14partition_implILS5_8ELb0ES3_jPKfPS6_PKS6_NS0_5tupleIJPfS6_EEENSE_IJSB_SB_EEENS0_18inequality_wrapperIN6hipcub16HIPCUB_304000_NS8EqualityEEEPlJS6_EEE10hipError_tPvRmT3_T4_T5_T6_T7_T9_mT8_P12ihipStream_tbDpT10_ENKUlT_T0_E_clISt17integral_constantIbLb1EES17_EEDaS12_S13_EUlS12_E_NS1_11comp_targetILNS1_3genE2ELNS1_11target_archE906ELNS1_3gpuE6ELNS1_3repE0EEENS1_30default_config_static_selectorELNS0_4arch9wavefront6targetE1EEEvT1_,comdat
	.protected	_ZN7rocprim17ROCPRIM_400000_NS6detail17trampoline_kernelINS0_14default_configENS1_25partition_config_selectorILNS1_17partition_subalgoE8EfNS0_10empty_typeEbEEZZNS1_14partition_implILS5_8ELb0ES3_jPKfPS6_PKS6_NS0_5tupleIJPfS6_EEENSE_IJSB_SB_EEENS0_18inequality_wrapperIN6hipcub16HIPCUB_304000_NS8EqualityEEEPlJS6_EEE10hipError_tPvRmT3_T4_T5_T6_T7_T9_mT8_P12ihipStream_tbDpT10_ENKUlT_T0_E_clISt17integral_constantIbLb1EES17_EEDaS12_S13_EUlS12_E_NS1_11comp_targetILNS1_3genE2ELNS1_11target_archE906ELNS1_3gpuE6ELNS1_3repE0EEENS1_30default_config_static_selectorELNS0_4arch9wavefront6targetE1EEEvT1_ ; -- Begin function _ZN7rocprim17ROCPRIM_400000_NS6detail17trampoline_kernelINS0_14default_configENS1_25partition_config_selectorILNS1_17partition_subalgoE8EfNS0_10empty_typeEbEEZZNS1_14partition_implILS5_8ELb0ES3_jPKfPS6_PKS6_NS0_5tupleIJPfS6_EEENSE_IJSB_SB_EEENS0_18inequality_wrapperIN6hipcub16HIPCUB_304000_NS8EqualityEEEPlJS6_EEE10hipError_tPvRmT3_T4_T5_T6_T7_T9_mT8_P12ihipStream_tbDpT10_ENKUlT_T0_E_clISt17integral_constantIbLb1EES17_EEDaS12_S13_EUlS12_E_NS1_11comp_targetILNS1_3genE2ELNS1_11target_archE906ELNS1_3gpuE6ELNS1_3repE0EEENS1_30default_config_static_selectorELNS0_4arch9wavefront6targetE1EEEvT1_
	.globl	_ZN7rocprim17ROCPRIM_400000_NS6detail17trampoline_kernelINS0_14default_configENS1_25partition_config_selectorILNS1_17partition_subalgoE8EfNS0_10empty_typeEbEEZZNS1_14partition_implILS5_8ELb0ES3_jPKfPS6_PKS6_NS0_5tupleIJPfS6_EEENSE_IJSB_SB_EEENS0_18inequality_wrapperIN6hipcub16HIPCUB_304000_NS8EqualityEEEPlJS6_EEE10hipError_tPvRmT3_T4_T5_T6_T7_T9_mT8_P12ihipStream_tbDpT10_ENKUlT_T0_E_clISt17integral_constantIbLb1EES17_EEDaS12_S13_EUlS12_E_NS1_11comp_targetILNS1_3genE2ELNS1_11target_archE906ELNS1_3gpuE6ELNS1_3repE0EEENS1_30default_config_static_selectorELNS0_4arch9wavefront6targetE1EEEvT1_
	.p2align	8
	.type	_ZN7rocprim17ROCPRIM_400000_NS6detail17trampoline_kernelINS0_14default_configENS1_25partition_config_selectorILNS1_17partition_subalgoE8EfNS0_10empty_typeEbEEZZNS1_14partition_implILS5_8ELb0ES3_jPKfPS6_PKS6_NS0_5tupleIJPfS6_EEENSE_IJSB_SB_EEENS0_18inequality_wrapperIN6hipcub16HIPCUB_304000_NS8EqualityEEEPlJS6_EEE10hipError_tPvRmT3_T4_T5_T6_T7_T9_mT8_P12ihipStream_tbDpT10_ENKUlT_T0_E_clISt17integral_constantIbLb1EES17_EEDaS12_S13_EUlS12_E_NS1_11comp_targetILNS1_3genE2ELNS1_11target_archE906ELNS1_3gpuE6ELNS1_3repE0EEENS1_30default_config_static_selectorELNS0_4arch9wavefront6targetE1EEEvT1_,@function
_ZN7rocprim17ROCPRIM_400000_NS6detail17trampoline_kernelINS0_14default_configENS1_25partition_config_selectorILNS1_17partition_subalgoE8EfNS0_10empty_typeEbEEZZNS1_14partition_implILS5_8ELb0ES3_jPKfPS6_PKS6_NS0_5tupleIJPfS6_EEENSE_IJSB_SB_EEENS0_18inequality_wrapperIN6hipcub16HIPCUB_304000_NS8EqualityEEEPlJS6_EEE10hipError_tPvRmT3_T4_T5_T6_T7_T9_mT8_P12ihipStream_tbDpT10_ENKUlT_T0_E_clISt17integral_constantIbLb1EES17_EEDaS12_S13_EUlS12_E_NS1_11comp_targetILNS1_3genE2ELNS1_11target_archE906ELNS1_3gpuE6ELNS1_3repE0EEENS1_30default_config_static_selectorELNS0_4arch9wavefront6targetE1EEEvT1_: ; @_ZN7rocprim17ROCPRIM_400000_NS6detail17trampoline_kernelINS0_14default_configENS1_25partition_config_selectorILNS1_17partition_subalgoE8EfNS0_10empty_typeEbEEZZNS1_14partition_implILS5_8ELb0ES3_jPKfPS6_PKS6_NS0_5tupleIJPfS6_EEENSE_IJSB_SB_EEENS0_18inequality_wrapperIN6hipcub16HIPCUB_304000_NS8EqualityEEEPlJS6_EEE10hipError_tPvRmT3_T4_T5_T6_T7_T9_mT8_P12ihipStream_tbDpT10_ENKUlT_T0_E_clISt17integral_constantIbLb1EES17_EEDaS12_S13_EUlS12_E_NS1_11comp_targetILNS1_3genE2ELNS1_11target_archE906ELNS1_3gpuE6ELNS1_3repE0EEENS1_30default_config_static_selectorELNS0_4arch9wavefront6targetE1EEEvT1_
; %bb.0:
	.section	.rodata,"a",@progbits
	.p2align	6, 0x0
	.amdhsa_kernel _ZN7rocprim17ROCPRIM_400000_NS6detail17trampoline_kernelINS0_14default_configENS1_25partition_config_selectorILNS1_17partition_subalgoE8EfNS0_10empty_typeEbEEZZNS1_14partition_implILS5_8ELb0ES3_jPKfPS6_PKS6_NS0_5tupleIJPfS6_EEENSE_IJSB_SB_EEENS0_18inequality_wrapperIN6hipcub16HIPCUB_304000_NS8EqualityEEEPlJS6_EEE10hipError_tPvRmT3_T4_T5_T6_T7_T9_mT8_P12ihipStream_tbDpT10_ENKUlT_T0_E_clISt17integral_constantIbLb1EES17_EEDaS12_S13_EUlS12_E_NS1_11comp_targetILNS1_3genE2ELNS1_11target_archE906ELNS1_3gpuE6ELNS1_3repE0EEENS1_30default_config_static_selectorELNS0_4arch9wavefront6targetE1EEEvT1_
		.amdhsa_group_segment_fixed_size 0
		.amdhsa_private_segment_fixed_size 0
		.amdhsa_kernarg_size 128
		.amdhsa_user_sgpr_count 2
		.amdhsa_user_sgpr_dispatch_ptr 0
		.amdhsa_user_sgpr_queue_ptr 0
		.amdhsa_user_sgpr_kernarg_segment_ptr 1
		.amdhsa_user_sgpr_dispatch_id 0
		.amdhsa_user_sgpr_kernarg_preload_length 0
		.amdhsa_user_sgpr_kernarg_preload_offset 0
		.amdhsa_user_sgpr_private_segment_size 0
		.amdhsa_uses_dynamic_stack 0
		.amdhsa_enable_private_segment 0
		.amdhsa_system_sgpr_workgroup_id_x 1
		.amdhsa_system_sgpr_workgroup_id_y 0
		.amdhsa_system_sgpr_workgroup_id_z 0
		.amdhsa_system_sgpr_workgroup_info 0
		.amdhsa_system_vgpr_workitem_id 0
		.amdhsa_next_free_vgpr 1
		.amdhsa_next_free_sgpr 0
		.amdhsa_accum_offset 4
		.amdhsa_reserve_vcc 0
		.amdhsa_float_round_mode_32 0
		.amdhsa_float_round_mode_16_64 0
		.amdhsa_float_denorm_mode_32 3
		.amdhsa_float_denorm_mode_16_64 3
		.amdhsa_dx10_clamp 1
		.amdhsa_ieee_mode 1
		.amdhsa_fp16_overflow 0
		.amdhsa_tg_split 0
		.amdhsa_exception_fp_ieee_invalid_op 0
		.amdhsa_exception_fp_denorm_src 0
		.amdhsa_exception_fp_ieee_div_zero 0
		.amdhsa_exception_fp_ieee_overflow 0
		.amdhsa_exception_fp_ieee_underflow 0
		.amdhsa_exception_fp_ieee_inexact 0
		.amdhsa_exception_int_div_zero 0
	.end_amdhsa_kernel
	.section	.text._ZN7rocprim17ROCPRIM_400000_NS6detail17trampoline_kernelINS0_14default_configENS1_25partition_config_selectorILNS1_17partition_subalgoE8EfNS0_10empty_typeEbEEZZNS1_14partition_implILS5_8ELb0ES3_jPKfPS6_PKS6_NS0_5tupleIJPfS6_EEENSE_IJSB_SB_EEENS0_18inequality_wrapperIN6hipcub16HIPCUB_304000_NS8EqualityEEEPlJS6_EEE10hipError_tPvRmT3_T4_T5_T6_T7_T9_mT8_P12ihipStream_tbDpT10_ENKUlT_T0_E_clISt17integral_constantIbLb1EES17_EEDaS12_S13_EUlS12_E_NS1_11comp_targetILNS1_3genE2ELNS1_11target_archE906ELNS1_3gpuE6ELNS1_3repE0EEENS1_30default_config_static_selectorELNS0_4arch9wavefront6targetE1EEEvT1_,"axG",@progbits,_ZN7rocprim17ROCPRIM_400000_NS6detail17trampoline_kernelINS0_14default_configENS1_25partition_config_selectorILNS1_17partition_subalgoE8EfNS0_10empty_typeEbEEZZNS1_14partition_implILS5_8ELb0ES3_jPKfPS6_PKS6_NS0_5tupleIJPfS6_EEENSE_IJSB_SB_EEENS0_18inequality_wrapperIN6hipcub16HIPCUB_304000_NS8EqualityEEEPlJS6_EEE10hipError_tPvRmT3_T4_T5_T6_T7_T9_mT8_P12ihipStream_tbDpT10_ENKUlT_T0_E_clISt17integral_constantIbLb1EES17_EEDaS12_S13_EUlS12_E_NS1_11comp_targetILNS1_3genE2ELNS1_11target_archE906ELNS1_3gpuE6ELNS1_3repE0EEENS1_30default_config_static_selectorELNS0_4arch9wavefront6targetE1EEEvT1_,comdat
.Lfunc_end353:
	.size	_ZN7rocprim17ROCPRIM_400000_NS6detail17trampoline_kernelINS0_14default_configENS1_25partition_config_selectorILNS1_17partition_subalgoE8EfNS0_10empty_typeEbEEZZNS1_14partition_implILS5_8ELb0ES3_jPKfPS6_PKS6_NS0_5tupleIJPfS6_EEENSE_IJSB_SB_EEENS0_18inequality_wrapperIN6hipcub16HIPCUB_304000_NS8EqualityEEEPlJS6_EEE10hipError_tPvRmT3_T4_T5_T6_T7_T9_mT8_P12ihipStream_tbDpT10_ENKUlT_T0_E_clISt17integral_constantIbLb1EES17_EEDaS12_S13_EUlS12_E_NS1_11comp_targetILNS1_3genE2ELNS1_11target_archE906ELNS1_3gpuE6ELNS1_3repE0EEENS1_30default_config_static_selectorELNS0_4arch9wavefront6targetE1EEEvT1_, .Lfunc_end353-_ZN7rocprim17ROCPRIM_400000_NS6detail17trampoline_kernelINS0_14default_configENS1_25partition_config_selectorILNS1_17partition_subalgoE8EfNS0_10empty_typeEbEEZZNS1_14partition_implILS5_8ELb0ES3_jPKfPS6_PKS6_NS0_5tupleIJPfS6_EEENSE_IJSB_SB_EEENS0_18inequality_wrapperIN6hipcub16HIPCUB_304000_NS8EqualityEEEPlJS6_EEE10hipError_tPvRmT3_T4_T5_T6_T7_T9_mT8_P12ihipStream_tbDpT10_ENKUlT_T0_E_clISt17integral_constantIbLb1EES17_EEDaS12_S13_EUlS12_E_NS1_11comp_targetILNS1_3genE2ELNS1_11target_archE906ELNS1_3gpuE6ELNS1_3repE0EEENS1_30default_config_static_selectorELNS0_4arch9wavefront6targetE1EEEvT1_
                                        ; -- End function
	.section	.AMDGPU.csdata,"",@progbits
; Kernel info:
; codeLenInByte = 0
; NumSgprs: 6
; NumVgprs: 0
; NumAgprs: 0
; TotalNumVgprs: 0
; ScratchSize: 0
; MemoryBound: 0
; FloatMode: 240
; IeeeMode: 1
; LDSByteSize: 0 bytes/workgroup (compile time only)
; SGPRBlocks: 0
; VGPRBlocks: 0
; NumSGPRsForWavesPerEU: 6
; NumVGPRsForWavesPerEU: 1
; AccumOffset: 4
; Occupancy: 8
; WaveLimiterHint : 0
; COMPUTE_PGM_RSRC2:SCRATCH_EN: 0
; COMPUTE_PGM_RSRC2:USER_SGPR: 2
; COMPUTE_PGM_RSRC2:TRAP_HANDLER: 0
; COMPUTE_PGM_RSRC2:TGID_X_EN: 1
; COMPUTE_PGM_RSRC2:TGID_Y_EN: 0
; COMPUTE_PGM_RSRC2:TGID_Z_EN: 0
; COMPUTE_PGM_RSRC2:TIDIG_COMP_CNT: 0
; COMPUTE_PGM_RSRC3_GFX90A:ACCUM_OFFSET: 0
; COMPUTE_PGM_RSRC3_GFX90A:TG_SPLIT: 0
	.section	.text._ZN7rocprim17ROCPRIM_400000_NS6detail17trampoline_kernelINS0_14default_configENS1_25partition_config_selectorILNS1_17partition_subalgoE8EfNS0_10empty_typeEbEEZZNS1_14partition_implILS5_8ELb0ES3_jPKfPS6_PKS6_NS0_5tupleIJPfS6_EEENSE_IJSB_SB_EEENS0_18inequality_wrapperIN6hipcub16HIPCUB_304000_NS8EqualityEEEPlJS6_EEE10hipError_tPvRmT3_T4_T5_T6_T7_T9_mT8_P12ihipStream_tbDpT10_ENKUlT_T0_E_clISt17integral_constantIbLb1EES17_EEDaS12_S13_EUlS12_E_NS1_11comp_targetILNS1_3genE10ELNS1_11target_archE1200ELNS1_3gpuE4ELNS1_3repE0EEENS1_30default_config_static_selectorELNS0_4arch9wavefront6targetE1EEEvT1_,"axG",@progbits,_ZN7rocprim17ROCPRIM_400000_NS6detail17trampoline_kernelINS0_14default_configENS1_25partition_config_selectorILNS1_17partition_subalgoE8EfNS0_10empty_typeEbEEZZNS1_14partition_implILS5_8ELb0ES3_jPKfPS6_PKS6_NS0_5tupleIJPfS6_EEENSE_IJSB_SB_EEENS0_18inequality_wrapperIN6hipcub16HIPCUB_304000_NS8EqualityEEEPlJS6_EEE10hipError_tPvRmT3_T4_T5_T6_T7_T9_mT8_P12ihipStream_tbDpT10_ENKUlT_T0_E_clISt17integral_constantIbLb1EES17_EEDaS12_S13_EUlS12_E_NS1_11comp_targetILNS1_3genE10ELNS1_11target_archE1200ELNS1_3gpuE4ELNS1_3repE0EEENS1_30default_config_static_selectorELNS0_4arch9wavefront6targetE1EEEvT1_,comdat
	.protected	_ZN7rocprim17ROCPRIM_400000_NS6detail17trampoline_kernelINS0_14default_configENS1_25partition_config_selectorILNS1_17partition_subalgoE8EfNS0_10empty_typeEbEEZZNS1_14partition_implILS5_8ELb0ES3_jPKfPS6_PKS6_NS0_5tupleIJPfS6_EEENSE_IJSB_SB_EEENS0_18inequality_wrapperIN6hipcub16HIPCUB_304000_NS8EqualityEEEPlJS6_EEE10hipError_tPvRmT3_T4_T5_T6_T7_T9_mT8_P12ihipStream_tbDpT10_ENKUlT_T0_E_clISt17integral_constantIbLb1EES17_EEDaS12_S13_EUlS12_E_NS1_11comp_targetILNS1_3genE10ELNS1_11target_archE1200ELNS1_3gpuE4ELNS1_3repE0EEENS1_30default_config_static_selectorELNS0_4arch9wavefront6targetE1EEEvT1_ ; -- Begin function _ZN7rocprim17ROCPRIM_400000_NS6detail17trampoline_kernelINS0_14default_configENS1_25partition_config_selectorILNS1_17partition_subalgoE8EfNS0_10empty_typeEbEEZZNS1_14partition_implILS5_8ELb0ES3_jPKfPS6_PKS6_NS0_5tupleIJPfS6_EEENSE_IJSB_SB_EEENS0_18inequality_wrapperIN6hipcub16HIPCUB_304000_NS8EqualityEEEPlJS6_EEE10hipError_tPvRmT3_T4_T5_T6_T7_T9_mT8_P12ihipStream_tbDpT10_ENKUlT_T0_E_clISt17integral_constantIbLb1EES17_EEDaS12_S13_EUlS12_E_NS1_11comp_targetILNS1_3genE10ELNS1_11target_archE1200ELNS1_3gpuE4ELNS1_3repE0EEENS1_30default_config_static_selectorELNS0_4arch9wavefront6targetE1EEEvT1_
	.globl	_ZN7rocprim17ROCPRIM_400000_NS6detail17trampoline_kernelINS0_14default_configENS1_25partition_config_selectorILNS1_17partition_subalgoE8EfNS0_10empty_typeEbEEZZNS1_14partition_implILS5_8ELb0ES3_jPKfPS6_PKS6_NS0_5tupleIJPfS6_EEENSE_IJSB_SB_EEENS0_18inequality_wrapperIN6hipcub16HIPCUB_304000_NS8EqualityEEEPlJS6_EEE10hipError_tPvRmT3_T4_T5_T6_T7_T9_mT8_P12ihipStream_tbDpT10_ENKUlT_T0_E_clISt17integral_constantIbLb1EES17_EEDaS12_S13_EUlS12_E_NS1_11comp_targetILNS1_3genE10ELNS1_11target_archE1200ELNS1_3gpuE4ELNS1_3repE0EEENS1_30default_config_static_selectorELNS0_4arch9wavefront6targetE1EEEvT1_
	.p2align	8
	.type	_ZN7rocprim17ROCPRIM_400000_NS6detail17trampoline_kernelINS0_14default_configENS1_25partition_config_selectorILNS1_17partition_subalgoE8EfNS0_10empty_typeEbEEZZNS1_14partition_implILS5_8ELb0ES3_jPKfPS6_PKS6_NS0_5tupleIJPfS6_EEENSE_IJSB_SB_EEENS0_18inequality_wrapperIN6hipcub16HIPCUB_304000_NS8EqualityEEEPlJS6_EEE10hipError_tPvRmT3_T4_T5_T6_T7_T9_mT8_P12ihipStream_tbDpT10_ENKUlT_T0_E_clISt17integral_constantIbLb1EES17_EEDaS12_S13_EUlS12_E_NS1_11comp_targetILNS1_3genE10ELNS1_11target_archE1200ELNS1_3gpuE4ELNS1_3repE0EEENS1_30default_config_static_selectorELNS0_4arch9wavefront6targetE1EEEvT1_,@function
_ZN7rocprim17ROCPRIM_400000_NS6detail17trampoline_kernelINS0_14default_configENS1_25partition_config_selectorILNS1_17partition_subalgoE8EfNS0_10empty_typeEbEEZZNS1_14partition_implILS5_8ELb0ES3_jPKfPS6_PKS6_NS0_5tupleIJPfS6_EEENSE_IJSB_SB_EEENS0_18inequality_wrapperIN6hipcub16HIPCUB_304000_NS8EqualityEEEPlJS6_EEE10hipError_tPvRmT3_T4_T5_T6_T7_T9_mT8_P12ihipStream_tbDpT10_ENKUlT_T0_E_clISt17integral_constantIbLb1EES17_EEDaS12_S13_EUlS12_E_NS1_11comp_targetILNS1_3genE10ELNS1_11target_archE1200ELNS1_3gpuE4ELNS1_3repE0EEENS1_30default_config_static_selectorELNS0_4arch9wavefront6targetE1EEEvT1_: ; @_ZN7rocprim17ROCPRIM_400000_NS6detail17trampoline_kernelINS0_14default_configENS1_25partition_config_selectorILNS1_17partition_subalgoE8EfNS0_10empty_typeEbEEZZNS1_14partition_implILS5_8ELb0ES3_jPKfPS6_PKS6_NS0_5tupleIJPfS6_EEENSE_IJSB_SB_EEENS0_18inequality_wrapperIN6hipcub16HIPCUB_304000_NS8EqualityEEEPlJS6_EEE10hipError_tPvRmT3_T4_T5_T6_T7_T9_mT8_P12ihipStream_tbDpT10_ENKUlT_T0_E_clISt17integral_constantIbLb1EES17_EEDaS12_S13_EUlS12_E_NS1_11comp_targetILNS1_3genE10ELNS1_11target_archE1200ELNS1_3gpuE4ELNS1_3repE0EEENS1_30default_config_static_selectorELNS0_4arch9wavefront6targetE1EEEvT1_
; %bb.0:
	.section	.rodata,"a",@progbits
	.p2align	6, 0x0
	.amdhsa_kernel _ZN7rocprim17ROCPRIM_400000_NS6detail17trampoline_kernelINS0_14default_configENS1_25partition_config_selectorILNS1_17partition_subalgoE8EfNS0_10empty_typeEbEEZZNS1_14partition_implILS5_8ELb0ES3_jPKfPS6_PKS6_NS0_5tupleIJPfS6_EEENSE_IJSB_SB_EEENS0_18inequality_wrapperIN6hipcub16HIPCUB_304000_NS8EqualityEEEPlJS6_EEE10hipError_tPvRmT3_T4_T5_T6_T7_T9_mT8_P12ihipStream_tbDpT10_ENKUlT_T0_E_clISt17integral_constantIbLb1EES17_EEDaS12_S13_EUlS12_E_NS1_11comp_targetILNS1_3genE10ELNS1_11target_archE1200ELNS1_3gpuE4ELNS1_3repE0EEENS1_30default_config_static_selectorELNS0_4arch9wavefront6targetE1EEEvT1_
		.amdhsa_group_segment_fixed_size 0
		.amdhsa_private_segment_fixed_size 0
		.amdhsa_kernarg_size 128
		.amdhsa_user_sgpr_count 2
		.amdhsa_user_sgpr_dispatch_ptr 0
		.amdhsa_user_sgpr_queue_ptr 0
		.amdhsa_user_sgpr_kernarg_segment_ptr 1
		.amdhsa_user_sgpr_dispatch_id 0
		.amdhsa_user_sgpr_kernarg_preload_length 0
		.amdhsa_user_sgpr_kernarg_preload_offset 0
		.amdhsa_user_sgpr_private_segment_size 0
		.amdhsa_uses_dynamic_stack 0
		.amdhsa_enable_private_segment 0
		.amdhsa_system_sgpr_workgroup_id_x 1
		.amdhsa_system_sgpr_workgroup_id_y 0
		.amdhsa_system_sgpr_workgroup_id_z 0
		.amdhsa_system_sgpr_workgroup_info 0
		.amdhsa_system_vgpr_workitem_id 0
		.amdhsa_next_free_vgpr 1
		.amdhsa_next_free_sgpr 0
		.amdhsa_accum_offset 4
		.amdhsa_reserve_vcc 0
		.amdhsa_float_round_mode_32 0
		.amdhsa_float_round_mode_16_64 0
		.amdhsa_float_denorm_mode_32 3
		.amdhsa_float_denorm_mode_16_64 3
		.amdhsa_dx10_clamp 1
		.amdhsa_ieee_mode 1
		.amdhsa_fp16_overflow 0
		.amdhsa_tg_split 0
		.amdhsa_exception_fp_ieee_invalid_op 0
		.amdhsa_exception_fp_denorm_src 0
		.amdhsa_exception_fp_ieee_div_zero 0
		.amdhsa_exception_fp_ieee_overflow 0
		.amdhsa_exception_fp_ieee_underflow 0
		.amdhsa_exception_fp_ieee_inexact 0
		.amdhsa_exception_int_div_zero 0
	.end_amdhsa_kernel
	.section	.text._ZN7rocprim17ROCPRIM_400000_NS6detail17trampoline_kernelINS0_14default_configENS1_25partition_config_selectorILNS1_17partition_subalgoE8EfNS0_10empty_typeEbEEZZNS1_14partition_implILS5_8ELb0ES3_jPKfPS6_PKS6_NS0_5tupleIJPfS6_EEENSE_IJSB_SB_EEENS0_18inequality_wrapperIN6hipcub16HIPCUB_304000_NS8EqualityEEEPlJS6_EEE10hipError_tPvRmT3_T4_T5_T6_T7_T9_mT8_P12ihipStream_tbDpT10_ENKUlT_T0_E_clISt17integral_constantIbLb1EES17_EEDaS12_S13_EUlS12_E_NS1_11comp_targetILNS1_3genE10ELNS1_11target_archE1200ELNS1_3gpuE4ELNS1_3repE0EEENS1_30default_config_static_selectorELNS0_4arch9wavefront6targetE1EEEvT1_,"axG",@progbits,_ZN7rocprim17ROCPRIM_400000_NS6detail17trampoline_kernelINS0_14default_configENS1_25partition_config_selectorILNS1_17partition_subalgoE8EfNS0_10empty_typeEbEEZZNS1_14partition_implILS5_8ELb0ES3_jPKfPS6_PKS6_NS0_5tupleIJPfS6_EEENSE_IJSB_SB_EEENS0_18inequality_wrapperIN6hipcub16HIPCUB_304000_NS8EqualityEEEPlJS6_EEE10hipError_tPvRmT3_T4_T5_T6_T7_T9_mT8_P12ihipStream_tbDpT10_ENKUlT_T0_E_clISt17integral_constantIbLb1EES17_EEDaS12_S13_EUlS12_E_NS1_11comp_targetILNS1_3genE10ELNS1_11target_archE1200ELNS1_3gpuE4ELNS1_3repE0EEENS1_30default_config_static_selectorELNS0_4arch9wavefront6targetE1EEEvT1_,comdat
.Lfunc_end354:
	.size	_ZN7rocprim17ROCPRIM_400000_NS6detail17trampoline_kernelINS0_14default_configENS1_25partition_config_selectorILNS1_17partition_subalgoE8EfNS0_10empty_typeEbEEZZNS1_14partition_implILS5_8ELb0ES3_jPKfPS6_PKS6_NS0_5tupleIJPfS6_EEENSE_IJSB_SB_EEENS0_18inequality_wrapperIN6hipcub16HIPCUB_304000_NS8EqualityEEEPlJS6_EEE10hipError_tPvRmT3_T4_T5_T6_T7_T9_mT8_P12ihipStream_tbDpT10_ENKUlT_T0_E_clISt17integral_constantIbLb1EES17_EEDaS12_S13_EUlS12_E_NS1_11comp_targetILNS1_3genE10ELNS1_11target_archE1200ELNS1_3gpuE4ELNS1_3repE0EEENS1_30default_config_static_selectorELNS0_4arch9wavefront6targetE1EEEvT1_, .Lfunc_end354-_ZN7rocprim17ROCPRIM_400000_NS6detail17trampoline_kernelINS0_14default_configENS1_25partition_config_selectorILNS1_17partition_subalgoE8EfNS0_10empty_typeEbEEZZNS1_14partition_implILS5_8ELb0ES3_jPKfPS6_PKS6_NS0_5tupleIJPfS6_EEENSE_IJSB_SB_EEENS0_18inequality_wrapperIN6hipcub16HIPCUB_304000_NS8EqualityEEEPlJS6_EEE10hipError_tPvRmT3_T4_T5_T6_T7_T9_mT8_P12ihipStream_tbDpT10_ENKUlT_T0_E_clISt17integral_constantIbLb1EES17_EEDaS12_S13_EUlS12_E_NS1_11comp_targetILNS1_3genE10ELNS1_11target_archE1200ELNS1_3gpuE4ELNS1_3repE0EEENS1_30default_config_static_selectorELNS0_4arch9wavefront6targetE1EEEvT1_
                                        ; -- End function
	.section	.AMDGPU.csdata,"",@progbits
; Kernel info:
; codeLenInByte = 0
; NumSgprs: 6
; NumVgprs: 0
; NumAgprs: 0
; TotalNumVgprs: 0
; ScratchSize: 0
; MemoryBound: 0
; FloatMode: 240
; IeeeMode: 1
; LDSByteSize: 0 bytes/workgroup (compile time only)
; SGPRBlocks: 0
; VGPRBlocks: 0
; NumSGPRsForWavesPerEU: 6
; NumVGPRsForWavesPerEU: 1
; AccumOffset: 4
; Occupancy: 8
; WaveLimiterHint : 0
; COMPUTE_PGM_RSRC2:SCRATCH_EN: 0
; COMPUTE_PGM_RSRC2:USER_SGPR: 2
; COMPUTE_PGM_RSRC2:TRAP_HANDLER: 0
; COMPUTE_PGM_RSRC2:TGID_X_EN: 1
; COMPUTE_PGM_RSRC2:TGID_Y_EN: 0
; COMPUTE_PGM_RSRC2:TGID_Z_EN: 0
; COMPUTE_PGM_RSRC2:TIDIG_COMP_CNT: 0
; COMPUTE_PGM_RSRC3_GFX90A:ACCUM_OFFSET: 0
; COMPUTE_PGM_RSRC3_GFX90A:TG_SPLIT: 0
	.section	.text._ZN7rocprim17ROCPRIM_400000_NS6detail17trampoline_kernelINS0_14default_configENS1_25partition_config_selectorILNS1_17partition_subalgoE8EfNS0_10empty_typeEbEEZZNS1_14partition_implILS5_8ELb0ES3_jPKfPS6_PKS6_NS0_5tupleIJPfS6_EEENSE_IJSB_SB_EEENS0_18inequality_wrapperIN6hipcub16HIPCUB_304000_NS8EqualityEEEPlJS6_EEE10hipError_tPvRmT3_T4_T5_T6_T7_T9_mT8_P12ihipStream_tbDpT10_ENKUlT_T0_E_clISt17integral_constantIbLb1EES17_EEDaS12_S13_EUlS12_E_NS1_11comp_targetILNS1_3genE9ELNS1_11target_archE1100ELNS1_3gpuE3ELNS1_3repE0EEENS1_30default_config_static_selectorELNS0_4arch9wavefront6targetE1EEEvT1_,"axG",@progbits,_ZN7rocprim17ROCPRIM_400000_NS6detail17trampoline_kernelINS0_14default_configENS1_25partition_config_selectorILNS1_17partition_subalgoE8EfNS0_10empty_typeEbEEZZNS1_14partition_implILS5_8ELb0ES3_jPKfPS6_PKS6_NS0_5tupleIJPfS6_EEENSE_IJSB_SB_EEENS0_18inequality_wrapperIN6hipcub16HIPCUB_304000_NS8EqualityEEEPlJS6_EEE10hipError_tPvRmT3_T4_T5_T6_T7_T9_mT8_P12ihipStream_tbDpT10_ENKUlT_T0_E_clISt17integral_constantIbLb1EES17_EEDaS12_S13_EUlS12_E_NS1_11comp_targetILNS1_3genE9ELNS1_11target_archE1100ELNS1_3gpuE3ELNS1_3repE0EEENS1_30default_config_static_selectorELNS0_4arch9wavefront6targetE1EEEvT1_,comdat
	.protected	_ZN7rocprim17ROCPRIM_400000_NS6detail17trampoline_kernelINS0_14default_configENS1_25partition_config_selectorILNS1_17partition_subalgoE8EfNS0_10empty_typeEbEEZZNS1_14partition_implILS5_8ELb0ES3_jPKfPS6_PKS6_NS0_5tupleIJPfS6_EEENSE_IJSB_SB_EEENS0_18inequality_wrapperIN6hipcub16HIPCUB_304000_NS8EqualityEEEPlJS6_EEE10hipError_tPvRmT3_T4_T5_T6_T7_T9_mT8_P12ihipStream_tbDpT10_ENKUlT_T0_E_clISt17integral_constantIbLb1EES17_EEDaS12_S13_EUlS12_E_NS1_11comp_targetILNS1_3genE9ELNS1_11target_archE1100ELNS1_3gpuE3ELNS1_3repE0EEENS1_30default_config_static_selectorELNS0_4arch9wavefront6targetE1EEEvT1_ ; -- Begin function _ZN7rocprim17ROCPRIM_400000_NS6detail17trampoline_kernelINS0_14default_configENS1_25partition_config_selectorILNS1_17partition_subalgoE8EfNS0_10empty_typeEbEEZZNS1_14partition_implILS5_8ELb0ES3_jPKfPS6_PKS6_NS0_5tupleIJPfS6_EEENSE_IJSB_SB_EEENS0_18inequality_wrapperIN6hipcub16HIPCUB_304000_NS8EqualityEEEPlJS6_EEE10hipError_tPvRmT3_T4_T5_T6_T7_T9_mT8_P12ihipStream_tbDpT10_ENKUlT_T0_E_clISt17integral_constantIbLb1EES17_EEDaS12_S13_EUlS12_E_NS1_11comp_targetILNS1_3genE9ELNS1_11target_archE1100ELNS1_3gpuE3ELNS1_3repE0EEENS1_30default_config_static_selectorELNS0_4arch9wavefront6targetE1EEEvT1_
	.globl	_ZN7rocprim17ROCPRIM_400000_NS6detail17trampoline_kernelINS0_14default_configENS1_25partition_config_selectorILNS1_17partition_subalgoE8EfNS0_10empty_typeEbEEZZNS1_14partition_implILS5_8ELb0ES3_jPKfPS6_PKS6_NS0_5tupleIJPfS6_EEENSE_IJSB_SB_EEENS0_18inequality_wrapperIN6hipcub16HIPCUB_304000_NS8EqualityEEEPlJS6_EEE10hipError_tPvRmT3_T4_T5_T6_T7_T9_mT8_P12ihipStream_tbDpT10_ENKUlT_T0_E_clISt17integral_constantIbLb1EES17_EEDaS12_S13_EUlS12_E_NS1_11comp_targetILNS1_3genE9ELNS1_11target_archE1100ELNS1_3gpuE3ELNS1_3repE0EEENS1_30default_config_static_selectorELNS0_4arch9wavefront6targetE1EEEvT1_
	.p2align	8
	.type	_ZN7rocprim17ROCPRIM_400000_NS6detail17trampoline_kernelINS0_14default_configENS1_25partition_config_selectorILNS1_17partition_subalgoE8EfNS0_10empty_typeEbEEZZNS1_14partition_implILS5_8ELb0ES3_jPKfPS6_PKS6_NS0_5tupleIJPfS6_EEENSE_IJSB_SB_EEENS0_18inequality_wrapperIN6hipcub16HIPCUB_304000_NS8EqualityEEEPlJS6_EEE10hipError_tPvRmT3_T4_T5_T6_T7_T9_mT8_P12ihipStream_tbDpT10_ENKUlT_T0_E_clISt17integral_constantIbLb1EES17_EEDaS12_S13_EUlS12_E_NS1_11comp_targetILNS1_3genE9ELNS1_11target_archE1100ELNS1_3gpuE3ELNS1_3repE0EEENS1_30default_config_static_selectorELNS0_4arch9wavefront6targetE1EEEvT1_,@function
_ZN7rocprim17ROCPRIM_400000_NS6detail17trampoline_kernelINS0_14default_configENS1_25partition_config_selectorILNS1_17partition_subalgoE8EfNS0_10empty_typeEbEEZZNS1_14partition_implILS5_8ELb0ES3_jPKfPS6_PKS6_NS0_5tupleIJPfS6_EEENSE_IJSB_SB_EEENS0_18inequality_wrapperIN6hipcub16HIPCUB_304000_NS8EqualityEEEPlJS6_EEE10hipError_tPvRmT3_T4_T5_T6_T7_T9_mT8_P12ihipStream_tbDpT10_ENKUlT_T0_E_clISt17integral_constantIbLb1EES17_EEDaS12_S13_EUlS12_E_NS1_11comp_targetILNS1_3genE9ELNS1_11target_archE1100ELNS1_3gpuE3ELNS1_3repE0EEENS1_30default_config_static_selectorELNS0_4arch9wavefront6targetE1EEEvT1_: ; @_ZN7rocprim17ROCPRIM_400000_NS6detail17trampoline_kernelINS0_14default_configENS1_25partition_config_selectorILNS1_17partition_subalgoE8EfNS0_10empty_typeEbEEZZNS1_14partition_implILS5_8ELb0ES3_jPKfPS6_PKS6_NS0_5tupleIJPfS6_EEENSE_IJSB_SB_EEENS0_18inequality_wrapperIN6hipcub16HIPCUB_304000_NS8EqualityEEEPlJS6_EEE10hipError_tPvRmT3_T4_T5_T6_T7_T9_mT8_P12ihipStream_tbDpT10_ENKUlT_T0_E_clISt17integral_constantIbLb1EES17_EEDaS12_S13_EUlS12_E_NS1_11comp_targetILNS1_3genE9ELNS1_11target_archE1100ELNS1_3gpuE3ELNS1_3repE0EEENS1_30default_config_static_selectorELNS0_4arch9wavefront6targetE1EEEvT1_
; %bb.0:
	.section	.rodata,"a",@progbits
	.p2align	6, 0x0
	.amdhsa_kernel _ZN7rocprim17ROCPRIM_400000_NS6detail17trampoline_kernelINS0_14default_configENS1_25partition_config_selectorILNS1_17partition_subalgoE8EfNS0_10empty_typeEbEEZZNS1_14partition_implILS5_8ELb0ES3_jPKfPS6_PKS6_NS0_5tupleIJPfS6_EEENSE_IJSB_SB_EEENS0_18inequality_wrapperIN6hipcub16HIPCUB_304000_NS8EqualityEEEPlJS6_EEE10hipError_tPvRmT3_T4_T5_T6_T7_T9_mT8_P12ihipStream_tbDpT10_ENKUlT_T0_E_clISt17integral_constantIbLb1EES17_EEDaS12_S13_EUlS12_E_NS1_11comp_targetILNS1_3genE9ELNS1_11target_archE1100ELNS1_3gpuE3ELNS1_3repE0EEENS1_30default_config_static_selectorELNS0_4arch9wavefront6targetE1EEEvT1_
		.amdhsa_group_segment_fixed_size 0
		.amdhsa_private_segment_fixed_size 0
		.amdhsa_kernarg_size 128
		.amdhsa_user_sgpr_count 2
		.amdhsa_user_sgpr_dispatch_ptr 0
		.amdhsa_user_sgpr_queue_ptr 0
		.amdhsa_user_sgpr_kernarg_segment_ptr 1
		.amdhsa_user_sgpr_dispatch_id 0
		.amdhsa_user_sgpr_kernarg_preload_length 0
		.amdhsa_user_sgpr_kernarg_preload_offset 0
		.amdhsa_user_sgpr_private_segment_size 0
		.amdhsa_uses_dynamic_stack 0
		.amdhsa_enable_private_segment 0
		.amdhsa_system_sgpr_workgroup_id_x 1
		.amdhsa_system_sgpr_workgroup_id_y 0
		.amdhsa_system_sgpr_workgroup_id_z 0
		.amdhsa_system_sgpr_workgroup_info 0
		.amdhsa_system_vgpr_workitem_id 0
		.amdhsa_next_free_vgpr 1
		.amdhsa_next_free_sgpr 0
		.amdhsa_accum_offset 4
		.amdhsa_reserve_vcc 0
		.amdhsa_float_round_mode_32 0
		.amdhsa_float_round_mode_16_64 0
		.amdhsa_float_denorm_mode_32 3
		.amdhsa_float_denorm_mode_16_64 3
		.amdhsa_dx10_clamp 1
		.amdhsa_ieee_mode 1
		.amdhsa_fp16_overflow 0
		.amdhsa_tg_split 0
		.amdhsa_exception_fp_ieee_invalid_op 0
		.amdhsa_exception_fp_denorm_src 0
		.amdhsa_exception_fp_ieee_div_zero 0
		.amdhsa_exception_fp_ieee_overflow 0
		.amdhsa_exception_fp_ieee_underflow 0
		.amdhsa_exception_fp_ieee_inexact 0
		.amdhsa_exception_int_div_zero 0
	.end_amdhsa_kernel
	.section	.text._ZN7rocprim17ROCPRIM_400000_NS6detail17trampoline_kernelINS0_14default_configENS1_25partition_config_selectorILNS1_17partition_subalgoE8EfNS0_10empty_typeEbEEZZNS1_14partition_implILS5_8ELb0ES3_jPKfPS6_PKS6_NS0_5tupleIJPfS6_EEENSE_IJSB_SB_EEENS0_18inequality_wrapperIN6hipcub16HIPCUB_304000_NS8EqualityEEEPlJS6_EEE10hipError_tPvRmT3_T4_T5_T6_T7_T9_mT8_P12ihipStream_tbDpT10_ENKUlT_T0_E_clISt17integral_constantIbLb1EES17_EEDaS12_S13_EUlS12_E_NS1_11comp_targetILNS1_3genE9ELNS1_11target_archE1100ELNS1_3gpuE3ELNS1_3repE0EEENS1_30default_config_static_selectorELNS0_4arch9wavefront6targetE1EEEvT1_,"axG",@progbits,_ZN7rocprim17ROCPRIM_400000_NS6detail17trampoline_kernelINS0_14default_configENS1_25partition_config_selectorILNS1_17partition_subalgoE8EfNS0_10empty_typeEbEEZZNS1_14partition_implILS5_8ELb0ES3_jPKfPS6_PKS6_NS0_5tupleIJPfS6_EEENSE_IJSB_SB_EEENS0_18inequality_wrapperIN6hipcub16HIPCUB_304000_NS8EqualityEEEPlJS6_EEE10hipError_tPvRmT3_T4_T5_T6_T7_T9_mT8_P12ihipStream_tbDpT10_ENKUlT_T0_E_clISt17integral_constantIbLb1EES17_EEDaS12_S13_EUlS12_E_NS1_11comp_targetILNS1_3genE9ELNS1_11target_archE1100ELNS1_3gpuE3ELNS1_3repE0EEENS1_30default_config_static_selectorELNS0_4arch9wavefront6targetE1EEEvT1_,comdat
.Lfunc_end355:
	.size	_ZN7rocprim17ROCPRIM_400000_NS6detail17trampoline_kernelINS0_14default_configENS1_25partition_config_selectorILNS1_17partition_subalgoE8EfNS0_10empty_typeEbEEZZNS1_14partition_implILS5_8ELb0ES3_jPKfPS6_PKS6_NS0_5tupleIJPfS6_EEENSE_IJSB_SB_EEENS0_18inequality_wrapperIN6hipcub16HIPCUB_304000_NS8EqualityEEEPlJS6_EEE10hipError_tPvRmT3_T4_T5_T6_T7_T9_mT8_P12ihipStream_tbDpT10_ENKUlT_T0_E_clISt17integral_constantIbLb1EES17_EEDaS12_S13_EUlS12_E_NS1_11comp_targetILNS1_3genE9ELNS1_11target_archE1100ELNS1_3gpuE3ELNS1_3repE0EEENS1_30default_config_static_selectorELNS0_4arch9wavefront6targetE1EEEvT1_, .Lfunc_end355-_ZN7rocprim17ROCPRIM_400000_NS6detail17trampoline_kernelINS0_14default_configENS1_25partition_config_selectorILNS1_17partition_subalgoE8EfNS0_10empty_typeEbEEZZNS1_14partition_implILS5_8ELb0ES3_jPKfPS6_PKS6_NS0_5tupleIJPfS6_EEENSE_IJSB_SB_EEENS0_18inequality_wrapperIN6hipcub16HIPCUB_304000_NS8EqualityEEEPlJS6_EEE10hipError_tPvRmT3_T4_T5_T6_T7_T9_mT8_P12ihipStream_tbDpT10_ENKUlT_T0_E_clISt17integral_constantIbLb1EES17_EEDaS12_S13_EUlS12_E_NS1_11comp_targetILNS1_3genE9ELNS1_11target_archE1100ELNS1_3gpuE3ELNS1_3repE0EEENS1_30default_config_static_selectorELNS0_4arch9wavefront6targetE1EEEvT1_
                                        ; -- End function
	.section	.AMDGPU.csdata,"",@progbits
; Kernel info:
; codeLenInByte = 0
; NumSgprs: 6
; NumVgprs: 0
; NumAgprs: 0
; TotalNumVgprs: 0
; ScratchSize: 0
; MemoryBound: 0
; FloatMode: 240
; IeeeMode: 1
; LDSByteSize: 0 bytes/workgroup (compile time only)
; SGPRBlocks: 0
; VGPRBlocks: 0
; NumSGPRsForWavesPerEU: 6
; NumVGPRsForWavesPerEU: 1
; AccumOffset: 4
; Occupancy: 8
; WaveLimiterHint : 0
; COMPUTE_PGM_RSRC2:SCRATCH_EN: 0
; COMPUTE_PGM_RSRC2:USER_SGPR: 2
; COMPUTE_PGM_RSRC2:TRAP_HANDLER: 0
; COMPUTE_PGM_RSRC2:TGID_X_EN: 1
; COMPUTE_PGM_RSRC2:TGID_Y_EN: 0
; COMPUTE_PGM_RSRC2:TGID_Z_EN: 0
; COMPUTE_PGM_RSRC2:TIDIG_COMP_CNT: 0
; COMPUTE_PGM_RSRC3_GFX90A:ACCUM_OFFSET: 0
; COMPUTE_PGM_RSRC3_GFX90A:TG_SPLIT: 0
	.section	.text._ZN7rocprim17ROCPRIM_400000_NS6detail17trampoline_kernelINS0_14default_configENS1_25partition_config_selectorILNS1_17partition_subalgoE8EfNS0_10empty_typeEbEEZZNS1_14partition_implILS5_8ELb0ES3_jPKfPS6_PKS6_NS0_5tupleIJPfS6_EEENSE_IJSB_SB_EEENS0_18inequality_wrapperIN6hipcub16HIPCUB_304000_NS8EqualityEEEPlJS6_EEE10hipError_tPvRmT3_T4_T5_T6_T7_T9_mT8_P12ihipStream_tbDpT10_ENKUlT_T0_E_clISt17integral_constantIbLb1EES17_EEDaS12_S13_EUlS12_E_NS1_11comp_targetILNS1_3genE8ELNS1_11target_archE1030ELNS1_3gpuE2ELNS1_3repE0EEENS1_30default_config_static_selectorELNS0_4arch9wavefront6targetE1EEEvT1_,"axG",@progbits,_ZN7rocprim17ROCPRIM_400000_NS6detail17trampoline_kernelINS0_14default_configENS1_25partition_config_selectorILNS1_17partition_subalgoE8EfNS0_10empty_typeEbEEZZNS1_14partition_implILS5_8ELb0ES3_jPKfPS6_PKS6_NS0_5tupleIJPfS6_EEENSE_IJSB_SB_EEENS0_18inequality_wrapperIN6hipcub16HIPCUB_304000_NS8EqualityEEEPlJS6_EEE10hipError_tPvRmT3_T4_T5_T6_T7_T9_mT8_P12ihipStream_tbDpT10_ENKUlT_T0_E_clISt17integral_constantIbLb1EES17_EEDaS12_S13_EUlS12_E_NS1_11comp_targetILNS1_3genE8ELNS1_11target_archE1030ELNS1_3gpuE2ELNS1_3repE0EEENS1_30default_config_static_selectorELNS0_4arch9wavefront6targetE1EEEvT1_,comdat
	.protected	_ZN7rocprim17ROCPRIM_400000_NS6detail17trampoline_kernelINS0_14default_configENS1_25partition_config_selectorILNS1_17partition_subalgoE8EfNS0_10empty_typeEbEEZZNS1_14partition_implILS5_8ELb0ES3_jPKfPS6_PKS6_NS0_5tupleIJPfS6_EEENSE_IJSB_SB_EEENS0_18inequality_wrapperIN6hipcub16HIPCUB_304000_NS8EqualityEEEPlJS6_EEE10hipError_tPvRmT3_T4_T5_T6_T7_T9_mT8_P12ihipStream_tbDpT10_ENKUlT_T0_E_clISt17integral_constantIbLb1EES17_EEDaS12_S13_EUlS12_E_NS1_11comp_targetILNS1_3genE8ELNS1_11target_archE1030ELNS1_3gpuE2ELNS1_3repE0EEENS1_30default_config_static_selectorELNS0_4arch9wavefront6targetE1EEEvT1_ ; -- Begin function _ZN7rocprim17ROCPRIM_400000_NS6detail17trampoline_kernelINS0_14default_configENS1_25partition_config_selectorILNS1_17partition_subalgoE8EfNS0_10empty_typeEbEEZZNS1_14partition_implILS5_8ELb0ES3_jPKfPS6_PKS6_NS0_5tupleIJPfS6_EEENSE_IJSB_SB_EEENS0_18inequality_wrapperIN6hipcub16HIPCUB_304000_NS8EqualityEEEPlJS6_EEE10hipError_tPvRmT3_T4_T5_T6_T7_T9_mT8_P12ihipStream_tbDpT10_ENKUlT_T0_E_clISt17integral_constantIbLb1EES17_EEDaS12_S13_EUlS12_E_NS1_11comp_targetILNS1_3genE8ELNS1_11target_archE1030ELNS1_3gpuE2ELNS1_3repE0EEENS1_30default_config_static_selectorELNS0_4arch9wavefront6targetE1EEEvT1_
	.globl	_ZN7rocprim17ROCPRIM_400000_NS6detail17trampoline_kernelINS0_14default_configENS1_25partition_config_selectorILNS1_17partition_subalgoE8EfNS0_10empty_typeEbEEZZNS1_14partition_implILS5_8ELb0ES3_jPKfPS6_PKS6_NS0_5tupleIJPfS6_EEENSE_IJSB_SB_EEENS0_18inequality_wrapperIN6hipcub16HIPCUB_304000_NS8EqualityEEEPlJS6_EEE10hipError_tPvRmT3_T4_T5_T6_T7_T9_mT8_P12ihipStream_tbDpT10_ENKUlT_T0_E_clISt17integral_constantIbLb1EES17_EEDaS12_S13_EUlS12_E_NS1_11comp_targetILNS1_3genE8ELNS1_11target_archE1030ELNS1_3gpuE2ELNS1_3repE0EEENS1_30default_config_static_selectorELNS0_4arch9wavefront6targetE1EEEvT1_
	.p2align	8
	.type	_ZN7rocprim17ROCPRIM_400000_NS6detail17trampoline_kernelINS0_14default_configENS1_25partition_config_selectorILNS1_17partition_subalgoE8EfNS0_10empty_typeEbEEZZNS1_14partition_implILS5_8ELb0ES3_jPKfPS6_PKS6_NS0_5tupleIJPfS6_EEENSE_IJSB_SB_EEENS0_18inequality_wrapperIN6hipcub16HIPCUB_304000_NS8EqualityEEEPlJS6_EEE10hipError_tPvRmT3_T4_T5_T6_T7_T9_mT8_P12ihipStream_tbDpT10_ENKUlT_T0_E_clISt17integral_constantIbLb1EES17_EEDaS12_S13_EUlS12_E_NS1_11comp_targetILNS1_3genE8ELNS1_11target_archE1030ELNS1_3gpuE2ELNS1_3repE0EEENS1_30default_config_static_selectorELNS0_4arch9wavefront6targetE1EEEvT1_,@function
_ZN7rocprim17ROCPRIM_400000_NS6detail17trampoline_kernelINS0_14default_configENS1_25partition_config_selectorILNS1_17partition_subalgoE8EfNS0_10empty_typeEbEEZZNS1_14partition_implILS5_8ELb0ES3_jPKfPS6_PKS6_NS0_5tupleIJPfS6_EEENSE_IJSB_SB_EEENS0_18inequality_wrapperIN6hipcub16HIPCUB_304000_NS8EqualityEEEPlJS6_EEE10hipError_tPvRmT3_T4_T5_T6_T7_T9_mT8_P12ihipStream_tbDpT10_ENKUlT_T0_E_clISt17integral_constantIbLb1EES17_EEDaS12_S13_EUlS12_E_NS1_11comp_targetILNS1_3genE8ELNS1_11target_archE1030ELNS1_3gpuE2ELNS1_3repE0EEENS1_30default_config_static_selectorELNS0_4arch9wavefront6targetE1EEEvT1_: ; @_ZN7rocprim17ROCPRIM_400000_NS6detail17trampoline_kernelINS0_14default_configENS1_25partition_config_selectorILNS1_17partition_subalgoE8EfNS0_10empty_typeEbEEZZNS1_14partition_implILS5_8ELb0ES3_jPKfPS6_PKS6_NS0_5tupleIJPfS6_EEENSE_IJSB_SB_EEENS0_18inequality_wrapperIN6hipcub16HIPCUB_304000_NS8EqualityEEEPlJS6_EEE10hipError_tPvRmT3_T4_T5_T6_T7_T9_mT8_P12ihipStream_tbDpT10_ENKUlT_T0_E_clISt17integral_constantIbLb1EES17_EEDaS12_S13_EUlS12_E_NS1_11comp_targetILNS1_3genE8ELNS1_11target_archE1030ELNS1_3gpuE2ELNS1_3repE0EEENS1_30default_config_static_selectorELNS0_4arch9wavefront6targetE1EEEvT1_
; %bb.0:
	.section	.rodata,"a",@progbits
	.p2align	6, 0x0
	.amdhsa_kernel _ZN7rocprim17ROCPRIM_400000_NS6detail17trampoline_kernelINS0_14default_configENS1_25partition_config_selectorILNS1_17partition_subalgoE8EfNS0_10empty_typeEbEEZZNS1_14partition_implILS5_8ELb0ES3_jPKfPS6_PKS6_NS0_5tupleIJPfS6_EEENSE_IJSB_SB_EEENS0_18inequality_wrapperIN6hipcub16HIPCUB_304000_NS8EqualityEEEPlJS6_EEE10hipError_tPvRmT3_T4_T5_T6_T7_T9_mT8_P12ihipStream_tbDpT10_ENKUlT_T0_E_clISt17integral_constantIbLb1EES17_EEDaS12_S13_EUlS12_E_NS1_11comp_targetILNS1_3genE8ELNS1_11target_archE1030ELNS1_3gpuE2ELNS1_3repE0EEENS1_30default_config_static_selectorELNS0_4arch9wavefront6targetE1EEEvT1_
		.amdhsa_group_segment_fixed_size 0
		.amdhsa_private_segment_fixed_size 0
		.amdhsa_kernarg_size 128
		.amdhsa_user_sgpr_count 2
		.amdhsa_user_sgpr_dispatch_ptr 0
		.amdhsa_user_sgpr_queue_ptr 0
		.amdhsa_user_sgpr_kernarg_segment_ptr 1
		.amdhsa_user_sgpr_dispatch_id 0
		.amdhsa_user_sgpr_kernarg_preload_length 0
		.amdhsa_user_sgpr_kernarg_preload_offset 0
		.amdhsa_user_sgpr_private_segment_size 0
		.amdhsa_uses_dynamic_stack 0
		.amdhsa_enable_private_segment 0
		.amdhsa_system_sgpr_workgroup_id_x 1
		.amdhsa_system_sgpr_workgroup_id_y 0
		.amdhsa_system_sgpr_workgroup_id_z 0
		.amdhsa_system_sgpr_workgroup_info 0
		.amdhsa_system_vgpr_workitem_id 0
		.amdhsa_next_free_vgpr 1
		.amdhsa_next_free_sgpr 0
		.amdhsa_accum_offset 4
		.amdhsa_reserve_vcc 0
		.amdhsa_float_round_mode_32 0
		.amdhsa_float_round_mode_16_64 0
		.amdhsa_float_denorm_mode_32 3
		.amdhsa_float_denorm_mode_16_64 3
		.amdhsa_dx10_clamp 1
		.amdhsa_ieee_mode 1
		.amdhsa_fp16_overflow 0
		.amdhsa_tg_split 0
		.amdhsa_exception_fp_ieee_invalid_op 0
		.amdhsa_exception_fp_denorm_src 0
		.amdhsa_exception_fp_ieee_div_zero 0
		.amdhsa_exception_fp_ieee_overflow 0
		.amdhsa_exception_fp_ieee_underflow 0
		.amdhsa_exception_fp_ieee_inexact 0
		.amdhsa_exception_int_div_zero 0
	.end_amdhsa_kernel
	.section	.text._ZN7rocprim17ROCPRIM_400000_NS6detail17trampoline_kernelINS0_14default_configENS1_25partition_config_selectorILNS1_17partition_subalgoE8EfNS0_10empty_typeEbEEZZNS1_14partition_implILS5_8ELb0ES3_jPKfPS6_PKS6_NS0_5tupleIJPfS6_EEENSE_IJSB_SB_EEENS0_18inequality_wrapperIN6hipcub16HIPCUB_304000_NS8EqualityEEEPlJS6_EEE10hipError_tPvRmT3_T4_T5_T6_T7_T9_mT8_P12ihipStream_tbDpT10_ENKUlT_T0_E_clISt17integral_constantIbLb1EES17_EEDaS12_S13_EUlS12_E_NS1_11comp_targetILNS1_3genE8ELNS1_11target_archE1030ELNS1_3gpuE2ELNS1_3repE0EEENS1_30default_config_static_selectorELNS0_4arch9wavefront6targetE1EEEvT1_,"axG",@progbits,_ZN7rocprim17ROCPRIM_400000_NS6detail17trampoline_kernelINS0_14default_configENS1_25partition_config_selectorILNS1_17partition_subalgoE8EfNS0_10empty_typeEbEEZZNS1_14partition_implILS5_8ELb0ES3_jPKfPS6_PKS6_NS0_5tupleIJPfS6_EEENSE_IJSB_SB_EEENS0_18inequality_wrapperIN6hipcub16HIPCUB_304000_NS8EqualityEEEPlJS6_EEE10hipError_tPvRmT3_T4_T5_T6_T7_T9_mT8_P12ihipStream_tbDpT10_ENKUlT_T0_E_clISt17integral_constantIbLb1EES17_EEDaS12_S13_EUlS12_E_NS1_11comp_targetILNS1_3genE8ELNS1_11target_archE1030ELNS1_3gpuE2ELNS1_3repE0EEENS1_30default_config_static_selectorELNS0_4arch9wavefront6targetE1EEEvT1_,comdat
.Lfunc_end356:
	.size	_ZN7rocprim17ROCPRIM_400000_NS6detail17trampoline_kernelINS0_14default_configENS1_25partition_config_selectorILNS1_17partition_subalgoE8EfNS0_10empty_typeEbEEZZNS1_14partition_implILS5_8ELb0ES3_jPKfPS6_PKS6_NS0_5tupleIJPfS6_EEENSE_IJSB_SB_EEENS0_18inequality_wrapperIN6hipcub16HIPCUB_304000_NS8EqualityEEEPlJS6_EEE10hipError_tPvRmT3_T4_T5_T6_T7_T9_mT8_P12ihipStream_tbDpT10_ENKUlT_T0_E_clISt17integral_constantIbLb1EES17_EEDaS12_S13_EUlS12_E_NS1_11comp_targetILNS1_3genE8ELNS1_11target_archE1030ELNS1_3gpuE2ELNS1_3repE0EEENS1_30default_config_static_selectorELNS0_4arch9wavefront6targetE1EEEvT1_, .Lfunc_end356-_ZN7rocprim17ROCPRIM_400000_NS6detail17trampoline_kernelINS0_14default_configENS1_25partition_config_selectorILNS1_17partition_subalgoE8EfNS0_10empty_typeEbEEZZNS1_14partition_implILS5_8ELb0ES3_jPKfPS6_PKS6_NS0_5tupleIJPfS6_EEENSE_IJSB_SB_EEENS0_18inequality_wrapperIN6hipcub16HIPCUB_304000_NS8EqualityEEEPlJS6_EEE10hipError_tPvRmT3_T4_T5_T6_T7_T9_mT8_P12ihipStream_tbDpT10_ENKUlT_T0_E_clISt17integral_constantIbLb1EES17_EEDaS12_S13_EUlS12_E_NS1_11comp_targetILNS1_3genE8ELNS1_11target_archE1030ELNS1_3gpuE2ELNS1_3repE0EEENS1_30default_config_static_selectorELNS0_4arch9wavefront6targetE1EEEvT1_
                                        ; -- End function
	.section	.AMDGPU.csdata,"",@progbits
; Kernel info:
; codeLenInByte = 0
; NumSgprs: 6
; NumVgprs: 0
; NumAgprs: 0
; TotalNumVgprs: 0
; ScratchSize: 0
; MemoryBound: 0
; FloatMode: 240
; IeeeMode: 1
; LDSByteSize: 0 bytes/workgroup (compile time only)
; SGPRBlocks: 0
; VGPRBlocks: 0
; NumSGPRsForWavesPerEU: 6
; NumVGPRsForWavesPerEU: 1
; AccumOffset: 4
; Occupancy: 8
; WaveLimiterHint : 0
; COMPUTE_PGM_RSRC2:SCRATCH_EN: 0
; COMPUTE_PGM_RSRC2:USER_SGPR: 2
; COMPUTE_PGM_RSRC2:TRAP_HANDLER: 0
; COMPUTE_PGM_RSRC2:TGID_X_EN: 1
; COMPUTE_PGM_RSRC2:TGID_Y_EN: 0
; COMPUTE_PGM_RSRC2:TGID_Z_EN: 0
; COMPUTE_PGM_RSRC2:TIDIG_COMP_CNT: 0
; COMPUTE_PGM_RSRC3_GFX90A:ACCUM_OFFSET: 0
; COMPUTE_PGM_RSRC3_GFX90A:TG_SPLIT: 0
	.section	.text._ZN7rocprim17ROCPRIM_400000_NS6detail17trampoline_kernelINS0_14default_configENS1_25partition_config_selectorILNS1_17partition_subalgoE8EfNS0_10empty_typeEbEEZZNS1_14partition_implILS5_8ELb0ES3_jPKfPS6_PKS6_NS0_5tupleIJPfS6_EEENSE_IJSB_SB_EEENS0_18inequality_wrapperIN6hipcub16HIPCUB_304000_NS8EqualityEEEPlJS6_EEE10hipError_tPvRmT3_T4_T5_T6_T7_T9_mT8_P12ihipStream_tbDpT10_ENKUlT_T0_E_clISt17integral_constantIbLb1EES16_IbLb0EEEEDaS12_S13_EUlS12_E_NS1_11comp_targetILNS1_3genE0ELNS1_11target_archE4294967295ELNS1_3gpuE0ELNS1_3repE0EEENS1_30default_config_static_selectorELNS0_4arch9wavefront6targetE1EEEvT1_,"axG",@progbits,_ZN7rocprim17ROCPRIM_400000_NS6detail17trampoline_kernelINS0_14default_configENS1_25partition_config_selectorILNS1_17partition_subalgoE8EfNS0_10empty_typeEbEEZZNS1_14partition_implILS5_8ELb0ES3_jPKfPS6_PKS6_NS0_5tupleIJPfS6_EEENSE_IJSB_SB_EEENS0_18inequality_wrapperIN6hipcub16HIPCUB_304000_NS8EqualityEEEPlJS6_EEE10hipError_tPvRmT3_T4_T5_T6_T7_T9_mT8_P12ihipStream_tbDpT10_ENKUlT_T0_E_clISt17integral_constantIbLb1EES16_IbLb0EEEEDaS12_S13_EUlS12_E_NS1_11comp_targetILNS1_3genE0ELNS1_11target_archE4294967295ELNS1_3gpuE0ELNS1_3repE0EEENS1_30default_config_static_selectorELNS0_4arch9wavefront6targetE1EEEvT1_,comdat
	.protected	_ZN7rocprim17ROCPRIM_400000_NS6detail17trampoline_kernelINS0_14default_configENS1_25partition_config_selectorILNS1_17partition_subalgoE8EfNS0_10empty_typeEbEEZZNS1_14partition_implILS5_8ELb0ES3_jPKfPS6_PKS6_NS0_5tupleIJPfS6_EEENSE_IJSB_SB_EEENS0_18inequality_wrapperIN6hipcub16HIPCUB_304000_NS8EqualityEEEPlJS6_EEE10hipError_tPvRmT3_T4_T5_T6_T7_T9_mT8_P12ihipStream_tbDpT10_ENKUlT_T0_E_clISt17integral_constantIbLb1EES16_IbLb0EEEEDaS12_S13_EUlS12_E_NS1_11comp_targetILNS1_3genE0ELNS1_11target_archE4294967295ELNS1_3gpuE0ELNS1_3repE0EEENS1_30default_config_static_selectorELNS0_4arch9wavefront6targetE1EEEvT1_ ; -- Begin function _ZN7rocprim17ROCPRIM_400000_NS6detail17trampoline_kernelINS0_14default_configENS1_25partition_config_selectorILNS1_17partition_subalgoE8EfNS0_10empty_typeEbEEZZNS1_14partition_implILS5_8ELb0ES3_jPKfPS6_PKS6_NS0_5tupleIJPfS6_EEENSE_IJSB_SB_EEENS0_18inequality_wrapperIN6hipcub16HIPCUB_304000_NS8EqualityEEEPlJS6_EEE10hipError_tPvRmT3_T4_T5_T6_T7_T9_mT8_P12ihipStream_tbDpT10_ENKUlT_T0_E_clISt17integral_constantIbLb1EES16_IbLb0EEEEDaS12_S13_EUlS12_E_NS1_11comp_targetILNS1_3genE0ELNS1_11target_archE4294967295ELNS1_3gpuE0ELNS1_3repE0EEENS1_30default_config_static_selectorELNS0_4arch9wavefront6targetE1EEEvT1_
	.globl	_ZN7rocprim17ROCPRIM_400000_NS6detail17trampoline_kernelINS0_14default_configENS1_25partition_config_selectorILNS1_17partition_subalgoE8EfNS0_10empty_typeEbEEZZNS1_14partition_implILS5_8ELb0ES3_jPKfPS6_PKS6_NS0_5tupleIJPfS6_EEENSE_IJSB_SB_EEENS0_18inequality_wrapperIN6hipcub16HIPCUB_304000_NS8EqualityEEEPlJS6_EEE10hipError_tPvRmT3_T4_T5_T6_T7_T9_mT8_P12ihipStream_tbDpT10_ENKUlT_T0_E_clISt17integral_constantIbLb1EES16_IbLb0EEEEDaS12_S13_EUlS12_E_NS1_11comp_targetILNS1_3genE0ELNS1_11target_archE4294967295ELNS1_3gpuE0ELNS1_3repE0EEENS1_30default_config_static_selectorELNS0_4arch9wavefront6targetE1EEEvT1_
	.p2align	8
	.type	_ZN7rocprim17ROCPRIM_400000_NS6detail17trampoline_kernelINS0_14default_configENS1_25partition_config_selectorILNS1_17partition_subalgoE8EfNS0_10empty_typeEbEEZZNS1_14partition_implILS5_8ELb0ES3_jPKfPS6_PKS6_NS0_5tupleIJPfS6_EEENSE_IJSB_SB_EEENS0_18inequality_wrapperIN6hipcub16HIPCUB_304000_NS8EqualityEEEPlJS6_EEE10hipError_tPvRmT3_T4_T5_T6_T7_T9_mT8_P12ihipStream_tbDpT10_ENKUlT_T0_E_clISt17integral_constantIbLb1EES16_IbLb0EEEEDaS12_S13_EUlS12_E_NS1_11comp_targetILNS1_3genE0ELNS1_11target_archE4294967295ELNS1_3gpuE0ELNS1_3repE0EEENS1_30default_config_static_selectorELNS0_4arch9wavefront6targetE1EEEvT1_,@function
_ZN7rocprim17ROCPRIM_400000_NS6detail17trampoline_kernelINS0_14default_configENS1_25partition_config_selectorILNS1_17partition_subalgoE8EfNS0_10empty_typeEbEEZZNS1_14partition_implILS5_8ELb0ES3_jPKfPS6_PKS6_NS0_5tupleIJPfS6_EEENSE_IJSB_SB_EEENS0_18inequality_wrapperIN6hipcub16HIPCUB_304000_NS8EqualityEEEPlJS6_EEE10hipError_tPvRmT3_T4_T5_T6_T7_T9_mT8_P12ihipStream_tbDpT10_ENKUlT_T0_E_clISt17integral_constantIbLb1EES16_IbLb0EEEEDaS12_S13_EUlS12_E_NS1_11comp_targetILNS1_3genE0ELNS1_11target_archE4294967295ELNS1_3gpuE0ELNS1_3repE0EEENS1_30default_config_static_selectorELNS0_4arch9wavefront6targetE1EEEvT1_: ; @_ZN7rocprim17ROCPRIM_400000_NS6detail17trampoline_kernelINS0_14default_configENS1_25partition_config_selectorILNS1_17partition_subalgoE8EfNS0_10empty_typeEbEEZZNS1_14partition_implILS5_8ELb0ES3_jPKfPS6_PKS6_NS0_5tupleIJPfS6_EEENSE_IJSB_SB_EEENS0_18inequality_wrapperIN6hipcub16HIPCUB_304000_NS8EqualityEEEPlJS6_EEE10hipError_tPvRmT3_T4_T5_T6_T7_T9_mT8_P12ihipStream_tbDpT10_ENKUlT_T0_E_clISt17integral_constantIbLb1EES16_IbLb0EEEEDaS12_S13_EUlS12_E_NS1_11comp_targetILNS1_3genE0ELNS1_11target_archE4294967295ELNS1_3gpuE0ELNS1_3repE0EEENS1_30default_config_static_selectorELNS0_4arch9wavefront6targetE1EEEvT1_
; %bb.0:
	.section	.rodata,"a",@progbits
	.p2align	6, 0x0
	.amdhsa_kernel _ZN7rocprim17ROCPRIM_400000_NS6detail17trampoline_kernelINS0_14default_configENS1_25partition_config_selectorILNS1_17partition_subalgoE8EfNS0_10empty_typeEbEEZZNS1_14partition_implILS5_8ELb0ES3_jPKfPS6_PKS6_NS0_5tupleIJPfS6_EEENSE_IJSB_SB_EEENS0_18inequality_wrapperIN6hipcub16HIPCUB_304000_NS8EqualityEEEPlJS6_EEE10hipError_tPvRmT3_T4_T5_T6_T7_T9_mT8_P12ihipStream_tbDpT10_ENKUlT_T0_E_clISt17integral_constantIbLb1EES16_IbLb0EEEEDaS12_S13_EUlS12_E_NS1_11comp_targetILNS1_3genE0ELNS1_11target_archE4294967295ELNS1_3gpuE0ELNS1_3repE0EEENS1_30default_config_static_selectorELNS0_4arch9wavefront6targetE1EEEvT1_
		.amdhsa_group_segment_fixed_size 0
		.amdhsa_private_segment_fixed_size 0
		.amdhsa_kernarg_size 112
		.amdhsa_user_sgpr_count 2
		.amdhsa_user_sgpr_dispatch_ptr 0
		.amdhsa_user_sgpr_queue_ptr 0
		.amdhsa_user_sgpr_kernarg_segment_ptr 1
		.amdhsa_user_sgpr_dispatch_id 0
		.amdhsa_user_sgpr_kernarg_preload_length 0
		.amdhsa_user_sgpr_kernarg_preload_offset 0
		.amdhsa_user_sgpr_private_segment_size 0
		.amdhsa_uses_dynamic_stack 0
		.amdhsa_enable_private_segment 0
		.amdhsa_system_sgpr_workgroup_id_x 1
		.amdhsa_system_sgpr_workgroup_id_y 0
		.amdhsa_system_sgpr_workgroup_id_z 0
		.amdhsa_system_sgpr_workgroup_info 0
		.amdhsa_system_vgpr_workitem_id 0
		.amdhsa_next_free_vgpr 1
		.amdhsa_next_free_sgpr 0
		.amdhsa_accum_offset 4
		.amdhsa_reserve_vcc 0
		.amdhsa_float_round_mode_32 0
		.amdhsa_float_round_mode_16_64 0
		.amdhsa_float_denorm_mode_32 3
		.amdhsa_float_denorm_mode_16_64 3
		.amdhsa_dx10_clamp 1
		.amdhsa_ieee_mode 1
		.amdhsa_fp16_overflow 0
		.amdhsa_tg_split 0
		.amdhsa_exception_fp_ieee_invalid_op 0
		.amdhsa_exception_fp_denorm_src 0
		.amdhsa_exception_fp_ieee_div_zero 0
		.amdhsa_exception_fp_ieee_overflow 0
		.amdhsa_exception_fp_ieee_underflow 0
		.amdhsa_exception_fp_ieee_inexact 0
		.amdhsa_exception_int_div_zero 0
	.end_amdhsa_kernel
	.section	.text._ZN7rocprim17ROCPRIM_400000_NS6detail17trampoline_kernelINS0_14default_configENS1_25partition_config_selectorILNS1_17partition_subalgoE8EfNS0_10empty_typeEbEEZZNS1_14partition_implILS5_8ELb0ES3_jPKfPS6_PKS6_NS0_5tupleIJPfS6_EEENSE_IJSB_SB_EEENS0_18inequality_wrapperIN6hipcub16HIPCUB_304000_NS8EqualityEEEPlJS6_EEE10hipError_tPvRmT3_T4_T5_T6_T7_T9_mT8_P12ihipStream_tbDpT10_ENKUlT_T0_E_clISt17integral_constantIbLb1EES16_IbLb0EEEEDaS12_S13_EUlS12_E_NS1_11comp_targetILNS1_3genE0ELNS1_11target_archE4294967295ELNS1_3gpuE0ELNS1_3repE0EEENS1_30default_config_static_selectorELNS0_4arch9wavefront6targetE1EEEvT1_,"axG",@progbits,_ZN7rocprim17ROCPRIM_400000_NS6detail17trampoline_kernelINS0_14default_configENS1_25partition_config_selectorILNS1_17partition_subalgoE8EfNS0_10empty_typeEbEEZZNS1_14partition_implILS5_8ELb0ES3_jPKfPS6_PKS6_NS0_5tupleIJPfS6_EEENSE_IJSB_SB_EEENS0_18inequality_wrapperIN6hipcub16HIPCUB_304000_NS8EqualityEEEPlJS6_EEE10hipError_tPvRmT3_T4_T5_T6_T7_T9_mT8_P12ihipStream_tbDpT10_ENKUlT_T0_E_clISt17integral_constantIbLb1EES16_IbLb0EEEEDaS12_S13_EUlS12_E_NS1_11comp_targetILNS1_3genE0ELNS1_11target_archE4294967295ELNS1_3gpuE0ELNS1_3repE0EEENS1_30default_config_static_selectorELNS0_4arch9wavefront6targetE1EEEvT1_,comdat
.Lfunc_end357:
	.size	_ZN7rocprim17ROCPRIM_400000_NS6detail17trampoline_kernelINS0_14default_configENS1_25partition_config_selectorILNS1_17partition_subalgoE8EfNS0_10empty_typeEbEEZZNS1_14partition_implILS5_8ELb0ES3_jPKfPS6_PKS6_NS0_5tupleIJPfS6_EEENSE_IJSB_SB_EEENS0_18inequality_wrapperIN6hipcub16HIPCUB_304000_NS8EqualityEEEPlJS6_EEE10hipError_tPvRmT3_T4_T5_T6_T7_T9_mT8_P12ihipStream_tbDpT10_ENKUlT_T0_E_clISt17integral_constantIbLb1EES16_IbLb0EEEEDaS12_S13_EUlS12_E_NS1_11comp_targetILNS1_3genE0ELNS1_11target_archE4294967295ELNS1_3gpuE0ELNS1_3repE0EEENS1_30default_config_static_selectorELNS0_4arch9wavefront6targetE1EEEvT1_, .Lfunc_end357-_ZN7rocprim17ROCPRIM_400000_NS6detail17trampoline_kernelINS0_14default_configENS1_25partition_config_selectorILNS1_17partition_subalgoE8EfNS0_10empty_typeEbEEZZNS1_14partition_implILS5_8ELb0ES3_jPKfPS6_PKS6_NS0_5tupleIJPfS6_EEENSE_IJSB_SB_EEENS0_18inequality_wrapperIN6hipcub16HIPCUB_304000_NS8EqualityEEEPlJS6_EEE10hipError_tPvRmT3_T4_T5_T6_T7_T9_mT8_P12ihipStream_tbDpT10_ENKUlT_T0_E_clISt17integral_constantIbLb1EES16_IbLb0EEEEDaS12_S13_EUlS12_E_NS1_11comp_targetILNS1_3genE0ELNS1_11target_archE4294967295ELNS1_3gpuE0ELNS1_3repE0EEENS1_30default_config_static_selectorELNS0_4arch9wavefront6targetE1EEEvT1_
                                        ; -- End function
	.section	.AMDGPU.csdata,"",@progbits
; Kernel info:
; codeLenInByte = 0
; NumSgprs: 6
; NumVgprs: 0
; NumAgprs: 0
; TotalNumVgprs: 0
; ScratchSize: 0
; MemoryBound: 0
; FloatMode: 240
; IeeeMode: 1
; LDSByteSize: 0 bytes/workgroup (compile time only)
; SGPRBlocks: 0
; VGPRBlocks: 0
; NumSGPRsForWavesPerEU: 6
; NumVGPRsForWavesPerEU: 1
; AccumOffset: 4
; Occupancy: 8
; WaveLimiterHint : 0
; COMPUTE_PGM_RSRC2:SCRATCH_EN: 0
; COMPUTE_PGM_RSRC2:USER_SGPR: 2
; COMPUTE_PGM_RSRC2:TRAP_HANDLER: 0
; COMPUTE_PGM_RSRC2:TGID_X_EN: 1
; COMPUTE_PGM_RSRC2:TGID_Y_EN: 0
; COMPUTE_PGM_RSRC2:TGID_Z_EN: 0
; COMPUTE_PGM_RSRC2:TIDIG_COMP_CNT: 0
; COMPUTE_PGM_RSRC3_GFX90A:ACCUM_OFFSET: 0
; COMPUTE_PGM_RSRC3_GFX90A:TG_SPLIT: 0
	.section	.text._ZN7rocprim17ROCPRIM_400000_NS6detail17trampoline_kernelINS0_14default_configENS1_25partition_config_selectorILNS1_17partition_subalgoE8EfNS0_10empty_typeEbEEZZNS1_14partition_implILS5_8ELb0ES3_jPKfPS6_PKS6_NS0_5tupleIJPfS6_EEENSE_IJSB_SB_EEENS0_18inequality_wrapperIN6hipcub16HIPCUB_304000_NS8EqualityEEEPlJS6_EEE10hipError_tPvRmT3_T4_T5_T6_T7_T9_mT8_P12ihipStream_tbDpT10_ENKUlT_T0_E_clISt17integral_constantIbLb1EES16_IbLb0EEEEDaS12_S13_EUlS12_E_NS1_11comp_targetILNS1_3genE5ELNS1_11target_archE942ELNS1_3gpuE9ELNS1_3repE0EEENS1_30default_config_static_selectorELNS0_4arch9wavefront6targetE1EEEvT1_,"axG",@progbits,_ZN7rocprim17ROCPRIM_400000_NS6detail17trampoline_kernelINS0_14default_configENS1_25partition_config_selectorILNS1_17partition_subalgoE8EfNS0_10empty_typeEbEEZZNS1_14partition_implILS5_8ELb0ES3_jPKfPS6_PKS6_NS0_5tupleIJPfS6_EEENSE_IJSB_SB_EEENS0_18inequality_wrapperIN6hipcub16HIPCUB_304000_NS8EqualityEEEPlJS6_EEE10hipError_tPvRmT3_T4_T5_T6_T7_T9_mT8_P12ihipStream_tbDpT10_ENKUlT_T0_E_clISt17integral_constantIbLb1EES16_IbLb0EEEEDaS12_S13_EUlS12_E_NS1_11comp_targetILNS1_3genE5ELNS1_11target_archE942ELNS1_3gpuE9ELNS1_3repE0EEENS1_30default_config_static_selectorELNS0_4arch9wavefront6targetE1EEEvT1_,comdat
	.protected	_ZN7rocprim17ROCPRIM_400000_NS6detail17trampoline_kernelINS0_14default_configENS1_25partition_config_selectorILNS1_17partition_subalgoE8EfNS0_10empty_typeEbEEZZNS1_14partition_implILS5_8ELb0ES3_jPKfPS6_PKS6_NS0_5tupleIJPfS6_EEENSE_IJSB_SB_EEENS0_18inequality_wrapperIN6hipcub16HIPCUB_304000_NS8EqualityEEEPlJS6_EEE10hipError_tPvRmT3_T4_T5_T6_T7_T9_mT8_P12ihipStream_tbDpT10_ENKUlT_T0_E_clISt17integral_constantIbLb1EES16_IbLb0EEEEDaS12_S13_EUlS12_E_NS1_11comp_targetILNS1_3genE5ELNS1_11target_archE942ELNS1_3gpuE9ELNS1_3repE0EEENS1_30default_config_static_selectorELNS0_4arch9wavefront6targetE1EEEvT1_ ; -- Begin function _ZN7rocprim17ROCPRIM_400000_NS6detail17trampoline_kernelINS0_14default_configENS1_25partition_config_selectorILNS1_17partition_subalgoE8EfNS0_10empty_typeEbEEZZNS1_14partition_implILS5_8ELb0ES3_jPKfPS6_PKS6_NS0_5tupleIJPfS6_EEENSE_IJSB_SB_EEENS0_18inequality_wrapperIN6hipcub16HIPCUB_304000_NS8EqualityEEEPlJS6_EEE10hipError_tPvRmT3_T4_T5_T6_T7_T9_mT8_P12ihipStream_tbDpT10_ENKUlT_T0_E_clISt17integral_constantIbLb1EES16_IbLb0EEEEDaS12_S13_EUlS12_E_NS1_11comp_targetILNS1_3genE5ELNS1_11target_archE942ELNS1_3gpuE9ELNS1_3repE0EEENS1_30default_config_static_selectorELNS0_4arch9wavefront6targetE1EEEvT1_
	.globl	_ZN7rocprim17ROCPRIM_400000_NS6detail17trampoline_kernelINS0_14default_configENS1_25partition_config_selectorILNS1_17partition_subalgoE8EfNS0_10empty_typeEbEEZZNS1_14partition_implILS5_8ELb0ES3_jPKfPS6_PKS6_NS0_5tupleIJPfS6_EEENSE_IJSB_SB_EEENS0_18inequality_wrapperIN6hipcub16HIPCUB_304000_NS8EqualityEEEPlJS6_EEE10hipError_tPvRmT3_T4_T5_T6_T7_T9_mT8_P12ihipStream_tbDpT10_ENKUlT_T0_E_clISt17integral_constantIbLb1EES16_IbLb0EEEEDaS12_S13_EUlS12_E_NS1_11comp_targetILNS1_3genE5ELNS1_11target_archE942ELNS1_3gpuE9ELNS1_3repE0EEENS1_30default_config_static_selectorELNS0_4arch9wavefront6targetE1EEEvT1_
	.p2align	8
	.type	_ZN7rocprim17ROCPRIM_400000_NS6detail17trampoline_kernelINS0_14default_configENS1_25partition_config_selectorILNS1_17partition_subalgoE8EfNS0_10empty_typeEbEEZZNS1_14partition_implILS5_8ELb0ES3_jPKfPS6_PKS6_NS0_5tupleIJPfS6_EEENSE_IJSB_SB_EEENS0_18inequality_wrapperIN6hipcub16HIPCUB_304000_NS8EqualityEEEPlJS6_EEE10hipError_tPvRmT3_T4_T5_T6_T7_T9_mT8_P12ihipStream_tbDpT10_ENKUlT_T0_E_clISt17integral_constantIbLb1EES16_IbLb0EEEEDaS12_S13_EUlS12_E_NS1_11comp_targetILNS1_3genE5ELNS1_11target_archE942ELNS1_3gpuE9ELNS1_3repE0EEENS1_30default_config_static_selectorELNS0_4arch9wavefront6targetE1EEEvT1_,@function
_ZN7rocprim17ROCPRIM_400000_NS6detail17trampoline_kernelINS0_14default_configENS1_25partition_config_selectorILNS1_17partition_subalgoE8EfNS0_10empty_typeEbEEZZNS1_14partition_implILS5_8ELb0ES3_jPKfPS6_PKS6_NS0_5tupleIJPfS6_EEENSE_IJSB_SB_EEENS0_18inequality_wrapperIN6hipcub16HIPCUB_304000_NS8EqualityEEEPlJS6_EEE10hipError_tPvRmT3_T4_T5_T6_T7_T9_mT8_P12ihipStream_tbDpT10_ENKUlT_T0_E_clISt17integral_constantIbLb1EES16_IbLb0EEEEDaS12_S13_EUlS12_E_NS1_11comp_targetILNS1_3genE5ELNS1_11target_archE942ELNS1_3gpuE9ELNS1_3repE0EEENS1_30default_config_static_selectorELNS0_4arch9wavefront6targetE1EEEvT1_: ; @_ZN7rocprim17ROCPRIM_400000_NS6detail17trampoline_kernelINS0_14default_configENS1_25partition_config_selectorILNS1_17partition_subalgoE8EfNS0_10empty_typeEbEEZZNS1_14partition_implILS5_8ELb0ES3_jPKfPS6_PKS6_NS0_5tupleIJPfS6_EEENSE_IJSB_SB_EEENS0_18inequality_wrapperIN6hipcub16HIPCUB_304000_NS8EqualityEEEPlJS6_EEE10hipError_tPvRmT3_T4_T5_T6_T7_T9_mT8_P12ihipStream_tbDpT10_ENKUlT_T0_E_clISt17integral_constantIbLb1EES16_IbLb0EEEEDaS12_S13_EUlS12_E_NS1_11comp_targetILNS1_3genE5ELNS1_11target_archE942ELNS1_3gpuE9ELNS1_3repE0EEENS1_30default_config_static_selectorELNS0_4arch9wavefront6targetE1EEEvT1_
; %bb.0:
	s_load_dwordx2 s[8:9], s[0:1], 0x50
	s_load_dwordx4 s[4:7], s[0:1], 0x8
	s_load_dwordx4 s[36:39], s[0:1], 0x40
	s_load_dword s3, s[0:1], 0x68
	s_waitcnt lgkmcnt(0)
	v_mov_b32_e32 v3, s9
	s_lshl_b64 s[10:11], s[6:7], 2
	s_add_u32 s10, s4, s10
	s_mul_i32 s9, s3, 0x1e00
	s_addc_u32 s11, s5, s11
	s_add_i32 s12, s3, -1
	s_add_i32 s3, s9, s6
	s_sub_i32 s3, s8, s3
	v_mov_b32_e32 v2, s8
	s_add_u32 s8, s6, s9
	s_addc_u32 s9, s7, 0
	s_cmp_eq_u32 s2, s12
	s_load_dwordx2 s[34:35], s[38:39], 0x0
	v_cmp_ge_u64_e32 vcc, s[8:9], v[2:3]
	s_cselect_b64 s[38:39], -1, 0
	s_mul_i32 s4, s2, 0x1e00
	s_mov_b32 s5, 0
	s_and_b64 s[42:43], s[38:39], vcc
	s_xor_b64 s[40:41], s[42:43], -1
	s_lshl_b64 s[4:5], s[4:5], 2
	s_add_u32 s4, s10, s4
	s_mov_b64 s[8:9], -1
	s_addc_u32 s5, s11, s5
	s_and_b64 vcc, exec, s[40:41]
	s_cbranch_vccz .LBB358_2
; %bb.1:
	v_lshlrev_b32_e32 v2, 2, v0
	v_mov_b32_e32 v3, 0
	v_lshl_add_u64 v[4:5], s[4:5], 0, v[2:3]
	v_add_co_u32_e32 v6, vcc, 0x1000, v4
	global_load_dword v1, v2, s[4:5]
	global_load_dword v3, v2, s[4:5] offset:2048
	v_addc_co_u32_e32 v7, vcc, 0, v5, vcc
	v_add_co_u32_e32 v8, vcc, 0x2000, v4
	s_mov_b64 s[8:9], 0
	s_nop 0
	v_addc_co_u32_e32 v9, vcc, 0, v5, vcc
	v_add_co_u32_e32 v10, vcc, 0x3000, v4
	s_nop 1
	v_addc_co_u32_e32 v11, vcc, 0, v5, vcc
	v_add_co_u32_e32 v12, vcc, 0x4000, v4
	s_nop 1
	v_addc_co_u32_e32 v13, vcc, 0, v5, vcc
	global_load_dword v14, v[6:7], off
	global_load_dword v15, v[6:7], off offset:2048
	global_load_dword v16, v[8:9], off
	global_load_dword v17, v[8:9], off offset:2048
	global_load_dword v18, v[10:11], off
	global_load_dword v19, v[10:11], off offset:2048
	global_load_dword v20, v[12:13], off
	global_load_dword v21, v[12:13], off offset:2048
	v_add_co_u32_e32 v6, vcc, 0x5000, v4
	s_nop 1
	v_addc_co_u32_e32 v7, vcc, 0, v5, vcc
	v_add_co_u32_e32 v8, vcc, 0x6000, v4
	s_nop 1
	v_addc_co_u32_e32 v9, vcc, 0, v5, vcc
	global_load_dword v10, v[6:7], off
	global_load_dword v11, v[6:7], off offset:2048
	global_load_dword v12, v[8:9], off
	global_load_dword v13, v[8:9], off offset:2048
	v_add_co_u32_e32 v4, vcc, 0x7000, v4
	s_nop 1
	v_addc_co_u32_e32 v5, vcc, 0, v5, vcc
	global_load_dword v4, v[4:5], off
	s_waitcnt vmcnt(13)
	ds_write2st64_b32 v2, v1, v3 offset1:8
	s_waitcnt vmcnt(11)
	ds_write2st64_b32 v2, v14, v15 offset0:16 offset1:24
	s_waitcnt vmcnt(9)
	ds_write2st64_b32 v2, v16, v17 offset0:32 offset1:40
	;; [unrolled: 2-line block ×6, first 2 shown]
	s_waitcnt vmcnt(0)
	ds_write_b32 v2, v4 offset:28672
	s_waitcnt lgkmcnt(0)
	s_barrier
.LBB358_2:
	s_andn2_b64 vcc, exec, s[8:9]
	s_addk_i32 s3, 0x1e00
	s_cbranch_vccnz .LBB358_34
; %bb.3:
	v_cmp_gt_u32_e32 vcc, s3, v0
                                        ; implicit-def: $vgpr2_vgpr3_vgpr4_vgpr5_vgpr6_vgpr7_vgpr8_vgpr9_vgpr10_vgpr11_vgpr12_vgpr13_vgpr14_vgpr15_vgpr16_vgpr17
	s_and_saveexec_b64 s[8:9], vcc
	s_cbranch_execz .LBB358_5
; %bb.4:
	v_lshlrev_b32_e32 v1, 2, v0
	global_load_dword v2, v1, s[4:5]
.LBB358_5:
	s_or_b64 exec, exec, s[8:9]
	v_or_b32_e32 v1, 0x200, v0
	v_cmp_gt_u32_e32 vcc, s3, v1
	s_and_saveexec_b64 s[8:9], vcc
	s_cbranch_execz .LBB358_7
; %bb.6:
	v_lshlrev_b32_e32 v1, 2, v0
	global_load_dword v3, v1, s[4:5] offset:2048
.LBB358_7:
	s_or_b64 exec, exec, s[8:9]
	v_or_b32_e32 v1, 0x400, v0
	v_cmp_gt_u32_e32 vcc, s3, v1
	s_and_saveexec_b64 s[8:9], vcc
	s_cbranch_execz .LBB358_9
; %bb.8:
	v_lshlrev_b32_e32 v1, 2, v1
	global_load_dword v4, v1, s[4:5]
.LBB358_9:
	s_or_b64 exec, exec, s[8:9]
	v_or_b32_e32 v1, 0x600, v0
	v_cmp_gt_u32_e32 vcc, s3, v1
	s_and_saveexec_b64 s[8:9], vcc
	s_cbranch_execz .LBB358_11
; %bb.10:
	v_lshlrev_b32_e32 v1, 2, v1
	global_load_dword v5, v1, s[4:5]
.LBB358_11:
	;; [unrolled: 9-line block ×13, first 2 shown]
	s_or_b64 exec, exec, s[8:9]
	v_lshlrev_b32_e32 v1, 2, v0
	s_waitcnt vmcnt(0)
	ds_write2st64_b32 v1, v2, v3 offset1:8
	ds_write2st64_b32 v1, v4, v5 offset0:16 offset1:24
	ds_write2st64_b32 v1, v6, v7 offset0:32 offset1:40
	;; [unrolled: 1-line block ×6, first 2 shown]
	ds_write_b32 v1, v16 offset:28672
	s_waitcnt lgkmcnt(0)
	s_barrier
.LBB358_34:
	v_mul_u32_u24_e32 v10, 15, v0
	v_lshlrev_b32_e32 v17, 2, v10
	s_waitcnt lgkmcnt(0)
	ds_read2_b32 v[30:31], v17 offset1:1
	ds_read2_b32 v[28:29], v17 offset0:2 offset1:3
	ds_read2_b32 v[26:27], v17 offset0:4 offset1:5
	;; [unrolled: 1-line block ×6, first 2 shown]
	ds_read_b32 v1, v17 offset:56
	s_cmp_lg_u32 s2, 0
	s_cselect_b64 s[44:45], -1, 0
	s_cmp_lg_u64 s[6:7], 0
	s_cselect_b64 s[6:7], -1, 0
	s_or_b64 s[6:7], s[44:45], s[6:7]
	v_mad_u32_u24 v15, v0, 15, 1
	v_mad_u32_u24 v11, v0, 15, 2
	;; [unrolled: 1-line block ×14, first 2 shown]
	s_mov_b64 s[46:47], 0
	s_and_b64 vcc, exec, s[6:7]
	s_waitcnt lgkmcnt(0)
	s_barrier
	s_cbranch_vccz .LBB358_39
; %bb.35:
	s_add_u32 s4, s4, -4
	s_addc_u32 s5, s5, -1
	s_load_dword s8, s[4:5], 0x0
	v_lshlrev_b32_e32 v32, 2, v0
	s_and_b64 vcc, exec, s[40:41]
	ds_write_b32 v32, v1
	s_cbranch_vccz .LBB358_41
; %bb.36:
	v_cmp_ne_u32_e32 vcc, 0, v0
	s_waitcnt lgkmcnt(0)
	v_mov_b32_e32 v33, s8
	s_barrier
	s_and_saveexec_b64 s[4:5], vcc
	s_cbranch_execz .LBB358_38
; %bb.37:
	v_add_u32_e32 v33, -4, v32
	ds_read_b32 v33, v33
.LBB358_38:
	s_or_b64 exec, exec, s[4:5]
	v_cmp_neq_f32_e32 vcc, v19, v1
	s_waitcnt lgkmcnt(0)
	v_cmp_neq_f32_e64 s[4:5], v33, v30
	v_cndmask_b32_e64 v35, 0, 1, vcc
	v_cmp_neq_f32_e32 vcc, v18, v19
	s_nop 1
	v_cndmask_b32_e64 v36, 0, 1, vcc
	v_cmp_neq_f32_e32 vcc, v21, v18
	s_nop 1
	;; [unrolled: 3-line block ×13, first 2 shown]
	v_cndmask_b32_e64 v48, 0, 1, vcc
	s_branch .LBB358_45
.LBB358_39:
                                        ; implicit-def: $sgpr4_sgpr5
                                        ; implicit-def: $vgpr35
                                        ; implicit-def: $vgpr36
                                        ; implicit-def: $vgpr37
                                        ; implicit-def: $vgpr38
                                        ; implicit-def: $vgpr39
                                        ; implicit-def: $vgpr40
                                        ; implicit-def: $vgpr41
                                        ; implicit-def: $vgpr42
                                        ; implicit-def: $vgpr48
                                        ; implicit-def: $vgpr47
                                        ; implicit-def: $vgpr46
                                        ; implicit-def: $vgpr45
                                        ; implicit-def: $vgpr44
                                        ; implicit-def: $vgpr43
	s_branch .LBB358_46
.LBB358_40:
                                        ; implicit-def: $sgpr8
	s_branch .LBB358_54
.LBB358_41:
                                        ; implicit-def: $sgpr4_sgpr5
                                        ; implicit-def: $vgpr35
                                        ; implicit-def: $vgpr36
                                        ; implicit-def: $vgpr37
                                        ; implicit-def: $vgpr38
                                        ; implicit-def: $vgpr39
                                        ; implicit-def: $vgpr40
                                        ; implicit-def: $vgpr41
                                        ; implicit-def: $vgpr42
                                        ; implicit-def: $vgpr48
                                        ; implicit-def: $vgpr47
                                        ; implicit-def: $vgpr46
                                        ; implicit-def: $vgpr45
                                        ; implicit-def: $vgpr44
                                        ; implicit-def: $vgpr43
	s_cbranch_execz .LBB358_45
; %bb.42:
	v_cmp_ne_u32_e32 vcc, 0, v0
	s_waitcnt lgkmcnt(0)
	v_mov_b32_e32 v33, s8
	s_barrier
	s_and_saveexec_b64 s[4:5], vcc
	s_cbranch_execz .LBB358_44
; %bb.43:
	v_add_u32_e32 v32, -4, v32
	ds_read_b32 v33, v32
.LBB358_44:
	s_or_b64 exec, exec, s[4:5]
	v_cmp_gt_u32_e32 vcc, s3, v2
	v_cmp_neq_f32_e64 s[4:5], v19, v1
	s_and_b64 s[4:5], vcc, s[4:5]
	v_cmp_gt_u32_e32 vcc, s3, v5
	v_cndmask_b32_e64 v35, 0, 1, s[4:5]
	v_cmp_neq_f32_e64 s[4:5], v18, v19
	s_and_b64 s[4:5], vcc, s[4:5]
	v_cmp_gt_u32_e32 vcc, s3, v4
	v_cndmask_b32_e64 v36, 0, 1, s[4:5]
	;; [unrolled: 4-line block ×14, first 2 shown]
	s_waitcnt lgkmcnt(0)
	v_cmp_neq_f32_e64 s[4:5], v33, v30
	s_and_b64 s[4:5], vcc, s[4:5]
.LBB358_45:
	s_mov_b64 s[46:47], -1
	s_cbranch_execnz .LBB358_40
.LBB358_46:
	s_movk_i32 s4, 0xffc8
	v_mad_i32_i24 v17, v0, s4, v17
	s_and_b64 vcc, exec, s[40:41]
	v_cmp_neq_f32_e64 s[30:31], v19, v1
	v_cmp_neq_f32_e64 s[4:5], v18, v19
	;; [unrolled: 1-line block ×3, first 2 shown]
	s_waitcnt lgkmcnt(0)
	v_cmp_neq_f32_e64 s[8:9], v20, v21
	v_cmp_neq_f32_e64 s[10:11], v23, v20
	v_cmp_neq_f32_e64 s[12:13], v22, v23
	v_cmp_neq_f32_e64 s[14:15], v25, v22
	v_cmp_neq_f32_e64 s[16:17], v24, v25
	v_cmp_neq_f32_e64 s[18:19], v27, v24
	v_cmp_neq_f32_e64 s[20:21], v26, v27
	v_cmp_neq_f32_e64 s[22:23], v29, v26
	v_cmp_neq_f32_e64 s[24:25], v28, v29
	v_cmp_neq_f32_e64 s[26:27], v31, v28
	v_cmp_neq_f32_e64 s[28:29], v30, v31
	ds_write_b32 v17, v1
	s_cbranch_vccz .LBB358_50
; %bb.47:
	v_cndmask_b32_e64 v35, 0, 1, s[30:31]
	v_cndmask_b32_e64 v36, 0, 1, s[4:5]
	;; [unrolled: 1-line block ×14, first 2 shown]
	v_cmp_ne_u32_e32 vcc, 0, v0
	s_waitcnt lgkmcnt(0)
	s_barrier
	s_waitcnt lgkmcnt(0)
                                        ; implicit-def: $sgpr4_sgpr5
	s_and_saveexec_b64 s[6:7], vcc
	s_xor_b64 s[6:7], exec, s[6:7]
	s_cbranch_execz .LBB358_49
; %bb.48:
	v_add_u32_e32 v32, -4, v17
	ds_read_b32 v32, v32
	s_or_b64 s[46:47], s[46:47], exec
	s_waitcnt lgkmcnt(0)
	v_cmp_neq_f32_e32 vcc, v32, v30
	s_and_b64 s[4:5], vcc, exec
.LBB358_49:
	s_or_b64 exec, exec, s[6:7]
	s_mov_b32 s8, 1
	s_branch .LBB358_54
.LBB358_50:
                                        ; implicit-def: $sgpr4_sgpr5
                                        ; implicit-def: $vgpr35
                                        ; implicit-def: $vgpr36
                                        ; implicit-def: $vgpr37
                                        ; implicit-def: $vgpr38
                                        ; implicit-def: $vgpr39
                                        ; implicit-def: $vgpr40
                                        ; implicit-def: $vgpr41
                                        ; implicit-def: $vgpr42
                                        ; implicit-def: $vgpr48
                                        ; implicit-def: $vgpr47
                                        ; implicit-def: $vgpr46
                                        ; implicit-def: $vgpr45
                                        ; implicit-def: $vgpr44
                                        ; implicit-def: $vgpr43
                                        ; implicit-def: $sgpr8
	s_cbranch_execz .LBB358_54
; %bb.51:
	v_cmp_gt_u32_e32 vcc, s3, v2
	v_cmp_neq_f32_e64 s[4:5], v19, v1
	s_and_b64 s[4:5], vcc, s[4:5]
	v_cmp_gt_u32_e32 vcc, s3, v5
	v_cndmask_b32_e64 v35, 0, 1, s[4:5]
	v_cmp_neq_f32_e64 s[4:5], v18, v19
	s_and_b64 s[4:5], vcc, s[4:5]
	v_cmp_gt_u32_e32 vcc, s3, v4
	v_cndmask_b32_e64 v36, 0, 1, s[4:5]
	;; [unrolled: 4-line block ×13, first 2 shown]
	v_cmp_neq_f32_e64 s[4:5], v30, v31
	s_and_b64 s[4:5], vcc, s[4:5]
	v_cmp_ne_u32_e32 vcc, 0, v0
	v_cndmask_b32_e64 v48, 0, 1, s[4:5]
	s_waitcnt lgkmcnt(0)
	s_barrier
	s_waitcnt lgkmcnt(0)
                                        ; implicit-def: $sgpr4_sgpr5
	s_and_saveexec_b64 s[6:7], vcc
	s_cbranch_execz .LBB358_53
; %bb.52:
	v_add_u32_e32 v17, -4, v17
	ds_read_b32 v17, v17
	v_cmp_gt_u32_e32 vcc, s3, v10
	s_or_b64 s[46:47], s[46:47], exec
	s_waitcnt lgkmcnt(0)
	v_cmp_neq_f32_e64 s[4:5], v17, v30
	s_and_b64 s[4:5], vcc, s[4:5]
	s_and_b64 s[4:5], s[4:5], exec
.LBB358_53:
	s_or_b64 exec, exec, s[6:7]
	s_mov_b32 s8, 1
.LBB358_54:
	s_waitcnt lgkmcnt(0)
	v_mov_b32_e32 v49, s8
	s_and_saveexec_b64 s[6:7], s[46:47]
; %bb.55:
	v_cndmask_b32_e64 v49, 0, 1, s[4:5]
; %bb.56:
	s_or_b64 exec, exec, s[6:7]
	s_load_dwordx2 s[20:21], s[0:1], 0x60
	s_andn2_b64 vcc, exec, s[42:43]
	s_cbranch_vccnz .LBB358_58
; %bb.57:
	v_cmp_gt_u32_e32 vcc, s3, v10
	s_nop 1
	v_cndmask_b32_e32 v49, 0, v49, vcc
	v_cmp_gt_u32_e32 vcc, s3, v15
	s_nop 1
	v_cndmask_b32_e32 v48, 0, v48, vcc
	;; [unrolled: 3-line block ×15, first 2 shown]
.LBB358_58:
	v_and_b32_e32 v54, 0xff, v45
	v_and_b32_e32 v55, 0xff, v44
	;; [unrolled: 1-line block ×5, first 2 shown]
	v_add3_u32 v3, v55, v56, v54
	v_and_b32_e32 v50, 0xff, v49
	v_and_b32_e32 v51, 0xff, v48
	v_add3_u32 v3, v3, v53, v52
	v_and_b32_e32 v57, 0xff, v42
	v_and_b32_e32 v58, 0xff, v41
	;; [unrolled: 3-line block ×5, first 2 shown]
	v_add3_u32 v3, v3, v61, v62
	v_add3_u32 v66, v3, v63, v2
	v_mbcnt_lo_u32_b32 v2, -1, 0
	v_mbcnt_hi_u32_b32 v64, -1, v2
	v_and_b32_e32 v2, 15, v64
	v_cmp_eq_u32_e64 s[14:15], 0, v2
	v_cmp_lt_u32_e64 s[12:13], 1, v2
	v_cmp_lt_u32_e64 s[10:11], 3, v2
	;; [unrolled: 1-line block ×3, first 2 shown]
	v_and_b32_e32 v2, 16, v64
	v_cmp_eq_u32_e64 s[6:7], 0, v2
	v_or_b32_e32 v2, 63, v0
	v_cmp_lt_u32_e64 s[18:19], 31, v64
	v_lshrrev_b32_e32 v65, 6, v0
	v_cmp_eq_u32_e64 s[4:5], v2, v0
	s_and_b64 vcc, exec, s[44:45]
	s_waitcnt lgkmcnt(0)
	s_barrier
	s_cbranch_vccz .LBB358_89
; %bb.59:
	v_mov_b32_dpp v2, v66 row_shr:1 row_mask:0xf bank_mask:0xf
	v_cndmask_b32_e64 v2, v2, 0, s[14:15]
	v_add_u32_e32 v2, v2, v66
	s_nop 1
	v_mov_b32_dpp v3, v2 row_shr:2 row_mask:0xf bank_mask:0xf
	v_cndmask_b32_e64 v3, 0, v3, s[12:13]
	v_add_u32_e32 v2, v2, v3
	s_nop 1
	;; [unrolled: 4-line block ×4, first 2 shown]
	v_mov_b32_dpp v3, v2 row_bcast:15 row_mask:0xf bank_mask:0xf
	v_cndmask_b32_e64 v3, v3, 0, s[6:7]
	v_add_u32_e32 v2, v2, v3
	s_nop 1
	v_mov_b32_dpp v3, v2 row_bcast:31 row_mask:0xf bank_mask:0xf
	v_cndmask_b32_e64 v3, 0, v3, s[18:19]
	v_add_u32_e32 v2, v2, v3
	s_and_saveexec_b64 s[16:17], s[4:5]
	s_cbranch_execz .LBB358_61
; %bb.60:
	v_lshlrev_b32_e32 v3, 2, v65
	ds_write_b32 v3, v2
.LBB358_61:
	s_or_b64 exec, exec, s[16:17]
	v_cmp_gt_u32_e32 vcc, 8, v0
	s_waitcnt lgkmcnt(0)
	s_barrier
	s_and_saveexec_b64 s[16:17], vcc
	s_cbranch_execz .LBB358_63
; %bb.62:
	v_lshlrev_b32_e32 v3, 2, v0
	ds_read_b32 v4, v3
	v_and_b32_e32 v5, 7, v64
	v_cmp_ne_u32_e32 vcc, 0, v5
	s_waitcnt lgkmcnt(0)
	v_mov_b32_dpp v6, v4 row_shr:1 row_mask:0xf bank_mask:0xf
	v_cndmask_b32_e32 v6, 0, v6, vcc
	v_add_u32_e32 v4, v6, v4
	v_cmp_lt_u32_e32 vcc, 1, v5
	s_nop 0
	v_mov_b32_dpp v6, v4 row_shr:2 row_mask:0xf bank_mask:0xf
	v_cndmask_b32_e32 v6, 0, v6, vcc
	v_add_u32_e32 v4, v4, v6
	v_cmp_lt_u32_e32 vcc, 3, v5
	s_nop 0
	v_mov_b32_dpp v6, v4 row_shr:4 row_mask:0xf bank_mask:0xf
	v_cndmask_b32_e32 v5, 0, v6, vcc
	v_add_u32_e32 v4, v4, v5
	ds_write_b32 v3, v4
.LBB358_63:
	s_or_b64 exec, exec, s[16:17]
	v_cmp_gt_u32_e32 vcc, 64, v0
	v_cmp_lt_u32_e64 s[16:17], 63, v0
	s_waitcnt lgkmcnt(0)
	s_barrier
	s_waitcnt lgkmcnt(0)
                                        ; implicit-def: $vgpr12
	s_and_saveexec_b64 s[22:23], s[16:17]
	s_cbranch_execz .LBB358_65
; %bb.64:
	v_lshl_add_u32 v3, v65, 2, -4
	ds_read_b32 v12, v3
	s_waitcnt lgkmcnt(0)
	v_add_u32_e32 v2, v12, v2
.LBB358_65:
	s_or_b64 exec, exec, s[22:23]
	v_add_u32_e32 v3, -1, v64
	v_and_b32_e32 v4, 64, v64
	v_cmp_lt_i32_e64 s[16:17], v3, v4
	s_nop 1
	v_cndmask_b32_e64 v3, v3, v64, s[16:17]
	v_lshlrev_b32_e32 v3, 2, v3
	ds_bpermute_b32 v13, v3, v2
	v_cmp_eq_u32_e64 s[16:17], 0, v64
	s_and_saveexec_b64 s[22:23], vcc
	s_cbranch_execz .LBB358_88
; %bb.66:
	v_mov_b32_e32 v11, 0
	ds_read_b32 v2, v11 offset:28
	s_and_saveexec_b64 s[24:25], s[16:17]
	s_cbranch_execz .LBB358_68
; %bb.67:
	s_add_i32 s26, s2, 64
	s_mov_b32 s27, 0
	s_lshl_b64 s[26:27], s[26:27], 3
	s_add_u32 s26, s20, s26
	v_mov_b32_e32 v3, 1
	s_addc_u32 s27, s21, s27
	s_waitcnt lgkmcnt(0)
	global_store_dwordx2 v11, v[2:3], s[26:27] sc1
.LBB358_68:
	s_or_b64 exec, exec, s[24:25]
	v_xad_u32 v4, v64, -1, s2
	v_add_u32_e32 v10, 64, v4
	v_lshl_add_u64 v[6:7], v[10:11], 3, s[20:21]
	global_load_dwordx2 v[8:9], v[6:7], off sc1
	s_waitcnt vmcnt(0)
	v_cmp_eq_u16_sdwa s[26:27], v9, v11 src0_sel:BYTE_0 src1_sel:DWORD
	s_and_saveexec_b64 s[24:25], s[26:27]
	s_cbranch_execz .LBB358_74
; %bb.69:
	s_mov_b32 s3, 1
	s_mov_b64 s[26:27], 0
	v_mov_b32_e32 v3, 0
.LBB358_70:                             ; =>This Loop Header: Depth=1
                                        ;     Child Loop BB358_71 Depth 2
	s_max_u32 s28, s3, 1
.LBB358_71:                             ;   Parent Loop BB358_70 Depth=1
                                        ; =>  This Inner Loop Header: Depth=2
	s_add_i32 s28, s28, -1
	s_cmp_eq_u32 s28, 0
	s_sleep 1
	s_cbranch_scc0 .LBB358_71
; %bb.72:                               ;   in Loop: Header=BB358_70 Depth=1
	global_load_dwordx2 v[8:9], v[6:7], off sc1
	s_cmp_lt_u32 s3, 32
	s_cselect_b64 s[28:29], -1, 0
	s_cmp_lg_u64 s[28:29], 0
	s_addc_u32 s3, s3, 0
	s_waitcnt vmcnt(0)
	v_cmp_ne_u16_sdwa s[28:29], v9, v3 src0_sel:BYTE_0 src1_sel:DWORD
	s_or_b64 s[26:27], s[28:29], s[26:27]
	s_andn2_b64 exec, exec, s[26:27]
	s_cbranch_execnz .LBB358_70
; %bb.73:
	s_or_b64 exec, exec, s[26:27]
.LBB358_74:
	s_or_b64 exec, exec, s[24:25]
	v_and_b32_e32 v15, 63, v64
	v_mov_b32_e32 v14, 2
	v_cmp_ne_u32_e32 vcc, 63, v15
	v_cmp_eq_u16_sdwa s[24:25], v9, v14 src0_sel:BYTE_0 src1_sel:DWORD
	v_lshlrev_b64 v[6:7], v64, -1
	v_addc_co_u32_e32 v10, vcc, 0, v64, vcc
	v_and_b32_e32 v3, s25, v7
	v_lshlrev_b32_e32 v16, 2, v10
	v_or_b32_e32 v3, 0x80000000, v3
	ds_bpermute_b32 v10, v16, v8
	v_and_b32_e32 v5, s24, v6
	v_ffbl_b32_e32 v3, v3
	v_add_u32_e32 v3, 32, v3
	v_ffbl_b32_e32 v5, v5
	v_min_u32_e32 v3, v5, v3
	v_cmp_lt_u32_e32 vcc, v15, v3
	v_add_u32_e32 v32, 2, v15
	v_add_u32_e32 v34, 4, v15
	s_waitcnt lgkmcnt(0)
	v_cndmask_b32_e32 v5, 0, v10, vcc
	v_cmp_gt_u32_e32 vcc, 62, v15
	v_add_u32_e32 v5, v5, v8
	v_add_u32_e32 v68, 8, v15
	v_cndmask_b32_e64 v8, 0, 1, vcc
	v_lshlrev_b32_e32 v8, 1, v8
	v_add_lshl_u32 v17, v8, v64, 2
	ds_bpermute_b32 v8, v17, v5
	v_cmp_le_u32_e32 vcc, v32, v3
	v_add_u32_e32 v70, 16, v15
	v_add_u32_e32 v72, 32, v15
	s_waitcnt lgkmcnt(0)
	v_cndmask_b32_e32 v8, 0, v8, vcc
	v_cmp_gt_u32_e32 vcc, 60, v15
	v_add_u32_e32 v5, v5, v8
	s_nop 0
	v_cndmask_b32_e64 v8, 0, 1, vcc
	v_lshlrev_b32_e32 v8, 2, v8
	v_add_lshl_u32 v33, v8, v64, 2
	ds_bpermute_b32 v8, v33, v5
	v_cmp_le_u32_e32 vcc, v34, v3
	s_waitcnt lgkmcnt(0)
	s_nop 0
	v_cndmask_b32_e32 v8, 0, v8, vcc
	v_cmp_gt_u32_e32 vcc, 56, v15
	v_add_u32_e32 v5, v5, v8
	s_nop 0
	v_cndmask_b32_e64 v8, 0, 1, vcc
	v_lshlrev_b32_e32 v8, 3, v8
	v_add_lshl_u32 v67, v8, v64, 2
	ds_bpermute_b32 v8, v67, v5
	v_cmp_le_u32_e32 vcc, v68, v3
	s_waitcnt lgkmcnt(0)
	s_nop 0
	;; [unrolled: 11-line block ×4, first 2 shown]
	v_cndmask_b32_e32 v3, 0, v8, vcc
	v_add_u32_e32 v8, v5, v3
	v_mov_b32_e32 v5, 0
	s_branch .LBB358_76
.LBB358_75:                             ;   in Loop: Header=BB358_76 Depth=1
	s_or_b64 exec, exec, s[24:25]
	v_cmp_eq_u16_sdwa s[24:25], v9, v14 src0_sel:BYTE_0 src1_sel:DWORD
	ds_bpermute_b32 v73, v16, v8
	v_subrev_u32_e32 v4, 64, v4
	v_and_b32_e32 v10, s25, v7
	v_or_b32_e32 v10, 0x80000000, v10
	v_and_b32_e32 v11, s24, v6
	v_ffbl_b32_e32 v10, v10
	v_add_u32_e32 v10, 32, v10
	v_ffbl_b32_e32 v11, v11
	v_min_u32_e32 v10, v11, v10
	v_cmp_lt_u32_e32 vcc, v15, v10
	s_waitcnt lgkmcnt(0)
	s_nop 0
	v_cndmask_b32_e32 v11, 0, v73, vcc
	v_add_u32_e32 v8, v11, v8
	ds_bpermute_b32 v11, v17, v8
	v_cmp_le_u32_e32 vcc, v32, v10
	s_waitcnt lgkmcnt(0)
	s_nop 0
	v_cndmask_b32_e32 v11, 0, v11, vcc
	v_add_u32_e32 v8, v8, v11
	ds_bpermute_b32 v11, v33, v8
	v_cmp_le_u32_e32 vcc, v34, v10
	;; [unrolled: 6-line block ×5, first 2 shown]
	s_waitcnt lgkmcnt(0)
	s_nop 0
	v_cndmask_b32_e32 v10, 0, v11, vcc
	v_add3_u32 v8, v10, v3, v8
.LBB358_76:                             ; =>This Loop Header: Depth=1
                                        ;     Child Loop BB358_79 Depth 2
                                        ;       Child Loop BB358_80 Depth 3
	v_cmp_ne_u16_sdwa s[24:25], v9, v14 src0_sel:BYTE_0 src1_sel:DWORD
	s_nop 1
	v_cndmask_b32_e64 v3, 0, 1, s[24:25]
	;;#ASMSTART
	;;#ASMEND
	s_nop 0
	v_cmp_ne_u32_e32 vcc, 0, v3
	s_cmp_lg_u64 vcc, exec
	v_mov_b32_e32 v3, v8
	s_cbranch_scc1 .LBB358_83
; %bb.77:                               ;   in Loop: Header=BB358_76 Depth=1
	v_lshl_add_u64 v[10:11], v[4:5], 3, s[20:21]
	global_load_dwordx2 v[8:9], v[10:11], off sc1
	s_waitcnt vmcnt(0)
	v_cmp_eq_u16_sdwa s[26:27], v9, v5 src0_sel:BYTE_0 src1_sel:DWORD
	s_and_saveexec_b64 s[24:25], s[26:27]
	s_cbranch_execz .LBB358_75
; %bb.78:                               ;   in Loop: Header=BB358_76 Depth=1
	s_mov_b32 s3, 1
	s_mov_b64 s[26:27], 0
.LBB358_79:                             ;   Parent Loop BB358_76 Depth=1
                                        ; =>  This Loop Header: Depth=2
                                        ;       Child Loop BB358_80 Depth 3
	s_max_u32 s28, s3, 1
.LBB358_80:                             ;   Parent Loop BB358_76 Depth=1
                                        ;     Parent Loop BB358_79 Depth=2
                                        ; =>    This Inner Loop Header: Depth=3
	s_add_i32 s28, s28, -1
	s_cmp_eq_u32 s28, 0
	s_sleep 1
	s_cbranch_scc0 .LBB358_80
; %bb.81:                               ;   in Loop: Header=BB358_79 Depth=2
	global_load_dwordx2 v[8:9], v[10:11], off sc1
	s_cmp_lt_u32 s3, 32
	s_cselect_b64 s[28:29], -1, 0
	s_cmp_lg_u64 s[28:29], 0
	s_addc_u32 s3, s3, 0
	s_waitcnt vmcnt(0)
	v_cmp_ne_u16_sdwa s[28:29], v9, v5 src0_sel:BYTE_0 src1_sel:DWORD
	s_or_b64 s[26:27], s[28:29], s[26:27]
	s_andn2_b64 exec, exec, s[26:27]
	s_cbranch_execnz .LBB358_79
; %bb.82:                               ;   in Loop: Header=BB358_76 Depth=1
	s_or_b64 exec, exec, s[26:27]
	s_branch .LBB358_75
.LBB358_83:                             ;   in Loop: Header=BB358_76 Depth=1
                                        ; implicit-def: $vgpr8
                                        ; implicit-def: $vgpr9
	s_cbranch_execz .LBB358_76
; %bb.84:
	s_and_saveexec_b64 s[24:25], s[16:17]
	s_cbranch_execz .LBB358_86
; %bb.85:
	s_add_i32 s2, s2, 64
	s_mov_b32 s3, 0
	s_lshl_b64 s[2:3], s[2:3], 3
	s_add_u32 s2, s20, s2
	v_add_u32_e32 v4, v3, v2
	v_mov_b32_e32 v5, 2
	s_addc_u32 s3, s21, s3
	v_mov_b32_e32 v6, 0
	global_store_dwordx2 v6, v[4:5], s[2:3] sc1
	ds_write_b64 v6, v[2:3] offset:30720
.LBB358_86:
	s_or_b64 exec, exec, s[24:25]
	v_cmp_eq_u32_e32 vcc, 0, v0
	s_and_b64 exec, exec, vcc
	s_cbranch_execz .LBB358_88
; %bb.87:
	v_mov_b32_e32 v2, 0
	ds_write_b32 v2, v3 offset:28
.LBB358_88:
	s_or_b64 exec, exec, s[22:23]
	v_mov_b32_e32 v14, 0
	s_waitcnt lgkmcnt(0)
	s_barrier
	ds_read_b32 v2, v14 offset:28
	v_cndmask_b32_e64 v3, v13, v12, s[16:17]
	v_cmp_ne_u32_e32 vcc, 0, v0
	s_waitcnt lgkmcnt(0)
	s_barrier
	v_cndmask_b32_e32 v3, 0, v3, vcc
	v_add_u32_e32 v2, v2, v3
	v_add_u32_e32 v3, v2, v50
	;; [unrolled: 1-line block ×10, first 2 shown]
	ds_read_b64 v[32:33], v14 offset:30720
	v_add_u32_e32 v12, v11, v59
	v_add_u32_e32 v13, v12, v60
	;; [unrolled: 1-line block ×5, first 2 shown]
	s_waitcnt lgkmcnt(0)
	v_mov_b32_e32 v34, v33
	s_load_dwordx2 s[2:3], s[0:1], 0x28
	s_branch .LBB358_99
.LBB358_89:
                                        ; implicit-def: $vgpr34
                                        ; implicit-def: $vgpr32
                                        ; implicit-def: $vgpr2_vgpr3_vgpr4_vgpr5_vgpr6_vgpr7_vgpr8_vgpr9_vgpr10_vgpr11_vgpr12_vgpr13_vgpr14_vgpr15_vgpr16_vgpr17
	s_load_dwordx2 s[2:3], s[0:1], 0x28
	s_cbranch_execz .LBB358_99
; %bb.90:
	v_mov_b32_dpp v2, v66 row_shr:1 row_mask:0xf bank_mask:0xf
	v_cndmask_b32_e64 v2, v2, 0, s[14:15]
	v_add_u32_e32 v2, v2, v66
	s_nop 1
	v_mov_b32_dpp v3, v2 row_shr:2 row_mask:0xf bank_mask:0xf
	v_cndmask_b32_e64 v3, 0, v3, s[12:13]
	v_add_u32_e32 v2, v2, v3
	s_nop 1
	v_mov_b32_dpp v3, v2 row_shr:4 row_mask:0xf bank_mask:0xf
	v_cndmask_b32_e64 v3, 0, v3, s[10:11]
	v_add_u32_e32 v2, v2, v3
	s_nop 1
	v_mov_b32_dpp v3, v2 row_shr:8 row_mask:0xf bank_mask:0xf
	v_cndmask_b32_e64 v3, 0, v3, s[8:9]
	v_add_u32_e32 v2, v2, v3
	s_nop 1
	v_mov_b32_dpp v3, v2 row_bcast:15 row_mask:0xf bank_mask:0xf
	v_cndmask_b32_e64 v3, v3, 0, s[6:7]
	v_add_u32_e32 v2, v2, v3
	s_nop 1
	v_mov_b32_dpp v3, v2 row_bcast:31 row_mask:0xf bank_mask:0xf
	v_cndmask_b32_e64 v3, 0, v3, s[18:19]
	v_add_u32_e32 v2, v2, v3
	s_and_saveexec_b64 s[0:1], s[4:5]
	s_cbranch_execz .LBB358_92
; %bb.91:
	v_lshlrev_b32_e32 v3, 2, v65
	ds_write_b32 v3, v2
.LBB358_92:
	s_or_b64 exec, exec, s[0:1]
	v_cmp_gt_u32_e32 vcc, 8, v0
	s_waitcnt lgkmcnt(0)
	s_barrier
	s_and_saveexec_b64 s[0:1], vcc
	s_cbranch_execz .LBB358_94
; %bb.93:
	v_lshlrev_b32_e32 v3, 2, v0
	ds_read_b32 v4, v3
	v_and_b32_e32 v5, 7, v64
	v_cmp_ne_u32_e32 vcc, 0, v5
	s_waitcnt lgkmcnt(0)
	v_mov_b32_dpp v6, v4 row_shr:1 row_mask:0xf bank_mask:0xf
	v_cndmask_b32_e32 v6, 0, v6, vcc
	v_add_u32_e32 v4, v6, v4
	v_cmp_lt_u32_e32 vcc, 1, v5
	s_nop 0
	v_mov_b32_dpp v6, v4 row_shr:2 row_mask:0xf bank_mask:0xf
	v_cndmask_b32_e32 v6, 0, v6, vcc
	v_add_u32_e32 v4, v4, v6
	v_cmp_lt_u32_e32 vcc, 3, v5
	s_nop 0
	v_mov_b32_dpp v6, v4 row_shr:4 row_mask:0xf bank_mask:0xf
	v_cndmask_b32_e32 v5, 0, v6, vcc
	v_add_u32_e32 v4, v4, v5
	ds_write_b32 v3, v4
.LBB358_94:
	s_or_b64 exec, exec, s[0:1]
	v_cmp_lt_u32_e32 vcc, 63, v0
	v_mov_b32_e32 v4, 0
	v_mov_b32_e32 v3, 0
	s_waitcnt lgkmcnt(0)
	s_barrier
	s_and_saveexec_b64 s[0:1], vcc
	s_cbranch_execz .LBB358_96
; %bb.95:
	v_lshl_add_u32 v3, v65, 2, -4
	ds_read_b32 v3, v3
.LBB358_96:
	s_or_b64 exec, exec, s[0:1]
	v_add_u32_e32 v5, -1, v64
	v_and_b32_e32 v6, 64, v64
	v_cmp_lt_i32_e32 vcc, v5, v6
	s_waitcnt lgkmcnt(0)
	v_add_u32_e32 v2, v3, v2
	ds_read_b32 v32, v4 offset:28
	v_cndmask_b32_e32 v5, v5, v64, vcc
	v_lshlrev_b32_e32 v5, 2, v5
	ds_bpermute_b32 v2, v5, v2
	v_cmp_eq_u32_e32 vcc, 0, v0
	s_and_saveexec_b64 s[0:1], vcc
	s_cbranch_execz .LBB358_98
; %bb.97:
	v_mov_b32_e32 v4, 0
	v_mov_b32_e32 v33, 2
	s_waitcnt lgkmcnt(1)
	global_store_dwordx2 v4, v[32:33], s[20:21] offset:512 sc1
.LBB358_98:
	s_or_b64 exec, exec, s[0:1]
	v_cmp_eq_u32_e64 s[0:1], 0, v64
	v_mov_b32_e32 v34, 0
	s_waitcnt lgkmcnt(0)
	v_cndmask_b32_e64 v2, v2, v3, s[0:1]
	v_cndmask_b32_e64 v2, v2, 0, vcc
	v_add_u32_e32 v3, v2, v50
	v_add_u32_e32 v4, v3, v51
	;; [unrolled: 1-line block ×14, first 2 shown]
	s_barrier
.LBB358_99:
	s_movk_i32 s0, 0x201
	v_cmp_gt_u32_e32 vcc, s0, v32
	s_mov_b64 s[0:1], -1
	s_cbranch_vccnz .LBB358_103
; %bb.100:
	s_and_b64 vcc, exec, s[0:1]
	s_cbranch_vccnz .LBB358_149
.LBB358_101:
	v_cmp_eq_u32_e32 vcc, 0, v0
	s_and_b64 s[0:1], vcc, s[38:39]
	s_waitcnt lgkmcnt(0)
	s_and_saveexec_b64 s[2:3], s[0:1]
	s_cbranch_execnz .LBB358_193
.LBB358_102:
	s_endpgm
.LBB358_103:
	v_add_u32_e32 v17, v34, v32
	s_lshl_b64 s[0:1], s[34:35], 2
	s_waitcnt lgkmcnt(0)
	s_add_u32 s0, s2, s0
	v_cmp_lt_u32_e32 vcc, v2, v17
	s_addc_u32 s1, s3, s1
	s_or_b64 s[6:7], s[40:41], vcc
	s_and_saveexec_b64 s[4:5], s[6:7]
	s_cbranch_execz .LBB358_106
; %bb.104:
	v_and_b32_e32 v33, 1, v49
	v_cmp_eq_u32_e32 vcc, 1, v33
	s_and_b64 exec, exec, vcc
	s_cbranch_execz .LBB358_106
; %bb.105:
	v_mov_b32_e32 v51, 0
	v_mov_b32_e32 v50, v2
	v_lshl_add_u64 v[50:51], v[50:51], 2, s[0:1]
	global_store_dword v[50:51], v30, off
.LBB358_106:
	s_or_b64 exec, exec, s[4:5]
	v_cmp_lt_u32_e32 vcc, v3, v17
	s_or_b64 s[6:7], s[40:41], vcc
	s_and_saveexec_b64 s[4:5], s[6:7]
	s_cbranch_execz .LBB358_109
; %bb.107:
	v_and_b32_e32 v33, 1, v48
	v_cmp_eq_u32_e32 vcc, 1, v33
	s_and_b64 exec, exec, vcc
	s_cbranch_execz .LBB358_109
; %bb.108:
	v_mov_b32_e32 v51, 0
	v_mov_b32_e32 v50, v3
	v_lshl_add_u64 v[50:51], v[50:51], 2, s[0:1]
	global_store_dword v[50:51], v31, off
.LBB358_109:
	s_or_b64 exec, exec, s[4:5]
	v_cmp_lt_u32_e32 vcc, v4, v17
	;; [unrolled: 16-line block ×14, first 2 shown]
	s_or_b64 s[6:7], s[40:41], vcc
	s_and_saveexec_b64 s[4:5], s[6:7]
	s_cbranch_execz .LBB358_148
; %bb.146:
	v_and_b32_e32 v17, 1, v35
	v_cmp_eq_u32_e32 vcc, 1, v17
	s_and_b64 exec, exec, vcc
	s_cbranch_execz .LBB358_148
; %bb.147:
	v_mov_b32_e32 v17, 0
	v_lshl_add_u64 v[50:51], v[16:17], 2, s[0:1]
	global_store_dword v[50:51], v1, off
.LBB358_148:
	s_or_b64 exec, exec, s[4:5]
	s_branch .LBB358_101
.LBB358_149:
	v_and_b32_e32 v17, 1, v49
	v_cmp_eq_u32_e32 vcc, 1, v17
	s_and_saveexec_b64 s[0:1], vcc
	s_cbranch_execz .LBB358_151
; %bb.150:
	v_sub_u32_e32 v2, v2, v34
	v_lshlrev_b32_e32 v2, 2, v2
	ds_write_b32 v2, v30
.LBB358_151:
	s_or_b64 exec, exec, s[0:1]
	v_and_b32_e32 v2, 1, v48
	v_cmp_eq_u32_e32 vcc, 1, v2
	s_and_saveexec_b64 s[0:1], vcc
	s_cbranch_execz .LBB358_153
; %bb.152:
	v_sub_u32_e32 v2, v3, v34
	v_lshlrev_b32_e32 v2, 2, v2
	ds_write_b32 v2, v31
.LBB358_153:
	s_or_b64 exec, exec, s[0:1]
	;; [unrolled: 10-line block ×15, first 2 shown]
	v_cmp_lt_u32_e32 vcc, v0, v32
	s_waitcnt lgkmcnt(0)
	s_barrier
	s_and_saveexec_b64 s[0:1], vcc
	s_cbranch_execz .LBB358_192
; %bb.180:
	s_lshl_b64 s[4:5], s[34:35], 2
	v_mov_b32_e32 v35, 0
	s_add_u32 s2, s2, s4
	s_addc_u32 s3, s3, s5
	v_lshlrev_b64 v[2:3], 2, v[34:35]
	v_lshl_add_u64 v[2:3], s[2:3], 0, v[2:3]
	v_xad_u32 v1, v0, -1, v32
	s_movk_i32 s2, 0x1ff
	v_cmp_lt_u32_e32 vcc, s2, v1
	s_mov_b64 s[4:5], -1
	v_mov_b32_e32 v4, v0
	s_and_saveexec_b64 s[2:3], vcc
	s_cbranch_execz .LBB358_189
; %bb.181:
	v_lshrrev_b32_e32 v8, 9, v1
	v_add_u32_e32 v4, -1, v8
	v_or_b32_e32 v1, 0x200, v0
	v_lshrrev_b32_e32 v5, 1, v4
	v_add_u32_e32 v10, 1, v5
	v_cmp_lt_u32_e32 vcc, 13, v4
	v_lshlrev_b32_e32 v9, 2, v0
	v_mov_b64_e32 v[4:5], v[0:1]
	s_and_saveexec_b64 s[4:5], vcc
	s_cbranch_execz .LBB358_185
; %bb.182:
	v_and_b32_e32 v11, -8, v10
	s_mov_b32 s8, 0
	s_mov_b64 s[6:7], 0
	v_mov_b32_e32 v7, 0
	v_mov_b32_e32 v12, v9
	v_mov_b64_e32 v[4:5], v[0:1]
.LBB358_183:                            ; =>This Inner Loop Header: Depth=1
	ds_read2st64_b32 v[14:15], v12 offset1:8
	v_mov_b32_e32 v6, v4
	ds_read2st64_b32 v[26:27], v12 offset0:48 offset1:56
	v_lshl_add_u64 v[48:49], v[6:7], 2, v[2:3]
	v_mov_b32_e32 v6, v5
	ds_read2st64_b32 v[18:19], v12 offset0:16 offset1:24
	ds_read2st64_b32 v[30:31], v12 offset0:64 offset1:72
	v_lshl_add_u64 v[50:51], v[6:7], 2, v[2:3]
	v_add_u32_e32 v6, 0x400, v4
	ds_read2st64_b32 v[38:39], v12 offset0:80 offset1:88
	v_lshl_add_u64 v[52:53], v[6:7], 2, v[2:3]
	v_add_u32_e32 v6, 0x800, v4
	v_add_u32_e32 v16, 0x400, v5
	v_mov_b32_e32 v17, v7
	v_add_u32_e32 v20, 0x800, v5
	ds_read2st64_b32 v[22:23], v12 offset0:32 offset1:40
	v_mov_b32_e32 v21, v7
	ds_read2st64_b32 v[42:43], v12 offset0:96 offset1:104
	v_lshl_add_u64 v[54:55], v[6:7], 2, v[2:3]
	v_add_u32_e32 v6, 0xc00, v4
	v_add_u32_e32 v24, 0xc00, v5
	v_mov_b32_e32 v25, v7
	ds_read2st64_b32 v[46:47], v12 offset0:112 offset1:120
	v_lshl_add_u64 v[16:17], v[16:17], 2, v[2:3]
	v_lshl_add_u64 v[20:21], v[20:21], 2, v[2:3]
	s_waitcnt lgkmcnt(7)
	global_store_dword v[48:49], v14, off
	global_store_dword v[50:51], v15, off
	s_waitcnt lgkmcnt(5)
	global_store_dword v[52:53], v18, off
	global_store_dword v[16:17], v19, off
	;; [unrolled: 3-line block ×3, first 2 shown]
	v_lshl_add_u64 v[14:15], v[6:7], 2, v[2:3]
	v_add_u32_e32 v6, 0x1000, v4
	v_add_u32_e32 v28, 0x1000, v5
	v_mov_b32_e32 v29, v7
	v_lshl_add_u64 v[24:25], v[24:25], 2, v[2:3]
	global_store_dword v[14:15], v26, off
	global_store_dword v[24:25], v27, off
	v_lshl_add_u64 v[14:15], v[6:7], 2, v[2:3]
	v_add_u32_e32 v6, 0x1400, v4
	v_add_u32_e32 v36, 0x1400, v5
	v_mov_b32_e32 v37, v7
	v_add_u32_e32 v11, -8, v11
	v_lshl_add_u64 v[28:29], v[28:29], 2, v[2:3]
	global_store_dword v[14:15], v30, off
	global_store_dword v[28:29], v31, off
	v_lshl_add_u64 v[14:15], v[6:7], 2, v[2:3]
	v_add_u32_e32 v6, 0x1800, v4
	v_add_u32_e32 v40, 0x1800, v5
	v_mov_b32_e32 v41, v7
	s_add_i32 s8, s8, 16
	v_lshl_add_u64 v[36:37], v[36:37], 2, v[2:3]
	v_cmp_eq_u32_e32 vcc, 0, v11
	global_store_dword v[14:15], v38, off
	global_store_dword v[36:37], v39, off
	v_lshl_add_u64 v[14:15], v[6:7], 2, v[2:3]
	v_add_u32_e32 v6, 0x1c00, v4
	v_add_u32_e32 v44, 0x1c00, v5
	v_mov_b32_e32 v45, v7
	v_add_u32_e32 v12, 0x8000, v12
	v_lshl_add_u64 v[40:41], v[40:41], 2, v[2:3]
	v_add_u32_e32 v5, 0x2000, v5
	v_mov_b32_e32 v35, s8
	s_or_b64 s[6:7], vcc, s[6:7]
	v_add_u32_e32 v4, 0x2000, v4
	s_waitcnt lgkmcnt(1)
	global_store_dword v[14:15], v42, off
	global_store_dword v[40:41], v43, off
	v_lshl_add_u64 v[14:15], v[6:7], 2, v[2:3]
	v_lshl_add_u64 v[44:45], v[44:45], 2, v[2:3]
	s_waitcnt lgkmcnt(0)
	global_store_dword v[14:15], v46, off
	global_store_dword v[44:45], v47, off
	s_andn2_b64 exec, exec, s[6:7]
	s_cbranch_execnz .LBB358_183
; %bb.184:
	s_or_b64 exec, exec, s[6:7]
.LBB358_185:
	s_or_b64 exec, exec, s[4:5]
	v_and_b32_e32 v1, 7, v10
	v_cmp_ne_u32_e32 vcc, 0, v1
	s_and_saveexec_b64 s[4:5], vcc
	s_cbranch_execz .LBB358_188
; %bb.186:
	v_lshl_or_b32 v9, v35, 11, v9
	s_mov_b64 s[6:7], 0
	v_mov_b32_e32 v7, 0
.LBB358_187:                            ; =>This Inner Loop Header: Depth=1
	ds_read2st64_b32 v[10:11], v9 offset1:8
	v_add_u32_e32 v1, -1, v1
	v_mov_b32_e32 v6, v4
	v_cmp_eq_u32_e32 vcc, 0, v1
	v_add_u32_e32 v4, 0x400, v4
	v_add_u32_e32 v9, 0x1000, v9
	v_lshl_add_u64 v[12:13], v[6:7], 2, v[2:3]
	v_mov_b32_e32 v6, v5
	v_add_u32_e32 v5, 0x400, v5
	s_or_b64 s[6:7], vcc, s[6:7]
	v_lshl_add_u64 v[14:15], v[6:7], 2, v[2:3]
	s_waitcnt lgkmcnt(0)
	global_store_dword v[12:13], v10, off
	global_store_dword v[14:15], v11, off
	s_andn2_b64 exec, exec, s[6:7]
	s_cbranch_execnz .LBB358_187
.LBB358_188:
	s_or_b64 exec, exec, s[4:5]
	v_add_u32_e32 v1, 1, v8
	v_and_b32_e32 v5, 0xfffffe, v1
	v_cmp_ne_u32_e32 vcc, v1, v5
	v_lshl_or_b32 v4, v5, 9, v0
	s_orn2_b64 s[4:5], vcc, exec
.LBB358_189:
	s_or_b64 exec, exec, s[2:3]
	s_and_b64 exec, exec, s[4:5]
	s_cbranch_execz .LBB358_192
; %bb.190:
	v_lshlrev_b32_e32 v1, 2, v4
	s_mov_b64 s[2:3], 0
	v_mov_b32_e32 v5, 0
.LBB358_191:                            ; =>This Inner Loop Header: Depth=1
	ds_read_b32 v8, v1
	v_lshl_add_u64 v[6:7], v[4:5], 2, v[2:3]
	v_add_u32_e32 v4, 0x200, v4
	v_cmp_ge_u32_e32 vcc, v4, v32
	v_add_u32_e32 v1, 0x800, v1
	s_or_b64 s[2:3], vcc, s[2:3]
	s_waitcnt lgkmcnt(0)
	global_store_dword v[6:7], v8, off
	s_andn2_b64 exec, exec, s[2:3]
	s_cbranch_execnz .LBB358_191
.LBB358_192:
	s_or_b64 exec, exec, s[0:1]
	v_cmp_eq_u32_e32 vcc, 0, v0
	s_and_b64 s[0:1], vcc, s[38:39]
	s_and_saveexec_b64 s[2:3], s[0:1]
	s_cbranch_execz .LBB358_102
.LBB358_193:
	v_mov_b32_e32 v33, 0
	v_lshl_add_u64 v[0:1], s[34:35], 0, v[32:33]
	v_mov_b32_e32 v35, v33
	v_lshl_add_u64 v[0:1], v[0:1], 0, v[34:35]
	global_store_dwordx2 v33, v[0:1], s[36:37]
	s_endpgm
	.section	.rodata,"a",@progbits
	.p2align	6, 0x0
	.amdhsa_kernel _ZN7rocprim17ROCPRIM_400000_NS6detail17trampoline_kernelINS0_14default_configENS1_25partition_config_selectorILNS1_17partition_subalgoE8EfNS0_10empty_typeEbEEZZNS1_14partition_implILS5_8ELb0ES3_jPKfPS6_PKS6_NS0_5tupleIJPfS6_EEENSE_IJSB_SB_EEENS0_18inequality_wrapperIN6hipcub16HIPCUB_304000_NS8EqualityEEEPlJS6_EEE10hipError_tPvRmT3_T4_T5_T6_T7_T9_mT8_P12ihipStream_tbDpT10_ENKUlT_T0_E_clISt17integral_constantIbLb1EES16_IbLb0EEEEDaS12_S13_EUlS12_E_NS1_11comp_targetILNS1_3genE5ELNS1_11target_archE942ELNS1_3gpuE9ELNS1_3repE0EEENS1_30default_config_static_selectorELNS0_4arch9wavefront6targetE1EEEvT1_
		.amdhsa_group_segment_fixed_size 30728
		.amdhsa_private_segment_fixed_size 0
		.amdhsa_kernarg_size 112
		.amdhsa_user_sgpr_count 2
		.amdhsa_user_sgpr_dispatch_ptr 0
		.amdhsa_user_sgpr_queue_ptr 0
		.amdhsa_user_sgpr_kernarg_segment_ptr 1
		.amdhsa_user_sgpr_dispatch_id 0
		.amdhsa_user_sgpr_kernarg_preload_length 0
		.amdhsa_user_sgpr_kernarg_preload_offset 0
		.amdhsa_user_sgpr_private_segment_size 0
		.amdhsa_uses_dynamic_stack 0
		.amdhsa_enable_private_segment 0
		.amdhsa_system_sgpr_workgroup_id_x 1
		.amdhsa_system_sgpr_workgroup_id_y 0
		.amdhsa_system_sgpr_workgroup_id_z 0
		.amdhsa_system_sgpr_workgroup_info 0
		.amdhsa_system_vgpr_workitem_id 0
		.amdhsa_next_free_vgpr 74
		.amdhsa_next_free_sgpr 48
		.amdhsa_accum_offset 76
		.amdhsa_reserve_vcc 1
		.amdhsa_float_round_mode_32 0
		.amdhsa_float_round_mode_16_64 0
		.amdhsa_float_denorm_mode_32 3
		.amdhsa_float_denorm_mode_16_64 3
		.amdhsa_dx10_clamp 1
		.amdhsa_ieee_mode 1
		.amdhsa_fp16_overflow 0
		.amdhsa_tg_split 0
		.amdhsa_exception_fp_ieee_invalid_op 0
		.amdhsa_exception_fp_denorm_src 0
		.amdhsa_exception_fp_ieee_div_zero 0
		.amdhsa_exception_fp_ieee_overflow 0
		.amdhsa_exception_fp_ieee_underflow 0
		.amdhsa_exception_fp_ieee_inexact 0
		.amdhsa_exception_int_div_zero 0
	.end_amdhsa_kernel
	.section	.text._ZN7rocprim17ROCPRIM_400000_NS6detail17trampoline_kernelINS0_14default_configENS1_25partition_config_selectorILNS1_17partition_subalgoE8EfNS0_10empty_typeEbEEZZNS1_14partition_implILS5_8ELb0ES3_jPKfPS6_PKS6_NS0_5tupleIJPfS6_EEENSE_IJSB_SB_EEENS0_18inequality_wrapperIN6hipcub16HIPCUB_304000_NS8EqualityEEEPlJS6_EEE10hipError_tPvRmT3_T4_T5_T6_T7_T9_mT8_P12ihipStream_tbDpT10_ENKUlT_T0_E_clISt17integral_constantIbLb1EES16_IbLb0EEEEDaS12_S13_EUlS12_E_NS1_11comp_targetILNS1_3genE5ELNS1_11target_archE942ELNS1_3gpuE9ELNS1_3repE0EEENS1_30default_config_static_selectorELNS0_4arch9wavefront6targetE1EEEvT1_,"axG",@progbits,_ZN7rocprim17ROCPRIM_400000_NS6detail17trampoline_kernelINS0_14default_configENS1_25partition_config_selectorILNS1_17partition_subalgoE8EfNS0_10empty_typeEbEEZZNS1_14partition_implILS5_8ELb0ES3_jPKfPS6_PKS6_NS0_5tupleIJPfS6_EEENSE_IJSB_SB_EEENS0_18inequality_wrapperIN6hipcub16HIPCUB_304000_NS8EqualityEEEPlJS6_EEE10hipError_tPvRmT3_T4_T5_T6_T7_T9_mT8_P12ihipStream_tbDpT10_ENKUlT_T0_E_clISt17integral_constantIbLb1EES16_IbLb0EEEEDaS12_S13_EUlS12_E_NS1_11comp_targetILNS1_3genE5ELNS1_11target_archE942ELNS1_3gpuE9ELNS1_3repE0EEENS1_30default_config_static_selectorELNS0_4arch9wavefront6targetE1EEEvT1_,comdat
.Lfunc_end358:
	.size	_ZN7rocprim17ROCPRIM_400000_NS6detail17trampoline_kernelINS0_14default_configENS1_25partition_config_selectorILNS1_17partition_subalgoE8EfNS0_10empty_typeEbEEZZNS1_14partition_implILS5_8ELb0ES3_jPKfPS6_PKS6_NS0_5tupleIJPfS6_EEENSE_IJSB_SB_EEENS0_18inequality_wrapperIN6hipcub16HIPCUB_304000_NS8EqualityEEEPlJS6_EEE10hipError_tPvRmT3_T4_T5_T6_T7_T9_mT8_P12ihipStream_tbDpT10_ENKUlT_T0_E_clISt17integral_constantIbLb1EES16_IbLb0EEEEDaS12_S13_EUlS12_E_NS1_11comp_targetILNS1_3genE5ELNS1_11target_archE942ELNS1_3gpuE9ELNS1_3repE0EEENS1_30default_config_static_selectorELNS0_4arch9wavefront6targetE1EEEvT1_, .Lfunc_end358-_ZN7rocprim17ROCPRIM_400000_NS6detail17trampoline_kernelINS0_14default_configENS1_25partition_config_selectorILNS1_17partition_subalgoE8EfNS0_10empty_typeEbEEZZNS1_14partition_implILS5_8ELb0ES3_jPKfPS6_PKS6_NS0_5tupleIJPfS6_EEENSE_IJSB_SB_EEENS0_18inequality_wrapperIN6hipcub16HIPCUB_304000_NS8EqualityEEEPlJS6_EEE10hipError_tPvRmT3_T4_T5_T6_T7_T9_mT8_P12ihipStream_tbDpT10_ENKUlT_T0_E_clISt17integral_constantIbLb1EES16_IbLb0EEEEDaS12_S13_EUlS12_E_NS1_11comp_targetILNS1_3genE5ELNS1_11target_archE942ELNS1_3gpuE9ELNS1_3repE0EEENS1_30default_config_static_selectorELNS0_4arch9wavefront6targetE1EEEvT1_
                                        ; -- End function
	.section	.AMDGPU.csdata,"",@progbits
; Kernel info:
; codeLenInByte = 7932
; NumSgprs: 54
; NumVgprs: 74
; NumAgprs: 0
; TotalNumVgprs: 74
; ScratchSize: 0
; MemoryBound: 0
; FloatMode: 240
; IeeeMode: 1
; LDSByteSize: 30728 bytes/workgroup (compile time only)
; SGPRBlocks: 6
; VGPRBlocks: 9
; NumSGPRsForWavesPerEU: 54
; NumVGPRsForWavesPerEU: 74
; AccumOffset: 76
; Occupancy: 4
; WaveLimiterHint : 1
; COMPUTE_PGM_RSRC2:SCRATCH_EN: 0
; COMPUTE_PGM_RSRC2:USER_SGPR: 2
; COMPUTE_PGM_RSRC2:TRAP_HANDLER: 0
; COMPUTE_PGM_RSRC2:TGID_X_EN: 1
; COMPUTE_PGM_RSRC2:TGID_Y_EN: 0
; COMPUTE_PGM_RSRC2:TGID_Z_EN: 0
; COMPUTE_PGM_RSRC2:TIDIG_COMP_CNT: 0
; COMPUTE_PGM_RSRC3_GFX90A:ACCUM_OFFSET: 18
; COMPUTE_PGM_RSRC3_GFX90A:TG_SPLIT: 0
	.section	.text._ZN7rocprim17ROCPRIM_400000_NS6detail17trampoline_kernelINS0_14default_configENS1_25partition_config_selectorILNS1_17partition_subalgoE8EfNS0_10empty_typeEbEEZZNS1_14partition_implILS5_8ELb0ES3_jPKfPS6_PKS6_NS0_5tupleIJPfS6_EEENSE_IJSB_SB_EEENS0_18inequality_wrapperIN6hipcub16HIPCUB_304000_NS8EqualityEEEPlJS6_EEE10hipError_tPvRmT3_T4_T5_T6_T7_T9_mT8_P12ihipStream_tbDpT10_ENKUlT_T0_E_clISt17integral_constantIbLb1EES16_IbLb0EEEEDaS12_S13_EUlS12_E_NS1_11comp_targetILNS1_3genE4ELNS1_11target_archE910ELNS1_3gpuE8ELNS1_3repE0EEENS1_30default_config_static_selectorELNS0_4arch9wavefront6targetE1EEEvT1_,"axG",@progbits,_ZN7rocprim17ROCPRIM_400000_NS6detail17trampoline_kernelINS0_14default_configENS1_25partition_config_selectorILNS1_17partition_subalgoE8EfNS0_10empty_typeEbEEZZNS1_14partition_implILS5_8ELb0ES3_jPKfPS6_PKS6_NS0_5tupleIJPfS6_EEENSE_IJSB_SB_EEENS0_18inequality_wrapperIN6hipcub16HIPCUB_304000_NS8EqualityEEEPlJS6_EEE10hipError_tPvRmT3_T4_T5_T6_T7_T9_mT8_P12ihipStream_tbDpT10_ENKUlT_T0_E_clISt17integral_constantIbLb1EES16_IbLb0EEEEDaS12_S13_EUlS12_E_NS1_11comp_targetILNS1_3genE4ELNS1_11target_archE910ELNS1_3gpuE8ELNS1_3repE0EEENS1_30default_config_static_selectorELNS0_4arch9wavefront6targetE1EEEvT1_,comdat
	.protected	_ZN7rocprim17ROCPRIM_400000_NS6detail17trampoline_kernelINS0_14default_configENS1_25partition_config_selectorILNS1_17partition_subalgoE8EfNS0_10empty_typeEbEEZZNS1_14partition_implILS5_8ELb0ES3_jPKfPS6_PKS6_NS0_5tupleIJPfS6_EEENSE_IJSB_SB_EEENS0_18inequality_wrapperIN6hipcub16HIPCUB_304000_NS8EqualityEEEPlJS6_EEE10hipError_tPvRmT3_T4_T5_T6_T7_T9_mT8_P12ihipStream_tbDpT10_ENKUlT_T0_E_clISt17integral_constantIbLb1EES16_IbLb0EEEEDaS12_S13_EUlS12_E_NS1_11comp_targetILNS1_3genE4ELNS1_11target_archE910ELNS1_3gpuE8ELNS1_3repE0EEENS1_30default_config_static_selectorELNS0_4arch9wavefront6targetE1EEEvT1_ ; -- Begin function _ZN7rocprim17ROCPRIM_400000_NS6detail17trampoline_kernelINS0_14default_configENS1_25partition_config_selectorILNS1_17partition_subalgoE8EfNS0_10empty_typeEbEEZZNS1_14partition_implILS5_8ELb0ES3_jPKfPS6_PKS6_NS0_5tupleIJPfS6_EEENSE_IJSB_SB_EEENS0_18inequality_wrapperIN6hipcub16HIPCUB_304000_NS8EqualityEEEPlJS6_EEE10hipError_tPvRmT3_T4_T5_T6_T7_T9_mT8_P12ihipStream_tbDpT10_ENKUlT_T0_E_clISt17integral_constantIbLb1EES16_IbLb0EEEEDaS12_S13_EUlS12_E_NS1_11comp_targetILNS1_3genE4ELNS1_11target_archE910ELNS1_3gpuE8ELNS1_3repE0EEENS1_30default_config_static_selectorELNS0_4arch9wavefront6targetE1EEEvT1_
	.globl	_ZN7rocprim17ROCPRIM_400000_NS6detail17trampoline_kernelINS0_14default_configENS1_25partition_config_selectorILNS1_17partition_subalgoE8EfNS0_10empty_typeEbEEZZNS1_14partition_implILS5_8ELb0ES3_jPKfPS6_PKS6_NS0_5tupleIJPfS6_EEENSE_IJSB_SB_EEENS0_18inequality_wrapperIN6hipcub16HIPCUB_304000_NS8EqualityEEEPlJS6_EEE10hipError_tPvRmT3_T4_T5_T6_T7_T9_mT8_P12ihipStream_tbDpT10_ENKUlT_T0_E_clISt17integral_constantIbLb1EES16_IbLb0EEEEDaS12_S13_EUlS12_E_NS1_11comp_targetILNS1_3genE4ELNS1_11target_archE910ELNS1_3gpuE8ELNS1_3repE0EEENS1_30default_config_static_selectorELNS0_4arch9wavefront6targetE1EEEvT1_
	.p2align	8
	.type	_ZN7rocprim17ROCPRIM_400000_NS6detail17trampoline_kernelINS0_14default_configENS1_25partition_config_selectorILNS1_17partition_subalgoE8EfNS0_10empty_typeEbEEZZNS1_14partition_implILS5_8ELb0ES3_jPKfPS6_PKS6_NS0_5tupleIJPfS6_EEENSE_IJSB_SB_EEENS0_18inequality_wrapperIN6hipcub16HIPCUB_304000_NS8EqualityEEEPlJS6_EEE10hipError_tPvRmT3_T4_T5_T6_T7_T9_mT8_P12ihipStream_tbDpT10_ENKUlT_T0_E_clISt17integral_constantIbLb1EES16_IbLb0EEEEDaS12_S13_EUlS12_E_NS1_11comp_targetILNS1_3genE4ELNS1_11target_archE910ELNS1_3gpuE8ELNS1_3repE0EEENS1_30default_config_static_selectorELNS0_4arch9wavefront6targetE1EEEvT1_,@function
_ZN7rocprim17ROCPRIM_400000_NS6detail17trampoline_kernelINS0_14default_configENS1_25partition_config_selectorILNS1_17partition_subalgoE8EfNS0_10empty_typeEbEEZZNS1_14partition_implILS5_8ELb0ES3_jPKfPS6_PKS6_NS0_5tupleIJPfS6_EEENSE_IJSB_SB_EEENS0_18inequality_wrapperIN6hipcub16HIPCUB_304000_NS8EqualityEEEPlJS6_EEE10hipError_tPvRmT3_T4_T5_T6_T7_T9_mT8_P12ihipStream_tbDpT10_ENKUlT_T0_E_clISt17integral_constantIbLb1EES16_IbLb0EEEEDaS12_S13_EUlS12_E_NS1_11comp_targetILNS1_3genE4ELNS1_11target_archE910ELNS1_3gpuE8ELNS1_3repE0EEENS1_30default_config_static_selectorELNS0_4arch9wavefront6targetE1EEEvT1_: ; @_ZN7rocprim17ROCPRIM_400000_NS6detail17trampoline_kernelINS0_14default_configENS1_25partition_config_selectorILNS1_17partition_subalgoE8EfNS0_10empty_typeEbEEZZNS1_14partition_implILS5_8ELb0ES3_jPKfPS6_PKS6_NS0_5tupleIJPfS6_EEENSE_IJSB_SB_EEENS0_18inequality_wrapperIN6hipcub16HIPCUB_304000_NS8EqualityEEEPlJS6_EEE10hipError_tPvRmT3_T4_T5_T6_T7_T9_mT8_P12ihipStream_tbDpT10_ENKUlT_T0_E_clISt17integral_constantIbLb1EES16_IbLb0EEEEDaS12_S13_EUlS12_E_NS1_11comp_targetILNS1_3genE4ELNS1_11target_archE910ELNS1_3gpuE8ELNS1_3repE0EEENS1_30default_config_static_selectorELNS0_4arch9wavefront6targetE1EEEvT1_
; %bb.0:
	.section	.rodata,"a",@progbits
	.p2align	6, 0x0
	.amdhsa_kernel _ZN7rocprim17ROCPRIM_400000_NS6detail17trampoline_kernelINS0_14default_configENS1_25partition_config_selectorILNS1_17partition_subalgoE8EfNS0_10empty_typeEbEEZZNS1_14partition_implILS5_8ELb0ES3_jPKfPS6_PKS6_NS0_5tupleIJPfS6_EEENSE_IJSB_SB_EEENS0_18inequality_wrapperIN6hipcub16HIPCUB_304000_NS8EqualityEEEPlJS6_EEE10hipError_tPvRmT3_T4_T5_T6_T7_T9_mT8_P12ihipStream_tbDpT10_ENKUlT_T0_E_clISt17integral_constantIbLb1EES16_IbLb0EEEEDaS12_S13_EUlS12_E_NS1_11comp_targetILNS1_3genE4ELNS1_11target_archE910ELNS1_3gpuE8ELNS1_3repE0EEENS1_30default_config_static_selectorELNS0_4arch9wavefront6targetE1EEEvT1_
		.amdhsa_group_segment_fixed_size 0
		.amdhsa_private_segment_fixed_size 0
		.amdhsa_kernarg_size 112
		.amdhsa_user_sgpr_count 2
		.amdhsa_user_sgpr_dispatch_ptr 0
		.amdhsa_user_sgpr_queue_ptr 0
		.amdhsa_user_sgpr_kernarg_segment_ptr 1
		.amdhsa_user_sgpr_dispatch_id 0
		.amdhsa_user_sgpr_kernarg_preload_length 0
		.amdhsa_user_sgpr_kernarg_preload_offset 0
		.amdhsa_user_sgpr_private_segment_size 0
		.amdhsa_uses_dynamic_stack 0
		.amdhsa_enable_private_segment 0
		.amdhsa_system_sgpr_workgroup_id_x 1
		.amdhsa_system_sgpr_workgroup_id_y 0
		.amdhsa_system_sgpr_workgroup_id_z 0
		.amdhsa_system_sgpr_workgroup_info 0
		.amdhsa_system_vgpr_workitem_id 0
		.amdhsa_next_free_vgpr 1
		.amdhsa_next_free_sgpr 0
		.amdhsa_accum_offset 4
		.amdhsa_reserve_vcc 0
		.amdhsa_float_round_mode_32 0
		.amdhsa_float_round_mode_16_64 0
		.amdhsa_float_denorm_mode_32 3
		.amdhsa_float_denorm_mode_16_64 3
		.amdhsa_dx10_clamp 1
		.amdhsa_ieee_mode 1
		.amdhsa_fp16_overflow 0
		.amdhsa_tg_split 0
		.amdhsa_exception_fp_ieee_invalid_op 0
		.amdhsa_exception_fp_denorm_src 0
		.amdhsa_exception_fp_ieee_div_zero 0
		.amdhsa_exception_fp_ieee_overflow 0
		.amdhsa_exception_fp_ieee_underflow 0
		.amdhsa_exception_fp_ieee_inexact 0
		.amdhsa_exception_int_div_zero 0
	.end_amdhsa_kernel
	.section	.text._ZN7rocprim17ROCPRIM_400000_NS6detail17trampoline_kernelINS0_14default_configENS1_25partition_config_selectorILNS1_17partition_subalgoE8EfNS0_10empty_typeEbEEZZNS1_14partition_implILS5_8ELb0ES3_jPKfPS6_PKS6_NS0_5tupleIJPfS6_EEENSE_IJSB_SB_EEENS0_18inequality_wrapperIN6hipcub16HIPCUB_304000_NS8EqualityEEEPlJS6_EEE10hipError_tPvRmT3_T4_T5_T6_T7_T9_mT8_P12ihipStream_tbDpT10_ENKUlT_T0_E_clISt17integral_constantIbLb1EES16_IbLb0EEEEDaS12_S13_EUlS12_E_NS1_11comp_targetILNS1_3genE4ELNS1_11target_archE910ELNS1_3gpuE8ELNS1_3repE0EEENS1_30default_config_static_selectorELNS0_4arch9wavefront6targetE1EEEvT1_,"axG",@progbits,_ZN7rocprim17ROCPRIM_400000_NS6detail17trampoline_kernelINS0_14default_configENS1_25partition_config_selectorILNS1_17partition_subalgoE8EfNS0_10empty_typeEbEEZZNS1_14partition_implILS5_8ELb0ES3_jPKfPS6_PKS6_NS0_5tupleIJPfS6_EEENSE_IJSB_SB_EEENS0_18inequality_wrapperIN6hipcub16HIPCUB_304000_NS8EqualityEEEPlJS6_EEE10hipError_tPvRmT3_T4_T5_T6_T7_T9_mT8_P12ihipStream_tbDpT10_ENKUlT_T0_E_clISt17integral_constantIbLb1EES16_IbLb0EEEEDaS12_S13_EUlS12_E_NS1_11comp_targetILNS1_3genE4ELNS1_11target_archE910ELNS1_3gpuE8ELNS1_3repE0EEENS1_30default_config_static_selectorELNS0_4arch9wavefront6targetE1EEEvT1_,comdat
.Lfunc_end359:
	.size	_ZN7rocprim17ROCPRIM_400000_NS6detail17trampoline_kernelINS0_14default_configENS1_25partition_config_selectorILNS1_17partition_subalgoE8EfNS0_10empty_typeEbEEZZNS1_14partition_implILS5_8ELb0ES3_jPKfPS6_PKS6_NS0_5tupleIJPfS6_EEENSE_IJSB_SB_EEENS0_18inequality_wrapperIN6hipcub16HIPCUB_304000_NS8EqualityEEEPlJS6_EEE10hipError_tPvRmT3_T4_T5_T6_T7_T9_mT8_P12ihipStream_tbDpT10_ENKUlT_T0_E_clISt17integral_constantIbLb1EES16_IbLb0EEEEDaS12_S13_EUlS12_E_NS1_11comp_targetILNS1_3genE4ELNS1_11target_archE910ELNS1_3gpuE8ELNS1_3repE0EEENS1_30default_config_static_selectorELNS0_4arch9wavefront6targetE1EEEvT1_, .Lfunc_end359-_ZN7rocprim17ROCPRIM_400000_NS6detail17trampoline_kernelINS0_14default_configENS1_25partition_config_selectorILNS1_17partition_subalgoE8EfNS0_10empty_typeEbEEZZNS1_14partition_implILS5_8ELb0ES3_jPKfPS6_PKS6_NS0_5tupleIJPfS6_EEENSE_IJSB_SB_EEENS0_18inequality_wrapperIN6hipcub16HIPCUB_304000_NS8EqualityEEEPlJS6_EEE10hipError_tPvRmT3_T4_T5_T6_T7_T9_mT8_P12ihipStream_tbDpT10_ENKUlT_T0_E_clISt17integral_constantIbLb1EES16_IbLb0EEEEDaS12_S13_EUlS12_E_NS1_11comp_targetILNS1_3genE4ELNS1_11target_archE910ELNS1_3gpuE8ELNS1_3repE0EEENS1_30default_config_static_selectorELNS0_4arch9wavefront6targetE1EEEvT1_
                                        ; -- End function
	.section	.AMDGPU.csdata,"",@progbits
; Kernel info:
; codeLenInByte = 0
; NumSgprs: 6
; NumVgprs: 0
; NumAgprs: 0
; TotalNumVgprs: 0
; ScratchSize: 0
; MemoryBound: 0
; FloatMode: 240
; IeeeMode: 1
; LDSByteSize: 0 bytes/workgroup (compile time only)
; SGPRBlocks: 0
; VGPRBlocks: 0
; NumSGPRsForWavesPerEU: 6
; NumVGPRsForWavesPerEU: 1
; AccumOffset: 4
; Occupancy: 8
; WaveLimiterHint : 0
; COMPUTE_PGM_RSRC2:SCRATCH_EN: 0
; COMPUTE_PGM_RSRC2:USER_SGPR: 2
; COMPUTE_PGM_RSRC2:TRAP_HANDLER: 0
; COMPUTE_PGM_RSRC2:TGID_X_EN: 1
; COMPUTE_PGM_RSRC2:TGID_Y_EN: 0
; COMPUTE_PGM_RSRC2:TGID_Z_EN: 0
; COMPUTE_PGM_RSRC2:TIDIG_COMP_CNT: 0
; COMPUTE_PGM_RSRC3_GFX90A:ACCUM_OFFSET: 0
; COMPUTE_PGM_RSRC3_GFX90A:TG_SPLIT: 0
	.section	.text._ZN7rocprim17ROCPRIM_400000_NS6detail17trampoline_kernelINS0_14default_configENS1_25partition_config_selectorILNS1_17partition_subalgoE8EfNS0_10empty_typeEbEEZZNS1_14partition_implILS5_8ELb0ES3_jPKfPS6_PKS6_NS0_5tupleIJPfS6_EEENSE_IJSB_SB_EEENS0_18inequality_wrapperIN6hipcub16HIPCUB_304000_NS8EqualityEEEPlJS6_EEE10hipError_tPvRmT3_T4_T5_T6_T7_T9_mT8_P12ihipStream_tbDpT10_ENKUlT_T0_E_clISt17integral_constantIbLb1EES16_IbLb0EEEEDaS12_S13_EUlS12_E_NS1_11comp_targetILNS1_3genE3ELNS1_11target_archE908ELNS1_3gpuE7ELNS1_3repE0EEENS1_30default_config_static_selectorELNS0_4arch9wavefront6targetE1EEEvT1_,"axG",@progbits,_ZN7rocprim17ROCPRIM_400000_NS6detail17trampoline_kernelINS0_14default_configENS1_25partition_config_selectorILNS1_17partition_subalgoE8EfNS0_10empty_typeEbEEZZNS1_14partition_implILS5_8ELb0ES3_jPKfPS6_PKS6_NS0_5tupleIJPfS6_EEENSE_IJSB_SB_EEENS0_18inequality_wrapperIN6hipcub16HIPCUB_304000_NS8EqualityEEEPlJS6_EEE10hipError_tPvRmT3_T4_T5_T6_T7_T9_mT8_P12ihipStream_tbDpT10_ENKUlT_T0_E_clISt17integral_constantIbLb1EES16_IbLb0EEEEDaS12_S13_EUlS12_E_NS1_11comp_targetILNS1_3genE3ELNS1_11target_archE908ELNS1_3gpuE7ELNS1_3repE0EEENS1_30default_config_static_selectorELNS0_4arch9wavefront6targetE1EEEvT1_,comdat
	.protected	_ZN7rocprim17ROCPRIM_400000_NS6detail17trampoline_kernelINS0_14default_configENS1_25partition_config_selectorILNS1_17partition_subalgoE8EfNS0_10empty_typeEbEEZZNS1_14partition_implILS5_8ELb0ES3_jPKfPS6_PKS6_NS0_5tupleIJPfS6_EEENSE_IJSB_SB_EEENS0_18inequality_wrapperIN6hipcub16HIPCUB_304000_NS8EqualityEEEPlJS6_EEE10hipError_tPvRmT3_T4_T5_T6_T7_T9_mT8_P12ihipStream_tbDpT10_ENKUlT_T0_E_clISt17integral_constantIbLb1EES16_IbLb0EEEEDaS12_S13_EUlS12_E_NS1_11comp_targetILNS1_3genE3ELNS1_11target_archE908ELNS1_3gpuE7ELNS1_3repE0EEENS1_30default_config_static_selectorELNS0_4arch9wavefront6targetE1EEEvT1_ ; -- Begin function _ZN7rocprim17ROCPRIM_400000_NS6detail17trampoline_kernelINS0_14default_configENS1_25partition_config_selectorILNS1_17partition_subalgoE8EfNS0_10empty_typeEbEEZZNS1_14partition_implILS5_8ELb0ES3_jPKfPS6_PKS6_NS0_5tupleIJPfS6_EEENSE_IJSB_SB_EEENS0_18inequality_wrapperIN6hipcub16HIPCUB_304000_NS8EqualityEEEPlJS6_EEE10hipError_tPvRmT3_T4_T5_T6_T7_T9_mT8_P12ihipStream_tbDpT10_ENKUlT_T0_E_clISt17integral_constantIbLb1EES16_IbLb0EEEEDaS12_S13_EUlS12_E_NS1_11comp_targetILNS1_3genE3ELNS1_11target_archE908ELNS1_3gpuE7ELNS1_3repE0EEENS1_30default_config_static_selectorELNS0_4arch9wavefront6targetE1EEEvT1_
	.globl	_ZN7rocprim17ROCPRIM_400000_NS6detail17trampoline_kernelINS0_14default_configENS1_25partition_config_selectorILNS1_17partition_subalgoE8EfNS0_10empty_typeEbEEZZNS1_14partition_implILS5_8ELb0ES3_jPKfPS6_PKS6_NS0_5tupleIJPfS6_EEENSE_IJSB_SB_EEENS0_18inequality_wrapperIN6hipcub16HIPCUB_304000_NS8EqualityEEEPlJS6_EEE10hipError_tPvRmT3_T4_T5_T6_T7_T9_mT8_P12ihipStream_tbDpT10_ENKUlT_T0_E_clISt17integral_constantIbLb1EES16_IbLb0EEEEDaS12_S13_EUlS12_E_NS1_11comp_targetILNS1_3genE3ELNS1_11target_archE908ELNS1_3gpuE7ELNS1_3repE0EEENS1_30default_config_static_selectorELNS0_4arch9wavefront6targetE1EEEvT1_
	.p2align	8
	.type	_ZN7rocprim17ROCPRIM_400000_NS6detail17trampoline_kernelINS0_14default_configENS1_25partition_config_selectorILNS1_17partition_subalgoE8EfNS0_10empty_typeEbEEZZNS1_14partition_implILS5_8ELb0ES3_jPKfPS6_PKS6_NS0_5tupleIJPfS6_EEENSE_IJSB_SB_EEENS0_18inequality_wrapperIN6hipcub16HIPCUB_304000_NS8EqualityEEEPlJS6_EEE10hipError_tPvRmT3_T4_T5_T6_T7_T9_mT8_P12ihipStream_tbDpT10_ENKUlT_T0_E_clISt17integral_constantIbLb1EES16_IbLb0EEEEDaS12_S13_EUlS12_E_NS1_11comp_targetILNS1_3genE3ELNS1_11target_archE908ELNS1_3gpuE7ELNS1_3repE0EEENS1_30default_config_static_selectorELNS0_4arch9wavefront6targetE1EEEvT1_,@function
_ZN7rocprim17ROCPRIM_400000_NS6detail17trampoline_kernelINS0_14default_configENS1_25partition_config_selectorILNS1_17partition_subalgoE8EfNS0_10empty_typeEbEEZZNS1_14partition_implILS5_8ELb0ES3_jPKfPS6_PKS6_NS0_5tupleIJPfS6_EEENSE_IJSB_SB_EEENS0_18inequality_wrapperIN6hipcub16HIPCUB_304000_NS8EqualityEEEPlJS6_EEE10hipError_tPvRmT3_T4_T5_T6_T7_T9_mT8_P12ihipStream_tbDpT10_ENKUlT_T0_E_clISt17integral_constantIbLb1EES16_IbLb0EEEEDaS12_S13_EUlS12_E_NS1_11comp_targetILNS1_3genE3ELNS1_11target_archE908ELNS1_3gpuE7ELNS1_3repE0EEENS1_30default_config_static_selectorELNS0_4arch9wavefront6targetE1EEEvT1_: ; @_ZN7rocprim17ROCPRIM_400000_NS6detail17trampoline_kernelINS0_14default_configENS1_25partition_config_selectorILNS1_17partition_subalgoE8EfNS0_10empty_typeEbEEZZNS1_14partition_implILS5_8ELb0ES3_jPKfPS6_PKS6_NS0_5tupleIJPfS6_EEENSE_IJSB_SB_EEENS0_18inequality_wrapperIN6hipcub16HIPCUB_304000_NS8EqualityEEEPlJS6_EEE10hipError_tPvRmT3_T4_T5_T6_T7_T9_mT8_P12ihipStream_tbDpT10_ENKUlT_T0_E_clISt17integral_constantIbLb1EES16_IbLb0EEEEDaS12_S13_EUlS12_E_NS1_11comp_targetILNS1_3genE3ELNS1_11target_archE908ELNS1_3gpuE7ELNS1_3repE0EEENS1_30default_config_static_selectorELNS0_4arch9wavefront6targetE1EEEvT1_
; %bb.0:
	.section	.rodata,"a",@progbits
	.p2align	6, 0x0
	.amdhsa_kernel _ZN7rocprim17ROCPRIM_400000_NS6detail17trampoline_kernelINS0_14default_configENS1_25partition_config_selectorILNS1_17partition_subalgoE8EfNS0_10empty_typeEbEEZZNS1_14partition_implILS5_8ELb0ES3_jPKfPS6_PKS6_NS0_5tupleIJPfS6_EEENSE_IJSB_SB_EEENS0_18inequality_wrapperIN6hipcub16HIPCUB_304000_NS8EqualityEEEPlJS6_EEE10hipError_tPvRmT3_T4_T5_T6_T7_T9_mT8_P12ihipStream_tbDpT10_ENKUlT_T0_E_clISt17integral_constantIbLb1EES16_IbLb0EEEEDaS12_S13_EUlS12_E_NS1_11comp_targetILNS1_3genE3ELNS1_11target_archE908ELNS1_3gpuE7ELNS1_3repE0EEENS1_30default_config_static_selectorELNS0_4arch9wavefront6targetE1EEEvT1_
		.amdhsa_group_segment_fixed_size 0
		.amdhsa_private_segment_fixed_size 0
		.amdhsa_kernarg_size 112
		.amdhsa_user_sgpr_count 2
		.amdhsa_user_sgpr_dispatch_ptr 0
		.amdhsa_user_sgpr_queue_ptr 0
		.amdhsa_user_sgpr_kernarg_segment_ptr 1
		.amdhsa_user_sgpr_dispatch_id 0
		.amdhsa_user_sgpr_kernarg_preload_length 0
		.amdhsa_user_sgpr_kernarg_preload_offset 0
		.amdhsa_user_sgpr_private_segment_size 0
		.amdhsa_uses_dynamic_stack 0
		.amdhsa_enable_private_segment 0
		.amdhsa_system_sgpr_workgroup_id_x 1
		.amdhsa_system_sgpr_workgroup_id_y 0
		.amdhsa_system_sgpr_workgroup_id_z 0
		.amdhsa_system_sgpr_workgroup_info 0
		.amdhsa_system_vgpr_workitem_id 0
		.amdhsa_next_free_vgpr 1
		.amdhsa_next_free_sgpr 0
		.amdhsa_accum_offset 4
		.amdhsa_reserve_vcc 0
		.amdhsa_float_round_mode_32 0
		.amdhsa_float_round_mode_16_64 0
		.amdhsa_float_denorm_mode_32 3
		.amdhsa_float_denorm_mode_16_64 3
		.amdhsa_dx10_clamp 1
		.amdhsa_ieee_mode 1
		.amdhsa_fp16_overflow 0
		.amdhsa_tg_split 0
		.amdhsa_exception_fp_ieee_invalid_op 0
		.amdhsa_exception_fp_denorm_src 0
		.amdhsa_exception_fp_ieee_div_zero 0
		.amdhsa_exception_fp_ieee_overflow 0
		.amdhsa_exception_fp_ieee_underflow 0
		.amdhsa_exception_fp_ieee_inexact 0
		.amdhsa_exception_int_div_zero 0
	.end_amdhsa_kernel
	.section	.text._ZN7rocprim17ROCPRIM_400000_NS6detail17trampoline_kernelINS0_14default_configENS1_25partition_config_selectorILNS1_17partition_subalgoE8EfNS0_10empty_typeEbEEZZNS1_14partition_implILS5_8ELb0ES3_jPKfPS6_PKS6_NS0_5tupleIJPfS6_EEENSE_IJSB_SB_EEENS0_18inequality_wrapperIN6hipcub16HIPCUB_304000_NS8EqualityEEEPlJS6_EEE10hipError_tPvRmT3_T4_T5_T6_T7_T9_mT8_P12ihipStream_tbDpT10_ENKUlT_T0_E_clISt17integral_constantIbLb1EES16_IbLb0EEEEDaS12_S13_EUlS12_E_NS1_11comp_targetILNS1_3genE3ELNS1_11target_archE908ELNS1_3gpuE7ELNS1_3repE0EEENS1_30default_config_static_selectorELNS0_4arch9wavefront6targetE1EEEvT1_,"axG",@progbits,_ZN7rocprim17ROCPRIM_400000_NS6detail17trampoline_kernelINS0_14default_configENS1_25partition_config_selectorILNS1_17partition_subalgoE8EfNS0_10empty_typeEbEEZZNS1_14partition_implILS5_8ELb0ES3_jPKfPS6_PKS6_NS0_5tupleIJPfS6_EEENSE_IJSB_SB_EEENS0_18inequality_wrapperIN6hipcub16HIPCUB_304000_NS8EqualityEEEPlJS6_EEE10hipError_tPvRmT3_T4_T5_T6_T7_T9_mT8_P12ihipStream_tbDpT10_ENKUlT_T0_E_clISt17integral_constantIbLb1EES16_IbLb0EEEEDaS12_S13_EUlS12_E_NS1_11comp_targetILNS1_3genE3ELNS1_11target_archE908ELNS1_3gpuE7ELNS1_3repE0EEENS1_30default_config_static_selectorELNS0_4arch9wavefront6targetE1EEEvT1_,comdat
.Lfunc_end360:
	.size	_ZN7rocprim17ROCPRIM_400000_NS6detail17trampoline_kernelINS0_14default_configENS1_25partition_config_selectorILNS1_17partition_subalgoE8EfNS0_10empty_typeEbEEZZNS1_14partition_implILS5_8ELb0ES3_jPKfPS6_PKS6_NS0_5tupleIJPfS6_EEENSE_IJSB_SB_EEENS0_18inequality_wrapperIN6hipcub16HIPCUB_304000_NS8EqualityEEEPlJS6_EEE10hipError_tPvRmT3_T4_T5_T6_T7_T9_mT8_P12ihipStream_tbDpT10_ENKUlT_T0_E_clISt17integral_constantIbLb1EES16_IbLb0EEEEDaS12_S13_EUlS12_E_NS1_11comp_targetILNS1_3genE3ELNS1_11target_archE908ELNS1_3gpuE7ELNS1_3repE0EEENS1_30default_config_static_selectorELNS0_4arch9wavefront6targetE1EEEvT1_, .Lfunc_end360-_ZN7rocprim17ROCPRIM_400000_NS6detail17trampoline_kernelINS0_14default_configENS1_25partition_config_selectorILNS1_17partition_subalgoE8EfNS0_10empty_typeEbEEZZNS1_14partition_implILS5_8ELb0ES3_jPKfPS6_PKS6_NS0_5tupleIJPfS6_EEENSE_IJSB_SB_EEENS0_18inequality_wrapperIN6hipcub16HIPCUB_304000_NS8EqualityEEEPlJS6_EEE10hipError_tPvRmT3_T4_T5_T6_T7_T9_mT8_P12ihipStream_tbDpT10_ENKUlT_T0_E_clISt17integral_constantIbLb1EES16_IbLb0EEEEDaS12_S13_EUlS12_E_NS1_11comp_targetILNS1_3genE3ELNS1_11target_archE908ELNS1_3gpuE7ELNS1_3repE0EEENS1_30default_config_static_selectorELNS0_4arch9wavefront6targetE1EEEvT1_
                                        ; -- End function
	.section	.AMDGPU.csdata,"",@progbits
; Kernel info:
; codeLenInByte = 0
; NumSgprs: 6
; NumVgprs: 0
; NumAgprs: 0
; TotalNumVgprs: 0
; ScratchSize: 0
; MemoryBound: 0
; FloatMode: 240
; IeeeMode: 1
; LDSByteSize: 0 bytes/workgroup (compile time only)
; SGPRBlocks: 0
; VGPRBlocks: 0
; NumSGPRsForWavesPerEU: 6
; NumVGPRsForWavesPerEU: 1
; AccumOffset: 4
; Occupancy: 8
; WaveLimiterHint : 0
; COMPUTE_PGM_RSRC2:SCRATCH_EN: 0
; COMPUTE_PGM_RSRC2:USER_SGPR: 2
; COMPUTE_PGM_RSRC2:TRAP_HANDLER: 0
; COMPUTE_PGM_RSRC2:TGID_X_EN: 1
; COMPUTE_PGM_RSRC2:TGID_Y_EN: 0
; COMPUTE_PGM_RSRC2:TGID_Z_EN: 0
; COMPUTE_PGM_RSRC2:TIDIG_COMP_CNT: 0
; COMPUTE_PGM_RSRC3_GFX90A:ACCUM_OFFSET: 0
; COMPUTE_PGM_RSRC3_GFX90A:TG_SPLIT: 0
	.section	.text._ZN7rocprim17ROCPRIM_400000_NS6detail17trampoline_kernelINS0_14default_configENS1_25partition_config_selectorILNS1_17partition_subalgoE8EfNS0_10empty_typeEbEEZZNS1_14partition_implILS5_8ELb0ES3_jPKfPS6_PKS6_NS0_5tupleIJPfS6_EEENSE_IJSB_SB_EEENS0_18inequality_wrapperIN6hipcub16HIPCUB_304000_NS8EqualityEEEPlJS6_EEE10hipError_tPvRmT3_T4_T5_T6_T7_T9_mT8_P12ihipStream_tbDpT10_ENKUlT_T0_E_clISt17integral_constantIbLb1EES16_IbLb0EEEEDaS12_S13_EUlS12_E_NS1_11comp_targetILNS1_3genE2ELNS1_11target_archE906ELNS1_3gpuE6ELNS1_3repE0EEENS1_30default_config_static_selectorELNS0_4arch9wavefront6targetE1EEEvT1_,"axG",@progbits,_ZN7rocprim17ROCPRIM_400000_NS6detail17trampoline_kernelINS0_14default_configENS1_25partition_config_selectorILNS1_17partition_subalgoE8EfNS0_10empty_typeEbEEZZNS1_14partition_implILS5_8ELb0ES3_jPKfPS6_PKS6_NS0_5tupleIJPfS6_EEENSE_IJSB_SB_EEENS0_18inequality_wrapperIN6hipcub16HIPCUB_304000_NS8EqualityEEEPlJS6_EEE10hipError_tPvRmT3_T4_T5_T6_T7_T9_mT8_P12ihipStream_tbDpT10_ENKUlT_T0_E_clISt17integral_constantIbLb1EES16_IbLb0EEEEDaS12_S13_EUlS12_E_NS1_11comp_targetILNS1_3genE2ELNS1_11target_archE906ELNS1_3gpuE6ELNS1_3repE0EEENS1_30default_config_static_selectorELNS0_4arch9wavefront6targetE1EEEvT1_,comdat
	.protected	_ZN7rocprim17ROCPRIM_400000_NS6detail17trampoline_kernelINS0_14default_configENS1_25partition_config_selectorILNS1_17partition_subalgoE8EfNS0_10empty_typeEbEEZZNS1_14partition_implILS5_8ELb0ES3_jPKfPS6_PKS6_NS0_5tupleIJPfS6_EEENSE_IJSB_SB_EEENS0_18inequality_wrapperIN6hipcub16HIPCUB_304000_NS8EqualityEEEPlJS6_EEE10hipError_tPvRmT3_T4_T5_T6_T7_T9_mT8_P12ihipStream_tbDpT10_ENKUlT_T0_E_clISt17integral_constantIbLb1EES16_IbLb0EEEEDaS12_S13_EUlS12_E_NS1_11comp_targetILNS1_3genE2ELNS1_11target_archE906ELNS1_3gpuE6ELNS1_3repE0EEENS1_30default_config_static_selectorELNS0_4arch9wavefront6targetE1EEEvT1_ ; -- Begin function _ZN7rocprim17ROCPRIM_400000_NS6detail17trampoline_kernelINS0_14default_configENS1_25partition_config_selectorILNS1_17partition_subalgoE8EfNS0_10empty_typeEbEEZZNS1_14partition_implILS5_8ELb0ES3_jPKfPS6_PKS6_NS0_5tupleIJPfS6_EEENSE_IJSB_SB_EEENS0_18inequality_wrapperIN6hipcub16HIPCUB_304000_NS8EqualityEEEPlJS6_EEE10hipError_tPvRmT3_T4_T5_T6_T7_T9_mT8_P12ihipStream_tbDpT10_ENKUlT_T0_E_clISt17integral_constantIbLb1EES16_IbLb0EEEEDaS12_S13_EUlS12_E_NS1_11comp_targetILNS1_3genE2ELNS1_11target_archE906ELNS1_3gpuE6ELNS1_3repE0EEENS1_30default_config_static_selectorELNS0_4arch9wavefront6targetE1EEEvT1_
	.globl	_ZN7rocprim17ROCPRIM_400000_NS6detail17trampoline_kernelINS0_14default_configENS1_25partition_config_selectorILNS1_17partition_subalgoE8EfNS0_10empty_typeEbEEZZNS1_14partition_implILS5_8ELb0ES3_jPKfPS6_PKS6_NS0_5tupleIJPfS6_EEENSE_IJSB_SB_EEENS0_18inequality_wrapperIN6hipcub16HIPCUB_304000_NS8EqualityEEEPlJS6_EEE10hipError_tPvRmT3_T4_T5_T6_T7_T9_mT8_P12ihipStream_tbDpT10_ENKUlT_T0_E_clISt17integral_constantIbLb1EES16_IbLb0EEEEDaS12_S13_EUlS12_E_NS1_11comp_targetILNS1_3genE2ELNS1_11target_archE906ELNS1_3gpuE6ELNS1_3repE0EEENS1_30default_config_static_selectorELNS0_4arch9wavefront6targetE1EEEvT1_
	.p2align	8
	.type	_ZN7rocprim17ROCPRIM_400000_NS6detail17trampoline_kernelINS0_14default_configENS1_25partition_config_selectorILNS1_17partition_subalgoE8EfNS0_10empty_typeEbEEZZNS1_14partition_implILS5_8ELb0ES3_jPKfPS6_PKS6_NS0_5tupleIJPfS6_EEENSE_IJSB_SB_EEENS0_18inequality_wrapperIN6hipcub16HIPCUB_304000_NS8EqualityEEEPlJS6_EEE10hipError_tPvRmT3_T4_T5_T6_T7_T9_mT8_P12ihipStream_tbDpT10_ENKUlT_T0_E_clISt17integral_constantIbLb1EES16_IbLb0EEEEDaS12_S13_EUlS12_E_NS1_11comp_targetILNS1_3genE2ELNS1_11target_archE906ELNS1_3gpuE6ELNS1_3repE0EEENS1_30default_config_static_selectorELNS0_4arch9wavefront6targetE1EEEvT1_,@function
_ZN7rocprim17ROCPRIM_400000_NS6detail17trampoline_kernelINS0_14default_configENS1_25partition_config_selectorILNS1_17partition_subalgoE8EfNS0_10empty_typeEbEEZZNS1_14partition_implILS5_8ELb0ES3_jPKfPS6_PKS6_NS0_5tupleIJPfS6_EEENSE_IJSB_SB_EEENS0_18inequality_wrapperIN6hipcub16HIPCUB_304000_NS8EqualityEEEPlJS6_EEE10hipError_tPvRmT3_T4_T5_T6_T7_T9_mT8_P12ihipStream_tbDpT10_ENKUlT_T0_E_clISt17integral_constantIbLb1EES16_IbLb0EEEEDaS12_S13_EUlS12_E_NS1_11comp_targetILNS1_3genE2ELNS1_11target_archE906ELNS1_3gpuE6ELNS1_3repE0EEENS1_30default_config_static_selectorELNS0_4arch9wavefront6targetE1EEEvT1_: ; @_ZN7rocprim17ROCPRIM_400000_NS6detail17trampoline_kernelINS0_14default_configENS1_25partition_config_selectorILNS1_17partition_subalgoE8EfNS0_10empty_typeEbEEZZNS1_14partition_implILS5_8ELb0ES3_jPKfPS6_PKS6_NS0_5tupleIJPfS6_EEENSE_IJSB_SB_EEENS0_18inequality_wrapperIN6hipcub16HIPCUB_304000_NS8EqualityEEEPlJS6_EEE10hipError_tPvRmT3_T4_T5_T6_T7_T9_mT8_P12ihipStream_tbDpT10_ENKUlT_T0_E_clISt17integral_constantIbLb1EES16_IbLb0EEEEDaS12_S13_EUlS12_E_NS1_11comp_targetILNS1_3genE2ELNS1_11target_archE906ELNS1_3gpuE6ELNS1_3repE0EEENS1_30default_config_static_selectorELNS0_4arch9wavefront6targetE1EEEvT1_
; %bb.0:
	.section	.rodata,"a",@progbits
	.p2align	6, 0x0
	.amdhsa_kernel _ZN7rocprim17ROCPRIM_400000_NS6detail17trampoline_kernelINS0_14default_configENS1_25partition_config_selectorILNS1_17partition_subalgoE8EfNS0_10empty_typeEbEEZZNS1_14partition_implILS5_8ELb0ES3_jPKfPS6_PKS6_NS0_5tupleIJPfS6_EEENSE_IJSB_SB_EEENS0_18inequality_wrapperIN6hipcub16HIPCUB_304000_NS8EqualityEEEPlJS6_EEE10hipError_tPvRmT3_T4_T5_T6_T7_T9_mT8_P12ihipStream_tbDpT10_ENKUlT_T0_E_clISt17integral_constantIbLb1EES16_IbLb0EEEEDaS12_S13_EUlS12_E_NS1_11comp_targetILNS1_3genE2ELNS1_11target_archE906ELNS1_3gpuE6ELNS1_3repE0EEENS1_30default_config_static_selectorELNS0_4arch9wavefront6targetE1EEEvT1_
		.amdhsa_group_segment_fixed_size 0
		.amdhsa_private_segment_fixed_size 0
		.amdhsa_kernarg_size 112
		.amdhsa_user_sgpr_count 2
		.amdhsa_user_sgpr_dispatch_ptr 0
		.amdhsa_user_sgpr_queue_ptr 0
		.amdhsa_user_sgpr_kernarg_segment_ptr 1
		.amdhsa_user_sgpr_dispatch_id 0
		.amdhsa_user_sgpr_kernarg_preload_length 0
		.amdhsa_user_sgpr_kernarg_preload_offset 0
		.amdhsa_user_sgpr_private_segment_size 0
		.amdhsa_uses_dynamic_stack 0
		.amdhsa_enable_private_segment 0
		.amdhsa_system_sgpr_workgroup_id_x 1
		.amdhsa_system_sgpr_workgroup_id_y 0
		.amdhsa_system_sgpr_workgroup_id_z 0
		.amdhsa_system_sgpr_workgroup_info 0
		.amdhsa_system_vgpr_workitem_id 0
		.amdhsa_next_free_vgpr 1
		.amdhsa_next_free_sgpr 0
		.amdhsa_accum_offset 4
		.amdhsa_reserve_vcc 0
		.amdhsa_float_round_mode_32 0
		.amdhsa_float_round_mode_16_64 0
		.amdhsa_float_denorm_mode_32 3
		.amdhsa_float_denorm_mode_16_64 3
		.amdhsa_dx10_clamp 1
		.amdhsa_ieee_mode 1
		.amdhsa_fp16_overflow 0
		.amdhsa_tg_split 0
		.amdhsa_exception_fp_ieee_invalid_op 0
		.amdhsa_exception_fp_denorm_src 0
		.amdhsa_exception_fp_ieee_div_zero 0
		.amdhsa_exception_fp_ieee_overflow 0
		.amdhsa_exception_fp_ieee_underflow 0
		.amdhsa_exception_fp_ieee_inexact 0
		.amdhsa_exception_int_div_zero 0
	.end_amdhsa_kernel
	.section	.text._ZN7rocprim17ROCPRIM_400000_NS6detail17trampoline_kernelINS0_14default_configENS1_25partition_config_selectorILNS1_17partition_subalgoE8EfNS0_10empty_typeEbEEZZNS1_14partition_implILS5_8ELb0ES3_jPKfPS6_PKS6_NS0_5tupleIJPfS6_EEENSE_IJSB_SB_EEENS0_18inequality_wrapperIN6hipcub16HIPCUB_304000_NS8EqualityEEEPlJS6_EEE10hipError_tPvRmT3_T4_T5_T6_T7_T9_mT8_P12ihipStream_tbDpT10_ENKUlT_T0_E_clISt17integral_constantIbLb1EES16_IbLb0EEEEDaS12_S13_EUlS12_E_NS1_11comp_targetILNS1_3genE2ELNS1_11target_archE906ELNS1_3gpuE6ELNS1_3repE0EEENS1_30default_config_static_selectorELNS0_4arch9wavefront6targetE1EEEvT1_,"axG",@progbits,_ZN7rocprim17ROCPRIM_400000_NS6detail17trampoline_kernelINS0_14default_configENS1_25partition_config_selectorILNS1_17partition_subalgoE8EfNS0_10empty_typeEbEEZZNS1_14partition_implILS5_8ELb0ES3_jPKfPS6_PKS6_NS0_5tupleIJPfS6_EEENSE_IJSB_SB_EEENS0_18inequality_wrapperIN6hipcub16HIPCUB_304000_NS8EqualityEEEPlJS6_EEE10hipError_tPvRmT3_T4_T5_T6_T7_T9_mT8_P12ihipStream_tbDpT10_ENKUlT_T0_E_clISt17integral_constantIbLb1EES16_IbLb0EEEEDaS12_S13_EUlS12_E_NS1_11comp_targetILNS1_3genE2ELNS1_11target_archE906ELNS1_3gpuE6ELNS1_3repE0EEENS1_30default_config_static_selectorELNS0_4arch9wavefront6targetE1EEEvT1_,comdat
.Lfunc_end361:
	.size	_ZN7rocprim17ROCPRIM_400000_NS6detail17trampoline_kernelINS0_14default_configENS1_25partition_config_selectorILNS1_17partition_subalgoE8EfNS0_10empty_typeEbEEZZNS1_14partition_implILS5_8ELb0ES3_jPKfPS6_PKS6_NS0_5tupleIJPfS6_EEENSE_IJSB_SB_EEENS0_18inequality_wrapperIN6hipcub16HIPCUB_304000_NS8EqualityEEEPlJS6_EEE10hipError_tPvRmT3_T4_T5_T6_T7_T9_mT8_P12ihipStream_tbDpT10_ENKUlT_T0_E_clISt17integral_constantIbLb1EES16_IbLb0EEEEDaS12_S13_EUlS12_E_NS1_11comp_targetILNS1_3genE2ELNS1_11target_archE906ELNS1_3gpuE6ELNS1_3repE0EEENS1_30default_config_static_selectorELNS0_4arch9wavefront6targetE1EEEvT1_, .Lfunc_end361-_ZN7rocprim17ROCPRIM_400000_NS6detail17trampoline_kernelINS0_14default_configENS1_25partition_config_selectorILNS1_17partition_subalgoE8EfNS0_10empty_typeEbEEZZNS1_14partition_implILS5_8ELb0ES3_jPKfPS6_PKS6_NS0_5tupleIJPfS6_EEENSE_IJSB_SB_EEENS0_18inequality_wrapperIN6hipcub16HIPCUB_304000_NS8EqualityEEEPlJS6_EEE10hipError_tPvRmT3_T4_T5_T6_T7_T9_mT8_P12ihipStream_tbDpT10_ENKUlT_T0_E_clISt17integral_constantIbLb1EES16_IbLb0EEEEDaS12_S13_EUlS12_E_NS1_11comp_targetILNS1_3genE2ELNS1_11target_archE906ELNS1_3gpuE6ELNS1_3repE0EEENS1_30default_config_static_selectorELNS0_4arch9wavefront6targetE1EEEvT1_
                                        ; -- End function
	.section	.AMDGPU.csdata,"",@progbits
; Kernel info:
; codeLenInByte = 0
; NumSgprs: 6
; NumVgprs: 0
; NumAgprs: 0
; TotalNumVgprs: 0
; ScratchSize: 0
; MemoryBound: 0
; FloatMode: 240
; IeeeMode: 1
; LDSByteSize: 0 bytes/workgroup (compile time only)
; SGPRBlocks: 0
; VGPRBlocks: 0
; NumSGPRsForWavesPerEU: 6
; NumVGPRsForWavesPerEU: 1
; AccumOffset: 4
; Occupancy: 8
; WaveLimiterHint : 0
; COMPUTE_PGM_RSRC2:SCRATCH_EN: 0
; COMPUTE_PGM_RSRC2:USER_SGPR: 2
; COMPUTE_PGM_RSRC2:TRAP_HANDLER: 0
; COMPUTE_PGM_RSRC2:TGID_X_EN: 1
; COMPUTE_PGM_RSRC2:TGID_Y_EN: 0
; COMPUTE_PGM_RSRC2:TGID_Z_EN: 0
; COMPUTE_PGM_RSRC2:TIDIG_COMP_CNT: 0
; COMPUTE_PGM_RSRC3_GFX90A:ACCUM_OFFSET: 0
; COMPUTE_PGM_RSRC3_GFX90A:TG_SPLIT: 0
	.section	.text._ZN7rocprim17ROCPRIM_400000_NS6detail17trampoline_kernelINS0_14default_configENS1_25partition_config_selectorILNS1_17partition_subalgoE8EfNS0_10empty_typeEbEEZZNS1_14partition_implILS5_8ELb0ES3_jPKfPS6_PKS6_NS0_5tupleIJPfS6_EEENSE_IJSB_SB_EEENS0_18inequality_wrapperIN6hipcub16HIPCUB_304000_NS8EqualityEEEPlJS6_EEE10hipError_tPvRmT3_T4_T5_T6_T7_T9_mT8_P12ihipStream_tbDpT10_ENKUlT_T0_E_clISt17integral_constantIbLb1EES16_IbLb0EEEEDaS12_S13_EUlS12_E_NS1_11comp_targetILNS1_3genE10ELNS1_11target_archE1200ELNS1_3gpuE4ELNS1_3repE0EEENS1_30default_config_static_selectorELNS0_4arch9wavefront6targetE1EEEvT1_,"axG",@progbits,_ZN7rocprim17ROCPRIM_400000_NS6detail17trampoline_kernelINS0_14default_configENS1_25partition_config_selectorILNS1_17partition_subalgoE8EfNS0_10empty_typeEbEEZZNS1_14partition_implILS5_8ELb0ES3_jPKfPS6_PKS6_NS0_5tupleIJPfS6_EEENSE_IJSB_SB_EEENS0_18inequality_wrapperIN6hipcub16HIPCUB_304000_NS8EqualityEEEPlJS6_EEE10hipError_tPvRmT3_T4_T5_T6_T7_T9_mT8_P12ihipStream_tbDpT10_ENKUlT_T0_E_clISt17integral_constantIbLb1EES16_IbLb0EEEEDaS12_S13_EUlS12_E_NS1_11comp_targetILNS1_3genE10ELNS1_11target_archE1200ELNS1_3gpuE4ELNS1_3repE0EEENS1_30default_config_static_selectorELNS0_4arch9wavefront6targetE1EEEvT1_,comdat
	.protected	_ZN7rocprim17ROCPRIM_400000_NS6detail17trampoline_kernelINS0_14default_configENS1_25partition_config_selectorILNS1_17partition_subalgoE8EfNS0_10empty_typeEbEEZZNS1_14partition_implILS5_8ELb0ES3_jPKfPS6_PKS6_NS0_5tupleIJPfS6_EEENSE_IJSB_SB_EEENS0_18inequality_wrapperIN6hipcub16HIPCUB_304000_NS8EqualityEEEPlJS6_EEE10hipError_tPvRmT3_T4_T5_T6_T7_T9_mT8_P12ihipStream_tbDpT10_ENKUlT_T0_E_clISt17integral_constantIbLb1EES16_IbLb0EEEEDaS12_S13_EUlS12_E_NS1_11comp_targetILNS1_3genE10ELNS1_11target_archE1200ELNS1_3gpuE4ELNS1_3repE0EEENS1_30default_config_static_selectorELNS0_4arch9wavefront6targetE1EEEvT1_ ; -- Begin function _ZN7rocprim17ROCPRIM_400000_NS6detail17trampoline_kernelINS0_14default_configENS1_25partition_config_selectorILNS1_17partition_subalgoE8EfNS0_10empty_typeEbEEZZNS1_14partition_implILS5_8ELb0ES3_jPKfPS6_PKS6_NS0_5tupleIJPfS6_EEENSE_IJSB_SB_EEENS0_18inequality_wrapperIN6hipcub16HIPCUB_304000_NS8EqualityEEEPlJS6_EEE10hipError_tPvRmT3_T4_T5_T6_T7_T9_mT8_P12ihipStream_tbDpT10_ENKUlT_T0_E_clISt17integral_constantIbLb1EES16_IbLb0EEEEDaS12_S13_EUlS12_E_NS1_11comp_targetILNS1_3genE10ELNS1_11target_archE1200ELNS1_3gpuE4ELNS1_3repE0EEENS1_30default_config_static_selectorELNS0_4arch9wavefront6targetE1EEEvT1_
	.globl	_ZN7rocprim17ROCPRIM_400000_NS6detail17trampoline_kernelINS0_14default_configENS1_25partition_config_selectorILNS1_17partition_subalgoE8EfNS0_10empty_typeEbEEZZNS1_14partition_implILS5_8ELb0ES3_jPKfPS6_PKS6_NS0_5tupleIJPfS6_EEENSE_IJSB_SB_EEENS0_18inequality_wrapperIN6hipcub16HIPCUB_304000_NS8EqualityEEEPlJS6_EEE10hipError_tPvRmT3_T4_T5_T6_T7_T9_mT8_P12ihipStream_tbDpT10_ENKUlT_T0_E_clISt17integral_constantIbLb1EES16_IbLb0EEEEDaS12_S13_EUlS12_E_NS1_11comp_targetILNS1_3genE10ELNS1_11target_archE1200ELNS1_3gpuE4ELNS1_3repE0EEENS1_30default_config_static_selectorELNS0_4arch9wavefront6targetE1EEEvT1_
	.p2align	8
	.type	_ZN7rocprim17ROCPRIM_400000_NS6detail17trampoline_kernelINS0_14default_configENS1_25partition_config_selectorILNS1_17partition_subalgoE8EfNS0_10empty_typeEbEEZZNS1_14partition_implILS5_8ELb0ES3_jPKfPS6_PKS6_NS0_5tupleIJPfS6_EEENSE_IJSB_SB_EEENS0_18inequality_wrapperIN6hipcub16HIPCUB_304000_NS8EqualityEEEPlJS6_EEE10hipError_tPvRmT3_T4_T5_T6_T7_T9_mT8_P12ihipStream_tbDpT10_ENKUlT_T0_E_clISt17integral_constantIbLb1EES16_IbLb0EEEEDaS12_S13_EUlS12_E_NS1_11comp_targetILNS1_3genE10ELNS1_11target_archE1200ELNS1_3gpuE4ELNS1_3repE0EEENS1_30default_config_static_selectorELNS0_4arch9wavefront6targetE1EEEvT1_,@function
_ZN7rocprim17ROCPRIM_400000_NS6detail17trampoline_kernelINS0_14default_configENS1_25partition_config_selectorILNS1_17partition_subalgoE8EfNS0_10empty_typeEbEEZZNS1_14partition_implILS5_8ELb0ES3_jPKfPS6_PKS6_NS0_5tupleIJPfS6_EEENSE_IJSB_SB_EEENS0_18inequality_wrapperIN6hipcub16HIPCUB_304000_NS8EqualityEEEPlJS6_EEE10hipError_tPvRmT3_T4_T5_T6_T7_T9_mT8_P12ihipStream_tbDpT10_ENKUlT_T0_E_clISt17integral_constantIbLb1EES16_IbLb0EEEEDaS12_S13_EUlS12_E_NS1_11comp_targetILNS1_3genE10ELNS1_11target_archE1200ELNS1_3gpuE4ELNS1_3repE0EEENS1_30default_config_static_selectorELNS0_4arch9wavefront6targetE1EEEvT1_: ; @_ZN7rocprim17ROCPRIM_400000_NS6detail17trampoline_kernelINS0_14default_configENS1_25partition_config_selectorILNS1_17partition_subalgoE8EfNS0_10empty_typeEbEEZZNS1_14partition_implILS5_8ELb0ES3_jPKfPS6_PKS6_NS0_5tupleIJPfS6_EEENSE_IJSB_SB_EEENS0_18inequality_wrapperIN6hipcub16HIPCUB_304000_NS8EqualityEEEPlJS6_EEE10hipError_tPvRmT3_T4_T5_T6_T7_T9_mT8_P12ihipStream_tbDpT10_ENKUlT_T0_E_clISt17integral_constantIbLb1EES16_IbLb0EEEEDaS12_S13_EUlS12_E_NS1_11comp_targetILNS1_3genE10ELNS1_11target_archE1200ELNS1_3gpuE4ELNS1_3repE0EEENS1_30default_config_static_selectorELNS0_4arch9wavefront6targetE1EEEvT1_
; %bb.0:
	.section	.rodata,"a",@progbits
	.p2align	6, 0x0
	.amdhsa_kernel _ZN7rocprim17ROCPRIM_400000_NS6detail17trampoline_kernelINS0_14default_configENS1_25partition_config_selectorILNS1_17partition_subalgoE8EfNS0_10empty_typeEbEEZZNS1_14partition_implILS5_8ELb0ES3_jPKfPS6_PKS6_NS0_5tupleIJPfS6_EEENSE_IJSB_SB_EEENS0_18inequality_wrapperIN6hipcub16HIPCUB_304000_NS8EqualityEEEPlJS6_EEE10hipError_tPvRmT3_T4_T5_T6_T7_T9_mT8_P12ihipStream_tbDpT10_ENKUlT_T0_E_clISt17integral_constantIbLb1EES16_IbLb0EEEEDaS12_S13_EUlS12_E_NS1_11comp_targetILNS1_3genE10ELNS1_11target_archE1200ELNS1_3gpuE4ELNS1_3repE0EEENS1_30default_config_static_selectorELNS0_4arch9wavefront6targetE1EEEvT1_
		.amdhsa_group_segment_fixed_size 0
		.amdhsa_private_segment_fixed_size 0
		.amdhsa_kernarg_size 112
		.amdhsa_user_sgpr_count 2
		.amdhsa_user_sgpr_dispatch_ptr 0
		.amdhsa_user_sgpr_queue_ptr 0
		.amdhsa_user_sgpr_kernarg_segment_ptr 1
		.amdhsa_user_sgpr_dispatch_id 0
		.amdhsa_user_sgpr_kernarg_preload_length 0
		.amdhsa_user_sgpr_kernarg_preload_offset 0
		.amdhsa_user_sgpr_private_segment_size 0
		.amdhsa_uses_dynamic_stack 0
		.amdhsa_enable_private_segment 0
		.amdhsa_system_sgpr_workgroup_id_x 1
		.amdhsa_system_sgpr_workgroup_id_y 0
		.amdhsa_system_sgpr_workgroup_id_z 0
		.amdhsa_system_sgpr_workgroup_info 0
		.amdhsa_system_vgpr_workitem_id 0
		.amdhsa_next_free_vgpr 1
		.amdhsa_next_free_sgpr 0
		.amdhsa_accum_offset 4
		.amdhsa_reserve_vcc 0
		.amdhsa_float_round_mode_32 0
		.amdhsa_float_round_mode_16_64 0
		.amdhsa_float_denorm_mode_32 3
		.amdhsa_float_denorm_mode_16_64 3
		.amdhsa_dx10_clamp 1
		.amdhsa_ieee_mode 1
		.amdhsa_fp16_overflow 0
		.amdhsa_tg_split 0
		.amdhsa_exception_fp_ieee_invalid_op 0
		.amdhsa_exception_fp_denorm_src 0
		.amdhsa_exception_fp_ieee_div_zero 0
		.amdhsa_exception_fp_ieee_overflow 0
		.amdhsa_exception_fp_ieee_underflow 0
		.amdhsa_exception_fp_ieee_inexact 0
		.amdhsa_exception_int_div_zero 0
	.end_amdhsa_kernel
	.section	.text._ZN7rocprim17ROCPRIM_400000_NS6detail17trampoline_kernelINS0_14default_configENS1_25partition_config_selectorILNS1_17partition_subalgoE8EfNS0_10empty_typeEbEEZZNS1_14partition_implILS5_8ELb0ES3_jPKfPS6_PKS6_NS0_5tupleIJPfS6_EEENSE_IJSB_SB_EEENS0_18inequality_wrapperIN6hipcub16HIPCUB_304000_NS8EqualityEEEPlJS6_EEE10hipError_tPvRmT3_T4_T5_T6_T7_T9_mT8_P12ihipStream_tbDpT10_ENKUlT_T0_E_clISt17integral_constantIbLb1EES16_IbLb0EEEEDaS12_S13_EUlS12_E_NS1_11comp_targetILNS1_3genE10ELNS1_11target_archE1200ELNS1_3gpuE4ELNS1_3repE0EEENS1_30default_config_static_selectorELNS0_4arch9wavefront6targetE1EEEvT1_,"axG",@progbits,_ZN7rocprim17ROCPRIM_400000_NS6detail17trampoline_kernelINS0_14default_configENS1_25partition_config_selectorILNS1_17partition_subalgoE8EfNS0_10empty_typeEbEEZZNS1_14partition_implILS5_8ELb0ES3_jPKfPS6_PKS6_NS0_5tupleIJPfS6_EEENSE_IJSB_SB_EEENS0_18inequality_wrapperIN6hipcub16HIPCUB_304000_NS8EqualityEEEPlJS6_EEE10hipError_tPvRmT3_T4_T5_T6_T7_T9_mT8_P12ihipStream_tbDpT10_ENKUlT_T0_E_clISt17integral_constantIbLb1EES16_IbLb0EEEEDaS12_S13_EUlS12_E_NS1_11comp_targetILNS1_3genE10ELNS1_11target_archE1200ELNS1_3gpuE4ELNS1_3repE0EEENS1_30default_config_static_selectorELNS0_4arch9wavefront6targetE1EEEvT1_,comdat
.Lfunc_end362:
	.size	_ZN7rocprim17ROCPRIM_400000_NS6detail17trampoline_kernelINS0_14default_configENS1_25partition_config_selectorILNS1_17partition_subalgoE8EfNS0_10empty_typeEbEEZZNS1_14partition_implILS5_8ELb0ES3_jPKfPS6_PKS6_NS0_5tupleIJPfS6_EEENSE_IJSB_SB_EEENS0_18inequality_wrapperIN6hipcub16HIPCUB_304000_NS8EqualityEEEPlJS6_EEE10hipError_tPvRmT3_T4_T5_T6_T7_T9_mT8_P12ihipStream_tbDpT10_ENKUlT_T0_E_clISt17integral_constantIbLb1EES16_IbLb0EEEEDaS12_S13_EUlS12_E_NS1_11comp_targetILNS1_3genE10ELNS1_11target_archE1200ELNS1_3gpuE4ELNS1_3repE0EEENS1_30default_config_static_selectorELNS0_4arch9wavefront6targetE1EEEvT1_, .Lfunc_end362-_ZN7rocprim17ROCPRIM_400000_NS6detail17trampoline_kernelINS0_14default_configENS1_25partition_config_selectorILNS1_17partition_subalgoE8EfNS0_10empty_typeEbEEZZNS1_14partition_implILS5_8ELb0ES3_jPKfPS6_PKS6_NS0_5tupleIJPfS6_EEENSE_IJSB_SB_EEENS0_18inequality_wrapperIN6hipcub16HIPCUB_304000_NS8EqualityEEEPlJS6_EEE10hipError_tPvRmT3_T4_T5_T6_T7_T9_mT8_P12ihipStream_tbDpT10_ENKUlT_T0_E_clISt17integral_constantIbLb1EES16_IbLb0EEEEDaS12_S13_EUlS12_E_NS1_11comp_targetILNS1_3genE10ELNS1_11target_archE1200ELNS1_3gpuE4ELNS1_3repE0EEENS1_30default_config_static_selectorELNS0_4arch9wavefront6targetE1EEEvT1_
                                        ; -- End function
	.section	.AMDGPU.csdata,"",@progbits
; Kernel info:
; codeLenInByte = 0
; NumSgprs: 6
; NumVgprs: 0
; NumAgprs: 0
; TotalNumVgprs: 0
; ScratchSize: 0
; MemoryBound: 0
; FloatMode: 240
; IeeeMode: 1
; LDSByteSize: 0 bytes/workgroup (compile time only)
; SGPRBlocks: 0
; VGPRBlocks: 0
; NumSGPRsForWavesPerEU: 6
; NumVGPRsForWavesPerEU: 1
; AccumOffset: 4
; Occupancy: 8
; WaveLimiterHint : 0
; COMPUTE_PGM_RSRC2:SCRATCH_EN: 0
; COMPUTE_PGM_RSRC2:USER_SGPR: 2
; COMPUTE_PGM_RSRC2:TRAP_HANDLER: 0
; COMPUTE_PGM_RSRC2:TGID_X_EN: 1
; COMPUTE_PGM_RSRC2:TGID_Y_EN: 0
; COMPUTE_PGM_RSRC2:TGID_Z_EN: 0
; COMPUTE_PGM_RSRC2:TIDIG_COMP_CNT: 0
; COMPUTE_PGM_RSRC3_GFX90A:ACCUM_OFFSET: 0
; COMPUTE_PGM_RSRC3_GFX90A:TG_SPLIT: 0
	.section	.text._ZN7rocprim17ROCPRIM_400000_NS6detail17trampoline_kernelINS0_14default_configENS1_25partition_config_selectorILNS1_17partition_subalgoE8EfNS0_10empty_typeEbEEZZNS1_14partition_implILS5_8ELb0ES3_jPKfPS6_PKS6_NS0_5tupleIJPfS6_EEENSE_IJSB_SB_EEENS0_18inequality_wrapperIN6hipcub16HIPCUB_304000_NS8EqualityEEEPlJS6_EEE10hipError_tPvRmT3_T4_T5_T6_T7_T9_mT8_P12ihipStream_tbDpT10_ENKUlT_T0_E_clISt17integral_constantIbLb1EES16_IbLb0EEEEDaS12_S13_EUlS12_E_NS1_11comp_targetILNS1_3genE9ELNS1_11target_archE1100ELNS1_3gpuE3ELNS1_3repE0EEENS1_30default_config_static_selectorELNS0_4arch9wavefront6targetE1EEEvT1_,"axG",@progbits,_ZN7rocprim17ROCPRIM_400000_NS6detail17trampoline_kernelINS0_14default_configENS1_25partition_config_selectorILNS1_17partition_subalgoE8EfNS0_10empty_typeEbEEZZNS1_14partition_implILS5_8ELb0ES3_jPKfPS6_PKS6_NS0_5tupleIJPfS6_EEENSE_IJSB_SB_EEENS0_18inequality_wrapperIN6hipcub16HIPCUB_304000_NS8EqualityEEEPlJS6_EEE10hipError_tPvRmT3_T4_T5_T6_T7_T9_mT8_P12ihipStream_tbDpT10_ENKUlT_T0_E_clISt17integral_constantIbLb1EES16_IbLb0EEEEDaS12_S13_EUlS12_E_NS1_11comp_targetILNS1_3genE9ELNS1_11target_archE1100ELNS1_3gpuE3ELNS1_3repE0EEENS1_30default_config_static_selectorELNS0_4arch9wavefront6targetE1EEEvT1_,comdat
	.protected	_ZN7rocprim17ROCPRIM_400000_NS6detail17trampoline_kernelINS0_14default_configENS1_25partition_config_selectorILNS1_17partition_subalgoE8EfNS0_10empty_typeEbEEZZNS1_14partition_implILS5_8ELb0ES3_jPKfPS6_PKS6_NS0_5tupleIJPfS6_EEENSE_IJSB_SB_EEENS0_18inequality_wrapperIN6hipcub16HIPCUB_304000_NS8EqualityEEEPlJS6_EEE10hipError_tPvRmT3_T4_T5_T6_T7_T9_mT8_P12ihipStream_tbDpT10_ENKUlT_T0_E_clISt17integral_constantIbLb1EES16_IbLb0EEEEDaS12_S13_EUlS12_E_NS1_11comp_targetILNS1_3genE9ELNS1_11target_archE1100ELNS1_3gpuE3ELNS1_3repE0EEENS1_30default_config_static_selectorELNS0_4arch9wavefront6targetE1EEEvT1_ ; -- Begin function _ZN7rocprim17ROCPRIM_400000_NS6detail17trampoline_kernelINS0_14default_configENS1_25partition_config_selectorILNS1_17partition_subalgoE8EfNS0_10empty_typeEbEEZZNS1_14partition_implILS5_8ELb0ES3_jPKfPS6_PKS6_NS0_5tupleIJPfS6_EEENSE_IJSB_SB_EEENS0_18inequality_wrapperIN6hipcub16HIPCUB_304000_NS8EqualityEEEPlJS6_EEE10hipError_tPvRmT3_T4_T5_T6_T7_T9_mT8_P12ihipStream_tbDpT10_ENKUlT_T0_E_clISt17integral_constantIbLb1EES16_IbLb0EEEEDaS12_S13_EUlS12_E_NS1_11comp_targetILNS1_3genE9ELNS1_11target_archE1100ELNS1_3gpuE3ELNS1_3repE0EEENS1_30default_config_static_selectorELNS0_4arch9wavefront6targetE1EEEvT1_
	.globl	_ZN7rocprim17ROCPRIM_400000_NS6detail17trampoline_kernelINS0_14default_configENS1_25partition_config_selectorILNS1_17partition_subalgoE8EfNS0_10empty_typeEbEEZZNS1_14partition_implILS5_8ELb0ES3_jPKfPS6_PKS6_NS0_5tupleIJPfS6_EEENSE_IJSB_SB_EEENS0_18inequality_wrapperIN6hipcub16HIPCUB_304000_NS8EqualityEEEPlJS6_EEE10hipError_tPvRmT3_T4_T5_T6_T7_T9_mT8_P12ihipStream_tbDpT10_ENKUlT_T0_E_clISt17integral_constantIbLb1EES16_IbLb0EEEEDaS12_S13_EUlS12_E_NS1_11comp_targetILNS1_3genE9ELNS1_11target_archE1100ELNS1_3gpuE3ELNS1_3repE0EEENS1_30default_config_static_selectorELNS0_4arch9wavefront6targetE1EEEvT1_
	.p2align	8
	.type	_ZN7rocprim17ROCPRIM_400000_NS6detail17trampoline_kernelINS0_14default_configENS1_25partition_config_selectorILNS1_17partition_subalgoE8EfNS0_10empty_typeEbEEZZNS1_14partition_implILS5_8ELb0ES3_jPKfPS6_PKS6_NS0_5tupleIJPfS6_EEENSE_IJSB_SB_EEENS0_18inequality_wrapperIN6hipcub16HIPCUB_304000_NS8EqualityEEEPlJS6_EEE10hipError_tPvRmT3_T4_T5_T6_T7_T9_mT8_P12ihipStream_tbDpT10_ENKUlT_T0_E_clISt17integral_constantIbLb1EES16_IbLb0EEEEDaS12_S13_EUlS12_E_NS1_11comp_targetILNS1_3genE9ELNS1_11target_archE1100ELNS1_3gpuE3ELNS1_3repE0EEENS1_30default_config_static_selectorELNS0_4arch9wavefront6targetE1EEEvT1_,@function
_ZN7rocprim17ROCPRIM_400000_NS6detail17trampoline_kernelINS0_14default_configENS1_25partition_config_selectorILNS1_17partition_subalgoE8EfNS0_10empty_typeEbEEZZNS1_14partition_implILS5_8ELb0ES3_jPKfPS6_PKS6_NS0_5tupleIJPfS6_EEENSE_IJSB_SB_EEENS0_18inequality_wrapperIN6hipcub16HIPCUB_304000_NS8EqualityEEEPlJS6_EEE10hipError_tPvRmT3_T4_T5_T6_T7_T9_mT8_P12ihipStream_tbDpT10_ENKUlT_T0_E_clISt17integral_constantIbLb1EES16_IbLb0EEEEDaS12_S13_EUlS12_E_NS1_11comp_targetILNS1_3genE9ELNS1_11target_archE1100ELNS1_3gpuE3ELNS1_3repE0EEENS1_30default_config_static_selectorELNS0_4arch9wavefront6targetE1EEEvT1_: ; @_ZN7rocprim17ROCPRIM_400000_NS6detail17trampoline_kernelINS0_14default_configENS1_25partition_config_selectorILNS1_17partition_subalgoE8EfNS0_10empty_typeEbEEZZNS1_14partition_implILS5_8ELb0ES3_jPKfPS6_PKS6_NS0_5tupleIJPfS6_EEENSE_IJSB_SB_EEENS0_18inequality_wrapperIN6hipcub16HIPCUB_304000_NS8EqualityEEEPlJS6_EEE10hipError_tPvRmT3_T4_T5_T6_T7_T9_mT8_P12ihipStream_tbDpT10_ENKUlT_T0_E_clISt17integral_constantIbLb1EES16_IbLb0EEEEDaS12_S13_EUlS12_E_NS1_11comp_targetILNS1_3genE9ELNS1_11target_archE1100ELNS1_3gpuE3ELNS1_3repE0EEENS1_30default_config_static_selectorELNS0_4arch9wavefront6targetE1EEEvT1_
; %bb.0:
	.section	.rodata,"a",@progbits
	.p2align	6, 0x0
	.amdhsa_kernel _ZN7rocprim17ROCPRIM_400000_NS6detail17trampoline_kernelINS0_14default_configENS1_25partition_config_selectorILNS1_17partition_subalgoE8EfNS0_10empty_typeEbEEZZNS1_14partition_implILS5_8ELb0ES3_jPKfPS6_PKS6_NS0_5tupleIJPfS6_EEENSE_IJSB_SB_EEENS0_18inequality_wrapperIN6hipcub16HIPCUB_304000_NS8EqualityEEEPlJS6_EEE10hipError_tPvRmT3_T4_T5_T6_T7_T9_mT8_P12ihipStream_tbDpT10_ENKUlT_T0_E_clISt17integral_constantIbLb1EES16_IbLb0EEEEDaS12_S13_EUlS12_E_NS1_11comp_targetILNS1_3genE9ELNS1_11target_archE1100ELNS1_3gpuE3ELNS1_3repE0EEENS1_30default_config_static_selectorELNS0_4arch9wavefront6targetE1EEEvT1_
		.amdhsa_group_segment_fixed_size 0
		.amdhsa_private_segment_fixed_size 0
		.amdhsa_kernarg_size 112
		.amdhsa_user_sgpr_count 2
		.amdhsa_user_sgpr_dispatch_ptr 0
		.amdhsa_user_sgpr_queue_ptr 0
		.amdhsa_user_sgpr_kernarg_segment_ptr 1
		.amdhsa_user_sgpr_dispatch_id 0
		.amdhsa_user_sgpr_kernarg_preload_length 0
		.amdhsa_user_sgpr_kernarg_preload_offset 0
		.amdhsa_user_sgpr_private_segment_size 0
		.amdhsa_uses_dynamic_stack 0
		.amdhsa_enable_private_segment 0
		.amdhsa_system_sgpr_workgroup_id_x 1
		.amdhsa_system_sgpr_workgroup_id_y 0
		.amdhsa_system_sgpr_workgroup_id_z 0
		.amdhsa_system_sgpr_workgroup_info 0
		.amdhsa_system_vgpr_workitem_id 0
		.amdhsa_next_free_vgpr 1
		.amdhsa_next_free_sgpr 0
		.amdhsa_accum_offset 4
		.amdhsa_reserve_vcc 0
		.amdhsa_float_round_mode_32 0
		.amdhsa_float_round_mode_16_64 0
		.amdhsa_float_denorm_mode_32 3
		.amdhsa_float_denorm_mode_16_64 3
		.amdhsa_dx10_clamp 1
		.amdhsa_ieee_mode 1
		.amdhsa_fp16_overflow 0
		.amdhsa_tg_split 0
		.amdhsa_exception_fp_ieee_invalid_op 0
		.amdhsa_exception_fp_denorm_src 0
		.amdhsa_exception_fp_ieee_div_zero 0
		.amdhsa_exception_fp_ieee_overflow 0
		.amdhsa_exception_fp_ieee_underflow 0
		.amdhsa_exception_fp_ieee_inexact 0
		.amdhsa_exception_int_div_zero 0
	.end_amdhsa_kernel
	.section	.text._ZN7rocprim17ROCPRIM_400000_NS6detail17trampoline_kernelINS0_14default_configENS1_25partition_config_selectorILNS1_17partition_subalgoE8EfNS0_10empty_typeEbEEZZNS1_14partition_implILS5_8ELb0ES3_jPKfPS6_PKS6_NS0_5tupleIJPfS6_EEENSE_IJSB_SB_EEENS0_18inequality_wrapperIN6hipcub16HIPCUB_304000_NS8EqualityEEEPlJS6_EEE10hipError_tPvRmT3_T4_T5_T6_T7_T9_mT8_P12ihipStream_tbDpT10_ENKUlT_T0_E_clISt17integral_constantIbLb1EES16_IbLb0EEEEDaS12_S13_EUlS12_E_NS1_11comp_targetILNS1_3genE9ELNS1_11target_archE1100ELNS1_3gpuE3ELNS1_3repE0EEENS1_30default_config_static_selectorELNS0_4arch9wavefront6targetE1EEEvT1_,"axG",@progbits,_ZN7rocprim17ROCPRIM_400000_NS6detail17trampoline_kernelINS0_14default_configENS1_25partition_config_selectorILNS1_17partition_subalgoE8EfNS0_10empty_typeEbEEZZNS1_14partition_implILS5_8ELb0ES3_jPKfPS6_PKS6_NS0_5tupleIJPfS6_EEENSE_IJSB_SB_EEENS0_18inequality_wrapperIN6hipcub16HIPCUB_304000_NS8EqualityEEEPlJS6_EEE10hipError_tPvRmT3_T4_T5_T6_T7_T9_mT8_P12ihipStream_tbDpT10_ENKUlT_T0_E_clISt17integral_constantIbLb1EES16_IbLb0EEEEDaS12_S13_EUlS12_E_NS1_11comp_targetILNS1_3genE9ELNS1_11target_archE1100ELNS1_3gpuE3ELNS1_3repE0EEENS1_30default_config_static_selectorELNS0_4arch9wavefront6targetE1EEEvT1_,comdat
.Lfunc_end363:
	.size	_ZN7rocprim17ROCPRIM_400000_NS6detail17trampoline_kernelINS0_14default_configENS1_25partition_config_selectorILNS1_17partition_subalgoE8EfNS0_10empty_typeEbEEZZNS1_14partition_implILS5_8ELb0ES3_jPKfPS6_PKS6_NS0_5tupleIJPfS6_EEENSE_IJSB_SB_EEENS0_18inequality_wrapperIN6hipcub16HIPCUB_304000_NS8EqualityEEEPlJS6_EEE10hipError_tPvRmT3_T4_T5_T6_T7_T9_mT8_P12ihipStream_tbDpT10_ENKUlT_T0_E_clISt17integral_constantIbLb1EES16_IbLb0EEEEDaS12_S13_EUlS12_E_NS1_11comp_targetILNS1_3genE9ELNS1_11target_archE1100ELNS1_3gpuE3ELNS1_3repE0EEENS1_30default_config_static_selectorELNS0_4arch9wavefront6targetE1EEEvT1_, .Lfunc_end363-_ZN7rocprim17ROCPRIM_400000_NS6detail17trampoline_kernelINS0_14default_configENS1_25partition_config_selectorILNS1_17partition_subalgoE8EfNS0_10empty_typeEbEEZZNS1_14partition_implILS5_8ELb0ES3_jPKfPS6_PKS6_NS0_5tupleIJPfS6_EEENSE_IJSB_SB_EEENS0_18inequality_wrapperIN6hipcub16HIPCUB_304000_NS8EqualityEEEPlJS6_EEE10hipError_tPvRmT3_T4_T5_T6_T7_T9_mT8_P12ihipStream_tbDpT10_ENKUlT_T0_E_clISt17integral_constantIbLb1EES16_IbLb0EEEEDaS12_S13_EUlS12_E_NS1_11comp_targetILNS1_3genE9ELNS1_11target_archE1100ELNS1_3gpuE3ELNS1_3repE0EEENS1_30default_config_static_selectorELNS0_4arch9wavefront6targetE1EEEvT1_
                                        ; -- End function
	.section	.AMDGPU.csdata,"",@progbits
; Kernel info:
; codeLenInByte = 0
; NumSgprs: 6
; NumVgprs: 0
; NumAgprs: 0
; TotalNumVgprs: 0
; ScratchSize: 0
; MemoryBound: 0
; FloatMode: 240
; IeeeMode: 1
; LDSByteSize: 0 bytes/workgroup (compile time only)
; SGPRBlocks: 0
; VGPRBlocks: 0
; NumSGPRsForWavesPerEU: 6
; NumVGPRsForWavesPerEU: 1
; AccumOffset: 4
; Occupancy: 8
; WaveLimiterHint : 0
; COMPUTE_PGM_RSRC2:SCRATCH_EN: 0
; COMPUTE_PGM_RSRC2:USER_SGPR: 2
; COMPUTE_PGM_RSRC2:TRAP_HANDLER: 0
; COMPUTE_PGM_RSRC2:TGID_X_EN: 1
; COMPUTE_PGM_RSRC2:TGID_Y_EN: 0
; COMPUTE_PGM_RSRC2:TGID_Z_EN: 0
; COMPUTE_PGM_RSRC2:TIDIG_COMP_CNT: 0
; COMPUTE_PGM_RSRC3_GFX90A:ACCUM_OFFSET: 0
; COMPUTE_PGM_RSRC3_GFX90A:TG_SPLIT: 0
	.section	.text._ZN7rocprim17ROCPRIM_400000_NS6detail17trampoline_kernelINS0_14default_configENS1_25partition_config_selectorILNS1_17partition_subalgoE8EfNS0_10empty_typeEbEEZZNS1_14partition_implILS5_8ELb0ES3_jPKfPS6_PKS6_NS0_5tupleIJPfS6_EEENSE_IJSB_SB_EEENS0_18inequality_wrapperIN6hipcub16HIPCUB_304000_NS8EqualityEEEPlJS6_EEE10hipError_tPvRmT3_T4_T5_T6_T7_T9_mT8_P12ihipStream_tbDpT10_ENKUlT_T0_E_clISt17integral_constantIbLb1EES16_IbLb0EEEEDaS12_S13_EUlS12_E_NS1_11comp_targetILNS1_3genE8ELNS1_11target_archE1030ELNS1_3gpuE2ELNS1_3repE0EEENS1_30default_config_static_selectorELNS0_4arch9wavefront6targetE1EEEvT1_,"axG",@progbits,_ZN7rocprim17ROCPRIM_400000_NS6detail17trampoline_kernelINS0_14default_configENS1_25partition_config_selectorILNS1_17partition_subalgoE8EfNS0_10empty_typeEbEEZZNS1_14partition_implILS5_8ELb0ES3_jPKfPS6_PKS6_NS0_5tupleIJPfS6_EEENSE_IJSB_SB_EEENS0_18inequality_wrapperIN6hipcub16HIPCUB_304000_NS8EqualityEEEPlJS6_EEE10hipError_tPvRmT3_T4_T5_T6_T7_T9_mT8_P12ihipStream_tbDpT10_ENKUlT_T0_E_clISt17integral_constantIbLb1EES16_IbLb0EEEEDaS12_S13_EUlS12_E_NS1_11comp_targetILNS1_3genE8ELNS1_11target_archE1030ELNS1_3gpuE2ELNS1_3repE0EEENS1_30default_config_static_selectorELNS0_4arch9wavefront6targetE1EEEvT1_,comdat
	.protected	_ZN7rocprim17ROCPRIM_400000_NS6detail17trampoline_kernelINS0_14default_configENS1_25partition_config_selectorILNS1_17partition_subalgoE8EfNS0_10empty_typeEbEEZZNS1_14partition_implILS5_8ELb0ES3_jPKfPS6_PKS6_NS0_5tupleIJPfS6_EEENSE_IJSB_SB_EEENS0_18inequality_wrapperIN6hipcub16HIPCUB_304000_NS8EqualityEEEPlJS6_EEE10hipError_tPvRmT3_T4_T5_T6_T7_T9_mT8_P12ihipStream_tbDpT10_ENKUlT_T0_E_clISt17integral_constantIbLb1EES16_IbLb0EEEEDaS12_S13_EUlS12_E_NS1_11comp_targetILNS1_3genE8ELNS1_11target_archE1030ELNS1_3gpuE2ELNS1_3repE0EEENS1_30default_config_static_selectorELNS0_4arch9wavefront6targetE1EEEvT1_ ; -- Begin function _ZN7rocprim17ROCPRIM_400000_NS6detail17trampoline_kernelINS0_14default_configENS1_25partition_config_selectorILNS1_17partition_subalgoE8EfNS0_10empty_typeEbEEZZNS1_14partition_implILS5_8ELb0ES3_jPKfPS6_PKS6_NS0_5tupleIJPfS6_EEENSE_IJSB_SB_EEENS0_18inequality_wrapperIN6hipcub16HIPCUB_304000_NS8EqualityEEEPlJS6_EEE10hipError_tPvRmT3_T4_T5_T6_T7_T9_mT8_P12ihipStream_tbDpT10_ENKUlT_T0_E_clISt17integral_constantIbLb1EES16_IbLb0EEEEDaS12_S13_EUlS12_E_NS1_11comp_targetILNS1_3genE8ELNS1_11target_archE1030ELNS1_3gpuE2ELNS1_3repE0EEENS1_30default_config_static_selectorELNS0_4arch9wavefront6targetE1EEEvT1_
	.globl	_ZN7rocprim17ROCPRIM_400000_NS6detail17trampoline_kernelINS0_14default_configENS1_25partition_config_selectorILNS1_17partition_subalgoE8EfNS0_10empty_typeEbEEZZNS1_14partition_implILS5_8ELb0ES3_jPKfPS6_PKS6_NS0_5tupleIJPfS6_EEENSE_IJSB_SB_EEENS0_18inequality_wrapperIN6hipcub16HIPCUB_304000_NS8EqualityEEEPlJS6_EEE10hipError_tPvRmT3_T4_T5_T6_T7_T9_mT8_P12ihipStream_tbDpT10_ENKUlT_T0_E_clISt17integral_constantIbLb1EES16_IbLb0EEEEDaS12_S13_EUlS12_E_NS1_11comp_targetILNS1_3genE8ELNS1_11target_archE1030ELNS1_3gpuE2ELNS1_3repE0EEENS1_30default_config_static_selectorELNS0_4arch9wavefront6targetE1EEEvT1_
	.p2align	8
	.type	_ZN7rocprim17ROCPRIM_400000_NS6detail17trampoline_kernelINS0_14default_configENS1_25partition_config_selectorILNS1_17partition_subalgoE8EfNS0_10empty_typeEbEEZZNS1_14partition_implILS5_8ELb0ES3_jPKfPS6_PKS6_NS0_5tupleIJPfS6_EEENSE_IJSB_SB_EEENS0_18inequality_wrapperIN6hipcub16HIPCUB_304000_NS8EqualityEEEPlJS6_EEE10hipError_tPvRmT3_T4_T5_T6_T7_T9_mT8_P12ihipStream_tbDpT10_ENKUlT_T0_E_clISt17integral_constantIbLb1EES16_IbLb0EEEEDaS12_S13_EUlS12_E_NS1_11comp_targetILNS1_3genE8ELNS1_11target_archE1030ELNS1_3gpuE2ELNS1_3repE0EEENS1_30default_config_static_selectorELNS0_4arch9wavefront6targetE1EEEvT1_,@function
_ZN7rocprim17ROCPRIM_400000_NS6detail17trampoline_kernelINS0_14default_configENS1_25partition_config_selectorILNS1_17partition_subalgoE8EfNS0_10empty_typeEbEEZZNS1_14partition_implILS5_8ELb0ES3_jPKfPS6_PKS6_NS0_5tupleIJPfS6_EEENSE_IJSB_SB_EEENS0_18inequality_wrapperIN6hipcub16HIPCUB_304000_NS8EqualityEEEPlJS6_EEE10hipError_tPvRmT3_T4_T5_T6_T7_T9_mT8_P12ihipStream_tbDpT10_ENKUlT_T0_E_clISt17integral_constantIbLb1EES16_IbLb0EEEEDaS12_S13_EUlS12_E_NS1_11comp_targetILNS1_3genE8ELNS1_11target_archE1030ELNS1_3gpuE2ELNS1_3repE0EEENS1_30default_config_static_selectorELNS0_4arch9wavefront6targetE1EEEvT1_: ; @_ZN7rocprim17ROCPRIM_400000_NS6detail17trampoline_kernelINS0_14default_configENS1_25partition_config_selectorILNS1_17partition_subalgoE8EfNS0_10empty_typeEbEEZZNS1_14partition_implILS5_8ELb0ES3_jPKfPS6_PKS6_NS0_5tupleIJPfS6_EEENSE_IJSB_SB_EEENS0_18inequality_wrapperIN6hipcub16HIPCUB_304000_NS8EqualityEEEPlJS6_EEE10hipError_tPvRmT3_T4_T5_T6_T7_T9_mT8_P12ihipStream_tbDpT10_ENKUlT_T0_E_clISt17integral_constantIbLb1EES16_IbLb0EEEEDaS12_S13_EUlS12_E_NS1_11comp_targetILNS1_3genE8ELNS1_11target_archE1030ELNS1_3gpuE2ELNS1_3repE0EEENS1_30default_config_static_selectorELNS0_4arch9wavefront6targetE1EEEvT1_
; %bb.0:
	.section	.rodata,"a",@progbits
	.p2align	6, 0x0
	.amdhsa_kernel _ZN7rocprim17ROCPRIM_400000_NS6detail17trampoline_kernelINS0_14default_configENS1_25partition_config_selectorILNS1_17partition_subalgoE8EfNS0_10empty_typeEbEEZZNS1_14partition_implILS5_8ELb0ES3_jPKfPS6_PKS6_NS0_5tupleIJPfS6_EEENSE_IJSB_SB_EEENS0_18inequality_wrapperIN6hipcub16HIPCUB_304000_NS8EqualityEEEPlJS6_EEE10hipError_tPvRmT3_T4_T5_T6_T7_T9_mT8_P12ihipStream_tbDpT10_ENKUlT_T0_E_clISt17integral_constantIbLb1EES16_IbLb0EEEEDaS12_S13_EUlS12_E_NS1_11comp_targetILNS1_3genE8ELNS1_11target_archE1030ELNS1_3gpuE2ELNS1_3repE0EEENS1_30default_config_static_selectorELNS0_4arch9wavefront6targetE1EEEvT1_
		.amdhsa_group_segment_fixed_size 0
		.amdhsa_private_segment_fixed_size 0
		.amdhsa_kernarg_size 112
		.amdhsa_user_sgpr_count 2
		.amdhsa_user_sgpr_dispatch_ptr 0
		.amdhsa_user_sgpr_queue_ptr 0
		.amdhsa_user_sgpr_kernarg_segment_ptr 1
		.amdhsa_user_sgpr_dispatch_id 0
		.amdhsa_user_sgpr_kernarg_preload_length 0
		.amdhsa_user_sgpr_kernarg_preload_offset 0
		.amdhsa_user_sgpr_private_segment_size 0
		.amdhsa_uses_dynamic_stack 0
		.amdhsa_enable_private_segment 0
		.amdhsa_system_sgpr_workgroup_id_x 1
		.amdhsa_system_sgpr_workgroup_id_y 0
		.amdhsa_system_sgpr_workgroup_id_z 0
		.amdhsa_system_sgpr_workgroup_info 0
		.amdhsa_system_vgpr_workitem_id 0
		.amdhsa_next_free_vgpr 1
		.amdhsa_next_free_sgpr 0
		.amdhsa_accum_offset 4
		.amdhsa_reserve_vcc 0
		.amdhsa_float_round_mode_32 0
		.amdhsa_float_round_mode_16_64 0
		.amdhsa_float_denorm_mode_32 3
		.amdhsa_float_denorm_mode_16_64 3
		.amdhsa_dx10_clamp 1
		.amdhsa_ieee_mode 1
		.amdhsa_fp16_overflow 0
		.amdhsa_tg_split 0
		.amdhsa_exception_fp_ieee_invalid_op 0
		.amdhsa_exception_fp_denorm_src 0
		.amdhsa_exception_fp_ieee_div_zero 0
		.amdhsa_exception_fp_ieee_overflow 0
		.amdhsa_exception_fp_ieee_underflow 0
		.amdhsa_exception_fp_ieee_inexact 0
		.amdhsa_exception_int_div_zero 0
	.end_amdhsa_kernel
	.section	.text._ZN7rocprim17ROCPRIM_400000_NS6detail17trampoline_kernelINS0_14default_configENS1_25partition_config_selectorILNS1_17partition_subalgoE8EfNS0_10empty_typeEbEEZZNS1_14partition_implILS5_8ELb0ES3_jPKfPS6_PKS6_NS0_5tupleIJPfS6_EEENSE_IJSB_SB_EEENS0_18inequality_wrapperIN6hipcub16HIPCUB_304000_NS8EqualityEEEPlJS6_EEE10hipError_tPvRmT3_T4_T5_T6_T7_T9_mT8_P12ihipStream_tbDpT10_ENKUlT_T0_E_clISt17integral_constantIbLb1EES16_IbLb0EEEEDaS12_S13_EUlS12_E_NS1_11comp_targetILNS1_3genE8ELNS1_11target_archE1030ELNS1_3gpuE2ELNS1_3repE0EEENS1_30default_config_static_selectorELNS0_4arch9wavefront6targetE1EEEvT1_,"axG",@progbits,_ZN7rocprim17ROCPRIM_400000_NS6detail17trampoline_kernelINS0_14default_configENS1_25partition_config_selectorILNS1_17partition_subalgoE8EfNS0_10empty_typeEbEEZZNS1_14partition_implILS5_8ELb0ES3_jPKfPS6_PKS6_NS0_5tupleIJPfS6_EEENSE_IJSB_SB_EEENS0_18inequality_wrapperIN6hipcub16HIPCUB_304000_NS8EqualityEEEPlJS6_EEE10hipError_tPvRmT3_T4_T5_T6_T7_T9_mT8_P12ihipStream_tbDpT10_ENKUlT_T0_E_clISt17integral_constantIbLb1EES16_IbLb0EEEEDaS12_S13_EUlS12_E_NS1_11comp_targetILNS1_3genE8ELNS1_11target_archE1030ELNS1_3gpuE2ELNS1_3repE0EEENS1_30default_config_static_selectorELNS0_4arch9wavefront6targetE1EEEvT1_,comdat
.Lfunc_end364:
	.size	_ZN7rocprim17ROCPRIM_400000_NS6detail17trampoline_kernelINS0_14default_configENS1_25partition_config_selectorILNS1_17partition_subalgoE8EfNS0_10empty_typeEbEEZZNS1_14partition_implILS5_8ELb0ES3_jPKfPS6_PKS6_NS0_5tupleIJPfS6_EEENSE_IJSB_SB_EEENS0_18inequality_wrapperIN6hipcub16HIPCUB_304000_NS8EqualityEEEPlJS6_EEE10hipError_tPvRmT3_T4_T5_T6_T7_T9_mT8_P12ihipStream_tbDpT10_ENKUlT_T0_E_clISt17integral_constantIbLb1EES16_IbLb0EEEEDaS12_S13_EUlS12_E_NS1_11comp_targetILNS1_3genE8ELNS1_11target_archE1030ELNS1_3gpuE2ELNS1_3repE0EEENS1_30default_config_static_selectorELNS0_4arch9wavefront6targetE1EEEvT1_, .Lfunc_end364-_ZN7rocprim17ROCPRIM_400000_NS6detail17trampoline_kernelINS0_14default_configENS1_25partition_config_selectorILNS1_17partition_subalgoE8EfNS0_10empty_typeEbEEZZNS1_14partition_implILS5_8ELb0ES3_jPKfPS6_PKS6_NS0_5tupleIJPfS6_EEENSE_IJSB_SB_EEENS0_18inequality_wrapperIN6hipcub16HIPCUB_304000_NS8EqualityEEEPlJS6_EEE10hipError_tPvRmT3_T4_T5_T6_T7_T9_mT8_P12ihipStream_tbDpT10_ENKUlT_T0_E_clISt17integral_constantIbLb1EES16_IbLb0EEEEDaS12_S13_EUlS12_E_NS1_11comp_targetILNS1_3genE8ELNS1_11target_archE1030ELNS1_3gpuE2ELNS1_3repE0EEENS1_30default_config_static_selectorELNS0_4arch9wavefront6targetE1EEEvT1_
                                        ; -- End function
	.section	.AMDGPU.csdata,"",@progbits
; Kernel info:
; codeLenInByte = 0
; NumSgprs: 6
; NumVgprs: 0
; NumAgprs: 0
; TotalNumVgprs: 0
; ScratchSize: 0
; MemoryBound: 0
; FloatMode: 240
; IeeeMode: 1
; LDSByteSize: 0 bytes/workgroup (compile time only)
; SGPRBlocks: 0
; VGPRBlocks: 0
; NumSGPRsForWavesPerEU: 6
; NumVGPRsForWavesPerEU: 1
; AccumOffset: 4
; Occupancy: 8
; WaveLimiterHint : 0
; COMPUTE_PGM_RSRC2:SCRATCH_EN: 0
; COMPUTE_PGM_RSRC2:USER_SGPR: 2
; COMPUTE_PGM_RSRC2:TRAP_HANDLER: 0
; COMPUTE_PGM_RSRC2:TGID_X_EN: 1
; COMPUTE_PGM_RSRC2:TGID_Y_EN: 0
; COMPUTE_PGM_RSRC2:TGID_Z_EN: 0
; COMPUTE_PGM_RSRC2:TIDIG_COMP_CNT: 0
; COMPUTE_PGM_RSRC3_GFX90A:ACCUM_OFFSET: 0
; COMPUTE_PGM_RSRC3_GFX90A:TG_SPLIT: 0
	.section	.text._ZN7rocprim17ROCPRIM_400000_NS6detail17trampoline_kernelINS0_14default_configENS1_25partition_config_selectorILNS1_17partition_subalgoE8EfNS0_10empty_typeEbEEZZNS1_14partition_implILS5_8ELb0ES3_jPKfPS6_PKS6_NS0_5tupleIJPfS6_EEENSE_IJSB_SB_EEENS0_18inequality_wrapperIN6hipcub16HIPCUB_304000_NS8EqualityEEEPlJS6_EEE10hipError_tPvRmT3_T4_T5_T6_T7_T9_mT8_P12ihipStream_tbDpT10_ENKUlT_T0_E_clISt17integral_constantIbLb0EES16_IbLb1EEEEDaS12_S13_EUlS12_E_NS1_11comp_targetILNS1_3genE0ELNS1_11target_archE4294967295ELNS1_3gpuE0ELNS1_3repE0EEENS1_30default_config_static_selectorELNS0_4arch9wavefront6targetE1EEEvT1_,"axG",@progbits,_ZN7rocprim17ROCPRIM_400000_NS6detail17trampoline_kernelINS0_14default_configENS1_25partition_config_selectorILNS1_17partition_subalgoE8EfNS0_10empty_typeEbEEZZNS1_14partition_implILS5_8ELb0ES3_jPKfPS6_PKS6_NS0_5tupleIJPfS6_EEENSE_IJSB_SB_EEENS0_18inequality_wrapperIN6hipcub16HIPCUB_304000_NS8EqualityEEEPlJS6_EEE10hipError_tPvRmT3_T4_T5_T6_T7_T9_mT8_P12ihipStream_tbDpT10_ENKUlT_T0_E_clISt17integral_constantIbLb0EES16_IbLb1EEEEDaS12_S13_EUlS12_E_NS1_11comp_targetILNS1_3genE0ELNS1_11target_archE4294967295ELNS1_3gpuE0ELNS1_3repE0EEENS1_30default_config_static_selectorELNS0_4arch9wavefront6targetE1EEEvT1_,comdat
	.protected	_ZN7rocprim17ROCPRIM_400000_NS6detail17trampoline_kernelINS0_14default_configENS1_25partition_config_selectorILNS1_17partition_subalgoE8EfNS0_10empty_typeEbEEZZNS1_14partition_implILS5_8ELb0ES3_jPKfPS6_PKS6_NS0_5tupleIJPfS6_EEENSE_IJSB_SB_EEENS0_18inequality_wrapperIN6hipcub16HIPCUB_304000_NS8EqualityEEEPlJS6_EEE10hipError_tPvRmT3_T4_T5_T6_T7_T9_mT8_P12ihipStream_tbDpT10_ENKUlT_T0_E_clISt17integral_constantIbLb0EES16_IbLb1EEEEDaS12_S13_EUlS12_E_NS1_11comp_targetILNS1_3genE0ELNS1_11target_archE4294967295ELNS1_3gpuE0ELNS1_3repE0EEENS1_30default_config_static_selectorELNS0_4arch9wavefront6targetE1EEEvT1_ ; -- Begin function _ZN7rocprim17ROCPRIM_400000_NS6detail17trampoline_kernelINS0_14default_configENS1_25partition_config_selectorILNS1_17partition_subalgoE8EfNS0_10empty_typeEbEEZZNS1_14partition_implILS5_8ELb0ES3_jPKfPS6_PKS6_NS0_5tupleIJPfS6_EEENSE_IJSB_SB_EEENS0_18inequality_wrapperIN6hipcub16HIPCUB_304000_NS8EqualityEEEPlJS6_EEE10hipError_tPvRmT3_T4_T5_T6_T7_T9_mT8_P12ihipStream_tbDpT10_ENKUlT_T0_E_clISt17integral_constantIbLb0EES16_IbLb1EEEEDaS12_S13_EUlS12_E_NS1_11comp_targetILNS1_3genE0ELNS1_11target_archE4294967295ELNS1_3gpuE0ELNS1_3repE0EEENS1_30default_config_static_selectorELNS0_4arch9wavefront6targetE1EEEvT1_
	.globl	_ZN7rocprim17ROCPRIM_400000_NS6detail17trampoline_kernelINS0_14default_configENS1_25partition_config_selectorILNS1_17partition_subalgoE8EfNS0_10empty_typeEbEEZZNS1_14partition_implILS5_8ELb0ES3_jPKfPS6_PKS6_NS0_5tupleIJPfS6_EEENSE_IJSB_SB_EEENS0_18inequality_wrapperIN6hipcub16HIPCUB_304000_NS8EqualityEEEPlJS6_EEE10hipError_tPvRmT3_T4_T5_T6_T7_T9_mT8_P12ihipStream_tbDpT10_ENKUlT_T0_E_clISt17integral_constantIbLb0EES16_IbLb1EEEEDaS12_S13_EUlS12_E_NS1_11comp_targetILNS1_3genE0ELNS1_11target_archE4294967295ELNS1_3gpuE0ELNS1_3repE0EEENS1_30default_config_static_selectorELNS0_4arch9wavefront6targetE1EEEvT1_
	.p2align	8
	.type	_ZN7rocprim17ROCPRIM_400000_NS6detail17trampoline_kernelINS0_14default_configENS1_25partition_config_selectorILNS1_17partition_subalgoE8EfNS0_10empty_typeEbEEZZNS1_14partition_implILS5_8ELb0ES3_jPKfPS6_PKS6_NS0_5tupleIJPfS6_EEENSE_IJSB_SB_EEENS0_18inequality_wrapperIN6hipcub16HIPCUB_304000_NS8EqualityEEEPlJS6_EEE10hipError_tPvRmT3_T4_T5_T6_T7_T9_mT8_P12ihipStream_tbDpT10_ENKUlT_T0_E_clISt17integral_constantIbLb0EES16_IbLb1EEEEDaS12_S13_EUlS12_E_NS1_11comp_targetILNS1_3genE0ELNS1_11target_archE4294967295ELNS1_3gpuE0ELNS1_3repE0EEENS1_30default_config_static_selectorELNS0_4arch9wavefront6targetE1EEEvT1_,@function
_ZN7rocprim17ROCPRIM_400000_NS6detail17trampoline_kernelINS0_14default_configENS1_25partition_config_selectorILNS1_17partition_subalgoE8EfNS0_10empty_typeEbEEZZNS1_14partition_implILS5_8ELb0ES3_jPKfPS6_PKS6_NS0_5tupleIJPfS6_EEENSE_IJSB_SB_EEENS0_18inequality_wrapperIN6hipcub16HIPCUB_304000_NS8EqualityEEEPlJS6_EEE10hipError_tPvRmT3_T4_T5_T6_T7_T9_mT8_P12ihipStream_tbDpT10_ENKUlT_T0_E_clISt17integral_constantIbLb0EES16_IbLb1EEEEDaS12_S13_EUlS12_E_NS1_11comp_targetILNS1_3genE0ELNS1_11target_archE4294967295ELNS1_3gpuE0ELNS1_3repE0EEENS1_30default_config_static_selectorELNS0_4arch9wavefront6targetE1EEEvT1_: ; @_ZN7rocprim17ROCPRIM_400000_NS6detail17trampoline_kernelINS0_14default_configENS1_25partition_config_selectorILNS1_17partition_subalgoE8EfNS0_10empty_typeEbEEZZNS1_14partition_implILS5_8ELb0ES3_jPKfPS6_PKS6_NS0_5tupleIJPfS6_EEENSE_IJSB_SB_EEENS0_18inequality_wrapperIN6hipcub16HIPCUB_304000_NS8EqualityEEEPlJS6_EEE10hipError_tPvRmT3_T4_T5_T6_T7_T9_mT8_P12ihipStream_tbDpT10_ENKUlT_T0_E_clISt17integral_constantIbLb0EES16_IbLb1EEEEDaS12_S13_EUlS12_E_NS1_11comp_targetILNS1_3genE0ELNS1_11target_archE4294967295ELNS1_3gpuE0ELNS1_3repE0EEENS1_30default_config_static_selectorELNS0_4arch9wavefront6targetE1EEEvT1_
; %bb.0:
	.section	.rodata,"a",@progbits
	.p2align	6, 0x0
	.amdhsa_kernel _ZN7rocprim17ROCPRIM_400000_NS6detail17trampoline_kernelINS0_14default_configENS1_25partition_config_selectorILNS1_17partition_subalgoE8EfNS0_10empty_typeEbEEZZNS1_14partition_implILS5_8ELb0ES3_jPKfPS6_PKS6_NS0_5tupleIJPfS6_EEENSE_IJSB_SB_EEENS0_18inequality_wrapperIN6hipcub16HIPCUB_304000_NS8EqualityEEEPlJS6_EEE10hipError_tPvRmT3_T4_T5_T6_T7_T9_mT8_P12ihipStream_tbDpT10_ENKUlT_T0_E_clISt17integral_constantIbLb0EES16_IbLb1EEEEDaS12_S13_EUlS12_E_NS1_11comp_targetILNS1_3genE0ELNS1_11target_archE4294967295ELNS1_3gpuE0ELNS1_3repE0EEENS1_30default_config_static_selectorELNS0_4arch9wavefront6targetE1EEEvT1_
		.amdhsa_group_segment_fixed_size 0
		.amdhsa_private_segment_fixed_size 0
		.amdhsa_kernarg_size 128
		.amdhsa_user_sgpr_count 2
		.amdhsa_user_sgpr_dispatch_ptr 0
		.amdhsa_user_sgpr_queue_ptr 0
		.amdhsa_user_sgpr_kernarg_segment_ptr 1
		.amdhsa_user_sgpr_dispatch_id 0
		.amdhsa_user_sgpr_kernarg_preload_length 0
		.amdhsa_user_sgpr_kernarg_preload_offset 0
		.amdhsa_user_sgpr_private_segment_size 0
		.amdhsa_uses_dynamic_stack 0
		.amdhsa_enable_private_segment 0
		.amdhsa_system_sgpr_workgroup_id_x 1
		.amdhsa_system_sgpr_workgroup_id_y 0
		.amdhsa_system_sgpr_workgroup_id_z 0
		.amdhsa_system_sgpr_workgroup_info 0
		.amdhsa_system_vgpr_workitem_id 0
		.amdhsa_next_free_vgpr 1
		.amdhsa_next_free_sgpr 0
		.amdhsa_accum_offset 4
		.amdhsa_reserve_vcc 0
		.amdhsa_float_round_mode_32 0
		.amdhsa_float_round_mode_16_64 0
		.amdhsa_float_denorm_mode_32 3
		.amdhsa_float_denorm_mode_16_64 3
		.amdhsa_dx10_clamp 1
		.amdhsa_ieee_mode 1
		.amdhsa_fp16_overflow 0
		.amdhsa_tg_split 0
		.amdhsa_exception_fp_ieee_invalid_op 0
		.amdhsa_exception_fp_denorm_src 0
		.amdhsa_exception_fp_ieee_div_zero 0
		.amdhsa_exception_fp_ieee_overflow 0
		.amdhsa_exception_fp_ieee_underflow 0
		.amdhsa_exception_fp_ieee_inexact 0
		.amdhsa_exception_int_div_zero 0
	.end_amdhsa_kernel
	.section	.text._ZN7rocprim17ROCPRIM_400000_NS6detail17trampoline_kernelINS0_14default_configENS1_25partition_config_selectorILNS1_17partition_subalgoE8EfNS0_10empty_typeEbEEZZNS1_14partition_implILS5_8ELb0ES3_jPKfPS6_PKS6_NS0_5tupleIJPfS6_EEENSE_IJSB_SB_EEENS0_18inequality_wrapperIN6hipcub16HIPCUB_304000_NS8EqualityEEEPlJS6_EEE10hipError_tPvRmT3_T4_T5_T6_T7_T9_mT8_P12ihipStream_tbDpT10_ENKUlT_T0_E_clISt17integral_constantIbLb0EES16_IbLb1EEEEDaS12_S13_EUlS12_E_NS1_11comp_targetILNS1_3genE0ELNS1_11target_archE4294967295ELNS1_3gpuE0ELNS1_3repE0EEENS1_30default_config_static_selectorELNS0_4arch9wavefront6targetE1EEEvT1_,"axG",@progbits,_ZN7rocprim17ROCPRIM_400000_NS6detail17trampoline_kernelINS0_14default_configENS1_25partition_config_selectorILNS1_17partition_subalgoE8EfNS0_10empty_typeEbEEZZNS1_14partition_implILS5_8ELb0ES3_jPKfPS6_PKS6_NS0_5tupleIJPfS6_EEENSE_IJSB_SB_EEENS0_18inequality_wrapperIN6hipcub16HIPCUB_304000_NS8EqualityEEEPlJS6_EEE10hipError_tPvRmT3_T4_T5_T6_T7_T9_mT8_P12ihipStream_tbDpT10_ENKUlT_T0_E_clISt17integral_constantIbLb0EES16_IbLb1EEEEDaS12_S13_EUlS12_E_NS1_11comp_targetILNS1_3genE0ELNS1_11target_archE4294967295ELNS1_3gpuE0ELNS1_3repE0EEENS1_30default_config_static_selectorELNS0_4arch9wavefront6targetE1EEEvT1_,comdat
.Lfunc_end365:
	.size	_ZN7rocprim17ROCPRIM_400000_NS6detail17trampoline_kernelINS0_14default_configENS1_25partition_config_selectorILNS1_17partition_subalgoE8EfNS0_10empty_typeEbEEZZNS1_14partition_implILS5_8ELb0ES3_jPKfPS6_PKS6_NS0_5tupleIJPfS6_EEENSE_IJSB_SB_EEENS0_18inequality_wrapperIN6hipcub16HIPCUB_304000_NS8EqualityEEEPlJS6_EEE10hipError_tPvRmT3_T4_T5_T6_T7_T9_mT8_P12ihipStream_tbDpT10_ENKUlT_T0_E_clISt17integral_constantIbLb0EES16_IbLb1EEEEDaS12_S13_EUlS12_E_NS1_11comp_targetILNS1_3genE0ELNS1_11target_archE4294967295ELNS1_3gpuE0ELNS1_3repE0EEENS1_30default_config_static_selectorELNS0_4arch9wavefront6targetE1EEEvT1_, .Lfunc_end365-_ZN7rocprim17ROCPRIM_400000_NS6detail17trampoline_kernelINS0_14default_configENS1_25partition_config_selectorILNS1_17partition_subalgoE8EfNS0_10empty_typeEbEEZZNS1_14partition_implILS5_8ELb0ES3_jPKfPS6_PKS6_NS0_5tupleIJPfS6_EEENSE_IJSB_SB_EEENS0_18inequality_wrapperIN6hipcub16HIPCUB_304000_NS8EqualityEEEPlJS6_EEE10hipError_tPvRmT3_T4_T5_T6_T7_T9_mT8_P12ihipStream_tbDpT10_ENKUlT_T0_E_clISt17integral_constantIbLb0EES16_IbLb1EEEEDaS12_S13_EUlS12_E_NS1_11comp_targetILNS1_3genE0ELNS1_11target_archE4294967295ELNS1_3gpuE0ELNS1_3repE0EEENS1_30default_config_static_selectorELNS0_4arch9wavefront6targetE1EEEvT1_
                                        ; -- End function
	.section	.AMDGPU.csdata,"",@progbits
; Kernel info:
; codeLenInByte = 0
; NumSgprs: 6
; NumVgprs: 0
; NumAgprs: 0
; TotalNumVgprs: 0
; ScratchSize: 0
; MemoryBound: 0
; FloatMode: 240
; IeeeMode: 1
; LDSByteSize: 0 bytes/workgroup (compile time only)
; SGPRBlocks: 0
; VGPRBlocks: 0
; NumSGPRsForWavesPerEU: 6
; NumVGPRsForWavesPerEU: 1
; AccumOffset: 4
; Occupancy: 8
; WaveLimiterHint : 0
; COMPUTE_PGM_RSRC2:SCRATCH_EN: 0
; COMPUTE_PGM_RSRC2:USER_SGPR: 2
; COMPUTE_PGM_RSRC2:TRAP_HANDLER: 0
; COMPUTE_PGM_RSRC2:TGID_X_EN: 1
; COMPUTE_PGM_RSRC2:TGID_Y_EN: 0
; COMPUTE_PGM_RSRC2:TGID_Z_EN: 0
; COMPUTE_PGM_RSRC2:TIDIG_COMP_CNT: 0
; COMPUTE_PGM_RSRC3_GFX90A:ACCUM_OFFSET: 0
; COMPUTE_PGM_RSRC3_GFX90A:TG_SPLIT: 0
	.section	.text._ZN7rocprim17ROCPRIM_400000_NS6detail17trampoline_kernelINS0_14default_configENS1_25partition_config_selectorILNS1_17partition_subalgoE8EfNS0_10empty_typeEbEEZZNS1_14partition_implILS5_8ELb0ES3_jPKfPS6_PKS6_NS0_5tupleIJPfS6_EEENSE_IJSB_SB_EEENS0_18inequality_wrapperIN6hipcub16HIPCUB_304000_NS8EqualityEEEPlJS6_EEE10hipError_tPvRmT3_T4_T5_T6_T7_T9_mT8_P12ihipStream_tbDpT10_ENKUlT_T0_E_clISt17integral_constantIbLb0EES16_IbLb1EEEEDaS12_S13_EUlS12_E_NS1_11comp_targetILNS1_3genE5ELNS1_11target_archE942ELNS1_3gpuE9ELNS1_3repE0EEENS1_30default_config_static_selectorELNS0_4arch9wavefront6targetE1EEEvT1_,"axG",@progbits,_ZN7rocprim17ROCPRIM_400000_NS6detail17trampoline_kernelINS0_14default_configENS1_25partition_config_selectorILNS1_17partition_subalgoE8EfNS0_10empty_typeEbEEZZNS1_14partition_implILS5_8ELb0ES3_jPKfPS6_PKS6_NS0_5tupleIJPfS6_EEENSE_IJSB_SB_EEENS0_18inequality_wrapperIN6hipcub16HIPCUB_304000_NS8EqualityEEEPlJS6_EEE10hipError_tPvRmT3_T4_T5_T6_T7_T9_mT8_P12ihipStream_tbDpT10_ENKUlT_T0_E_clISt17integral_constantIbLb0EES16_IbLb1EEEEDaS12_S13_EUlS12_E_NS1_11comp_targetILNS1_3genE5ELNS1_11target_archE942ELNS1_3gpuE9ELNS1_3repE0EEENS1_30default_config_static_selectorELNS0_4arch9wavefront6targetE1EEEvT1_,comdat
	.protected	_ZN7rocprim17ROCPRIM_400000_NS6detail17trampoline_kernelINS0_14default_configENS1_25partition_config_selectorILNS1_17partition_subalgoE8EfNS0_10empty_typeEbEEZZNS1_14partition_implILS5_8ELb0ES3_jPKfPS6_PKS6_NS0_5tupleIJPfS6_EEENSE_IJSB_SB_EEENS0_18inequality_wrapperIN6hipcub16HIPCUB_304000_NS8EqualityEEEPlJS6_EEE10hipError_tPvRmT3_T4_T5_T6_T7_T9_mT8_P12ihipStream_tbDpT10_ENKUlT_T0_E_clISt17integral_constantIbLb0EES16_IbLb1EEEEDaS12_S13_EUlS12_E_NS1_11comp_targetILNS1_3genE5ELNS1_11target_archE942ELNS1_3gpuE9ELNS1_3repE0EEENS1_30default_config_static_selectorELNS0_4arch9wavefront6targetE1EEEvT1_ ; -- Begin function _ZN7rocprim17ROCPRIM_400000_NS6detail17trampoline_kernelINS0_14default_configENS1_25partition_config_selectorILNS1_17partition_subalgoE8EfNS0_10empty_typeEbEEZZNS1_14partition_implILS5_8ELb0ES3_jPKfPS6_PKS6_NS0_5tupleIJPfS6_EEENSE_IJSB_SB_EEENS0_18inequality_wrapperIN6hipcub16HIPCUB_304000_NS8EqualityEEEPlJS6_EEE10hipError_tPvRmT3_T4_T5_T6_T7_T9_mT8_P12ihipStream_tbDpT10_ENKUlT_T0_E_clISt17integral_constantIbLb0EES16_IbLb1EEEEDaS12_S13_EUlS12_E_NS1_11comp_targetILNS1_3genE5ELNS1_11target_archE942ELNS1_3gpuE9ELNS1_3repE0EEENS1_30default_config_static_selectorELNS0_4arch9wavefront6targetE1EEEvT1_
	.globl	_ZN7rocprim17ROCPRIM_400000_NS6detail17trampoline_kernelINS0_14default_configENS1_25partition_config_selectorILNS1_17partition_subalgoE8EfNS0_10empty_typeEbEEZZNS1_14partition_implILS5_8ELb0ES3_jPKfPS6_PKS6_NS0_5tupleIJPfS6_EEENSE_IJSB_SB_EEENS0_18inequality_wrapperIN6hipcub16HIPCUB_304000_NS8EqualityEEEPlJS6_EEE10hipError_tPvRmT3_T4_T5_T6_T7_T9_mT8_P12ihipStream_tbDpT10_ENKUlT_T0_E_clISt17integral_constantIbLb0EES16_IbLb1EEEEDaS12_S13_EUlS12_E_NS1_11comp_targetILNS1_3genE5ELNS1_11target_archE942ELNS1_3gpuE9ELNS1_3repE0EEENS1_30default_config_static_selectorELNS0_4arch9wavefront6targetE1EEEvT1_
	.p2align	8
	.type	_ZN7rocprim17ROCPRIM_400000_NS6detail17trampoline_kernelINS0_14default_configENS1_25partition_config_selectorILNS1_17partition_subalgoE8EfNS0_10empty_typeEbEEZZNS1_14partition_implILS5_8ELb0ES3_jPKfPS6_PKS6_NS0_5tupleIJPfS6_EEENSE_IJSB_SB_EEENS0_18inequality_wrapperIN6hipcub16HIPCUB_304000_NS8EqualityEEEPlJS6_EEE10hipError_tPvRmT3_T4_T5_T6_T7_T9_mT8_P12ihipStream_tbDpT10_ENKUlT_T0_E_clISt17integral_constantIbLb0EES16_IbLb1EEEEDaS12_S13_EUlS12_E_NS1_11comp_targetILNS1_3genE5ELNS1_11target_archE942ELNS1_3gpuE9ELNS1_3repE0EEENS1_30default_config_static_selectorELNS0_4arch9wavefront6targetE1EEEvT1_,@function
_ZN7rocprim17ROCPRIM_400000_NS6detail17trampoline_kernelINS0_14default_configENS1_25partition_config_selectorILNS1_17partition_subalgoE8EfNS0_10empty_typeEbEEZZNS1_14partition_implILS5_8ELb0ES3_jPKfPS6_PKS6_NS0_5tupleIJPfS6_EEENSE_IJSB_SB_EEENS0_18inequality_wrapperIN6hipcub16HIPCUB_304000_NS8EqualityEEEPlJS6_EEE10hipError_tPvRmT3_T4_T5_T6_T7_T9_mT8_P12ihipStream_tbDpT10_ENKUlT_T0_E_clISt17integral_constantIbLb0EES16_IbLb1EEEEDaS12_S13_EUlS12_E_NS1_11comp_targetILNS1_3genE5ELNS1_11target_archE942ELNS1_3gpuE9ELNS1_3repE0EEENS1_30default_config_static_selectorELNS0_4arch9wavefront6targetE1EEEvT1_: ; @_ZN7rocprim17ROCPRIM_400000_NS6detail17trampoline_kernelINS0_14default_configENS1_25partition_config_selectorILNS1_17partition_subalgoE8EfNS0_10empty_typeEbEEZZNS1_14partition_implILS5_8ELb0ES3_jPKfPS6_PKS6_NS0_5tupleIJPfS6_EEENSE_IJSB_SB_EEENS0_18inequality_wrapperIN6hipcub16HIPCUB_304000_NS8EqualityEEEPlJS6_EEE10hipError_tPvRmT3_T4_T5_T6_T7_T9_mT8_P12ihipStream_tbDpT10_ENKUlT_T0_E_clISt17integral_constantIbLb0EES16_IbLb1EEEEDaS12_S13_EUlS12_E_NS1_11comp_targetILNS1_3genE5ELNS1_11target_archE942ELNS1_3gpuE9ELNS1_3repE0EEENS1_30default_config_static_selectorELNS0_4arch9wavefront6targetE1EEEvT1_
; %bb.0:
	s_load_dwordx4 s[36:39], s[0:1], 0x40
	s_load_dwordx2 s[8:9], s[0:1], 0x50
	s_load_dwordx2 s[42:43], s[0:1], 0x60
	v_cmp_ne_u32_e64 s[2:3], 0, v0
	v_cmp_eq_u32_e64 s[18:19], 0, v0
	s_and_saveexec_b64 s[4:5], s[18:19]
	s_cbranch_execz .LBB366_4
; %bb.1:
	s_mov_b64 s[10:11], exec
	v_mbcnt_lo_u32_b32 v1, s10, 0
	v_mbcnt_hi_u32_b32 v1, s11, v1
	v_cmp_eq_u32_e32 vcc, 0, v1
                                        ; implicit-def: $vgpr2
	s_and_saveexec_b64 s[6:7], vcc
	s_cbranch_execz .LBB366_3
; %bb.2:
	s_load_dwordx2 s[12:13], s[0:1], 0x70
	s_bcnt1_i32_b64 s10, s[10:11]
	v_mov_b32_e32 v2, 0
	v_mov_b32_e32 v3, s10
	s_waitcnt lgkmcnt(0)
	global_atomic_add v2, v2, v3, s[12:13] sc0
.LBB366_3:
	s_or_b64 exec, exec, s[6:7]
	s_waitcnt vmcnt(0)
	v_readfirstlane_b32 s6, v2
	v_mov_b32_e32 v2, 0
	s_nop 0
	v_add_u32_e32 v1, s6, v1
	ds_write_b32 v2, v1
.LBB366_4:
	s_or_b64 exec, exec, s[4:5]
	v_mov_b32_e32 v3, 0
	s_load_dwordx4 s[4:7], s[0:1], 0x8
	s_load_dwordx2 s[40:41], s[0:1], 0x28
	s_load_dword s10, s[0:1], 0x68
	s_waitcnt lgkmcnt(0)
	s_barrier
	ds_read_b32 v1, v3
	s_waitcnt lgkmcnt(0)
	s_barrier
	global_load_dwordx2 v[18:19], v3, s[38:39]
	s_lshl_b64 s[0:1], s[6:7], 2
	s_add_u32 s4, s4, s0
	s_movk_i32 s0, 0x1e00
	v_mul_lo_u32 v2, v1, s0
	s_mul_i32 s0, s10, 0x1e00
	s_addc_u32 s5, s5, s1
	s_add_i32 s1, s0, s6
	v_mov_b32_e32 v5, s9
	s_add_i32 s9, s10, -1
	s_sub_i32 s50, s8, s1
	s_add_u32 s0, s6, s0
	v_readfirstlane_b32 s33, v1
	s_addc_u32 s1, s7, 0
	v_mov_b32_e32 v4, s8
	s_cmp_eq_u32 s33, s9
	v_cmp_ge_u64_e32 vcc, s[0:1], v[4:5]
	s_cselect_b64 s[34:35], -1, 0
	s_and_b64 s[44:45], vcc, s[34:35]
	s_xor_b64 s[38:39], s[44:45], -1
	v_lshlrev_b64 v[4:5], 2, v[2:3]
	s_mov_b64 s[0:1], -1
	v_lshl_add_u64 v[34:35], s[4:5], 0, v[4:5]
	s_and_b64 vcc, exec, s[38:39]
	s_cbranch_vccz .LBB366_6
; %bb.5:
	v_lshlrev_b32_e32 v2, 2, v0
	v_lshl_add_u64 v[4:5], v[34:35], 0, v[2:3]
	v_add_co_u32_e32 v6, vcc, 0x1000, v4
	v_readfirstlane_b32 s0, v34
	s_nop 0
	v_addc_co_u32_e32 v7, vcc, 0, v5, vcc
	v_add_co_u32_e32 v8, vcc, 0x2000, v4
	v_readfirstlane_b32 s1, v35
	s_nop 0
	v_addc_co_u32_e32 v9, vcc, 0, v5, vcc
	v_add_co_u32_e32 v10, vcc, 0x3000, v4
	s_nop 1
	global_load_dword v1, v2, s[0:1]
	global_load_dword v3, v2, s[0:1] offset:2048
	v_addc_co_u32_e32 v11, vcc, 0, v5, vcc
	v_add_co_u32_e32 v12, vcc, 0x4000, v4
	s_mov_b64 s[0:1], 0
	s_nop 0
	v_addc_co_u32_e32 v13, vcc, 0, v5, vcc
	global_load_dword v14, v[6:7], off
	global_load_dword v15, v[6:7], off offset:2048
	global_load_dword v16, v[8:9], off
	global_load_dword v17, v[8:9], off offset:2048
	;; [unrolled: 2-line block ×4, first 2 shown]
	v_add_co_u32_e32 v6, vcc, 0x5000, v4
	s_nop 1
	v_addc_co_u32_e32 v7, vcc, 0, v5, vcc
	v_add_co_u32_e32 v8, vcc, 0x6000, v4
	s_nop 1
	v_addc_co_u32_e32 v9, vcc, 0, v5, vcc
	global_load_dword v10, v[6:7], off
	global_load_dword v11, v[6:7], off offset:2048
	global_load_dword v12, v[8:9], off
	global_load_dword v13, v[8:9], off offset:2048
	v_add_co_u32_e32 v4, vcc, 0x7000, v4
	s_nop 1
	v_addc_co_u32_e32 v5, vcc, 0, v5, vcc
	global_load_dword v4, v[4:5], off
	s_waitcnt vmcnt(13)
	ds_write2st64_b32 v2, v1, v3 offset1:8
	s_waitcnt vmcnt(11)
	ds_write2st64_b32 v2, v14, v15 offset0:16 offset1:24
	s_waitcnt vmcnt(9)
	ds_write2st64_b32 v2, v16, v17 offset0:32 offset1:40
	;; [unrolled: 2-line block ×6, first 2 shown]
	s_waitcnt vmcnt(0)
	ds_write_b32 v2, v4 offset:28672
	s_waitcnt lgkmcnt(0)
	s_barrier
.LBB366_6:
	s_andn2_b64 vcc, exec, s[0:1]
	s_addk_i32 s50, 0x1e00
	s_cbranch_vccnz .LBB366_38
; %bb.7:
	v_cmp_gt_u32_e32 vcc, s50, v0
                                        ; implicit-def: $vgpr2_vgpr3_vgpr4_vgpr5_vgpr6_vgpr7_vgpr8_vgpr9_vgpr10_vgpr11_vgpr12_vgpr13_vgpr14_vgpr15_vgpr16_vgpr17
	s_and_saveexec_b64 s[0:1], vcc
	s_cbranch_execz .LBB366_9
; %bb.8:
	v_lshlrev_b32_e32 v1, 2, v0
	v_readfirstlane_b32 s4, v34
	v_readfirstlane_b32 s5, v35
	s_nop 4
	global_load_dword v2, v1, s[4:5]
.LBB366_9:
	s_or_b64 exec, exec, s[0:1]
	v_or_b32_e32 v1, 0x200, v0
	v_cmp_gt_u32_e32 vcc, s50, v1
	s_and_saveexec_b64 s[0:1], vcc
	s_cbranch_execz .LBB366_11
; %bb.10:
	v_lshlrev_b32_e32 v1, 2, v0
	v_readfirstlane_b32 s4, v34
	v_readfirstlane_b32 s5, v35
	s_nop 4
	global_load_dword v3, v1, s[4:5] offset:2048
.LBB366_11:
	s_or_b64 exec, exec, s[0:1]
	v_or_b32_e32 v1, 0x400, v0
	v_cmp_gt_u32_e32 vcc, s50, v1
	s_and_saveexec_b64 s[0:1], vcc
	s_cbranch_execz .LBB366_13
; %bb.12:
	v_lshlrev_b32_e32 v1, 2, v1
	v_readfirstlane_b32 s4, v34
	v_readfirstlane_b32 s5, v35
	s_nop 4
	global_load_dword v4, v1, s[4:5]
.LBB366_13:
	s_or_b64 exec, exec, s[0:1]
	v_or_b32_e32 v1, 0x600, v0
	v_cmp_gt_u32_e32 vcc, s50, v1
	s_and_saveexec_b64 s[0:1], vcc
	s_cbranch_execz .LBB366_15
; %bb.14:
	v_lshlrev_b32_e32 v1, 2, v1
	v_readfirstlane_b32 s4, v34
	v_readfirstlane_b32 s5, v35
	s_nop 4
	global_load_dword v5, v1, s[4:5]
.LBB366_15:
	;; [unrolled: 12-line block ×13, first 2 shown]
	s_or_b64 exec, exec, s[0:1]
	v_lshlrev_b32_e32 v1, 2, v0
	s_waitcnt vmcnt(0)
	ds_write2st64_b32 v1, v2, v3 offset1:8
	ds_write2st64_b32 v1, v4, v5 offset0:16 offset1:24
	ds_write2st64_b32 v1, v6, v7 offset0:32 offset1:40
	;; [unrolled: 1-line block ×6, first 2 shown]
	ds_write_b32 v1, v16 offset:28672
	s_waitcnt lgkmcnt(0)
	s_barrier
.LBB366_38:
	v_mul_u32_u24_e32 v10, 15, v0
	v_lshlrev_b32_e32 v17, 2, v10
	ds_read2_b32 v[32:33], v17 offset1:1
	ds_read2_b32 v[30:31], v17 offset0:2 offset1:3
	ds_read2_b32 v[28:29], v17 offset0:4 offset1:5
	;; [unrolled: 1-line block ×6, first 2 shown]
	ds_read_b32 v1, v17 offset:56
	s_cmp_lg_u32 s33, 0
	s_cselect_b64 s[46:47], -1, 0
	s_cmp_lg_u64 s[6:7], 0
	s_cselect_b64 s[0:1], -1, 0
	s_or_b64 s[0:1], s[0:1], s[46:47]
	v_mad_u32_u24 v15, v0, 15, 1
	v_mad_u32_u24 v11, v0, 15, 2
	;; [unrolled: 1-line block ×14, first 2 shown]
	s_mov_b64 s[48:49], 0
	s_and_b64 vcc, exec, s[0:1]
	s_waitcnt lgkmcnt(0)
	s_barrier
	s_cbranch_vccz .LBB366_43
; %bb.39:
	global_load_dword v34, v[34:35], off offset:-4
	v_lshlrev_b32_e32 v35, 2, v0
	s_and_b64 vcc, exec, s[38:39]
	ds_write_b32 v35, v1
	s_cbranch_vccz .LBB366_45
; %bb.40:
	s_waitcnt vmcnt(0)
	v_mov_b32_e32 v36, v34
	s_waitcnt lgkmcnt(0)
	s_barrier
	s_and_saveexec_b64 s[0:1], s[2:3]
	s_cbranch_execz .LBB366_42
; %bb.41:
	v_add_u32_e32 v36, -4, v35
	ds_read_b32 v36, v36
.LBB366_42:
	s_or_b64 exec, exec, s[0:1]
	v_cmp_neq_f32_e32 vcc, v21, v1
	s_waitcnt lgkmcnt(0)
	v_cmp_neq_f32_e64 s[0:1], v36, v32
	v_cndmask_b32_e64 v37, 0, 1, vcc
	v_cmp_neq_f32_e32 vcc, v20, v21
	s_nop 1
	v_cndmask_b32_e64 v40, 0, 1, vcc
	v_cmp_neq_f32_e32 vcc, v23, v20
	s_nop 1
	;; [unrolled: 3-line block ×13, first 2 shown]
	v_cndmask_b32_e64 v52, 0, 1, vcc
	s_branch .LBB366_49
.LBB366_43:
                                        ; implicit-def: $sgpr0_sgpr1
                                        ; implicit-def: $vgpr37
                                        ; implicit-def: $vgpr40
                                        ; implicit-def: $vgpr41
                                        ; implicit-def: $vgpr42
                                        ; implicit-def: $vgpr43
                                        ; implicit-def: $vgpr44
                                        ; implicit-def: $vgpr45
                                        ; implicit-def: $vgpr46
                                        ; implicit-def: $vgpr52
                                        ; implicit-def: $vgpr51
                                        ; implicit-def: $vgpr50
                                        ; implicit-def: $vgpr49
                                        ; implicit-def: $vgpr48
                                        ; implicit-def: $vgpr47
	s_branch .LBB366_50
.LBB366_44:
                                        ; implicit-def: $sgpr6
	s_branch .LBB366_58
.LBB366_45:
                                        ; implicit-def: $sgpr0_sgpr1
                                        ; implicit-def: $vgpr37
                                        ; implicit-def: $vgpr40
                                        ; implicit-def: $vgpr41
                                        ; implicit-def: $vgpr42
                                        ; implicit-def: $vgpr43
                                        ; implicit-def: $vgpr44
                                        ; implicit-def: $vgpr45
                                        ; implicit-def: $vgpr46
                                        ; implicit-def: $vgpr52
                                        ; implicit-def: $vgpr51
                                        ; implicit-def: $vgpr50
                                        ; implicit-def: $vgpr49
                                        ; implicit-def: $vgpr48
                                        ; implicit-def: $vgpr47
	s_cbranch_execz .LBB366_49
; %bb.46:
	s_waitcnt lgkmcnt(0)
	s_barrier
	s_and_saveexec_b64 s[0:1], s[2:3]
	s_cbranch_execz .LBB366_48
; %bb.47:
	s_waitcnt vmcnt(0)
	v_add_u32_e32 v34, -4, v35
	ds_read_b32 v34, v34
.LBB366_48:
	s_or_b64 exec, exec, s[0:1]
	v_cmp_gt_u32_e32 vcc, s50, v2
	v_cmp_neq_f32_e64 s[0:1], v21, v1
	s_and_b64 s[0:1], vcc, s[0:1]
	v_cmp_gt_u32_e32 vcc, s50, v5
	v_cndmask_b32_e64 v37, 0, 1, s[0:1]
	v_cmp_neq_f32_e64 s[0:1], v20, v21
	s_and_b64 s[0:1], vcc, s[0:1]
	v_cmp_gt_u32_e32 vcc, s50, v4
	v_cndmask_b32_e64 v40, 0, 1, s[0:1]
	;; [unrolled: 4-line block ×14, first 2 shown]
	s_waitcnt vmcnt(0) lgkmcnt(0)
	v_cmp_neq_f32_e64 s[0:1], v34, v32
	s_and_b64 s[0:1], vcc, s[0:1]
.LBB366_49:
	s_mov_b64 s[48:49], -1
	s_cbranch_execnz .LBB366_44
.LBB366_50:
	s_movk_i32 s0, 0xffc8
	v_mad_i32_i24 v17, v0, s0, v17
	s_and_b64 vcc, exec, s[38:39]
	v_cmp_neq_f32_e64 s[0:1], v21, v1
	v_cmp_neq_f32_e64 s[4:5], v20, v21
	;; [unrolled: 1-line block ×14, first 2 shown]
	ds_write_b32 v17, v1
	s_cbranch_vccz .LBB366_54
; %bb.51:
	v_cndmask_b32_e64 v37, 0, 1, s[0:1]
	v_cndmask_b32_e64 v40, 0, 1, s[4:5]
	v_cndmask_b32_e64 v41, 0, 1, s[6:7]
	v_cndmask_b32_e64 v42, 0, 1, s[8:9]
	v_cndmask_b32_e64 v43, 0, 1, s[10:11]
	v_cndmask_b32_e64 v44, 0, 1, s[12:13]
	v_cndmask_b32_e64 v45, 0, 1, s[14:15]
	v_cndmask_b32_e64 v46, 0, 1, s[16:17]
	v_cndmask_b32_e64 v47, 0, 1, s[20:21]
	v_cndmask_b32_e64 v48, 0, 1, s[22:23]
	v_cndmask_b32_e64 v49, 0, 1, s[24:25]
	v_cndmask_b32_e64 v50, 0, 1, s[26:27]
	v_cndmask_b32_e64 v51, 0, 1, s[28:29]
	v_cndmask_b32_e64 v52, 0, 1, s[30:31]
	s_waitcnt lgkmcnt(0)
	s_barrier
	s_waitcnt lgkmcnt(0)
                                        ; implicit-def: $sgpr0_sgpr1
	s_and_saveexec_b64 s[4:5], s[2:3]
	s_xor_b64 s[4:5], exec, s[4:5]
	s_cbranch_execz .LBB366_53
; %bb.52:
	s_waitcnt vmcnt(0)
	v_add_u32_e32 v34, -4, v17
	ds_read_b32 v34, v34
	s_or_b64 s[48:49], s[48:49], exec
	s_waitcnt lgkmcnt(0)
	v_cmp_neq_f32_e32 vcc, v34, v32
	s_and_b64 s[0:1], vcc, exec
.LBB366_53:
	s_or_b64 exec, exec, s[4:5]
	s_mov_b32 s6, 1
	s_branch .LBB366_58
.LBB366_54:
                                        ; implicit-def: $sgpr0_sgpr1
                                        ; implicit-def: $vgpr37
                                        ; implicit-def: $vgpr40
                                        ; implicit-def: $vgpr41
                                        ; implicit-def: $vgpr42
                                        ; implicit-def: $vgpr43
                                        ; implicit-def: $vgpr44
                                        ; implicit-def: $vgpr45
                                        ; implicit-def: $vgpr46
                                        ; implicit-def: $vgpr52
                                        ; implicit-def: $vgpr51
                                        ; implicit-def: $vgpr50
                                        ; implicit-def: $vgpr49
                                        ; implicit-def: $vgpr48
                                        ; implicit-def: $vgpr47
                                        ; implicit-def: $sgpr6
	s_cbranch_execz .LBB366_58
; %bb.55:
	v_cmp_gt_u32_e32 vcc, s50, v2
	v_cmp_neq_f32_e64 s[0:1], v21, v1
	s_and_b64 s[0:1], vcc, s[0:1]
	v_cmp_gt_u32_e32 vcc, s50, v5
	v_cndmask_b32_e64 v37, 0, 1, s[0:1]
	v_cmp_neq_f32_e64 s[0:1], v20, v21
	s_and_b64 s[0:1], vcc, s[0:1]
	v_cmp_gt_u32_e32 vcc, s50, v4
	v_cndmask_b32_e64 v40, 0, 1, s[0:1]
	;; [unrolled: 4-line block ×13, first 2 shown]
	v_cmp_neq_f32_e64 s[0:1], v32, v33
	s_and_b64 s[0:1], vcc, s[0:1]
	s_waitcnt lgkmcnt(0)
	v_cndmask_b32_e64 v52, 0, 1, s[0:1]
	s_barrier
	s_waitcnt lgkmcnt(0)
                                        ; implicit-def: $sgpr0_sgpr1
	s_and_saveexec_b64 s[4:5], s[2:3]
	s_cbranch_execz .LBB366_57
; %bb.56:
	v_add_u32_e32 v17, -4, v17
	ds_read_b32 v17, v17
	v_cmp_gt_u32_e32 vcc, s50, v10
	s_or_b64 s[48:49], s[48:49], exec
	s_waitcnt lgkmcnt(0)
	v_cmp_neq_f32_e64 s[0:1], v17, v32
	s_and_b64 s[0:1], vcc, s[0:1]
	s_and_b64 s[0:1], s[0:1], exec
.LBB366_57:
	s_or_b64 exec, exec, s[4:5]
	s_mov_b32 s6, 1
.LBB366_58:
	v_mov_b32_e32 v53, s6
	s_and_saveexec_b64 s[2:3], s[48:49]
; %bb.59:
	v_cndmask_b32_e64 v53, 0, 1, s[0:1]
; %bb.60:
	s_or_b64 exec, exec, s[2:3]
	s_andn2_b64 vcc, exec, s[44:45]
	s_cbranch_vccnz .LBB366_62
; %bb.61:
	v_cmp_gt_u32_e32 vcc, s50, v10
	s_nop 1
	v_cndmask_b32_e32 v53, 0, v53, vcc
	v_cmp_gt_u32_e32 vcc, s50, v15
	s_nop 1
	v_cndmask_b32_e32 v52, 0, v52, vcc
	;; [unrolled: 3-line block ×15, first 2 shown]
.LBB366_62:
	v_and_b32_e32 v56, 0xff, v49
	v_and_b32_e32 v57, 0xff, v48
	v_and_b32_e32 v58, 0xff, v47
	v_and_b32_e32 v54, 0xff, v51
	v_and_b32_e32 v55, 0xff, v50
	v_add3_u32 v3, v57, v58, v56
	v_and_b32_e32 v38, 0xff, v53
	v_and_b32_e32 v39, 0xff, v52
	v_add3_u32 v3, v3, v55, v54
	v_and_b32_e32 v59, 0xff, v46
	v_and_b32_e32 v60, 0xff, v45
	;; [unrolled: 3-line block ×5, first 2 shown]
	v_add3_u32 v3, v3, v63, v64
	v_add3_u32 v68, v3, v65, v2
	v_mbcnt_lo_u32_b32 v2, -1, 0
	v_mbcnt_hi_u32_b32 v66, -1, v2
	v_and_b32_e32 v2, 15, v66
	v_cmp_eq_u32_e64 s[14:15], 0, v2
	v_cmp_lt_u32_e64 s[12:13], 1, v2
	v_cmp_lt_u32_e64 s[10:11], 3, v2
	;; [unrolled: 1-line block ×3, first 2 shown]
	v_and_b32_e32 v2, 16, v66
	v_cmp_eq_u32_e64 s[6:7], 0, v2
	v_or_b32_e32 v2, 63, v0
	v_cmp_lt_u32_e64 s[2:3], 31, v66
	v_lshrrev_b32_e32 v67, 6, v0
	v_cmp_eq_u32_e64 s[4:5], v2, v0
	s_and_b64 vcc, exec, s[46:47]
	s_waitcnt lgkmcnt(0)
	s_barrier
	s_cbranch_vccz .LBB366_89
; %bb.63:
	v_mov_b32_dpp v2, v68 row_shr:1 row_mask:0xf bank_mask:0xf
	v_cndmask_b32_e64 v2, v2, 0, s[14:15]
	v_add_u32_e32 v2, v2, v68
	s_nop 1
	v_mov_b32_dpp v3, v2 row_shr:2 row_mask:0xf bank_mask:0xf
	v_cndmask_b32_e64 v3, 0, v3, s[12:13]
	v_add_u32_e32 v2, v2, v3
	s_nop 1
	;; [unrolled: 4-line block ×4, first 2 shown]
	v_mov_b32_dpp v3, v2 row_bcast:15 row_mask:0xf bank_mask:0xf
	v_cndmask_b32_e64 v3, v3, 0, s[6:7]
	v_add_u32_e32 v2, v2, v3
	s_nop 1
	v_mov_b32_dpp v3, v2 row_bcast:31 row_mask:0xf bank_mask:0xf
	v_cndmask_b32_e64 v3, 0, v3, s[2:3]
	v_add_u32_e32 v2, v2, v3
	s_and_saveexec_b64 s[0:1], s[4:5]
	s_cbranch_execz .LBB366_65
; %bb.64:
	v_lshlrev_b32_e32 v3, 2, v67
	ds_write_b32 v3, v2
.LBB366_65:
	s_or_b64 exec, exec, s[0:1]
	v_cmp_gt_u32_e32 vcc, 8, v0
	s_waitcnt lgkmcnt(0)
	s_barrier
	s_and_saveexec_b64 s[0:1], vcc
	s_cbranch_execz .LBB366_67
; %bb.66:
	v_lshlrev_b32_e32 v3, 2, v0
	ds_read_b32 v4, v3
	v_and_b32_e32 v5, 7, v66
	v_cmp_ne_u32_e32 vcc, 0, v5
	s_waitcnt lgkmcnt(0)
	v_mov_b32_dpp v6, v4 row_shr:1 row_mask:0xf bank_mask:0xf
	v_cndmask_b32_e32 v6, 0, v6, vcc
	v_add_u32_e32 v4, v6, v4
	v_cmp_lt_u32_e32 vcc, 1, v5
	s_nop 0
	v_mov_b32_dpp v6, v4 row_shr:2 row_mask:0xf bank_mask:0xf
	v_cndmask_b32_e32 v6, 0, v6, vcc
	v_add_u32_e32 v4, v4, v6
	v_cmp_lt_u32_e32 vcc, 3, v5
	s_nop 0
	v_mov_b32_dpp v6, v4 row_shr:4 row_mask:0xf bank_mask:0xf
	v_cndmask_b32_e32 v5, 0, v6, vcc
	v_add_u32_e32 v4, v4, v5
	ds_write_b32 v3, v4
.LBB366_67:
	s_or_b64 exec, exec, s[0:1]
	v_cmp_gt_u32_e32 vcc, 64, v0
	v_cmp_lt_u32_e64 s[0:1], 63, v0
	s_waitcnt lgkmcnt(0)
	s_barrier
	s_waitcnt lgkmcnt(0)
                                        ; implicit-def: $vgpr12
	s_and_saveexec_b64 s[16:17], s[0:1]
	s_cbranch_execz .LBB366_69
; %bb.68:
	v_lshl_add_u32 v3, v67, 2, -4
	ds_read_b32 v12, v3
	s_waitcnt lgkmcnt(0)
	v_add_u32_e32 v2, v12, v2
.LBB366_69:
	s_or_b64 exec, exec, s[16:17]
	v_add_u32_e32 v3, -1, v66
	v_and_b32_e32 v4, 64, v66
	v_cmp_lt_i32_e64 s[0:1], v3, v4
	v_cmp_eq_u32_e64 s[16:17], 0, v66
	s_nop 0
	v_cndmask_b32_e64 v3, v3, v66, s[0:1]
	v_lshlrev_b32_e32 v3, 2, v3
	ds_bpermute_b32 v13, v3, v2
	s_and_saveexec_b64 s[0:1], vcc
	s_cbranch_execz .LBB366_88
; %bb.70:
	v_mov_b32_e32 v9, 0
	ds_read_b32 v2, v9 offset:28
	s_and_saveexec_b64 s[20:21], s[16:17]
	s_cbranch_execz .LBB366_72
; %bb.71:
	s_add_i32 s22, s33, 64
	s_mov_b32 s23, 0
	s_lshl_b64 s[22:23], s[22:23], 3
	s_add_u32 s22, s42, s22
	v_mov_b32_e32 v3, 1
	s_addc_u32 s23, s43, s23
	s_waitcnt lgkmcnt(0)
	global_store_dwordx2 v9, v[2:3], s[22:23] sc1
.LBB366_72:
	s_or_b64 exec, exec, s[20:21]
	v_xad_u32 v4, v66, -1, s33
	v_add_u32_e32 v8, 64, v4
	v_lshl_add_u64 v[10:11], v[8:9], 3, s[42:43]
	global_load_dwordx2 v[6:7], v[10:11], off sc1
	s_waitcnt vmcnt(0)
	v_cmp_eq_u16_sdwa s[22:23], v7, v9 src0_sel:BYTE_0 src1_sel:DWORD
	s_and_saveexec_b64 s[20:21], s[22:23]
	s_cbranch_execz .LBB366_76
; %bb.73:
	s_mov_b64 s[22:23], 0
	v_mov_b32_e32 v3, 0
.LBB366_74:                             ; =>This Inner Loop Header: Depth=1
	global_load_dwordx2 v[6:7], v[10:11], off sc1
	s_waitcnt vmcnt(0)
	v_cmp_ne_u16_sdwa s[24:25], v7, v3 src0_sel:BYTE_0 src1_sel:DWORD
	s_or_b64 s[22:23], s[24:25], s[22:23]
	s_andn2_b64 exec, exec, s[22:23]
	s_cbranch_execnz .LBB366_74
; %bb.75:
	s_or_b64 exec, exec, s[22:23]
.LBB366_76:
	s_or_b64 exec, exec, s[20:21]
	v_and_b32_e32 v15, 63, v66
	v_mov_b32_e32 v14, 2
	v_cmp_ne_u32_e32 vcc, 63, v15
	v_cmp_eq_u16_sdwa s[20:21], v7, v14 src0_sel:BYTE_0 src1_sel:DWORD
	v_lshlrev_b64 v[8:9], v66, -1
	v_addc_co_u32_e32 v10, vcc, 0, v66, vcc
	v_and_b32_e32 v3, s21, v9
	v_lshlrev_b32_e32 v16, 2, v10
	v_or_b32_e32 v3, 0x80000000, v3
	ds_bpermute_b32 v10, v16, v6
	v_and_b32_e32 v5, s20, v8
	v_ffbl_b32_e32 v3, v3
	v_add_u32_e32 v3, 32, v3
	v_ffbl_b32_e32 v5, v5
	v_min_u32_e32 v3, v5, v3
	v_cmp_lt_u32_e32 vcc, v15, v3
	v_add_u32_e32 v34, 2, v15
	v_add_u32_e32 v36, 4, v15
	s_waitcnt lgkmcnt(0)
	v_cndmask_b32_e32 v5, 0, v10, vcc
	v_cmp_gt_u32_e32 vcc, 62, v15
	v_add_u32_e32 v5, v5, v6
	v_add_u32_e32 v70, 8, v15
	v_cndmask_b32_e64 v6, 0, 1, vcc
	v_lshlrev_b32_e32 v6, 1, v6
	v_add_lshl_u32 v17, v6, v66, 2
	ds_bpermute_b32 v6, v17, v5
	v_cmp_le_u32_e32 vcc, v34, v3
	v_add_u32_e32 v72, 16, v15
	v_add_u32_e32 v74, 32, v15
	s_waitcnt lgkmcnt(0)
	v_cndmask_b32_e32 v6, 0, v6, vcc
	v_cmp_gt_u32_e32 vcc, 60, v15
	v_add_u32_e32 v5, v5, v6
	s_nop 0
	v_cndmask_b32_e64 v6, 0, 1, vcc
	v_lshlrev_b32_e32 v6, 2, v6
	v_add_lshl_u32 v35, v6, v66, 2
	ds_bpermute_b32 v6, v35, v5
	v_cmp_le_u32_e32 vcc, v36, v3
	s_waitcnt lgkmcnt(0)
	s_nop 0
	v_cndmask_b32_e32 v6, 0, v6, vcc
	v_cmp_gt_u32_e32 vcc, 56, v15
	v_add_u32_e32 v5, v5, v6
	s_nop 0
	v_cndmask_b32_e64 v6, 0, 1, vcc
	v_lshlrev_b32_e32 v6, 3, v6
	v_add_lshl_u32 v69, v6, v66, 2
	ds_bpermute_b32 v6, v69, v5
	v_cmp_le_u32_e32 vcc, v70, v3
	s_waitcnt lgkmcnt(0)
	s_nop 0
	v_cndmask_b32_e32 v6, 0, v6, vcc
	v_cmp_gt_u32_e32 vcc, 48, v15
	v_add_u32_e32 v5, v5, v6
	s_nop 0
	v_cndmask_b32_e64 v6, 0, 1, vcc
	v_lshlrev_b32_e32 v6, 4, v6
	v_add_lshl_u32 v71, v6, v66, 2
	ds_bpermute_b32 v6, v71, v5
	v_cmp_le_u32_e32 vcc, v72, v3
	s_waitcnt lgkmcnt(0)
	s_nop 0
	v_cndmask_b32_e32 v6, 0, v6, vcc
	v_cmp_gt_u32_e32 vcc, 32, v15
	v_add_u32_e32 v5, v5, v6
	s_nop 0
	v_cndmask_b32_e64 v6, 0, 1, vcc
	v_lshlrev_b32_e32 v6, 5, v6
	v_add_lshl_u32 v73, v6, v66, 2
	ds_bpermute_b32 v6, v73, v5
	v_cmp_le_u32_e32 vcc, v74, v3
	s_waitcnt lgkmcnt(0)
	s_nop 0
	v_cndmask_b32_e32 v3, 0, v6, vcc
	v_add_u32_e32 v6, v5, v3
	v_mov_b32_e32 v5, 0
	s_branch .LBB366_78
.LBB366_77:                             ;   in Loop: Header=BB366_78 Depth=1
	s_or_b64 exec, exec, s[20:21]
	v_cmp_eq_u16_sdwa s[20:21], v7, v14 src0_sel:BYTE_0 src1_sel:DWORD
	ds_bpermute_b32 v75, v16, v6
	v_subrev_u32_e32 v4, 64, v4
	v_and_b32_e32 v10, s21, v9
	v_or_b32_e32 v10, 0x80000000, v10
	v_and_b32_e32 v11, s20, v8
	v_ffbl_b32_e32 v10, v10
	v_add_u32_e32 v10, 32, v10
	v_ffbl_b32_e32 v11, v11
	v_min_u32_e32 v10, v11, v10
	v_cmp_lt_u32_e32 vcc, v15, v10
	s_waitcnt lgkmcnt(0)
	s_nop 0
	v_cndmask_b32_e32 v11, 0, v75, vcc
	v_add_u32_e32 v6, v11, v6
	ds_bpermute_b32 v11, v17, v6
	v_cmp_le_u32_e32 vcc, v34, v10
	s_waitcnt lgkmcnt(0)
	s_nop 0
	v_cndmask_b32_e32 v11, 0, v11, vcc
	v_add_u32_e32 v6, v6, v11
	ds_bpermute_b32 v11, v35, v6
	v_cmp_le_u32_e32 vcc, v36, v10
	;; [unrolled: 6-line block ×5, first 2 shown]
	s_waitcnt lgkmcnt(0)
	s_nop 0
	v_cndmask_b32_e32 v10, 0, v11, vcc
	v_add3_u32 v6, v10, v3, v6
.LBB366_78:                             ; =>This Loop Header: Depth=1
                                        ;     Child Loop BB366_81 Depth 2
	v_cmp_ne_u16_sdwa s[20:21], v7, v14 src0_sel:BYTE_0 src1_sel:DWORD
	s_nop 1
	v_cndmask_b32_e64 v3, 0, 1, s[20:21]
	;;#ASMSTART
	;;#ASMEND
	s_nop 0
	v_cmp_ne_u32_e32 vcc, 0, v3
	s_cmp_lg_u64 vcc, exec
	v_mov_b32_e32 v3, v6
	s_cbranch_scc1 .LBB366_83
; %bb.79:                               ;   in Loop: Header=BB366_78 Depth=1
	v_lshl_add_u64 v[10:11], v[4:5], 3, s[42:43]
	global_load_dwordx2 v[6:7], v[10:11], off sc1
	s_waitcnt vmcnt(0)
	v_cmp_eq_u16_sdwa s[22:23], v7, v5 src0_sel:BYTE_0 src1_sel:DWORD
	s_and_saveexec_b64 s[20:21], s[22:23]
	s_cbranch_execz .LBB366_77
; %bb.80:                               ;   in Loop: Header=BB366_78 Depth=1
	s_mov_b64 s[22:23], 0
.LBB366_81:                             ;   Parent Loop BB366_78 Depth=1
                                        ; =>  This Inner Loop Header: Depth=2
	global_load_dwordx2 v[6:7], v[10:11], off sc1
	s_waitcnt vmcnt(0)
	v_cmp_ne_u16_sdwa s[24:25], v7, v5 src0_sel:BYTE_0 src1_sel:DWORD
	s_or_b64 s[22:23], s[24:25], s[22:23]
	s_andn2_b64 exec, exec, s[22:23]
	s_cbranch_execnz .LBB366_81
; %bb.82:                               ;   in Loop: Header=BB366_78 Depth=1
	s_or_b64 exec, exec, s[22:23]
	s_branch .LBB366_77
.LBB366_83:                             ;   in Loop: Header=BB366_78 Depth=1
                                        ; implicit-def: $vgpr6
                                        ; implicit-def: $vgpr7
	s_cbranch_execz .LBB366_78
; %bb.84:
	s_and_saveexec_b64 s[20:21], s[16:17]
	s_cbranch_execz .LBB366_86
; %bb.85:
	s_add_i32 s22, s33, 64
	s_mov_b32 s23, 0
	s_lshl_b64 s[22:23], s[22:23], 3
	s_add_u32 s22, s42, s22
	v_add_u32_e32 v4, v3, v2
	v_mov_b32_e32 v5, 2
	s_addc_u32 s23, s43, s23
	v_mov_b32_e32 v6, 0
	global_store_dwordx2 v6, v[4:5], s[22:23] sc1
	ds_write_b64 v6, v[2:3] offset:30720
.LBB366_86:
	s_or_b64 exec, exec, s[20:21]
	s_and_b64 exec, exec, s[18:19]
	s_cbranch_execz .LBB366_88
; %bb.87:
	v_mov_b32_e32 v2, 0
	ds_write_b32 v2, v3 offset:28
.LBB366_88:
	s_or_b64 exec, exec, s[0:1]
	v_mov_b32_e32 v14, 0
	s_waitcnt lgkmcnt(0)
	s_barrier
	ds_read_b32 v2, v14 offset:28
	v_cndmask_b32_e64 v3, v13, v12, s[16:17]
	v_cndmask_b32_e64 v3, v3, 0, s[18:19]
	s_waitcnt lgkmcnt(0)
	s_barrier
	v_add_u32_e32 v2, v2, v3
	v_add_u32_e32 v3, v2, v38
	;; [unrolled: 1-line block ×10, first 2 shown]
	s_waitcnt vmcnt(0)
	ds_read_b64 v[34:35], v14 offset:30720
	v_add_u32_e32 v12, v11, v61
	v_add_u32_e32 v13, v12, v62
	v_add_u32_e32 v14, v13, v63
	v_add_u32_e32 v15, v14, v64
	v_add_u32_e32 v16, v15, v65
	s_waitcnt lgkmcnt(0)
	v_mov_b32_e32 v36, v35
	s_branch .LBB366_99
.LBB366_89:
                                        ; implicit-def: $vgpr36
                                        ; implicit-def: $vgpr34
                                        ; implicit-def: $vgpr2_vgpr3_vgpr4_vgpr5_vgpr6_vgpr7_vgpr8_vgpr9_vgpr10_vgpr11_vgpr12_vgpr13_vgpr14_vgpr15_vgpr16_vgpr17
	s_cbranch_execz .LBB366_99
; %bb.90:
	s_nop 0
	v_mov_b32_dpp v2, v68 row_shr:1 row_mask:0xf bank_mask:0xf
	v_cndmask_b32_e64 v2, v2, 0, s[14:15]
	v_add_u32_e32 v2, v2, v68
	s_nop 1
	v_mov_b32_dpp v3, v2 row_shr:2 row_mask:0xf bank_mask:0xf
	v_cndmask_b32_e64 v3, 0, v3, s[12:13]
	v_add_u32_e32 v2, v2, v3
	;; [unrolled: 4-line block ×4, first 2 shown]
	s_nop 1
	v_mov_b32_dpp v3, v2 row_bcast:15 row_mask:0xf bank_mask:0xf
	v_cndmask_b32_e64 v3, v3, 0, s[6:7]
	v_add_u32_e32 v2, v2, v3
	s_nop 1
	v_mov_b32_dpp v3, v2 row_bcast:31 row_mask:0xf bank_mask:0xf
	v_cndmask_b32_e64 v3, 0, v3, s[2:3]
	v_add_u32_e32 v2, v2, v3
	s_and_saveexec_b64 s[0:1], s[4:5]
	s_cbranch_execz .LBB366_92
; %bb.91:
	v_lshlrev_b32_e32 v3, 2, v67
	ds_write_b32 v3, v2
.LBB366_92:
	s_or_b64 exec, exec, s[0:1]
	v_cmp_gt_u32_e32 vcc, 8, v0
	s_waitcnt lgkmcnt(0)
	s_barrier
	s_and_saveexec_b64 s[0:1], vcc
	s_cbranch_execz .LBB366_94
; %bb.93:
	v_lshlrev_b32_e32 v3, 2, v0
	ds_read_b32 v4, v3
	v_and_b32_e32 v5, 7, v66
	v_cmp_ne_u32_e32 vcc, 0, v5
	s_waitcnt lgkmcnt(0)
	v_mov_b32_dpp v6, v4 row_shr:1 row_mask:0xf bank_mask:0xf
	v_cndmask_b32_e32 v6, 0, v6, vcc
	v_add_u32_e32 v4, v6, v4
	v_cmp_lt_u32_e32 vcc, 1, v5
	s_nop 0
	v_mov_b32_dpp v6, v4 row_shr:2 row_mask:0xf bank_mask:0xf
	v_cndmask_b32_e32 v6, 0, v6, vcc
	v_add_u32_e32 v4, v4, v6
	v_cmp_lt_u32_e32 vcc, 3, v5
	s_nop 0
	v_mov_b32_dpp v6, v4 row_shr:4 row_mask:0xf bank_mask:0xf
	v_cndmask_b32_e32 v5, 0, v6, vcc
	v_add_u32_e32 v4, v4, v5
	ds_write_b32 v3, v4
.LBB366_94:
	s_or_b64 exec, exec, s[0:1]
	v_cmp_lt_u32_e32 vcc, 63, v0
	v_mov_b32_e32 v4, 0
	v_mov_b32_e32 v3, 0
	s_waitcnt lgkmcnt(0)
	s_barrier
	s_and_saveexec_b64 s[0:1], vcc
	s_cbranch_execz .LBB366_96
; %bb.95:
	v_lshl_add_u32 v3, v67, 2, -4
	ds_read_b32 v3, v3
.LBB366_96:
	s_or_b64 exec, exec, s[0:1]
	v_add_u32_e32 v5, -1, v66
	v_and_b32_e32 v6, 64, v66
	v_cmp_lt_i32_e32 vcc, v5, v6
	s_waitcnt lgkmcnt(0)
	v_add_u32_e32 v2, v3, v2
	s_waitcnt vmcnt(0)
	ds_read_b32 v34, v4 offset:28
	v_cndmask_b32_e32 v5, v5, v66, vcc
	v_lshlrev_b32_e32 v5, 2, v5
	ds_bpermute_b32 v2, v5, v2
	s_and_saveexec_b64 s[0:1], s[18:19]
	s_cbranch_execz .LBB366_98
; %bb.97:
	v_mov_b32_e32 v4, 0
	v_mov_b32_e32 v35, 2
	s_waitcnt lgkmcnt(1)
	global_store_dwordx2 v4, v[34:35], s[42:43] offset:512 sc1
.LBB366_98:
	s_or_b64 exec, exec, s[0:1]
	v_cmp_eq_u32_e32 vcc, 0, v66
	v_mov_b32_e32 v36, 0
	s_waitcnt lgkmcnt(0)
	v_cndmask_b32_e32 v2, v2, v3, vcc
	v_cndmask_b32_e64 v2, v2, 0, s[18:19]
	v_add_u32_e32 v3, v2, v38
	v_add_u32_e32 v4, v3, v39
	;; [unrolled: 1-line block ×14, first 2 shown]
	s_barrier
.LBB366_99:
	s_movk_i32 s0, 0x201
	s_waitcnt vmcnt(0)
	v_cmp_gt_u32_e32 vcc, s0, v34
	s_mov_b64 s[0:1], -1
	s_cbranch_vccnz .LBB366_103
; %bb.100:
	s_and_b64 vcc, exec, s[0:1]
	s_cbranch_vccnz .LBB366_149
.LBB366_101:
	s_and_b64 s[0:1], s[18:19], s[34:35]
	s_and_saveexec_b64 s[2:3], s[0:1]
	s_cbranch_execnz .LBB366_193
.LBB366_102:
	s_endpgm
.LBB366_103:
	v_add_u32_e32 v17, v36, v34
	v_lshlrev_b64 v[38:39], 2, v[18:19]
	v_cmp_lt_u32_e32 vcc, v2, v17
	v_lshl_add_u64 v[38:39], s[40:41], 0, v[38:39]
	s_or_b64 s[2:3], s[38:39], vcc
	s_and_saveexec_b64 s[0:1], s[2:3]
	s_cbranch_execz .LBB366_106
; %bb.104:
	v_and_b32_e32 v35, 1, v53
	v_cmp_eq_u32_e32 vcc, 1, v35
	s_and_b64 exec, exec, vcc
	s_cbranch_execz .LBB366_106
; %bb.105:
	v_mov_b32_e32 v55, 0
	v_mov_b32_e32 v54, v2
	v_lshl_add_u64 v[54:55], v[54:55], 2, v[38:39]
	global_store_dword v[54:55], v32, off
.LBB366_106:
	s_or_b64 exec, exec, s[0:1]
	v_cmp_lt_u32_e32 vcc, v3, v17
	s_or_b64 s[2:3], s[38:39], vcc
	s_and_saveexec_b64 s[0:1], s[2:3]
	s_cbranch_execz .LBB366_109
; %bb.107:
	v_and_b32_e32 v35, 1, v52
	v_cmp_eq_u32_e32 vcc, 1, v35
	s_and_b64 exec, exec, vcc
	s_cbranch_execz .LBB366_109
; %bb.108:
	v_mov_b32_e32 v55, 0
	v_mov_b32_e32 v54, v3
	v_lshl_add_u64 v[54:55], v[54:55], 2, v[38:39]
	global_store_dword v[54:55], v33, off
.LBB366_109:
	s_or_b64 exec, exec, s[0:1]
	v_cmp_lt_u32_e32 vcc, v4, v17
	;; [unrolled: 16-line block ×14, first 2 shown]
	s_or_b64 s[2:3], s[38:39], vcc
	s_and_saveexec_b64 s[0:1], s[2:3]
	s_cbranch_execz .LBB366_148
; %bb.146:
	v_and_b32_e32 v17, 1, v37
	v_cmp_eq_u32_e32 vcc, 1, v17
	s_and_b64 exec, exec, vcc
	s_cbranch_execz .LBB366_148
; %bb.147:
	v_mov_b32_e32 v17, 0
	v_lshl_add_u64 v[38:39], v[16:17], 2, v[38:39]
	global_store_dword v[38:39], v1, off
.LBB366_148:
	s_or_b64 exec, exec, s[0:1]
	s_branch .LBB366_101
.LBB366_149:
	v_and_b32_e32 v17, 1, v53
	v_cmp_eq_u32_e32 vcc, 1, v17
	s_and_saveexec_b64 s[0:1], vcc
	s_cbranch_execz .LBB366_151
; %bb.150:
	v_sub_u32_e32 v2, v2, v36
	v_lshlrev_b32_e32 v2, 2, v2
	ds_write_b32 v2, v32
.LBB366_151:
	s_or_b64 exec, exec, s[0:1]
	v_and_b32_e32 v2, 1, v52
	v_cmp_eq_u32_e32 vcc, 1, v2
	s_and_saveexec_b64 s[0:1], vcc
	s_cbranch_execz .LBB366_153
; %bb.152:
	v_sub_u32_e32 v2, v3, v36
	v_lshlrev_b32_e32 v2, 2, v2
	ds_write_b32 v2, v33
.LBB366_153:
	s_or_b64 exec, exec, s[0:1]
	;; [unrolled: 10-line block ×15, first 2 shown]
	v_cmp_lt_u32_e32 vcc, v0, v34
	s_waitcnt lgkmcnt(0)
	s_barrier
	s_and_saveexec_b64 s[0:1], vcc
	s_cbranch_execz .LBB366_192
; %bb.180:
	v_mov_b32_e32 v37, 0
	v_lshlrev_b64 v[2:3], 2, v[18:19]
	v_lshl_add_u64 v[2:3], s[40:41], 0, v[2:3]
	v_lshlrev_b64 v[4:5], 2, v[36:37]
	v_xad_u32 v1, v0, -1, v34
	s_movk_i32 s2, 0x1ff
	v_lshl_add_u64 v[2:3], v[2:3], 0, v[4:5]
	v_cmp_lt_u32_e32 vcc, s2, v1
	s_mov_b64 s[4:5], -1
	s_and_saveexec_b64 s[2:3], vcc
	s_cbranch_execz .LBB366_189
; %bb.181:
	v_lshrrev_b32_e32 v8, 9, v1
	v_add_u32_e32 v4, -1, v8
	v_or_b32_e32 v1, 0x200, v0
	v_lshrrev_b32_e32 v5, 1, v4
	v_add_u32_e32 v10, 1, v5
	v_cmp_lt_u32_e32 vcc, 13, v4
	v_lshlrev_b32_e32 v9, 2, v0
	v_mov_b64_e32 v[4:5], v[0:1]
	s_and_saveexec_b64 s[4:5], vcc
	s_cbranch_execz .LBB366_185
; %bb.182:
	v_and_b32_e32 v11, -8, v10
	s_mov_b32 s8, 0
	s_mov_b64 s[6:7], 0
	v_mov_b32_e32 v7, 0
	v_mov_b32_e32 v12, v9
	v_mov_b64_e32 v[4:5], v[0:1]
.LBB366_183:                            ; =>This Inner Loop Header: Depth=1
	ds_read2st64_b32 v[14:15], v12 offset1:8
	v_mov_b32_e32 v6, v4
	ds_read2st64_b32 v[28:29], v12 offset0:48 offset1:56
	v_lshl_add_u64 v[50:51], v[6:7], 2, v[2:3]
	v_mov_b32_e32 v6, v5
	ds_read2st64_b32 v[20:21], v12 offset0:16 offset1:24
	ds_read2st64_b32 v[32:33], v12 offset0:64 offset1:72
	v_lshl_add_u64 v[52:53], v[6:7], 2, v[2:3]
	v_add_u32_e32 v6, 0x400, v4
	ds_read2st64_b32 v[40:41], v12 offset0:80 offset1:88
	v_lshl_add_u64 v[54:55], v[6:7], 2, v[2:3]
	v_add_u32_e32 v6, 0x800, v4
	v_add_u32_e32 v16, 0x400, v5
	v_mov_b32_e32 v17, v7
	v_add_u32_e32 v22, 0x800, v5
	ds_read2st64_b32 v[24:25], v12 offset0:32 offset1:40
	v_mov_b32_e32 v23, v7
	ds_read2st64_b32 v[44:45], v12 offset0:96 offset1:104
	v_lshl_add_u64 v[56:57], v[6:7], 2, v[2:3]
	v_add_u32_e32 v6, 0xc00, v4
	v_add_u32_e32 v26, 0xc00, v5
	v_mov_b32_e32 v27, v7
	ds_read2st64_b32 v[48:49], v12 offset0:112 offset1:120
	v_lshl_add_u64 v[16:17], v[16:17], 2, v[2:3]
	v_lshl_add_u64 v[22:23], v[22:23], 2, v[2:3]
	s_waitcnt lgkmcnt(7)
	global_store_dword v[50:51], v14, off
	global_store_dword v[52:53], v15, off
	s_waitcnt lgkmcnt(5)
	global_store_dword v[54:55], v20, off
	global_store_dword v[16:17], v21, off
	;; [unrolled: 3-line block ×3, first 2 shown]
	v_lshl_add_u64 v[14:15], v[6:7], 2, v[2:3]
	v_add_u32_e32 v6, 0x1000, v4
	v_add_u32_e32 v30, 0x1000, v5
	v_mov_b32_e32 v31, v7
	v_lshl_add_u64 v[26:27], v[26:27], 2, v[2:3]
	global_store_dword v[14:15], v28, off
	global_store_dword v[26:27], v29, off
	v_lshl_add_u64 v[14:15], v[6:7], 2, v[2:3]
	v_add_u32_e32 v6, 0x1400, v4
	v_add_u32_e32 v38, 0x1400, v5
	v_mov_b32_e32 v39, v7
	v_add_u32_e32 v11, -8, v11
	v_lshl_add_u64 v[30:31], v[30:31], 2, v[2:3]
	global_store_dword v[14:15], v32, off
	global_store_dword v[30:31], v33, off
	v_lshl_add_u64 v[14:15], v[6:7], 2, v[2:3]
	v_add_u32_e32 v6, 0x1800, v4
	v_add_u32_e32 v42, 0x1800, v5
	v_mov_b32_e32 v43, v7
	s_add_i32 s8, s8, 16
	v_lshl_add_u64 v[38:39], v[38:39], 2, v[2:3]
	v_cmp_eq_u32_e32 vcc, 0, v11
	global_store_dword v[14:15], v40, off
	global_store_dword v[38:39], v41, off
	v_lshl_add_u64 v[14:15], v[6:7], 2, v[2:3]
	v_add_u32_e32 v6, 0x1c00, v4
	v_add_u32_e32 v46, 0x1c00, v5
	v_mov_b32_e32 v47, v7
	v_add_u32_e32 v12, 0x8000, v12
	v_lshl_add_u64 v[42:43], v[42:43], 2, v[2:3]
	v_add_u32_e32 v5, 0x2000, v5
	v_mov_b32_e32 v37, s8
	s_or_b64 s[6:7], vcc, s[6:7]
	v_add_u32_e32 v4, 0x2000, v4
	s_waitcnt lgkmcnt(1)
	global_store_dword v[14:15], v44, off
	global_store_dword v[42:43], v45, off
	v_lshl_add_u64 v[14:15], v[6:7], 2, v[2:3]
	v_lshl_add_u64 v[46:47], v[46:47], 2, v[2:3]
	s_waitcnt lgkmcnt(0)
	global_store_dword v[14:15], v48, off
	global_store_dword v[46:47], v49, off
	s_andn2_b64 exec, exec, s[6:7]
	s_cbranch_execnz .LBB366_183
; %bb.184:
	s_or_b64 exec, exec, s[6:7]
.LBB366_185:
	s_or_b64 exec, exec, s[4:5]
	v_and_b32_e32 v1, 7, v10
	v_cmp_ne_u32_e32 vcc, 0, v1
	s_and_saveexec_b64 s[4:5], vcc
	s_cbranch_execz .LBB366_188
; %bb.186:
	v_lshl_or_b32 v9, v37, 11, v9
	s_mov_b64 s[6:7], 0
	v_mov_b32_e32 v7, 0
.LBB366_187:                            ; =>This Inner Loop Header: Depth=1
	ds_read2st64_b32 v[10:11], v9 offset1:8
	v_add_u32_e32 v1, -1, v1
	v_mov_b32_e32 v6, v4
	v_cmp_eq_u32_e32 vcc, 0, v1
	v_add_u32_e32 v4, 0x400, v4
	v_add_u32_e32 v9, 0x1000, v9
	v_lshl_add_u64 v[12:13], v[6:7], 2, v[2:3]
	v_mov_b32_e32 v6, v5
	v_add_u32_e32 v5, 0x400, v5
	s_or_b64 s[6:7], vcc, s[6:7]
	v_lshl_add_u64 v[14:15], v[6:7], 2, v[2:3]
	s_waitcnt lgkmcnt(0)
	global_store_dword v[12:13], v10, off
	global_store_dword v[14:15], v11, off
	s_andn2_b64 exec, exec, s[6:7]
	s_cbranch_execnz .LBB366_187
.LBB366_188:
	s_or_b64 exec, exec, s[4:5]
	v_add_u32_e32 v1, 1, v8
	v_and_b32_e32 v4, 0xfffffe, v1
	v_cmp_ne_u32_e32 vcc, v1, v4
	v_lshl_or_b32 v0, v4, 9, v0
	s_orn2_b64 s[4:5], vcc, exec
.LBB366_189:
	s_or_b64 exec, exec, s[2:3]
	s_and_b64 exec, exec, s[4:5]
	s_cbranch_execz .LBB366_192
; %bb.190:
	v_lshlrev_b32_e32 v4, 2, v0
	s_mov_b64 s[2:3], 0
	v_mov_b32_e32 v1, 0
.LBB366_191:                            ; =>This Inner Loop Header: Depth=1
	ds_read_b32 v5, v4
	v_lshl_add_u64 v[6:7], v[0:1], 2, v[2:3]
	v_add_u32_e32 v0, 0x200, v0
	v_cmp_ge_u32_e32 vcc, v0, v34
	v_add_u32_e32 v4, 0x800, v4
	s_or_b64 s[2:3], vcc, s[2:3]
	s_waitcnt lgkmcnt(0)
	global_store_dword v[6:7], v5, off
	s_andn2_b64 exec, exec, s[2:3]
	s_cbranch_execnz .LBB366_191
.LBB366_192:
	s_or_b64 exec, exec, s[0:1]
	s_and_b64 s[0:1], s[18:19], s[34:35]
	s_and_saveexec_b64 s[2:3], s[0:1]
	s_cbranch_execz .LBB366_102
.LBB366_193:
	v_mov_b32_e32 v35, 0
	v_lshl_add_u64 v[0:1], v[18:19], 0, v[34:35]
	v_mov_b32_e32 v37, v35
	v_lshl_add_u64 v[0:1], v[0:1], 0, v[36:37]
	global_store_dwordx2 v35, v[0:1], s[36:37]
	s_endpgm
	.section	.rodata,"a",@progbits
	.p2align	6, 0x0
	.amdhsa_kernel _ZN7rocprim17ROCPRIM_400000_NS6detail17trampoline_kernelINS0_14default_configENS1_25partition_config_selectorILNS1_17partition_subalgoE8EfNS0_10empty_typeEbEEZZNS1_14partition_implILS5_8ELb0ES3_jPKfPS6_PKS6_NS0_5tupleIJPfS6_EEENSE_IJSB_SB_EEENS0_18inequality_wrapperIN6hipcub16HIPCUB_304000_NS8EqualityEEEPlJS6_EEE10hipError_tPvRmT3_T4_T5_T6_T7_T9_mT8_P12ihipStream_tbDpT10_ENKUlT_T0_E_clISt17integral_constantIbLb0EES16_IbLb1EEEEDaS12_S13_EUlS12_E_NS1_11comp_targetILNS1_3genE5ELNS1_11target_archE942ELNS1_3gpuE9ELNS1_3repE0EEENS1_30default_config_static_selectorELNS0_4arch9wavefront6targetE1EEEvT1_
		.amdhsa_group_segment_fixed_size 30728
		.amdhsa_private_segment_fixed_size 0
		.amdhsa_kernarg_size 128
		.amdhsa_user_sgpr_count 2
		.amdhsa_user_sgpr_dispatch_ptr 0
		.amdhsa_user_sgpr_queue_ptr 0
		.amdhsa_user_sgpr_kernarg_segment_ptr 1
		.amdhsa_user_sgpr_dispatch_id 0
		.amdhsa_user_sgpr_kernarg_preload_length 0
		.amdhsa_user_sgpr_kernarg_preload_offset 0
		.amdhsa_user_sgpr_private_segment_size 0
		.amdhsa_uses_dynamic_stack 0
		.amdhsa_enable_private_segment 0
		.amdhsa_system_sgpr_workgroup_id_x 1
		.amdhsa_system_sgpr_workgroup_id_y 0
		.amdhsa_system_sgpr_workgroup_id_z 0
		.amdhsa_system_sgpr_workgroup_info 0
		.amdhsa_system_vgpr_workitem_id 0
		.amdhsa_next_free_vgpr 76
		.amdhsa_next_free_sgpr 51
		.amdhsa_accum_offset 76
		.amdhsa_reserve_vcc 1
		.amdhsa_float_round_mode_32 0
		.amdhsa_float_round_mode_16_64 0
		.amdhsa_float_denorm_mode_32 3
		.amdhsa_float_denorm_mode_16_64 3
		.amdhsa_dx10_clamp 1
		.amdhsa_ieee_mode 1
		.amdhsa_fp16_overflow 0
		.amdhsa_tg_split 0
		.amdhsa_exception_fp_ieee_invalid_op 0
		.amdhsa_exception_fp_denorm_src 0
		.amdhsa_exception_fp_ieee_div_zero 0
		.amdhsa_exception_fp_ieee_overflow 0
		.amdhsa_exception_fp_ieee_underflow 0
		.amdhsa_exception_fp_ieee_inexact 0
		.amdhsa_exception_int_div_zero 0
	.end_amdhsa_kernel
	.section	.text._ZN7rocprim17ROCPRIM_400000_NS6detail17trampoline_kernelINS0_14default_configENS1_25partition_config_selectorILNS1_17partition_subalgoE8EfNS0_10empty_typeEbEEZZNS1_14partition_implILS5_8ELb0ES3_jPKfPS6_PKS6_NS0_5tupleIJPfS6_EEENSE_IJSB_SB_EEENS0_18inequality_wrapperIN6hipcub16HIPCUB_304000_NS8EqualityEEEPlJS6_EEE10hipError_tPvRmT3_T4_T5_T6_T7_T9_mT8_P12ihipStream_tbDpT10_ENKUlT_T0_E_clISt17integral_constantIbLb0EES16_IbLb1EEEEDaS12_S13_EUlS12_E_NS1_11comp_targetILNS1_3genE5ELNS1_11target_archE942ELNS1_3gpuE9ELNS1_3repE0EEENS1_30default_config_static_selectorELNS0_4arch9wavefront6targetE1EEEvT1_,"axG",@progbits,_ZN7rocprim17ROCPRIM_400000_NS6detail17trampoline_kernelINS0_14default_configENS1_25partition_config_selectorILNS1_17partition_subalgoE8EfNS0_10empty_typeEbEEZZNS1_14partition_implILS5_8ELb0ES3_jPKfPS6_PKS6_NS0_5tupleIJPfS6_EEENSE_IJSB_SB_EEENS0_18inequality_wrapperIN6hipcub16HIPCUB_304000_NS8EqualityEEEPlJS6_EEE10hipError_tPvRmT3_T4_T5_T6_T7_T9_mT8_P12ihipStream_tbDpT10_ENKUlT_T0_E_clISt17integral_constantIbLb0EES16_IbLb1EEEEDaS12_S13_EUlS12_E_NS1_11comp_targetILNS1_3genE5ELNS1_11target_archE942ELNS1_3gpuE9ELNS1_3repE0EEENS1_30default_config_static_selectorELNS0_4arch9wavefront6targetE1EEEvT1_,comdat
.Lfunc_end366:
	.size	_ZN7rocprim17ROCPRIM_400000_NS6detail17trampoline_kernelINS0_14default_configENS1_25partition_config_selectorILNS1_17partition_subalgoE8EfNS0_10empty_typeEbEEZZNS1_14partition_implILS5_8ELb0ES3_jPKfPS6_PKS6_NS0_5tupleIJPfS6_EEENSE_IJSB_SB_EEENS0_18inequality_wrapperIN6hipcub16HIPCUB_304000_NS8EqualityEEEPlJS6_EEE10hipError_tPvRmT3_T4_T5_T6_T7_T9_mT8_P12ihipStream_tbDpT10_ENKUlT_T0_E_clISt17integral_constantIbLb0EES16_IbLb1EEEEDaS12_S13_EUlS12_E_NS1_11comp_targetILNS1_3genE5ELNS1_11target_archE942ELNS1_3gpuE9ELNS1_3repE0EEENS1_30default_config_static_selectorELNS0_4arch9wavefront6targetE1EEEvT1_, .Lfunc_end366-_ZN7rocprim17ROCPRIM_400000_NS6detail17trampoline_kernelINS0_14default_configENS1_25partition_config_selectorILNS1_17partition_subalgoE8EfNS0_10empty_typeEbEEZZNS1_14partition_implILS5_8ELb0ES3_jPKfPS6_PKS6_NS0_5tupleIJPfS6_EEENSE_IJSB_SB_EEENS0_18inequality_wrapperIN6hipcub16HIPCUB_304000_NS8EqualityEEEPlJS6_EEE10hipError_tPvRmT3_T4_T5_T6_T7_T9_mT8_P12ihipStream_tbDpT10_ENKUlT_T0_E_clISt17integral_constantIbLb0EES16_IbLb1EEEEDaS12_S13_EUlS12_E_NS1_11comp_targetILNS1_3genE5ELNS1_11target_archE942ELNS1_3gpuE9ELNS1_3repE0EEENS1_30default_config_static_selectorELNS0_4arch9wavefront6targetE1EEEvT1_
                                        ; -- End function
	.section	.AMDGPU.csdata,"",@progbits
; Kernel info:
; codeLenInByte = 8148
; NumSgprs: 57
; NumVgprs: 76
; NumAgprs: 0
; TotalNumVgprs: 76
; ScratchSize: 0
; MemoryBound: 0
; FloatMode: 240
; IeeeMode: 1
; LDSByteSize: 30728 bytes/workgroup (compile time only)
; SGPRBlocks: 7
; VGPRBlocks: 9
; NumSGPRsForWavesPerEU: 57
; NumVGPRsForWavesPerEU: 76
; AccumOffset: 76
; Occupancy: 4
; WaveLimiterHint : 1
; COMPUTE_PGM_RSRC2:SCRATCH_EN: 0
; COMPUTE_PGM_RSRC2:USER_SGPR: 2
; COMPUTE_PGM_RSRC2:TRAP_HANDLER: 0
; COMPUTE_PGM_RSRC2:TGID_X_EN: 1
; COMPUTE_PGM_RSRC2:TGID_Y_EN: 0
; COMPUTE_PGM_RSRC2:TGID_Z_EN: 0
; COMPUTE_PGM_RSRC2:TIDIG_COMP_CNT: 0
; COMPUTE_PGM_RSRC3_GFX90A:ACCUM_OFFSET: 18
; COMPUTE_PGM_RSRC3_GFX90A:TG_SPLIT: 0
	.section	.text._ZN7rocprim17ROCPRIM_400000_NS6detail17trampoline_kernelINS0_14default_configENS1_25partition_config_selectorILNS1_17partition_subalgoE8EfNS0_10empty_typeEbEEZZNS1_14partition_implILS5_8ELb0ES3_jPKfPS6_PKS6_NS0_5tupleIJPfS6_EEENSE_IJSB_SB_EEENS0_18inequality_wrapperIN6hipcub16HIPCUB_304000_NS8EqualityEEEPlJS6_EEE10hipError_tPvRmT3_T4_T5_T6_T7_T9_mT8_P12ihipStream_tbDpT10_ENKUlT_T0_E_clISt17integral_constantIbLb0EES16_IbLb1EEEEDaS12_S13_EUlS12_E_NS1_11comp_targetILNS1_3genE4ELNS1_11target_archE910ELNS1_3gpuE8ELNS1_3repE0EEENS1_30default_config_static_selectorELNS0_4arch9wavefront6targetE1EEEvT1_,"axG",@progbits,_ZN7rocprim17ROCPRIM_400000_NS6detail17trampoline_kernelINS0_14default_configENS1_25partition_config_selectorILNS1_17partition_subalgoE8EfNS0_10empty_typeEbEEZZNS1_14partition_implILS5_8ELb0ES3_jPKfPS6_PKS6_NS0_5tupleIJPfS6_EEENSE_IJSB_SB_EEENS0_18inequality_wrapperIN6hipcub16HIPCUB_304000_NS8EqualityEEEPlJS6_EEE10hipError_tPvRmT3_T4_T5_T6_T7_T9_mT8_P12ihipStream_tbDpT10_ENKUlT_T0_E_clISt17integral_constantIbLb0EES16_IbLb1EEEEDaS12_S13_EUlS12_E_NS1_11comp_targetILNS1_3genE4ELNS1_11target_archE910ELNS1_3gpuE8ELNS1_3repE0EEENS1_30default_config_static_selectorELNS0_4arch9wavefront6targetE1EEEvT1_,comdat
	.protected	_ZN7rocprim17ROCPRIM_400000_NS6detail17trampoline_kernelINS0_14default_configENS1_25partition_config_selectorILNS1_17partition_subalgoE8EfNS0_10empty_typeEbEEZZNS1_14partition_implILS5_8ELb0ES3_jPKfPS6_PKS6_NS0_5tupleIJPfS6_EEENSE_IJSB_SB_EEENS0_18inequality_wrapperIN6hipcub16HIPCUB_304000_NS8EqualityEEEPlJS6_EEE10hipError_tPvRmT3_T4_T5_T6_T7_T9_mT8_P12ihipStream_tbDpT10_ENKUlT_T0_E_clISt17integral_constantIbLb0EES16_IbLb1EEEEDaS12_S13_EUlS12_E_NS1_11comp_targetILNS1_3genE4ELNS1_11target_archE910ELNS1_3gpuE8ELNS1_3repE0EEENS1_30default_config_static_selectorELNS0_4arch9wavefront6targetE1EEEvT1_ ; -- Begin function _ZN7rocprim17ROCPRIM_400000_NS6detail17trampoline_kernelINS0_14default_configENS1_25partition_config_selectorILNS1_17partition_subalgoE8EfNS0_10empty_typeEbEEZZNS1_14partition_implILS5_8ELb0ES3_jPKfPS6_PKS6_NS0_5tupleIJPfS6_EEENSE_IJSB_SB_EEENS0_18inequality_wrapperIN6hipcub16HIPCUB_304000_NS8EqualityEEEPlJS6_EEE10hipError_tPvRmT3_T4_T5_T6_T7_T9_mT8_P12ihipStream_tbDpT10_ENKUlT_T0_E_clISt17integral_constantIbLb0EES16_IbLb1EEEEDaS12_S13_EUlS12_E_NS1_11comp_targetILNS1_3genE4ELNS1_11target_archE910ELNS1_3gpuE8ELNS1_3repE0EEENS1_30default_config_static_selectorELNS0_4arch9wavefront6targetE1EEEvT1_
	.globl	_ZN7rocprim17ROCPRIM_400000_NS6detail17trampoline_kernelINS0_14default_configENS1_25partition_config_selectorILNS1_17partition_subalgoE8EfNS0_10empty_typeEbEEZZNS1_14partition_implILS5_8ELb0ES3_jPKfPS6_PKS6_NS0_5tupleIJPfS6_EEENSE_IJSB_SB_EEENS0_18inequality_wrapperIN6hipcub16HIPCUB_304000_NS8EqualityEEEPlJS6_EEE10hipError_tPvRmT3_T4_T5_T6_T7_T9_mT8_P12ihipStream_tbDpT10_ENKUlT_T0_E_clISt17integral_constantIbLb0EES16_IbLb1EEEEDaS12_S13_EUlS12_E_NS1_11comp_targetILNS1_3genE4ELNS1_11target_archE910ELNS1_3gpuE8ELNS1_3repE0EEENS1_30default_config_static_selectorELNS0_4arch9wavefront6targetE1EEEvT1_
	.p2align	8
	.type	_ZN7rocprim17ROCPRIM_400000_NS6detail17trampoline_kernelINS0_14default_configENS1_25partition_config_selectorILNS1_17partition_subalgoE8EfNS0_10empty_typeEbEEZZNS1_14partition_implILS5_8ELb0ES3_jPKfPS6_PKS6_NS0_5tupleIJPfS6_EEENSE_IJSB_SB_EEENS0_18inequality_wrapperIN6hipcub16HIPCUB_304000_NS8EqualityEEEPlJS6_EEE10hipError_tPvRmT3_T4_T5_T6_T7_T9_mT8_P12ihipStream_tbDpT10_ENKUlT_T0_E_clISt17integral_constantIbLb0EES16_IbLb1EEEEDaS12_S13_EUlS12_E_NS1_11comp_targetILNS1_3genE4ELNS1_11target_archE910ELNS1_3gpuE8ELNS1_3repE0EEENS1_30default_config_static_selectorELNS0_4arch9wavefront6targetE1EEEvT1_,@function
_ZN7rocprim17ROCPRIM_400000_NS6detail17trampoline_kernelINS0_14default_configENS1_25partition_config_selectorILNS1_17partition_subalgoE8EfNS0_10empty_typeEbEEZZNS1_14partition_implILS5_8ELb0ES3_jPKfPS6_PKS6_NS0_5tupleIJPfS6_EEENSE_IJSB_SB_EEENS0_18inequality_wrapperIN6hipcub16HIPCUB_304000_NS8EqualityEEEPlJS6_EEE10hipError_tPvRmT3_T4_T5_T6_T7_T9_mT8_P12ihipStream_tbDpT10_ENKUlT_T0_E_clISt17integral_constantIbLb0EES16_IbLb1EEEEDaS12_S13_EUlS12_E_NS1_11comp_targetILNS1_3genE4ELNS1_11target_archE910ELNS1_3gpuE8ELNS1_3repE0EEENS1_30default_config_static_selectorELNS0_4arch9wavefront6targetE1EEEvT1_: ; @_ZN7rocprim17ROCPRIM_400000_NS6detail17trampoline_kernelINS0_14default_configENS1_25partition_config_selectorILNS1_17partition_subalgoE8EfNS0_10empty_typeEbEEZZNS1_14partition_implILS5_8ELb0ES3_jPKfPS6_PKS6_NS0_5tupleIJPfS6_EEENSE_IJSB_SB_EEENS0_18inequality_wrapperIN6hipcub16HIPCUB_304000_NS8EqualityEEEPlJS6_EEE10hipError_tPvRmT3_T4_T5_T6_T7_T9_mT8_P12ihipStream_tbDpT10_ENKUlT_T0_E_clISt17integral_constantIbLb0EES16_IbLb1EEEEDaS12_S13_EUlS12_E_NS1_11comp_targetILNS1_3genE4ELNS1_11target_archE910ELNS1_3gpuE8ELNS1_3repE0EEENS1_30default_config_static_selectorELNS0_4arch9wavefront6targetE1EEEvT1_
; %bb.0:
	.section	.rodata,"a",@progbits
	.p2align	6, 0x0
	.amdhsa_kernel _ZN7rocprim17ROCPRIM_400000_NS6detail17trampoline_kernelINS0_14default_configENS1_25partition_config_selectorILNS1_17partition_subalgoE8EfNS0_10empty_typeEbEEZZNS1_14partition_implILS5_8ELb0ES3_jPKfPS6_PKS6_NS0_5tupleIJPfS6_EEENSE_IJSB_SB_EEENS0_18inequality_wrapperIN6hipcub16HIPCUB_304000_NS8EqualityEEEPlJS6_EEE10hipError_tPvRmT3_T4_T5_T6_T7_T9_mT8_P12ihipStream_tbDpT10_ENKUlT_T0_E_clISt17integral_constantIbLb0EES16_IbLb1EEEEDaS12_S13_EUlS12_E_NS1_11comp_targetILNS1_3genE4ELNS1_11target_archE910ELNS1_3gpuE8ELNS1_3repE0EEENS1_30default_config_static_selectorELNS0_4arch9wavefront6targetE1EEEvT1_
		.amdhsa_group_segment_fixed_size 0
		.amdhsa_private_segment_fixed_size 0
		.amdhsa_kernarg_size 128
		.amdhsa_user_sgpr_count 2
		.amdhsa_user_sgpr_dispatch_ptr 0
		.amdhsa_user_sgpr_queue_ptr 0
		.amdhsa_user_sgpr_kernarg_segment_ptr 1
		.amdhsa_user_sgpr_dispatch_id 0
		.amdhsa_user_sgpr_kernarg_preload_length 0
		.amdhsa_user_sgpr_kernarg_preload_offset 0
		.amdhsa_user_sgpr_private_segment_size 0
		.amdhsa_uses_dynamic_stack 0
		.amdhsa_enable_private_segment 0
		.amdhsa_system_sgpr_workgroup_id_x 1
		.amdhsa_system_sgpr_workgroup_id_y 0
		.amdhsa_system_sgpr_workgroup_id_z 0
		.amdhsa_system_sgpr_workgroup_info 0
		.amdhsa_system_vgpr_workitem_id 0
		.amdhsa_next_free_vgpr 1
		.amdhsa_next_free_sgpr 0
		.amdhsa_accum_offset 4
		.amdhsa_reserve_vcc 0
		.amdhsa_float_round_mode_32 0
		.amdhsa_float_round_mode_16_64 0
		.amdhsa_float_denorm_mode_32 3
		.amdhsa_float_denorm_mode_16_64 3
		.amdhsa_dx10_clamp 1
		.amdhsa_ieee_mode 1
		.amdhsa_fp16_overflow 0
		.amdhsa_tg_split 0
		.amdhsa_exception_fp_ieee_invalid_op 0
		.amdhsa_exception_fp_denorm_src 0
		.amdhsa_exception_fp_ieee_div_zero 0
		.amdhsa_exception_fp_ieee_overflow 0
		.amdhsa_exception_fp_ieee_underflow 0
		.amdhsa_exception_fp_ieee_inexact 0
		.amdhsa_exception_int_div_zero 0
	.end_amdhsa_kernel
	.section	.text._ZN7rocprim17ROCPRIM_400000_NS6detail17trampoline_kernelINS0_14default_configENS1_25partition_config_selectorILNS1_17partition_subalgoE8EfNS0_10empty_typeEbEEZZNS1_14partition_implILS5_8ELb0ES3_jPKfPS6_PKS6_NS0_5tupleIJPfS6_EEENSE_IJSB_SB_EEENS0_18inequality_wrapperIN6hipcub16HIPCUB_304000_NS8EqualityEEEPlJS6_EEE10hipError_tPvRmT3_T4_T5_T6_T7_T9_mT8_P12ihipStream_tbDpT10_ENKUlT_T0_E_clISt17integral_constantIbLb0EES16_IbLb1EEEEDaS12_S13_EUlS12_E_NS1_11comp_targetILNS1_3genE4ELNS1_11target_archE910ELNS1_3gpuE8ELNS1_3repE0EEENS1_30default_config_static_selectorELNS0_4arch9wavefront6targetE1EEEvT1_,"axG",@progbits,_ZN7rocprim17ROCPRIM_400000_NS6detail17trampoline_kernelINS0_14default_configENS1_25partition_config_selectorILNS1_17partition_subalgoE8EfNS0_10empty_typeEbEEZZNS1_14partition_implILS5_8ELb0ES3_jPKfPS6_PKS6_NS0_5tupleIJPfS6_EEENSE_IJSB_SB_EEENS0_18inequality_wrapperIN6hipcub16HIPCUB_304000_NS8EqualityEEEPlJS6_EEE10hipError_tPvRmT3_T4_T5_T6_T7_T9_mT8_P12ihipStream_tbDpT10_ENKUlT_T0_E_clISt17integral_constantIbLb0EES16_IbLb1EEEEDaS12_S13_EUlS12_E_NS1_11comp_targetILNS1_3genE4ELNS1_11target_archE910ELNS1_3gpuE8ELNS1_3repE0EEENS1_30default_config_static_selectorELNS0_4arch9wavefront6targetE1EEEvT1_,comdat
.Lfunc_end367:
	.size	_ZN7rocprim17ROCPRIM_400000_NS6detail17trampoline_kernelINS0_14default_configENS1_25partition_config_selectorILNS1_17partition_subalgoE8EfNS0_10empty_typeEbEEZZNS1_14partition_implILS5_8ELb0ES3_jPKfPS6_PKS6_NS0_5tupleIJPfS6_EEENSE_IJSB_SB_EEENS0_18inequality_wrapperIN6hipcub16HIPCUB_304000_NS8EqualityEEEPlJS6_EEE10hipError_tPvRmT3_T4_T5_T6_T7_T9_mT8_P12ihipStream_tbDpT10_ENKUlT_T0_E_clISt17integral_constantIbLb0EES16_IbLb1EEEEDaS12_S13_EUlS12_E_NS1_11comp_targetILNS1_3genE4ELNS1_11target_archE910ELNS1_3gpuE8ELNS1_3repE0EEENS1_30default_config_static_selectorELNS0_4arch9wavefront6targetE1EEEvT1_, .Lfunc_end367-_ZN7rocprim17ROCPRIM_400000_NS6detail17trampoline_kernelINS0_14default_configENS1_25partition_config_selectorILNS1_17partition_subalgoE8EfNS0_10empty_typeEbEEZZNS1_14partition_implILS5_8ELb0ES3_jPKfPS6_PKS6_NS0_5tupleIJPfS6_EEENSE_IJSB_SB_EEENS0_18inequality_wrapperIN6hipcub16HIPCUB_304000_NS8EqualityEEEPlJS6_EEE10hipError_tPvRmT3_T4_T5_T6_T7_T9_mT8_P12ihipStream_tbDpT10_ENKUlT_T0_E_clISt17integral_constantIbLb0EES16_IbLb1EEEEDaS12_S13_EUlS12_E_NS1_11comp_targetILNS1_3genE4ELNS1_11target_archE910ELNS1_3gpuE8ELNS1_3repE0EEENS1_30default_config_static_selectorELNS0_4arch9wavefront6targetE1EEEvT1_
                                        ; -- End function
	.section	.AMDGPU.csdata,"",@progbits
; Kernel info:
; codeLenInByte = 0
; NumSgprs: 6
; NumVgprs: 0
; NumAgprs: 0
; TotalNumVgprs: 0
; ScratchSize: 0
; MemoryBound: 0
; FloatMode: 240
; IeeeMode: 1
; LDSByteSize: 0 bytes/workgroup (compile time only)
; SGPRBlocks: 0
; VGPRBlocks: 0
; NumSGPRsForWavesPerEU: 6
; NumVGPRsForWavesPerEU: 1
; AccumOffset: 4
; Occupancy: 8
; WaveLimiterHint : 0
; COMPUTE_PGM_RSRC2:SCRATCH_EN: 0
; COMPUTE_PGM_RSRC2:USER_SGPR: 2
; COMPUTE_PGM_RSRC2:TRAP_HANDLER: 0
; COMPUTE_PGM_RSRC2:TGID_X_EN: 1
; COMPUTE_PGM_RSRC2:TGID_Y_EN: 0
; COMPUTE_PGM_RSRC2:TGID_Z_EN: 0
; COMPUTE_PGM_RSRC2:TIDIG_COMP_CNT: 0
; COMPUTE_PGM_RSRC3_GFX90A:ACCUM_OFFSET: 0
; COMPUTE_PGM_RSRC3_GFX90A:TG_SPLIT: 0
	.section	.text._ZN7rocprim17ROCPRIM_400000_NS6detail17trampoline_kernelINS0_14default_configENS1_25partition_config_selectorILNS1_17partition_subalgoE8EfNS0_10empty_typeEbEEZZNS1_14partition_implILS5_8ELb0ES3_jPKfPS6_PKS6_NS0_5tupleIJPfS6_EEENSE_IJSB_SB_EEENS0_18inequality_wrapperIN6hipcub16HIPCUB_304000_NS8EqualityEEEPlJS6_EEE10hipError_tPvRmT3_T4_T5_T6_T7_T9_mT8_P12ihipStream_tbDpT10_ENKUlT_T0_E_clISt17integral_constantIbLb0EES16_IbLb1EEEEDaS12_S13_EUlS12_E_NS1_11comp_targetILNS1_3genE3ELNS1_11target_archE908ELNS1_3gpuE7ELNS1_3repE0EEENS1_30default_config_static_selectorELNS0_4arch9wavefront6targetE1EEEvT1_,"axG",@progbits,_ZN7rocprim17ROCPRIM_400000_NS6detail17trampoline_kernelINS0_14default_configENS1_25partition_config_selectorILNS1_17partition_subalgoE8EfNS0_10empty_typeEbEEZZNS1_14partition_implILS5_8ELb0ES3_jPKfPS6_PKS6_NS0_5tupleIJPfS6_EEENSE_IJSB_SB_EEENS0_18inequality_wrapperIN6hipcub16HIPCUB_304000_NS8EqualityEEEPlJS6_EEE10hipError_tPvRmT3_T4_T5_T6_T7_T9_mT8_P12ihipStream_tbDpT10_ENKUlT_T0_E_clISt17integral_constantIbLb0EES16_IbLb1EEEEDaS12_S13_EUlS12_E_NS1_11comp_targetILNS1_3genE3ELNS1_11target_archE908ELNS1_3gpuE7ELNS1_3repE0EEENS1_30default_config_static_selectorELNS0_4arch9wavefront6targetE1EEEvT1_,comdat
	.protected	_ZN7rocprim17ROCPRIM_400000_NS6detail17trampoline_kernelINS0_14default_configENS1_25partition_config_selectorILNS1_17partition_subalgoE8EfNS0_10empty_typeEbEEZZNS1_14partition_implILS5_8ELb0ES3_jPKfPS6_PKS6_NS0_5tupleIJPfS6_EEENSE_IJSB_SB_EEENS0_18inequality_wrapperIN6hipcub16HIPCUB_304000_NS8EqualityEEEPlJS6_EEE10hipError_tPvRmT3_T4_T5_T6_T7_T9_mT8_P12ihipStream_tbDpT10_ENKUlT_T0_E_clISt17integral_constantIbLb0EES16_IbLb1EEEEDaS12_S13_EUlS12_E_NS1_11comp_targetILNS1_3genE3ELNS1_11target_archE908ELNS1_3gpuE7ELNS1_3repE0EEENS1_30default_config_static_selectorELNS0_4arch9wavefront6targetE1EEEvT1_ ; -- Begin function _ZN7rocprim17ROCPRIM_400000_NS6detail17trampoline_kernelINS0_14default_configENS1_25partition_config_selectorILNS1_17partition_subalgoE8EfNS0_10empty_typeEbEEZZNS1_14partition_implILS5_8ELb0ES3_jPKfPS6_PKS6_NS0_5tupleIJPfS6_EEENSE_IJSB_SB_EEENS0_18inequality_wrapperIN6hipcub16HIPCUB_304000_NS8EqualityEEEPlJS6_EEE10hipError_tPvRmT3_T4_T5_T6_T7_T9_mT8_P12ihipStream_tbDpT10_ENKUlT_T0_E_clISt17integral_constantIbLb0EES16_IbLb1EEEEDaS12_S13_EUlS12_E_NS1_11comp_targetILNS1_3genE3ELNS1_11target_archE908ELNS1_3gpuE7ELNS1_3repE0EEENS1_30default_config_static_selectorELNS0_4arch9wavefront6targetE1EEEvT1_
	.globl	_ZN7rocprim17ROCPRIM_400000_NS6detail17trampoline_kernelINS0_14default_configENS1_25partition_config_selectorILNS1_17partition_subalgoE8EfNS0_10empty_typeEbEEZZNS1_14partition_implILS5_8ELb0ES3_jPKfPS6_PKS6_NS0_5tupleIJPfS6_EEENSE_IJSB_SB_EEENS0_18inequality_wrapperIN6hipcub16HIPCUB_304000_NS8EqualityEEEPlJS6_EEE10hipError_tPvRmT3_T4_T5_T6_T7_T9_mT8_P12ihipStream_tbDpT10_ENKUlT_T0_E_clISt17integral_constantIbLb0EES16_IbLb1EEEEDaS12_S13_EUlS12_E_NS1_11comp_targetILNS1_3genE3ELNS1_11target_archE908ELNS1_3gpuE7ELNS1_3repE0EEENS1_30default_config_static_selectorELNS0_4arch9wavefront6targetE1EEEvT1_
	.p2align	8
	.type	_ZN7rocprim17ROCPRIM_400000_NS6detail17trampoline_kernelINS0_14default_configENS1_25partition_config_selectorILNS1_17partition_subalgoE8EfNS0_10empty_typeEbEEZZNS1_14partition_implILS5_8ELb0ES3_jPKfPS6_PKS6_NS0_5tupleIJPfS6_EEENSE_IJSB_SB_EEENS0_18inequality_wrapperIN6hipcub16HIPCUB_304000_NS8EqualityEEEPlJS6_EEE10hipError_tPvRmT3_T4_T5_T6_T7_T9_mT8_P12ihipStream_tbDpT10_ENKUlT_T0_E_clISt17integral_constantIbLb0EES16_IbLb1EEEEDaS12_S13_EUlS12_E_NS1_11comp_targetILNS1_3genE3ELNS1_11target_archE908ELNS1_3gpuE7ELNS1_3repE0EEENS1_30default_config_static_selectorELNS0_4arch9wavefront6targetE1EEEvT1_,@function
_ZN7rocprim17ROCPRIM_400000_NS6detail17trampoline_kernelINS0_14default_configENS1_25partition_config_selectorILNS1_17partition_subalgoE8EfNS0_10empty_typeEbEEZZNS1_14partition_implILS5_8ELb0ES3_jPKfPS6_PKS6_NS0_5tupleIJPfS6_EEENSE_IJSB_SB_EEENS0_18inequality_wrapperIN6hipcub16HIPCUB_304000_NS8EqualityEEEPlJS6_EEE10hipError_tPvRmT3_T4_T5_T6_T7_T9_mT8_P12ihipStream_tbDpT10_ENKUlT_T0_E_clISt17integral_constantIbLb0EES16_IbLb1EEEEDaS12_S13_EUlS12_E_NS1_11comp_targetILNS1_3genE3ELNS1_11target_archE908ELNS1_3gpuE7ELNS1_3repE0EEENS1_30default_config_static_selectorELNS0_4arch9wavefront6targetE1EEEvT1_: ; @_ZN7rocprim17ROCPRIM_400000_NS6detail17trampoline_kernelINS0_14default_configENS1_25partition_config_selectorILNS1_17partition_subalgoE8EfNS0_10empty_typeEbEEZZNS1_14partition_implILS5_8ELb0ES3_jPKfPS6_PKS6_NS0_5tupleIJPfS6_EEENSE_IJSB_SB_EEENS0_18inequality_wrapperIN6hipcub16HIPCUB_304000_NS8EqualityEEEPlJS6_EEE10hipError_tPvRmT3_T4_T5_T6_T7_T9_mT8_P12ihipStream_tbDpT10_ENKUlT_T0_E_clISt17integral_constantIbLb0EES16_IbLb1EEEEDaS12_S13_EUlS12_E_NS1_11comp_targetILNS1_3genE3ELNS1_11target_archE908ELNS1_3gpuE7ELNS1_3repE0EEENS1_30default_config_static_selectorELNS0_4arch9wavefront6targetE1EEEvT1_
; %bb.0:
	.section	.rodata,"a",@progbits
	.p2align	6, 0x0
	.amdhsa_kernel _ZN7rocprim17ROCPRIM_400000_NS6detail17trampoline_kernelINS0_14default_configENS1_25partition_config_selectorILNS1_17partition_subalgoE8EfNS0_10empty_typeEbEEZZNS1_14partition_implILS5_8ELb0ES3_jPKfPS6_PKS6_NS0_5tupleIJPfS6_EEENSE_IJSB_SB_EEENS0_18inequality_wrapperIN6hipcub16HIPCUB_304000_NS8EqualityEEEPlJS6_EEE10hipError_tPvRmT3_T4_T5_T6_T7_T9_mT8_P12ihipStream_tbDpT10_ENKUlT_T0_E_clISt17integral_constantIbLb0EES16_IbLb1EEEEDaS12_S13_EUlS12_E_NS1_11comp_targetILNS1_3genE3ELNS1_11target_archE908ELNS1_3gpuE7ELNS1_3repE0EEENS1_30default_config_static_selectorELNS0_4arch9wavefront6targetE1EEEvT1_
		.amdhsa_group_segment_fixed_size 0
		.amdhsa_private_segment_fixed_size 0
		.amdhsa_kernarg_size 128
		.amdhsa_user_sgpr_count 2
		.amdhsa_user_sgpr_dispatch_ptr 0
		.amdhsa_user_sgpr_queue_ptr 0
		.amdhsa_user_sgpr_kernarg_segment_ptr 1
		.amdhsa_user_sgpr_dispatch_id 0
		.amdhsa_user_sgpr_kernarg_preload_length 0
		.amdhsa_user_sgpr_kernarg_preload_offset 0
		.amdhsa_user_sgpr_private_segment_size 0
		.amdhsa_uses_dynamic_stack 0
		.amdhsa_enable_private_segment 0
		.amdhsa_system_sgpr_workgroup_id_x 1
		.amdhsa_system_sgpr_workgroup_id_y 0
		.amdhsa_system_sgpr_workgroup_id_z 0
		.amdhsa_system_sgpr_workgroup_info 0
		.amdhsa_system_vgpr_workitem_id 0
		.amdhsa_next_free_vgpr 1
		.amdhsa_next_free_sgpr 0
		.amdhsa_accum_offset 4
		.amdhsa_reserve_vcc 0
		.amdhsa_float_round_mode_32 0
		.amdhsa_float_round_mode_16_64 0
		.amdhsa_float_denorm_mode_32 3
		.amdhsa_float_denorm_mode_16_64 3
		.amdhsa_dx10_clamp 1
		.amdhsa_ieee_mode 1
		.amdhsa_fp16_overflow 0
		.amdhsa_tg_split 0
		.amdhsa_exception_fp_ieee_invalid_op 0
		.amdhsa_exception_fp_denorm_src 0
		.amdhsa_exception_fp_ieee_div_zero 0
		.amdhsa_exception_fp_ieee_overflow 0
		.amdhsa_exception_fp_ieee_underflow 0
		.amdhsa_exception_fp_ieee_inexact 0
		.amdhsa_exception_int_div_zero 0
	.end_amdhsa_kernel
	.section	.text._ZN7rocprim17ROCPRIM_400000_NS6detail17trampoline_kernelINS0_14default_configENS1_25partition_config_selectorILNS1_17partition_subalgoE8EfNS0_10empty_typeEbEEZZNS1_14partition_implILS5_8ELb0ES3_jPKfPS6_PKS6_NS0_5tupleIJPfS6_EEENSE_IJSB_SB_EEENS0_18inequality_wrapperIN6hipcub16HIPCUB_304000_NS8EqualityEEEPlJS6_EEE10hipError_tPvRmT3_T4_T5_T6_T7_T9_mT8_P12ihipStream_tbDpT10_ENKUlT_T0_E_clISt17integral_constantIbLb0EES16_IbLb1EEEEDaS12_S13_EUlS12_E_NS1_11comp_targetILNS1_3genE3ELNS1_11target_archE908ELNS1_3gpuE7ELNS1_3repE0EEENS1_30default_config_static_selectorELNS0_4arch9wavefront6targetE1EEEvT1_,"axG",@progbits,_ZN7rocprim17ROCPRIM_400000_NS6detail17trampoline_kernelINS0_14default_configENS1_25partition_config_selectorILNS1_17partition_subalgoE8EfNS0_10empty_typeEbEEZZNS1_14partition_implILS5_8ELb0ES3_jPKfPS6_PKS6_NS0_5tupleIJPfS6_EEENSE_IJSB_SB_EEENS0_18inequality_wrapperIN6hipcub16HIPCUB_304000_NS8EqualityEEEPlJS6_EEE10hipError_tPvRmT3_T4_T5_T6_T7_T9_mT8_P12ihipStream_tbDpT10_ENKUlT_T0_E_clISt17integral_constantIbLb0EES16_IbLb1EEEEDaS12_S13_EUlS12_E_NS1_11comp_targetILNS1_3genE3ELNS1_11target_archE908ELNS1_3gpuE7ELNS1_3repE0EEENS1_30default_config_static_selectorELNS0_4arch9wavefront6targetE1EEEvT1_,comdat
.Lfunc_end368:
	.size	_ZN7rocprim17ROCPRIM_400000_NS6detail17trampoline_kernelINS0_14default_configENS1_25partition_config_selectorILNS1_17partition_subalgoE8EfNS0_10empty_typeEbEEZZNS1_14partition_implILS5_8ELb0ES3_jPKfPS6_PKS6_NS0_5tupleIJPfS6_EEENSE_IJSB_SB_EEENS0_18inequality_wrapperIN6hipcub16HIPCUB_304000_NS8EqualityEEEPlJS6_EEE10hipError_tPvRmT3_T4_T5_T6_T7_T9_mT8_P12ihipStream_tbDpT10_ENKUlT_T0_E_clISt17integral_constantIbLb0EES16_IbLb1EEEEDaS12_S13_EUlS12_E_NS1_11comp_targetILNS1_3genE3ELNS1_11target_archE908ELNS1_3gpuE7ELNS1_3repE0EEENS1_30default_config_static_selectorELNS0_4arch9wavefront6targetE1EEEvT1_, .Lfunc_end368-_ZN7rocprim17ROCPRIM_400000_NS6detail17trampoline_kernelINS0_14default_configENS1_25partition_config_selectorILNS1_17partition_subalgoE8EfNS0_10empty_typeEbEEZZNS1_14partition_implILS5_8ELb0ES3_jPKfPS6_PKS6_NS0_5tupleIJPfS6_EEENSE_IJSB_SB_EEENS0_18inequality_wrapperIN6hipcub16HIPCUB_304000_NS8EqualityEEEPlJS6_EEE10hipError_tPvRmT3_T4_T5_T6_T7_T9_mT8_P12ihipStream_tbDpT10_ENKUlT_T0_E_clISt17integral_constantIbLb0EES16_IbLb1EEEEDaS12_S13_EUlS12_E_NS1_11comp_targetILNS1_3genE3ELNS1_11target_archE908ELNS1_3gpuE7ELNS1_3repE0EEENS1_30default_config_static_selectorELNS0_4arch9wavefront6targetE1EEEvT1_
                                        ; -- End function
	.section	.AMDGPU.csdata,"",@progbits
; Kernel info:
; codeLenInByte = 0
; NumSgprs: 6
; NumVgprs: 0
; NumAgprs: 0
; TotalNumVgprs: 0
; ScratchSize: 0
; MemoryBound: 0
; FloatMode: 240
; IeeeMode: 1
; LDSByteSize: 0 bytes/workgroup (compile time only)
; SGPRBlocks: 0
; VGPRBlocks: 0
; NumSGPRsForWavesPerEU: 6
; NumVGPRsForWavesPerEU: 1
; AccumOffset: 4
; Occupancy: 8
; WaveLimiterHint : 0
; COMPUTE_PGM_RSRC2:SCRATCH_EN: 0
; COMPUTE_PGM_RSRC2:USER_SGPR: 2
; COMPUTE_PGM_RSRC2:TRAP_HANDLER: 0
; COMPUTE_PGM_RSRC2:TGID_X_EN: 1
; COMPUTE_PGM_RSRC2:TGID_Y_EN: 0
; COMPUTE_PGM_RSRC2:TGID_Z_EN: 0
; COMPUTE_PGM_RSRC2:TIDIG_COMP_CNT: 0
; COMPUTE_PGM_RSRC3_GFX90A:ACCUM_OFFSET: 0
; COMPUTE_PGM_RSRC3_GFX90A:TG_SPLIT: 0
	.section	.text._ZN7rocprim17ROCPRIM_400000_NS6detail17trampoline_kernelINS0_14default_configENS1_25partition_config_selectorILNS1_17partition_subalgoE8EfNS0_10empty_typeEbEEZZNS1_14partition_implILS5_8ELb0ES3_jPKfPS6_PKS6_NS0_5tupleIJPfS6_EEENSE_IJSB_SB_EEENS0_18inequality_wrapperIN6hipcub16HIPCUB_304000_NS8EqualityEEEPlJS6_EEE10hipError_tPvRmT3_T4_T5_T6_T7_T9_mT8_P12ihipStream_tbDpT10_ENKUlT_T0_E_clISt17integral_constantIbLb0EES16_IbLb1EEEEDaS12_S13_EUlS12_E_NS1_11comp_targetILNS1_3genE2ELNS1_11target_archE906ELNS1_3gpuE6ELNS1_3repE0EEENS1_30default_config_static_selectorELNS0_4arch9wavefront6targetE1EEEvT1_,"axG",@progbits,_ZN7rocprim17ROCPRIM_400000_NS6detail17trampoline_kernelINS0_14default_configENS1_25partition_config_selectorILNS1_17partition_subalgoE8EfNS0_10empty_typeEbEEZZNS1_14partition_implILS5_8ELb0ES3_jPKfPS6_PKS6_NS0_5tupleIJPfS6_EEENSE_IJSB_SB_EEENS0_18inequality_wrapperIN6hipcub16HIPCUB_304000_NS8EqualityEEEPlJS6_EEE10hipError_tPvRmT3_T4_T5_T6_T7_T9_mT8_P12ihipStream_tbDpT10_ENKUlT_T0_E_clISt17integral_constantIbLb0EES16_IbLb1EEEEDaS12_S13_EUlS12_E_NS1_11comp_targetILNS1_3genE2ELNS1_11target_archE906ELNS1_3gpuE6ELNS1_3repE0EEENS1_30default_config_static_selectorELNS0_4arch9wavefront6targetE1EEEvT1_,comdat
	.protected	_ZN7rocprim17ROCPRIM_400000_NS6detail17trampoline_kernelINS0_14default_configENS1_25partition_config_selectorILNS1_17partition_subalgoE8EfNS0_10empty_typeEbEEZZNS1_14partition_implILS5_8ELb0ES3_jPKfPS6_PKS6_NS0_5tupleIJPfS6_EEENSE_IJSB_SB_EEENS0_18inequality_wrapperIN6hipcub16HIPCUB_304000_NS8EqualityEEEPlJS6_EEE10hipError_tPvRmT3_T4_T5_T6_T7_T9_mT8_P12ihipStream_tbDpT10_ENKUlT_T0_E_clISt17integral_constantIbLb0EES16_IbLb1EEEEDaS12_S13_EUlS12_E_NS1_11comp_targetILNS1_3genE2ELNS1_11target_archE906ELNS1_3gpuE6ELNS1_3repE0EEENS1_30default_config_static_selectorELNS0_4arch9wavefront6targetE1EEEvT1_ ; -- Begin function _ZN7rocprim17ROCPRIM_400000_NS6detail17trampoline_kernelINS0_14default_configENS1_25partition_config_selectorILNS1_17partition_subalgoE8EfNS0_10empty_typeEbEEZZNS1_14partition_implILS5_8ELb0ES3_jPKfPS6_PKS6_NS0_5tupleIJPfS6_EEENSE_IJSB_SB_EEENS0_18inequality_wrapperIN6hipcub16HIPCUB_304000_NS8EqualityEEEPlJS6_EEE10hipError_tPvRmT3_T4_T5_T6_T7_T9_mT8_P12ihipStream_tbDpT10_ENKUlT_T0_E_clISt17integral_constantIbLb0EES16_IbLb1EEEEDaS12_S13_EUlS12_E_NS1_11comp_targetILNS1_3genE2ELNS1_11target_archE906ELNS1_3gpuE6ELNS1_3repE0EEENS1_30default_config_static_selectorELNS0_4arch9wavefront6targetE1EEEvT1_
	.globl	_ZN7rocprim17ROCPRIM_400000_NS6detail17trampoline_kernelINS0_14default_configENS1_25partition_config_selectorILNS1_17partition_subalgoE8EfNS0_10empty_typeEbEEZZNS1_14partition_implILS5_8ELb0ES3_jPKfPS6_PKS6_NS0_5tupleIJPfS6_EEENSE_IJSB_SB_EEENS0_18inequality_wrapperIN6hipcub16HIPCUB_304000_NS8EqualityEEEPlJS6_EEE10hipError_tPvRmT3_T4_T5_T6_T7_T9_mT8_P12ihipStream_tbDpT10_ENKUlT_T0_E_clISt17integral_constantIbLb0EES16_IbLb1EEEEDaS12_S13_EUlS12_E_NS1_11comp_targetILNS1_3genE2ELNS1_11target_archE906ELNS1_3gpuE6ELNS1_3repE0EEENS1_30default_config_static_selectorELNS0_4arch9wavefront6targetE1EEEvT1_
	.p2align	8
	.type	_ZN7rocprim17ROCPRIM_400000_NS6detail17trampoline_kernelINS0_14default_configENS1_25partition_config_selectorILNS1_17partition_subalgoE8EfNS0_10empty_typeEbEEZZNS1_14partition_implILS5_8ELb0ES3_jPKfPS6_PKS6_NS0_5tupleIJPfS6_EEENSE_IJSB_SB_EEENS0_18inequality_wrapperIN6hipcub16HIPCUB_304000_NS8EqualityEEEPlJS6_EEE10hipError_tPvRmT3_T4_T5_T6_T7_T9_mT8_P12ihipStream_tbDpT10_ENKUlT_T0_E_clISt17integral_constantIbLb0EES16_IbLb1EEEEDaS12_S13_EUlS12_E_NS1_11comp_targetILNS1_3genE2ELNS1_11target_archE906ELNS1_3gpuE6ELNS1_3repE0EEENS1_30default_config_static_selectorELNS0_4arch9wavefront6targetE1EEEvT1_,@function
_ZN7rocprim17ROCPRIM_400000_NS6detail17trampoline_kernelINS0_14default_configENS1_25partition_config_selectorILNS1_17partition_subalgoE8EfNS0_10empty_typeEbEEZZNS1_14partition_implILS5_8ELb0ES3_jPKfPS6_PKS6_NS0_5tupleIJPfS6_EEENSE_IJSB_SB_EEENS0_18inequality_wrapperIN6hipcub16HIPCUB_304000_NS8EqualityEEEPlJS6_EEE10hipError_tPvRmT3_T4_T5_T6_T7_T9_mT8_P12ihipStream_tbDpT10_ENKUlT_T0_E_clISt17integral_constantIbLb0EES16_IbLb1EEEEDaS12_S13_EUlS12_E_NS1_11comp_targetILNS1_3genE2ELNS1_11target_archE906ELNS1_3gpuE6ELNS1_3repE0EEENS1_30default_config_static_selectorELNS0_4arch9wavefront6targetE1EEEvT1_: ; @_ZN7rocprim17ROCPRIM_400000_NS6detail17trampoline_kernelINS0_14default_configENS1_25partition_config_selectorILNS1_17partition_subalgoE8EfNS0_10empty_typeEbEEZZNS1_14partition_implILS5_8ELb0ES3_jPKfPS6_PKS6_NS0_5tupleIJPfS6_EEENSE_IJSB_SB_EEENS0_18inequality_wrapperIN6hipcub16HIPCUB_304000_NS8EqualityEEEPlJS6_EEE10hipError_tPvRmT3_T4_T5_T6_T7_T9_mT8_P12ihipStream_tbDpT10_ENKUlT_T0_E_clISt17integral_constantIbLb0EES16_IbLb1EEEEDaS12_S13_EUlS12_E_NS1_11comp_targetILNS1_3genE2ELNS1_11target_archE906ELNS1_3gpuE6ELNS1_3repE0EEENS1_30default_config_static_selectorELNS0_4arch9wavefront6targetE1EEEvT1_
; %bb.0:
	.section	.rodata,"a",@progbits
	.p2align	6, 0x0
	.amdhsa_kernel _ZN7rocprim17ROCPRIM_400000_NS6detail17trampoline_kernelINS0_14default_configENS1_25partition_config_selectorILNS1_17partition_subalgoE8EfNS0_10empty_typeEbEEZZNS1_14partition_implILS5_8ELb0ES3_jPKfPS6_PKS6_NS0_5tupleIJPfS6_EEENSE_IJSB_SB_EEENS0_18inequality_wrapperIN6hipcub16HIPCUB_304000_NS8EqualityEEEPlJS6_EEE10hipError_tPvRmT3_T4_T5_T6_T7_T9_mT8_P12ihipStream_tbDpT10_ENKUlT_T0_E_clISt17integral_constantIbLb0EES16_IbLb1EEEEDaS12_S13_EUlS12_E_NS1_11comp_targetILNS1_3genE2ELNS1_11target_archE906ELNS1_3gpuE6ELNS1_3repE0EEENS1_30default_config_static_selectorELNS0_4arch9wavefront6targetE1EEEvT1_
		.amdhsa_group_segment_fixed_size 0
		.amdhsa_private_segment_fixed_size 0
		.amdhsa_kernarg_size 128
		.amdhsa_user_sgpr_count 2
		.amdhsa_user_sgpr_dispatch_ptr 0
		.amdhsa_user_sgpr_queue_ptr 0
		.amdhsa_user_sgpr_kernarg_segment_ptr 1
		.amdhsa_user_sgpr_dispatch_id 0
		.amdhsa_user_sgpr_kernarg_preload_length 0
		.amdhsa_user_sgpr_kernarg_preload_offset 0
		.amdhsa_user_sgpr_private_segment_size 0
		.amdhsa_uses_dynamic_stack 0
		.amdhsa_enable_private_segment 0
		.amdhsa_system_sgpr_workgroup_id_x 1
		.amdhsa_system_sgpr_workgroup_id_y 0
		.amdhsa_system_sgpr_workgroup_id_z 0
		.amdhsa_system_sgpr_workgroup_info 0
		.amdhsa_system_vgpr_workitem_id 0
		.amdhsa_next_free_vgpr 1
		.amdhsa_next_free_sgpr 0
		.amdhsa_accum_offset 4
		.amdhsa_reserve_vcc 0
		.amdhsa_float_round_mode_32 0
		.amdhsa_float_round_mode_16_64 0
		.amdhsa_float_denorm_mode_32 3
		.amdhsa_float_denorm_mode_16_64 3
		.amdhsa_dx10_clamp 1
		.amdhsa_ieee_mode 1
		.amdhsa_fp16_overflow 0
		.amdhsa_tg_split 0
		.amdhsa_exception_fp_ieee_invalid_op 0
		.amdhsa_exception_fp_denorm_src 0
		.amdhsa_exception_fp_ieee_div_zero 0
		.amdhsa_exception_fp_ieee_overflow 0
		.amdhsa_exception_fp_ieee_underflow 0
		.amdhsa_exception_fp_ieee_inexact 0
		.amdhsa_exception_int_div_zero 0
	.end_amdhsa_kernel
	.section	.text._ZN7rocprim17ROCPRIM_400000_NS6detail17trampoline_kernelINS0_14default_configENS1_25partition_config_selectorILNS1_17partition_subalgoE8EfNS0_10empty_typeEbEEZZNS1_14partition_implILS5_8ELb0ES3_jPKfPS6_PKS6_NS0_5tupleIJPfS6_EEENSE_IJSB_SB_EEENS0_18inequality_wrapperIN6hipcub16HIPCUB_304000_NS8EqualityEEEPlJS6_EEE10hipError_tPvRmT3_T4_T5_T6_T7_T9_mT8_P12ihipStream_tbDpT10_ENKUlT_T0_E_clISt17integral_constantIbLb0EES16_IbLb1EEEEDaS12_S13_EUlS12_E_NS1_11comp_targetILNS1_3genE2ELNS1_11target_archE906ELNS1_3gpuE6ELNS1_3repE0EEENS1_30default_config_static_selectorELNS0_4arch9wavefront6targetE1EEEvT1_,"axG",@progbits,_ZN7rocprim17ROCPRIM_400000_NS6detail17trampoline_kernelINS0_14default_configENS1_25partition_config_selectorILNS1_17partition_subalgoE8EfNS0_10empty_typeEbEEZZNS1_14partition_implILS5_8ELb0ES3_jPKfPS6_PKS6_NS0_5tupleIJPfS6_EEENSE_IJSB_SB_EEENS0_18inequality_wrapperIN6hipcub16HIPCUB_304000_NS8EqualityEEEPlJS6_EEE10hipError_tPvRmT3_T4_T5_T6_T7_T9_mT8_P12ihipStream_tbDpT10_ENKUlT_T0_E_clISt17integral_constantIbLb0EES16_IbLb1EEEEDaS12_S13_EUlS12_E_NS1_11comp_targetILNS1_3genE2ELNS1_11target_archE906ELNS1_3gpuE6ELNS1_3repE0EEENS1_30default_config_static_selectorELNS0_4arch9wavefront6targetE1EEEvT1_,comdat
.Lfunc_end369:
	.size	_ZN7rocprim17ROCPRIM_400000_NS6detail17trampoline_kernelINS0_14default_configENS1_25partition_config_selectorILNS1_17partition_subalgoE8EfNS0_10empty_typeEbEEZZNS1_14partition_implILS5_8ELb0ES3_jPKfPS6_PKS6_NS0_5tupleIJPfS6_EEENSE_IJSB_SB_EEENS0_18inequality_wrapperIN6hipcub16HIPCUB_304000_NS8EqualityEEEPlJS6_EEE10hipError_tPvRmT3_T4_T5_T6_T7_T9_mT8_P12ihipStream_tbDpT10_ENKUlT_T0_E_clISt17integral_constantIbLb0EES16_IbLb1EEEEDaS12_S13_EUlS12_E_NS1_11comp_targetILNS1_3genE2ELNS1_11target_archE906ELNS1_3gpuE6ELNS1_3repE0EEENS1_30default_config_static_selectorELNS0_4arch9wavefront6targetE1EEEvT1_, .Lfunc_end369-_ZN7rocprim17ROCPRIM_400000_NS6detail17trampoline_kernelINS0_14default_configENS1_25partition_config_selectorILNS1_17partition_subalgoE8EfNS0_10empty_typeEbEEZZNS1_14partition_implILS5_8ELb0ES3_jPKfPS6_PKS6_NS0_5tupleIJPfS6_EEENSE_IJSB_SB_EEENS0_18inequality_wrapperIN6hipcub16HIPCUB_304000_NS8EqualityEEEPlJS6_EEE10hipError_tPvRmT3_T4_T5_T6_T7_T9_mT8_P12ihipStream_tbDpT10_ENKUlT_T0_E_clISt17integral_constantIbLb0EES16_IbLb1EEEEDaS12_S13_EUlS12_E_NS1_11comp_targetILNS1_3genE2ELNS1_11target_archE906ELNS1_3gpuE6ELNS1_3repE0EEENS1_30default_config_static_selectorELNS0_4arch9wavefront6targetE1EEEvT1_
                                        ; -- End function
	.section	.AMDGPU.csdata,"",@progbits
; Kernel info:
; codeLenInByte = 0
; NumSgprs: 6
; NumVgprs: 0
; NumAgprs: 0
; TotalNumVgprs: 0
; ScratchSize: 0
; MemoryBound: 0
; FloatMode: 240
; IeeeMode: 1
; LDSByteSize: 0 bytes/workgroup (compile time only)
; SGPRBlocks: 0
; VGPRBlocks: 0
; NumSGPRsForWavesPerEU: 6
; NumVGPRsForWavesPerEU: 1
; AccumOffset: 4
; Occupancy: 8
; WaveLimiterHint : 0
; COMPUTE_PGM_RSRC2:SCRATCH_EN: 0
; COMPUTE_PGM_RSRC2:USER_SGPR: 2
; COMPUTE_PGM_RSRC2:TRAP_HANDLER: 0
; COMPUTE_PGM_RSRC2:TGID_X_EN: 1
; COMPUTE_PGM_RSRC2:TGID_Y_EN: 0
; COMPUTE_PGM_RSRC2:TGID_Z_EN: 0
; COMPUTE_PGM_RSRC2:TIDIG_COMP_CNT: 0
; COMPUTE_PGM_RSRC3_GFX90A:ACCUM_OFFSET: 0
; COMPUTE_PGM_RSRC3_GFX90A:TG_SPLIT: 0
	.section	.text._ZN7rocprim17ROCPRIM_400000_NS6detail17trampoline_kernelINS0_14default_configENS1_25partition_config_selectorILNS1_17partition_subalgoE8EfNS0_10empty_typeEbEEZZNS1_14partition_implILS5_8ELb0ES3_jPKfPS6_PKS6_NS0_5tupleIJPfS6_EEENSE_IJSB_SB_EEENS0_18inequality_wrapperIN6hipcub16HIPCUB_304000_NS8EqualityEEEPlJS6_EEE10hipError_tPvRmT3_T4_T5_T6_T7_T9_mT8_P12ihipStream_tbDpT10_ENKUlT_T0_E_clISt17integral_constantIbLb0EES16_IbLb1EEEEDaS12_S13_EUlS12_E_NS1_11comp_targetILNS1_3genE10ELNS1_11target_archE1200ELNS1_3gpuE4ELNS1_3repE0EEENS1_30default_config_static_selectorELNS0_4arch9wavefront6targetE1EEEvT1_,"axG",@progbits,_ZN7rocprim17ROCPRIM_400000_NS6detail17trampoline_kernelINS0_14default_configENS1_25partition_config_selectorILNS1_17partition_subalgoE8EfNS0_10empty_typeEbEEZZNS1_14partition_implILS5_8ELb0ES3_jPKfPS6_PKS6_NS0_5tupleIJPfS6_EEENSE_IJSB_SB_EEENS0_18inequality_wrapperIN6hipcub16HIPCUB_304000_NS8EqualityEEEPlJS6_EEE10hipError_tPvRmT3_T4_T5_T6_T7_T9_mT8_P12ihipStream_tbDpT10_ENKUlT_T0_E_clISt17integral_constantIbLb0EES16_IbLb1EEEEDaS12_S13_EUlS12_E_NS1_11comp_targetILNS1_3genE10ELNS1_11target_archE1200ELNS1_3gpuE4ELNS1_3repE0EEENS1_30default_config_static_selectorELNS0_4arch9wavefront6targetE1EEEvT1_,comdat
	.protected	_ZN7rocprim17ROCPRIM_400000_NS6detail17trampoline_kernelINS0_14default_configENS1_25partition_config_selectorILNS1_17partition_subalgoE8EfNS0_10empty_typeEbEEZZNS1_14partition_implILS5_8ELb0ES3_jPKfPS6_PKS6_NS0_5tupleIJPfS6_EEENSE_IJSB_SB_EEENS0_18inequality_wrapperIN6hipcub16HIPCUB_304000_NS8EqualityEEEPlJS6_EEE10hipError_tPvRmT3_T4_T5_T6_T7_T9_mT8_P12ihipStream_tbDpT10_ENKUlT_T0_E_clISt17integral_constantIbLb0EES16_IbLb1EEEEDaS12_S13_EUlS12_E_NS1_11comp_targetILNS1_3genE10ELNS1_11target_archE1200ELNS1_3gpuE4ELNS1_3repE0EEENS1_30default_config_static_selectorELNS0_4arch9wavefront6targetE1EEEvT1_ ; -- Begin function _ZN7rocprim17ROCPRIM_400000_NS6detail17trampoline_kernelINS0_14default_configENS1_25partition_config_selectorILNS1_17partition_subalgoE8EfNS0_10empty_typeEbEEZZNS1_14partition_implILS5_8ELb0ES3_jPKfPS6_PKS6_NS0_5tupleIJPfS6_EEENSE_IJSB_SB_EEENS0_18inequality_wrapperIN6hipcub16HIPCUB_304000_NS8EqualityEEEPlJS6_EEE10hipError_tPvRmT3_T4_T5_T6_T7_T9_mT8_P12ihipStream_tbDpT10_ENKUlT_T0_E_clISt17integral_constantIbLb0EES16_IbLb1EEEEDaS12_S13_EUlS12_E_NS1_11comp_targetILNS1_3genE10ELNS1_11target_archE1200ELNS1_3gpuE4ELNS1_3repE0EEENS1_30default_config_static_selectorELNS0_4arch9wavefront6targetE1EEEvT1_
	.globl	_ZN7rocprim17ROCPRIM_400000_NS6detail17trampoline_kernelINS0_14default_configENS1_25partition_config_selectorILNS1_17partition_subalgoE8EfNS0_10empty_typeEbEEZZNS1_14partition_implILS5_8ELb0ES3_jPKfPS6_PKS6_NS0_5tupleIJPfS6_EEENSE_IJSB_SB_EEENS0_18inequality_wrapperIN6hipcub16HIPCUB_304000_NS8EqualityEEEPlJS6_EEE10hipError_tPvRmT3_T4_T5_T6_T7_T9_mT8_P12ihipStream_tbDpT10_ENKUlT_T0_E_clISt17integral_constantIbLb0EES16_IbLb1EEEEDaS12_S13_EUlS12_E_NS1_11comp_targetILNS1_3genE10ELNS1_11target_archE1200ELNS1_3gpuE4ELNS1_3repE0EEENS1_30default_config_static_selectorELNS0_4arch9wavefront6targetE1EEEvT1_
	.p2align	8
	.type	_ZN7rocprim17ROCPRIM_400000_NS6detail17trampoline_kernelINS0_14default_configENS1_25partition_config_selectorILNS1_17partition_subalgoE8EfNS0_10empty_typeEbEEZZNS1_14partition_implILS5_8ELb0ES3_jPKfPS6_PKS6_NS0_5tupleIJPfS6_EEENSE_IJSB_SB_EEENS0_18inequality_wrapperIN6hipcub16HIPCUB_304000_NS8EqualityEEEPlJS6_EEE10hipError_tPvRmT3_T4_T5_T6_T7_T9_mT8_P12ihipStream_tbDpT10_ENKUlT_T0_E_clISt17integral_constantIbLb0EES16_IbLb1EEEEDaS12_S13_EUlS12_E_NS1_11comp_targetILNS1_3genE10ELNS1_11target_archE1200ELNS1_3gpuE4ELNS1_3repE0EEENS1_30default_config_static_selectorELNS0_4arch9wavefront6targetE1EEEvT1_,@function
_ZN7rocprim17ROCPRIM_400000_NS6detail17trampoline_kernelINS0_14default_configENS1_25partition_config_selectorILNS1_17partition_subalgoE8EfNS0_10empty_typeEbEEZZNS1_14partition_implILS5_8ELb0ES3_jPKfPS6_PKS6_NS0_5tupleIJPfS6_EEENSE_IJSB_SB_EEENS0_18inequality_wrapperIN6hipcub16HIPCUB_304000_NS8EqualityEEEPlJS6_EEE10hipError_tPvRmT3_T4_T5_T6_T7_T9_mT8_P12ihipStream_tbDpT10_ENKUlT_T0_E_clISt17integral_constantIbLb0EES16_IbLb1EEEEDaS12_S13_EUlS12_E_NS1_11comp_targetILNS1_3genE10ELNS1_11target_archE1200ELNS1_3gpuE4ELNS1_3repE0EEENS1_30default_config_static_selectorELNS0_4arch9wavefront6targetE1EEEvT1_: ; @_ZN7rocprim17ROCPRIM_400000_NS6detail17trampoline_kernelINS0_14default_configENS1_25partition_config_selectorILNS1_17partition_subalgoE8EfNS0_10empty_typeEbEEZZNS1_14partition_implILS5_8ELb0ES3_jPKfPS6_PKS6_NS0_5tupleIJPfS6_EEENSE_IJSB_SB_EEENS0_18inequality_wrapperIN6hipcub16HIPCUB_304000_NS8EqualityEEEPlJS6_EEE10hipError_tPvRmT3_T4_T5_T6_T7_T9_mT8_P12ihipStream_tbDpT10_ENKUlT_T0_E_clISt17integral_constantIbLb0EES16_IbLb1EEEEDaS12_S13_EUlS12_E_NS1_11comp_targetILNS1_3genE10ELNS1_11target_archE1200ELNS1_3gpuE4ELNS1_3repE0EEENS1_30default_config_static_selectorELNS0_4arch9wavefront6targetE1EEEvT1_
; %bb.0:
	.section	.rodata,"a",@progbits
	.p2align	6, 0x0
	.amdhsa_kernel _ZN7rocprim17ROCPRIM_400000_NS6detail17trampoline_kernelINS0_14default_configENS1_25partition_config_selectorILNS1_17partition_subalgoE8EfNS0_10empty_typeEbEEZZNS1_14partition_implILS5_8ELb0ES3_jPKfPS6_PKS6_NS0_5tupleIJPfS6_EEENSE_IJSB_SB_EEENS0_18inequality_wrapperIN6hipcub16HIPCUB_304000_NS8EqualityEEEPlJS6_EEE10hipError_tPvRmT3_T4_T5_T6_T7_T9_mT8_P12ihipStream_tbDpT10_ENKUlT_T0_E_clISt17integral_constantIbLb0EES16_IbLb1EEEEDaS12_S13_EUlS12_E_NS1_11comp_targetILNS1_3genE10ELNS1_11target_archE1200ELNS1_3gpuE4ELNS1_3repE0EEENS1_30default_config_static_selectorELNS0_4arch9wavefront6targetE1EEEvT1_
		.amdhsa_group_segment_fixed_size 0
		.amdhsa_private_segment_fixed_size 0
		.amdhsa_kernarg_size 128
		.amdhsa_user_sgpr_count 2
		.amdhsa_user_sgpr_dispatch_ptr 0
		.amdhsa_user_sgpr_queue_ptr 0
		.amdhsa_user_sgpr_kernarg_segment_ptr 1
		.amdhsa_user_sgpr_dispatch_id 0
		.amdhsa_user_sgpr_kernarg_preload_length 0
		.amdhsa_user_sgpr_kernarg_preload_offset 0
		.amdhsa_user_sgpr_private_segment_size 0
		.amdhsa_uses_dynamic_stack 0
		.amdhsa_enable_private_segment 0
		.amdhsa_system_sgpr_workgroup_id_x 1
		.amdhsa_system_sgpr_workgroup_id_y 0
		.amdhsa_system_sgpr_workgroup_id_z 0
		.amdhsa_system_sgpr_workgroup_info 0
		.amdhsa_system_vgpr_workitem_id 0
		.amdhsa_next_free_vgpr 1
		.amdhsa_next_free_sgpr 0
		.amdhsa_accum_offset 4
		.amdhsa_reserve_vcc 0
		.amdhsa_float_round_mode_32 0
		.amdhsa_float_round_mode_16_64 0
		.amdhsa_float_denorm_mode_32 3
		.amdhsa_float_denorm_mode_16_64 3
		.amdhsa_dx10_clamp 1
		.amdhsa_ieee_mode 1
		.amdhsa_fp16_overflow 0
		.amdhsa_tg_split 0
		.amdhsa_exception_fp_ieee_invalid_op 0
		.amdhsa_exception_fp_denorm_src 0
		.amdhsa_exception_fp_ieee_div_zero 0
		.amdhsa_exception_fp_ieee_overflow 0
		.amdhsa_exception_fp_ieee_underflow 0
		.amdhsa_exception_fp_ieee_inexact 0
		.amdhsa_exception_int_div_zero 0
	.end_amdhsa_kernel
	.section	.text._ZN7rocprim17ROCPRIM_400000_NS6detail17trampoline_kernelINS0_14default_configENS1_25partition_config_selectorILNS1_17partition_subalgoE8EfNS0_10empty_typeEbEEZZNS1_14partition_implILS5_8ELb0ES3_jPKfPS6_PKS6_NS0_5tupleIJPfS6_EEENSE_IJSB_SB_EEENS0_18inequality_wrapperIN6hipcub16HIPCUB_304000_NS8EqualityEEEPlJS6_EEE10hipError_tPvRmT3_T4_T5_T6_T7_T9_mT8_P12ihipStream_tbDpT10_ENKUlT_T0_E_clISt17integral_constantIbLb0EES16_IbLb1EEEEDaS12_S13_EUlS12_E_NS1_11comp_targetILNS1_3genE10ELNS1_11target_archE1200ELNS1_3gpuE4ELNS1_3repE0EEENS1_30default_config_static_selectorELNS0_4arch9wavefront6targetE1EEEvT1_,"axG",@progbits,_ZN7rocprim17ROCPRIM_400000_NS6detail17trampoline_kernelINS0_14default_configENS1_25partition_config_selectorILNS1_17partition_subalgoE8EfNS0_10empty_typeEbEEZZNS1_14partition_implILS5_8ELb0ES3_jPKfPS6_PKS6_NS0_5tupleIJPfS6_EEENSE_IJSB_SB_EEENS0_18inequality_wrapperIN6hipcub16HIPCUB_304000_NS8EqualityEEEPlJS6_EEE10hipError_tPvRmT3_T4_T5_T6_T7_T9_mT8_P12ihipStream_tbDpT10_ENKUlT_T0_E_clISt17integral_constantIbLb0EES16_IbLb1EEEEDaS12_S13_EUlS12_E_NS1_11comp_targetILNS1_3genE10ELNS1_11target_archE1200ELNS1_3gpuE4ELNS1_3repE0EEENS1_30default_config_static_selectorELNS0_4arch9wavefront6targetE1EEEvT1_,comdat
.Lfunc_end370:
	.size	_ZN7rocprim17ROCPRIM_400000_NS6detail17trampoline_kernelINS0_14default_configENS1_25partition_config_selectorILNS1_17partition_subalgoE8EfNS0_10empty_typeEbEEZZNS1_14partition_implILS5_8ELb0ES3_jPKfPS6_PKS6_NS0_5tupleIJPfS6_EEENSE_IJSB_SB_EEENS0_18inequality_wrapperIN6hipcub16HIPCUB_304000_NS8EqualityEEEPlJS6_EEE10hipError_tPvRmT3_T4_T5_T6_T7_T9_mT8_P12ihipStream_tbDpT10_ENKUlT_T0_E_clISt17integral_constantIbLb0EES16_IbLb1EEEEDaS12_S13_EUlS12_E_NS1_11comp_targetILNS1_3genE10ELNS1_11target_archE1200ELNS1_3gpuE4ELNS1_3repE0EEENS1_30default_config_static_selectorELNS0_4arch9wavefront6targetE1EEEvT1_, .Lfunc_end370-_ZN7rocprim17ROCPRIM_400000_NS6detail17trampoline_kernelINS0_14default_configENS1_25partition_config_selectorILNS1_17partition_subalgoE8EfNS0_10empty_typeEbEEZZNS1_14partition_implILS5_8ELb0ES3_jPKfPS6_PKS6_NS0_5tupleIJPfS6_EEENSE_IJSB_SB_EEENS0_18inequality_wrapperIN6hipcub16HIPCUB_304000_NS8EqualityEEEPlJS6_EEE10hipError_tPvRmT3_T4_T5_T6_T7_T9_mT8_P12ihipStream_tbDpT10_ENKUlT_T0_E_clISt17integral_constantIbLb0EES16_IbLb1EEEEDaS12_S13_EUlS12_E_NS1_11comp_targetILNS1_3genE10ELNS1_11target_archE1200ELNS1_3gpuE4ELNS1_3repE0EEENS1_30default_config_static_selectorELNS0_4arch9wavefront6targetE1EEEvT1_
                                        ; -- End function
	.section	.AMDGPU.csdata,"",@progbits
; Kernel info:
; codeLenInByte = 0
; NumSgprs: 6
; NumVgprs: 0
; NumAgprs: 0
; TotalNumVgprs: 0
; ScratchSize: 0
; MemoryBound: 0
; FloatMode: 240
; IeeeMode: 1
; LDSByteSize: 0 bytes/workgroup (compile time only)
; SGPRBlocks: 0
; VGPRBlocks: 0
; NumSGPRsForWavesPerEU: 6
; NumVGPRsForWavesPerEU: 1
; AccumOffset: 4
; Occupancy: 8
; WaveLimiterHint : 0
; COMPUTE_PGM_RSRC2:SCRATCH_EN: 0
; COMPUTE_PGM_RSRC2:USER_SGPR: 2
; COMPUTE_PGM_RSRC2:TRAP_HANDLER: 0
; COMPUTE_PGM_RSRC2:TGID_X_EN: 1
; COMPUTE_PGM_RSRC2:TGID_Y_EN: 0
; COMPUTE_PGM_RSRC2:TGID_Z_EN: 0
; COMPUTE_PGM_RSRC2:TIDIG_COMP_CNT: 0
; COMPUTE_PGM_RSRC3_GFX90A:ACCUM_OFFSET: 0
; COMPUTE_PGM_RSRC3_GFX90A:TG_SPLIT: 0
	.section	.text._ZN7rocprim17ROCPRIM_400000_NS6detail17trampoline_kernelINS0_14default_configENS1_25partition_config_selectorILNS1_17partition_subalgoE8EfNS0_10empty_typeEbEEZZNS1_14partition_implILS5_8ELb0ES3_jPKfPS6_PKS6_NS0_5tupleIJPfS6_EEENSE_IJSB_SB_EEENS0_18inequality_wrapperIN6hipcub16HIPCUB_304000_NS8EqualityEEEPlJS6_EEE10hipError_tPvRmT3_T4_T5_T6_T7_T9_mT8_P12ihipStream_tbDpT10_ENKUlT_T0_E_clISt17integral_constantIbLb0EES16_IbLb1EEEEDaS12_S13_EUlS12_E_NS1_11comp_targetILNS1_3genE9ELNS1_11target_archE1100ELNS1_3gpuE3ELNS1_3repE0EEENS1_30default_config_static_selectorELNS0_4arch9wavefront6targetE1EEEvT1_,"axG",@progbits,_ZN7rocprim17ROCPRIM_400000_NS6detail17trampoline_kernelINS0_14default_configENS1_25partition_config_selectorILNS1_17partition_subalgoE8EfNS0_10empty_typeEbEEZZNS1_14partition_implILS5_8ELb0ES3_jPKfPS6_PKS6_NS0_5tupleIJPfS6_EEENSE_IJSB_SB_EEENS0_18inequality_wrapperIN6hipcub16HIPCUB_304000_NS8EqualityEEEPlJS6_EEE10hipError_tPvRmT3_T4_T5_T6_T7_T9_mT8_P12ihipStream_tbDpT10_ENKUlT_T0_E_clISt17integral_constantIbLb0EES16_IbLb1EEEEDaS12_S13_EUlS12_E_NS1_11comp_targetILNS1_3genE9ELNS1_11target_archE1100ELNS1_3gpuE3ELNS1_3repE0EEENS1_30default_config_static_selectorELNS0_4arch9wavefront6targetE1EEEvT1_,comdat
	.protected	_ZN7rocprim17ROCPRIM_400000_NS6detail17trampoline_kernelINS0_14default_configENS1_25partition_config_selectorILNS1_17partition_subalgoE8EfNS0_10empty_typeEbEEZZNS1_14partition_implILS5_8ELb0ES3_jPKfPS6_PKS6_NS0_5tupleIJPfS6_EEENSE_IJSB_SB_EEENS0_18inequality_wrapperIN6hipcub16HIPCUB_304000_NS8EqualityEEEPlJS6_EEE10hipError_tPvRmT3_T4_T5_T6_T7_T9_mT8_P12ihipStream_tbDpT10_ENKUlT_T0_E_clISt17integral_constantIbLb0EES16_IbLb1EEEEDaS12_S13_EUlS12_E_NS1_11comp_targetILNS1_3genE9ELNS1_11target_archE1100ELNS1_3gpuE3ELNS1_3repE0EEENS1_30default_config_static_selectorELNS0_4arch9wavefront6targetE1EEEvT1_ ; -- Begin function _ZN7rocprim17ROCPRIM_400000_NS6detail17trampoline_kernelINS0_14default_configENS1_25partition_config_selectorILNS1_17partition_subalgoE8EfNS0_10empty_typeEbEEZZNS1_14partition_implILS5_8ELb0ES3_jPKfPS6_PKS6_NS0_5tupleIJPfS6_EEENSE_IJSB_SB_EEENS0_18inequality_wrapperIN6hipcub16HIPCUB_304000_NS8EqualityEEEPlJS6_EEE10hipError_tPvRmT3_T4_T5_T6_T7_T9_mT8_P12ihipStream_tbDpT10_ENKUlT_T0_E_clISt17integral_constantIbLb0EES16_IbLb1EEEEDaS12_S13_EUlS12_E_NS1_11comp_targetILNS1_3genE9ELNS1_11target_archE1100ELNS1_3gpuE3ELNS1_3repE0EEENS1_30default_config_static_selectorELNS0_4arch9wavefront6targetE1EEEvT1_
	.globl	_ZN7rocprim17ROCPRIM_400000_NS6detail17trampoline_kernelINS0_14default_configENS1_25partition_config_selectorILNS1_17partition_subalgoE8EfNS0_10empty_typeEbEEZZNS1_14partition_implILS5_8ELb0ES3_jPKfPS6_PKS6_NS0_5tupleIJPfS6_EEENSE_IJSB_SB_EEENS0_18inequality_wrapperIN6hipcub16HIPCUB_304000_NS8EqualityEEEPlJS6_EEE10hipError_tPvRmT3_T4_T5_T6_T7_T9_mT8_P12ihipStream_tbDpT10_ENKUlT_T0_E_clISt17integral_constantIbLb0EES16_IbLb1EEEEDaS12_S13_EUlS12_E_NS1_11comp_targetILNS1_3genE9ELNS1_11target_archE1100ELNS1_3gpuE3ELNS1_3repE0EEENS1_30default_config_static_selectorELNS0_4arch9wavefront6targetE1EEEvT1_
	.p2align	8
	.type	_ZN7rocprim17ROCPRIM_400000_NS6detail17trampoline_kernelINS0_14default_configENS1_25partition_config_selectorILNS1_17partition_subalgoE8EfNS0_10empty_typeEbEEZZNS1_14partition_implILS5_8ELb0ES3_jPKfPS6_PKS6_NS0_5tupleIJPfS6_EEENSE_IJSB_SB_EEENS0_18inequality_wrapperIN6hipcub16HIPCUB_304000_NS8EqualityEEEPlJS6_EEE10hipError_tPvRmT3_T4_T5_T6_T7_T9_mT8_P12ihipStream_tbDpT10_ENKUlT_T0_E_clISt17integral_constantIbLb0EES16_IbLb1EEEEDaS12_S13_EUlS12_E_NS1_11comp_targetILNS1_3genE9ELNS1_11target_archE1100ELNS1_3gpuE3ELNS1_3repE0EEENS1_30default_config_static_selectorELNS0_4arch9wavefront6targetE1EEEvT1_,@function
_ZN7rocprim17ROCPRIM_400000_NS6detail17trampoline_kernelINS0_14default_configENS1_25partition_config_selectorILNS1_17partition_subalgoE8EfNS0_10empty_typeEbEEZZNS1_14partition_implILS5_8ELb0ES3_jPKfPS6_PKS6_NS0_5tupleIJPfS6_EEENSE_IJSB_SB_EEENS0_18inequality_wrapperIN6hipcub16HIPCUB_304000_NS8EqualityEEEPlJS6_EEE10hipError_tPvRmT3_T4_T5_T6_T7_T9_mT8_P12ihipStream_tbDpT10_ENKUlT_T0_E_clISt17integral_constantIbLb0EES16_IbLb1EEEEDaS12_S13_EUlS12_E_NS1_11comp_targetILNS1_3genE9ELNS1_11target_archE1100ELNS1_3gpuE3ELNS1_3repE0EEENS1_30default_config_static_selectorELNS0_4arch9wavefront6targetE1EEEvT1_: ; @_ZN7rocprim17ROCPRIM_400000_NS6detail17trampoline_kernelINS0_14default_configENS1_25partition_config_selectorILNS1_17partition_subalgoE8EfNS0_10empty_typeEbEEZZNS1_14partition_implILS5_8ELb0ES3_jPKfPS6_PKS6_NS0_5tupleIJPfS6_EEENSE_IJSB_SB_EEENS0_18inequality_wrapperIN6hipcub16HIPCUB_304000_NS8EqualityEEEPlJS6_EEE10hipError_tPvRmT3_T4_T5_T6_T7_T9_mT8_P12ihipStream_tbDpT10_ENKUlT_T0_E_clISt17integral_constantIbLb0EES16_IbLb1EEEEDaS12_S13_EUlS12_E_NS1_11comp_targetILNS1_3genE9ELNS1_11target_archE1100ELNS1_3gpuE3ELNS1_3repE0EEENS1_30default_config_static_selectorELNS0_4arch9wavefront6targetE1EEEvT1_
; %bb.0:
	.section	.rodata,"a",@progbits
	.p2align	6, 0x0
	.amdhsa_kernel _ZN7rocprim17ROCPRIM_400000_NS6detail17trampoline_kernelINS0_14default_configENS1_25partition_config_selectorILNS1_17partition_subalgoE8EfNS0_10empty_typeEbEEZZNS1_14partition_implILS5_8ELb0ES3_jPKfPS6_PKS6_NS0_5tupleIJPfS6_EEENSE_IJSB_SB_EEENS0_18inequality_wrapperIN6hipcub16HIPCUB_304000_NS8EqualityEEEPlJS6_EEE10hipError_tPvRmT3_T4_T5_T6_T7_T9_mT8_P12ihipStream_tbDpT10_ENKUlT_T0_E_clISt17integral_constantIbLb0EES16_IbLb1EEEEDaS12_S13_EUlS12_E_NS1_11comp_targetILNS1_3genE9ELNS1_11target_archE1100ELNS1_3gpuE3ELNS1_3repE0EEENS1_30default_config_static_selectorELNS0_4arch9wavefront6targetE1EEEvT1_
		.amdhsa_group_segment_fixed_size 0
		.amdhsa_private_segment_fixed_size 0
		.amdhsa_kernarg_size 128
		.amdhsa_user_sgpr_count 2
		.amdhsa_user_sgpr_dispatch_ptr 0
		.amdhsa_user_sgpr_queue_ptr 0
		.amdhsa_user_sgpr_kernarg_segment_ptr 1
		.amdhsa_user_sgpr_dispatch_id 0
		.amdhsa_user_sgpr_kernarg_preload_length 0
		.amdhsa_user_sgpr_kernarg_preload_offset 0
		.amdhsa_user_sgpr_private_segment_size 0
		.amdhsa_uses_dynamic_stack 0
		.amdhsa_enable_private_segment 0
		.amdhsa_system_sgpr_workgroup_id_x 1
		.amdhsa_system_sgpr_workgroup_id_y 0
		.amdhsa_system_sgpr_workgroup_id_z 0
		.amdhsa_system_sgpr_workgroup_info 0
		.amdhsa_system_vgpr_workitem_id 0
		.amdhsa_next_free_vgpr 1
		.amdhsa_next_free_sgpr 0
		.amdhsa_accum_offset 4
		.amdhsa_reserve_vcc 0
		.amdhsa_float_round_mode_32 0
		.amdhsa_float_round_mode_16_64 0
		.amdhsa_float_denorm_mode_32 3
		.amdhsa_float_denorm_mode_16_64 3
		.amdhsa_dx10_clamp 1
		.amdhsa_ieee_mode 1
		.amdhsa_fp16_overflow 0
		.amdhsa_tg_split 0
		.amdhsa_exception_fp_ieee_invalid_op 0
		.amdhsa_exception_fp_denorm_src 0
		.amdhsa_exception_fp_ieee_div_zero 0
		.amdhsa_exception_fp_ieee_overflow 0
		.amdhsa_exception_fp_ieee_underflow 0
		.amdhsa_exception_fp_ieee_inexact 0
		.amdhsa_exception_int_div_zero 0
	.end_amdhsa_kernel
	.section	.text._ZN7rocprim17ROCPRIM_400000_NS6detail17trampoline_kernelINS0_14default_configENS1_25partition_config_selectorILNS1_17partition_subalgoE8EfNS0_10empty_typeEbEEZZNS1_14partition_implILS5_8ELb0ES3_jPKfPS6_PKS6_NS0_5tupleIJPfS6_EEENSE_IJSB_SB_EEENS0_18inequality_wrapperIN6hipcub16HIPCUB_304000_NS8EqualityEEEPlJS6_EEE10hipError_tPvRmT3_T4_T5_T6_T7_T9_mT8_P12ihipStream_tbDpT10_ENKUlT_T0_E_clISt17integral_constantIbLb0EES16_IbLb1EEEEDaS12_S13_EUlS12_E_NS1_11comp_targetILNS1_3genE9ELNS1_11target_archE1100ELNS1_3gpuE3ELNS1_3repE0EEENS1_30default_config_static_selectorELNS0_4arch9wavefront6targetE1EEEvT1_,"axG",@progbits,_ZN7rocprim17ROCPRIM_400000_NS6detail17trampoline_kernelINS0_14default_configENS1_25partition_config_selectorILNS1_17partition_subalgoE8EfNS0_10empty_typeEbEEZZNS1_14partition_implILS5_8ELb0ES3_jPKfPS6_PKS6_NS0_5tupleIJPfS6_EEENSE_IJSB_SB_EEENS0_18inequality_wrapperIN6hipcub16HIPCUB_304000_NS8EqualityEEEPlJS6_EEE10hipError_tPvRmT3_T4_T5_T6_T7_T9_mT8_P12ihipStream_tbDpT10_ENKUlT_T0_E_clISt17integral_constantIbLb0EES16_IbLb1EEEEDaS12_S13_EUlS12_E_NS1_11comp_targetILNS1_3genE9ELNS1_11target_archE1100ELNS1_3gpuE3ELNS1_3repE0EEENS1_30default_config_static_selectorELNS0_4arch9wavefront6targetE1EEEvT1_,comdat
.Lfunc_end371:
	.size	_ZN7rocprim17ROCPRIM_400000_NS6detail17trampoline_kernelINS0_14default_configENS1_25partition_config_selectorILNS1_17partition_subalgoE8EfNS0_10empty_typeEbEEZZNS1_14partition_implILS5_8ELb0ES3_jPKfPS6_PKS6_NS0_5tupleIJPfS6_EEENSE_IJSB_SB_EEENS0_18inequality_wrapperIN6hipcub16HIPCUB_304000_NS8EqualityEEEPlJS6_EEE10hipError_tPvRmT3_T4_T5_T6_T7_T9_mT8_P12ihipStream_tbDpT10_ENKUlT_T0_E_clISt17integral_constantIbLb0EES16_IbLb1EEEEDaS12_S13_EUlS12_E_NS1_11comp_targetILNS1_3genE9ELNS1_11target_archE1100ELNS1_3gpuE3ELNS1_3repE0EEENS1_30default_config_static_selectorELNS0_4arch9wavefront6targetE1EEEvT1_, .Lfunc_end371-_ZN7rocprim17ROCPRIM_400000_NS6detail17trampoline_kernelINS0_14default_configENS1_25partition_config_selectorILNS1_17partition_subalgoE8EfNS0_10empty_typeEbEEZZNS1_14partition_implILS5_8ELb0ES3_jPKfPS6_PKS6_NS0_5tupleIJPfS6_EEENSE_IJSB_SB_EEENS0_18inequality_wrapperIN6hipcub16HIPCUB_304000_NS8EqualityEEEPlJS6_EEE10hipError_tPvRmT3_T4_T5_T6_T7_T9_mT8_P12ihipStream_tbDpT10_ENKUlT_T0_E_clISt17integral_constantIbLb0EES16_IbLb1EEEEDaS12_S13_EUlS12_E_NS1_11comp_targetILNS1_3genE9ELNS1_11target_archE1100ELNS1_3gpuE3ELNS1_3repE0EEENS1_30default_config_static_selectorELNS0_4arch9wavefront6targetE1EEEvT1_
                                        ; -- End function
	.section	.AMDGPU.csdata,"",@progbits
; Kernel info:
; codeLenInByte = 0
; NumSgprs: 6
; NumVgprs: 0
; NumAgprs: 0
; TotalNumVgprs: 0
; ScratchSize: 0
; MemoryBound: 0
; FloatMode: 240
; IeeeMode: 1
; LDSByteSize: 0 bytes/workgroup (compile time only)
; SGPRBlocks: 0
; VGPRBlocks: 0
; NumSGPRsForWavesPerEU: 6
; NumVGPRsForWavesPerEU: 1
; AccumOffset: 4
; Occupancy: 8
; WaveLimiterHint : 0
; COMPUTE_PGM_RSRC2:SCRATCH_EN: 0
; COMPUTE_PGM_RSRC2:USER_SGPR: 2
; COMPUTE_PGM_RSRC2:TRAP_HANDLER: 0
; COMPUTE_PGM_RSRC2:TGID_X_EN: 1
; COMPUTE_PGM_RSRC2:TGID_Y_EN: 0
; COMPUTE_PGM_RSRC2:TGID_Z_EN: 0
; COMPUTE_PGM_RSRC2:TIDIG_COMP_CNT: 0
; COMPUTE_PGM_RSRC3_GFX90A:ACCUM_OFFSET: 0
; COMPUTE_PGM_RSRC3_GFX90A:TG_SPLIT: 0
	.section	.text._ZN7rocprim17ROCPRIM_400000_NS6detail17trampoline_kernelINS0_14default_configENS1_25partition_config_selectorILNS1_17partition_subalgoE8EfNS0_10empty_typeEbEEZZNS1_14partition_implILS5_8ELb0ES3_jPKfPS6_PKS6_NS0_5tupleIJPfS6_EEENSE_IJSB_SB_EEENS0_18inequality_wrapperIN6hipcub16HIPCUB_304000_NS8EqualityEEEPlJS6_EEE10hipError_tPvRmT3_T4_T5_T6_T7_T9_mT8_P12ihipStream_tbDpT10_ENKUlT_T0_E_clISt17integral_constantIbLb0EES16_IbLb1EEEEDaS12_S13_EUlS12_E_NS1_11comp_targetILNS1_3genE8ELNS1_11target_archE1030ELNS1_3gpuE2ELNS1_3repE0EEENS1_30default_config_static_selectorELNS0_4arch9wavefront6targetE1EEEvT1_,"axG",@progbits,_ZN7rocprim17ROCPRIM_400000_NS6detail17trampoline_kernelINS0_14default_configENS1_25partition_config_selectorILNS1_17partition_subalgoE8EfNS0_10empty_typeEbEEZZNS1_14partition_implILS5_8ELb0ES3_jPKfPS6_PKS6_NS0_5tupleIJPfS6_EEENSE_IJSB_SB_EEENS0_18inequality_wrapperIN6hipcub16HIPCUB_304000_NS8EqualityEEEPlJS6_EEE10hipError_tPvRmT3_T4_T5_T6_T7_T9_mT8_P12ihipStream_tbDpT10_ENKUlT_T0_E_clISt17integral_constantIbLb0EES16_IbLb1EEEEDaS12_S13_EUlS12_E_NS1_11comp_targetILNS1_3genE8ELNS1_11target_archE1030ELNS1_3gpuE2ELNS1_3repE0EEENS1_30default_config_static_selectorELNS0_4arch9wavefront6targetE1EEEvT1_,comdat
	.protected	_ZN7rocprim17ROCPRIM_400000_NS6detail17trampoline_kernelINS0_14default_configENS1_25partition_config_selectorILNS1_17partition_subalgoE8EfNS0_10empty_typeEbEEZZNS1_14partition_implILS5_8ELb0ES3_jPKfPS6_PKS6_NS0_5tupleIJPfS6_EEENSE_IJSB_SB_EEENS0_18inequality_wrapperIN6hipcub16HIPCUB_304000_NS8EqualityEEEPlJS6_EEE10hipError_tPvRmT3_T4_T5_T6_T7_T9_mT8_P12ihipStream_tbDpT10_ENKUlT_T0_E_clISt17integral_constantIbLb0EES16_IbLb1EEEEDaS12_S13_EUlS12_E_NS1_11comp_targetILNS1_3genE8ELNS1_11target_archE1030ELNS1_3gpuE2ELNS1_3repE0EEENS1_30default_config_static_selectorELNS0_4arch9wavefront6targetE1EEEvT1_ ; -- Begin function _ZN7rocprim17ROCPRIM_400000_NS6detail17trampoline_kernelINS0_14default_configENS1_25partition_config_selectorILNS1_17partition_subalgoE8EfNS0_10empty_typeEbEEZZNS1_14partition_implILS5_8ELb0ES3_jPKfPS6_PKS6_NS0_5tupleIJPfS6_EEENSE_IJSB_SB_EEENS0_18inequality_wrapperIN6hipcub16HIPCUB_304000_NS8EqualityEEEPlJS6_EEE10hipError_tPvRmT3_T4_T5_T6_T7_T9_mT8_P12ihipStream_tbDpT10_ENKUlT_T0_E_clISt17integral_constantIbLb0EES16_IbLb1EEEEDaS12_S13_EUlS12_E_NS1_11comp_targetILNS1_3genE8ELNS1_11target_archE1030ELNS1_3gpuE2ELNS1_3repE0EEENS1_30default_config_static_selectorELNS0_4arch9wavefront6targetE1EEEvT1_
	.globl	_ZN7rocprim17ROCPRIM_400000_NS6detail17trampoline_kernelINS0_14default_configENS1_25partition_config_selectorILNS1_17partition_subalgoE8EfNS0_10empty_typeEbEEZZNS1_14partition_implILS5_8ELb0ES3_jPKfPS6_PKS6_NS0_5tupleIJPfS6_EEENSE_IJSB_SB_EEENS0_18inequality_wrapperIN6hipcub16HIPCUB_304000_NS8EqualityEEEPlJS6_EEE10hipError_tPvRmT3_T4_T5_T6_T7_T9_mT8_P12ihipStream_tbDpT10_ENKUlT_T0_E_clISt17integral_constantIbLb0EES16_IbLb1EEEEDaS12_S13_EUlS12_E_NS1_11comp_targetILNS1_3genE8ELNS1_11target_archE1030ELNS1_3gpuE2ELNS1_3repE0EEENS1_30default_config_static_selectorELNS0_4arch9wavefront6targetE1EEEvT1_
	.p2align	8
	.type	_ZN7rocprim17ROCPRIM_400000_NS6detail17trampoline_kernelINS0_14default_configENS1_25partition_config_selectorILNS1_17partition_subalgoE8EfNS0_10empty_typeEbEEZZNS1_14partition_implILS5_8ELb0ES3_jPKfPS6_PKS6_NS0_5tupleIJPfS6_EEENSE_IJSB_SB_EEENS0_18inequality_wrapperIN6hipcub16HIPCUB_304000_NS8EqualityEEEPlJS6_EEE10hipError_tPvRmT3_T4_T5_T6_T7_T9_mT8_P12ihipStream_tbDpT10_ENKUlT_T0_E_clISt17integral_constantIbLb0EES16_IbLb1EEEEDaS12_S13_EUlS12_E_NS1_11comp_targetILNS1_3genE8ELNS1_11target_archE1030ELNS1_3gpuE2ELNS1_3repE0EEENS1_30default_config_static_selectorELNS0_4arch9wavefront6targetE1EEEvT1_,@function
_ZN7rocprim17ROCPRIM_400000_NS6detail17trampoline_kernelINS0_14default_configENS1_25partition_config_selectorILNS1_17partition_subalgoE8EfNS0_10empty_typeEbEEZZNS1_14partition_implILS5_8ELb0ES3_jPKfPS6_PKS6_NS0_5tupleIJPfS6_EEENSE_IJSB_SB_EEENS0_18inequality_wrapperIN6hipcub16HIPCUB_304000_NS8EqualityEEEPlJS6_EEE10hipError_tPvRmT3_T4_T5_T6_T7_T9_mT8_P12ihipStream_tbDpT10_ENKUlT_T0_E_clISt17integral_constantIbLb0EES16_IbLb1EEEEDaS12_S13_EUlS12_E_NS1_11comp_targetILNS1_3genE8ELNS1_11target_archE1030ELNS1_3gpuE2ELNS1_3repE0EEENS1_30default_config_static_selectorELNS0_4arch9wavefront6targetE1EEEvT1_: ; @_ZN7rocprim17ROCPRIM_400000_NS6detail17trampoline_kernelINS0_14default_configENS1_25partition_config_selectorILNS1_17partition_subalgoE8EfNS0_10empty_typeEbEEZZNS1_14partition_implILS5_8ELb0ES3_jPKfPS6_PKS6_NS0_5tupleIJPfS6_EEENSE_IJSB_SB_EEENS0_18inequality_wrapperIN6hipcub16HIPCUB_304000_NS8EqualityEEEPlJS6_EEE10hipError_tPvRmT3_T4_T5_T6_T7_T9_mT8_P12ihipStream_tbDpT10_ENKUlT_T0_E_clISt17integral_constantIbLb0EES16_IbLb1EEEEDaS12_S13_EUlS12_E_NS1_11comp_targetILNS1_3genE8ELNS1_11target_archE1030ELNS1_3gpuE2ELNS1_3repE0EEENS1_30default_config_static_selectorELNS0_4arch9wavefront6targetE1EEEvT1_
; %bb.0:
	.section	.rodata,"a",@progbits
	.p2align	6, 0x0
	.amdhsa_kernel _ZN7rocprim17ROCPRIM_400000_NS6detail17trampoline_kernelINS0_14default_configENS1_25partition_config_selectorILNS1_17partition_subalgoE8EfNS0_10empty_typeEbEEZZNS1_14partition_implILS5_8ELb0ES3_jPKfPS6_PKS6_NS0_5tupleIJPfS6_EEENSE_IJSB_SB_EEENS0_18inequality_wrapperIN6hipcub16HIPCUB_304000_NS8EqualityEEEPlJS6_EEE10hipError_tPvRmT3_T4_T5_T6_T7_T9_mT8_P12ihipStream_tbDpT10_ENKUlT_T0_E_clISt17integral_constantIbLb0EES16_IbLb1EEEEDaS12_S13_EUlS12_E_NS1_11comp_targetILNS1_3genE8ELNS1_11target_archE1030ELNS1_3gpuE2ELNS1_3repE0EEENS1_30default_config_static_selectorELNS0_4arch9wavefront6targetE1EEEvT1_
		.amdhsa_group_segment_fixed_size 0
		.amdhsa_private_segment_fixed_size 0
		.amdhsa_kernarg_size 128
		.amdhsa_user_sgpr_count 2
		.amdhsa_user_sgpr_dispatch_ptr 0
		.amdhsa_user_sgpr_queue_ptr 0
		.amdhsa_user_sgpr_kernarg_segment_ptr 1
		.amdhsa_user_sgpr_dispatch_id 0
		.amdhsa_user_sgpr_kernarg_preload_length 0
		.amdhsa_user_sgpr_kernarg_preload_offset 0
		.amdhsa_user_sgpr_private_segment_size 0
		.amdhsa_uses_dynamic_stack 0
		.amdhsa_enable_private_segment 0
		.amdhsa_system_sgpr_workgroup_id_x 1
		.amdhsa_system_sgpr_workgroup_id_y 0
		.amdhsa_system_sgpr_workgroup_id_z 0
		.amdhsa_system_sgpr_workgroup_info 0
		.amdhsa_system_vgpr_workitem_id 0
		.amdhsa_next_free_vgpr 1
		.amdhsa_next_free_sgpr 0
		.amdhsa_accum_offset 4
		.amdhsa_reserve_vcc 0
		.amdhsa_float_round_mode_32 0
		.amdhsa_float_round_mode_16_64 0
		.amdhsa_float_denorm_mode_32 3
		.amdhsa_float_denorm_mode_16_64 3
		.amdhsa_dx10_clamp 1
		.amdhsa_ieee_mode 1
		.amdhsa_fp16_overflow 0
		.amdhsa_tg_split 0
		.amdhsa_exception_fp_ieee_invalid_op 0
		.amdhsa_exception_fp_denorm_src 0
		.amdhsa_exception_fp_ieee_div_zero 0
		.amdhsa_exception_fp_ieee_overflow 0
		.amdhsa_exception_fp_ieee_underflow 0
		.amdhsa_exception_fp_ieee_inexact 0
		.amdhsa_exception_int_div_zero 0
	.end_amdhsa_kernel
	.section	.text._ZN7rocprim17ROCPRIM_400000_NS6detail17trampoline_kernelINS0_14default_configENS1_25partition_config_selectorILNS1_17partition_subalgoE8EfNS0_10empty_typeEbEEZZNS1_14partition_implILS5_8ELb0ES3_jPKfPS6_PKS6_NS0_5tupleIJPfS6_EEENSE_IJSB_SB_EEENS0_18inequality_wrapperIN6hipcub16HIPCUB_304000_NS8EqualityEEEPlJS6_EEE10hipError_tPvRmT3_T4_T5_T6_T7_T9_mT8_P12ihipStream_tbDpT10_ENKUlT_T0_E_clISt17integral_constantIbLb0EES16_IbLb1EEEEDaS12_S13_EUlS12_E_NS1_11comp_targetILNS1_3genE8ELNS1_11target_archE1030ELNS1_3gpuE2ELNS1_3repE0EEENS1_30default_config_static_selectorELNS0_4arch9wavefront6targetE1EEEvT1_,"axG",@progbits,_ZN7rocprim17ROCPRIM_400000_NS6detail17trampoline_kernelINS0_14default_configENS1_25partition_config_selectorILNS1_17partition_subalgoE8EfNS0_10empty_typeEbEEZZNS1_14partition_implILS5_8ELb0ES3_jPKfPS6_PKS6_NS0_5tupleIJPfS6_EEENSE_IJSB_SB_EEENS0_18inequality_wrapperIN6hipcub16HIPCUB_304000_NS8EqualityEEEPlJS6_EEE10hipError_tPvRmT3_T4_T5_T6_T7_T9_mT8_P12ihipStream_tbDpT10_ENKUlT_T0_E_clISt17integral_constantIbLb0EES16_IbLb1EEEEDaS12_S13_EUlS12_E_NS1_11comp_targetILNS1_3genE8ELNS1_11target_archE1030ELNS1_3gpuE2ELNS1_3repE0EEENS1_30default_config_static_selectorELNS0_4arch9wavefront6targetE1EEEvT1_,comdat
.Lfunc_end372:
	.size	_ZN7rocprim17ROCPRIM_400000_NS6detail17trampoline_kernelINS0_14default_configENS1_25partition_config_selectorILNS1_17partition_subalgoE8EfNS0_10empty_typeEbEEZZNS1_14partition_implILS5_8ELb0ES3_jPKfPS6_PKS6_NS0_5tupleIJPfS6_EEENSE_IJSB_SB_EEENS0_18inequality_wrapperIN6hipcub16HIPCUB_304000_NS8EqualityEEEPlJS6_EEE10hipError_tPvRmT3_T4_T5_T6_T7_T9_mT8_P12ihipStream_tbDpT10_ENKUlT_T0_E_clISt17integral_constantIbLb0EES16_IbLb1EEEEDaS12_S13_EUlS12_E_NS1_11comp_targetILNS1_3genE8ELNS1_11target_archE1030ELNS1_3gpuE2ELNS1_3repE0EEENS1_30default_config_static_selectorELNS0_4arch9wavefront6targetE1EEEvT1_, .Lfunc_end372-_ZN7rocprim17ROCPRIM_400000_NS6detail17trampoline_kernelINS0_14default_configENS1_25partition_config_selectorILNS1_17partition_subalgoE8EfNS0_10empty_typeEbEEZZNS1_14partition_implILS5_8ELb0ES3_jPKfPS6_PKS6_NS0_5tupleIJPfS6_EEENSE_IJSB_SB_EEENS0_18inequality_wrapperIN6hipcub16HIPCUB_304000_NS8EqualityEEEPlJS6_EEE10hipError_tPvRmT3_T4_T5_T6_T7_T9_mT8_P12ihipStream_tbDpT10_ENKUlT_T0_E_clISt17integral_constantIbLb0EES16_IbLb1EEEEDaS12_S13_EUlS12_E_NS1_11comp_targetILNS1_3genE8ELNS1_11target_archE1030ELNS1_3gpuE2ELNS1_3repE0EEENS1_30default_config_static_selectorELNS0_4arch9wavefront6targetE1EEEvT1_
                                        ; -- End function
	.section	.AMDGPU.csdata,"",@progbits
; Kernel info:
; codeLenInByte = 0
; NumSgprs: 6
; NumVgprs: 0
; NumAgprs: 0
; TotalNumVgprs: 0
; ScratchSize: 0
; MemoryBound: 0
; FloatMode: 240
; IeeeMode: 1
; LDSByteSize: 0 bytes/workgroup (compile time only)
; SGPRBlocks: 0
; VGPRBlocks: 0
; NumSGPRsForWavesPerEU: 6
; NumVGPRsForWavesPerEU: 1
; AccumOffset: 4
; Occupancy: 8
; WaveLimiterHint : 0
; COMPUTE_PGM_RSRC2:SCRATCH_EN: 0
; COMPUTE_PGM_RSRC2:USER_SGPR: 2
; COMPUTE_PGM_RSRC2:TRAP_HANDLER: 0
; COMPUTE_PGM_RSRC2:TGID_X_EN: 1
; COMPUTE_PGM_RSRC2:TGID_Y_EN: 0
; COMPUTE_PGM_RSRC2:TGID_Z_EN: 0
; COMPUTE_PGM_RSRC2:TIDIG_COMP_CNT: 0
; COMPUTE_PGM_RSRC3_GFX90A:ACCUM_OFFSET: 0
; COMPUTE_PGM_RSRC3_GFX90A:TG_SPLIT: 0
	.section	.text._ZN7rocprim17ROCPRIM_400000_NS6detail17trampoline_kernelINS0_14default_configENS1_33run_length_encode_config_selectorIfjNS0_4plusIjEEEEZZNS1_33reduce_by_key_impl_wrapped_configILNS1_25lookback_scan_determinismE0ES3_S7_PKfNS0_17constant_iteratorIjlEEPfPlSF_S6_NS0_8equal_toIfEEEE10hipError_tPvRmT2_T3_mT4_T5_T6_T7_T8_P12ihipStream_tbENKUlT_T0_E_clISt17integral_constantIbLb0EESZ_EEDaSU_SV_EUlSU_E_NS1_11comp_targetILNS1_3genE0ELNS1_11target_archE4294967295ELNS1_3gpuE0ELNS1_3repE0EEENS1_30default_config_static_selectorELNS0_4arch9wavefront6targetE1EEEvT1_,"axG",@progbits,_ZN7rocprim17ROCPRIM_400000_NS6detail17trampoline_kernelINS0_14default_configENS1_33run_length_encode_config_selectorIfjNS0_4plusIjEEEEZZNS1_33reduce_by_key_impl_wrapped_configILNS1_25lookback_scan_determinismE0ES3_S7_PKfNS0_17constant_iteratorIjlEEPfPlSF_S6_NS0_8equal_toIfEEEE10hipError_tPvRmT2_T3_mT4_T5_T6_T7_T8_P12ihipStream_tbENKUlT_T0_E_clISt17integral_constantIbLb0EESZ_EEDaSU_SV_EUlSU_E_NS1_11comp_targetILNS1_3genE0ELNS1_11target_archE4294967295ELNS1_3gpuE0ELNS1_3repE0EEENS1_30default_config_static_selectorELNS0_4arch9wavefront6targetE1EEEvT1_,comdat
	.protected	_ZN7rocprim17ROCPRIM_400000_NS6detail17trampoline_kernelINS0_14default_configENS1_33run_length_encode_config_selectorIfjNS0_4plusIjEEEEZZNS1_33reduce_by_key_impl_wrapped_configILNS1_25lookback_scan_determinismE0ES3_S7_PKfNS0_17constant_iteratorIjlEEPfPlSF_S6_NS0_8equal_toIfEEEE10hipError_tPvRmT2_T3_mT4_T5_T6_T7_T8_P12ihipStream_tbENKUlT_T0_E_clISt17integral_constantIbLb0EESZ_EEDaSU_SV_EUlSU_E_NS1_11comp_targetILNS1_3genE0ELNS1_11target_archE4294967295ELNS1_3gpuE0ELNS1_3repE0EEENS1_30default_config_static_selectorELNS0_4arch9wavefront6targetE1EEEvT1_ ; -- Begin function _ZN7rocprim17ROCPRIM_400000_NS6detail17trampoline_kernelINS0_14default_configENS1_33run_length_encode_config_selectorIfjNS0_4plusIjEEEEZZNS1_33reduce_by_key_impl_wrapped_configILNS1_25lookback_scan_determinismE0ES3_S7_PKfNS0_17constant_iteratorIjlEEPfPlSF_S6_NS0_8equal_toIfEEEE10hipError_tPvRmT2_T3_mT4_T5_T6_T7_T8_P12ihipStream_tbENKUlT_T0_E_clISt17integral_constantIbLb0EESZ_EEDaSU_SV_EUlSU_E_NS1_11comp_targetILNS1_3genE0ELNS1_11target_archE4294967295ELNS1_3gpuE0ELNS1_3repE0EEENS1_30default_config_static_selectorELNS0_4arch9wavefront6targetE1EEEvT1_
	.globl	_ZN7rocprim17ROCPRIM_400000_NS6detail17trampoline_kernelINS0_14default_configENS1_33run_length_encode_config_selectorIfjNS0_4plusIjEEEEZZNS1_33reduce_by_key_impl_wrapped_configILNS1_25lookback_scan_determinismE0ES3_S7_PKfNS0_17constant_iteratorIjlEEPfPlSF_S6_NS0_8equal_toIfEEEE10hipError_tPvRmT2_T3_mT4_T5_T6_T7_T8_P12ihipStream_tbENKUlT_T0_E_clISt17integral_constantIbLb0EESZ_EEDaSU_SV_EUlSU_E_NS1_11comp_targetILNS1_3genE0ELNS1_11target_archE4294967295ELNS1_3gpuE0ELNS1_3repE0EEENS1_30default_config_static_selectorELNS0_4arch9wavefront6targetE1EEEvT1_
	.p2align	8
	.type	_ZN7rocprim17ROCPRIM_400000_NS6detail17trampoline_kernelINS0_14default_configENS1_33run_length_encode_config_selectorIfjNS0_4plusIjEEEEZZNS1_33reduce_by_key_impl_wrapped_configILNS1_25lookback_scan_determinismE0ES3_S7_PKfNS0_17constant_iteratorIjlEEPfPlSF_S6_NS0_8equal_toIfEEEE10hipError_tPvRmT2_T3_mT4_T5_T6_T7_T8_P12ihipStream_tbENKUlT_T0_E_clISt17integral_constantIbLb0EESZ_EEDaSU_SV_EUlSU_E_NS1_11comp_targetILNS1_3genE0ELNS1_11target_archE4294967295ELNS1_3gpuE0ELNS1_3repE0EEENS1_30default_config_static_selectorELNS0_4arch9wavefront6targetE1EEEvT1_,@function
_ZN7rocprim17ROCPRIM_400000_NS6detail17trampoline_kernelINS0_14default_configENS1_33run_length_encode_config_selectorIfjNS0_4plusIjEEEEZZNS1_33reduce_by_key_impl_wrapped_configILNS1_25lookback_scan_determinismE0ES3_S7_PKfNS0_17constant_iteratorIjlEEPfPlSF_S6_NS0_8equal_toIfEEEE10hipError_tPvRmT2_T3_mT4_T5_T6_T7_T8_P12ihipStream_tbENKUlT_T0_E_clISt17integral_constantIbLb0EESZ_EEDaSU_SV_EUlSU_E_NS1_11comp_targetILNS1_3genE0ELNS1_11target_archE4294967295ELNS1_3gpuE0ELNS1_3repE0EEENS1_30default_config_static_selectorELNS0_4arch9wavefront6targetE1EEEvT1_: ; @_ZN7rocprim17ROCPRIM_400000_NS6detail17trampoline_kernelINS0_14default_configENS1_33run_length_encode_config_selectorIfjNS0_4plusIjEEEEZZNS1_33reduce_by_key_impl_wrapped_configILNS1_25lookback_scan_determinismE0ES3_S7_PKfNS0_17constant_iteratorIjlEEPfPlSF_S6_NS0_8equal_toIfEEEE10hipError_tPvRmT2_T3_mT4_T5_T6_T7_T8_P12ihipStream_tbENKUlT_T0_E_clISt17integral_constantIbLb0EESZ_EEDaSU_SV_EUlSU_E_NS1_11comp_targetILNS1_3genE0ELNS1_11target_archE4294967295ELNS1_3gpuE0ELNS1_3repE0EEENS1_30default_config_static_selectorELNS0_4arch9wavefront6targetE1EEEvT1_
; %bb.0:
	.section	.rodata,"a",@progbits
	.p2align	6, 0x0
	.amdhsa_kernel _ZN7rocprim17ROCPRIM_400000_NS6detail17trampoline_kernelINS0_14default_configENS1_33run_length_encode_config_selectorIfjNS0_4plusIjEEEEZZNS1_33reduce_by_key_impl_wrapped_configILNS1_25lookback_scan_determinismE0ES3_S7_PKfNS0_17constant_iteratorIjlEEPfPlSF_S6_NS0_8equal_toIfEEEE10hipError_tPvRmT2_T3_mT4_T5_T6_T7_T8_P12ihipStream_tbENKUlT_T0_E_clISt17integral_constantIbLb0EESZ_EEDaSU_SV_EUlSU_E_NS1_11comp_targetILNS1_3genE0ELNS1_11target_archE4294967295ELNS1_3gpuE0ELNS1_3repE0EEENS1_30default_config_static_selectorELNS0_4arch9wavefront6targetE1EEEvT1_
		.amdhsa_group_segment_fixed_size 0
		.amdhsa_private_segment_fixed_size 0
		.amdhsa_kernarg_size 128
		.amdhsa_user_sgpr_count 2
		.amdhsa_user_sgpr_dispatch_ptr 0
		.amdhsa_user_sgpr_queue_ptr 0
		.amdhsa_user_sgpr_kernarg_segment_ptr 1
		.amdhsa_user_sgpr_dispatch_id 0
		.amdhsa_user_sgpr_kernarg_preload_length 0
		.amdhsa_user_sgpr_kernarg_preload_offset 0
		.amdhsa_user_sgpr_private_segment_size 0
		.amdhsa_uses_dynamic_stack 0
		.amdhsa_enable_private_segment 0
		.amdhsa_system_sgpr_workgroup_id_x 1
		.amdhsa_system_sgpr_workgroup_id_y 0
		.amdhsa_system_sgpr_workgroup_id_z 0
		.amdhsa_system_sgpr_workgroup_info 0
		.amdhsa_system_vgpr_workitem_id 0
		.amdhsa_next_free_vgpr 1
		.amdhsa_next_free_sgpr 0
		.amdhsa_accum_offset 4
		.amdhsa_reserve_vcc 0
		.amdhsa_float_round_mode_32 0
		.amdhsa_float_round_mode_16_64 0
		.amdhsa_float_denorm_mode_32 3
		.amdhsa_float_denorm_mode_16_64 3
		.amdhsa_dx10_clamp 1
		.amdhsa_ieee_mode 1
		.amdhsa_fp16_overflow 0
		.amdhsa_tg_split 0
		.amdhsa_exception_fp_ieee_invalid_op 0
		.amdhsa_exception_fp_denorm_src 0
		.amdhsa_exception_fp_ieee_div_zero 0
		.amdhsa_exception_fp_ieee_overflow 0
		.amdhsa_exception_fp_ieee_underflow 0
		.amdhsa_exception_fp_ieee_inexact 0
		.amdhsa_exception_int_div_zero 0
	.end_amdhsa_kernel
	.section	.text._ZN7rocprim17ROCPRIM_400000_NS6detail17trampoline_kernelINS0_14default_configENS1_33run_length_encode_config_selectorIfjNS0_4plusIjEEEEZZNS1_33reduce_by_key_impl_wrapped_configILNS1_25lookback_scan_determinismE0ES3_S7_PKfNS0_17constant_iteratorIjlEEPfPlSF_S6_NS0_8equal_toIfEEEE10hipError_tPvRmT2_T3_mT4_T5_T6_T7_T8_P12ihipStream_tbENKUlT_T0_E_clISt17integral_constantIbLb0EESZ_EEDaSU_SV_EUlSU_E_NS1_11comp_targetILNS1_3genE0ELNS1_11target_archE4294967295ELNS1_3gpuE0ELNS1_3repE0EEENS1_30default_config_static_selectorELNS0_4arch9wavefront6targetE1EEEvT1_,"axG",@progbits,_ZN7rocprim17ROCPRIM_400000_NS6detail17trampoline_kernelINS0_14default_configENS1_33run_length_encode_config_selectorIfjNS0_4plusIjEEEEZZNS1_33reduce_by_key_impl_wrapped_configILNS1_25lookback_scan_determinismE0ES3_S7_PKfNS0_17constant_iteratorIjlEEPfPlSF_S6_NS0_8equal_toIfEEEE10hipError_tPvRmT2_T3_mT4_T5_T6_T7_T8_P12ihipStream_tbENKUlT_T0_E_clISt17integral_constantIbLb0EESZ_EEDaSU_SV_EUlSU_E_NS1_11comp_targetILNS1_3genE0ELNS1_11target_archE4294967295ELNS1_3gpuE0ELNS1_3repE0EEENS1_30default_config_static_selectorELNS0_4arch9wavefront6targetE1EEEvT1_,comdat
.Lfunc_end373:
	.size	_ZN7rocprim17ROCPRIM_400000_NS6detail17trampoline_kernelINS0_14default_configENS1_33run_length_encode_config_selectorIfjNS0_4plusIjEEEEZZNS1_33reduce_by_key_impl_wrapped_configILNS1_25lookback_scan_determinismE0ES3_S7_PKfNS0_17constant_iteratorIjlEEPfPlSF_S6_NS0_8equal_toIfEEEE10hipError_tPvRmT2_T3_mT4_T5_T6_T7_T8_P12ihipStream_tbENKUlT_T0_E_clISt17integral_constantIbLb0EESZ_EEDaSU_SV_EUlSU_E_NS1_11comp_targetILNS1_3genE0ELNS1_11target_archE4294967295ELNS1_3gpuE0ELNS1_3repE0EEENS1_30default_config_static_selectorELNS0_4arch9wavefront6targetE1EEEvT1_, .Lfunc_end373-_ZN7rocprim17ROCPRIM_400000_NS6detail17trampoline_kernelINS0_14default_configENS1_33run_length_encode_config_selectorIfjNS0_4plusIjEEEEZZNS1_33reduce_by_key_impl_wrapped_configILNS1_25lookback_scan_determinismE0ES3_S7_PKfNS0_17constant_iteratorIjlEEPfPlSF_S6_NS0_8equal_toIfEEEE10hipError_tPvRmT2_T3_mT4_T5_T6_T7_T8_P12ihipStream_tbENKUlT_T0_E_clISt17integral_constantIbLb0EESZ_EEDaSU_SV_EUlSU_E_NS1_11comp_targetILNS1_3genE0ELNS1_11target_archE4294967295ELNS1_3gpuE0ELNS1_3repE0EEENS1_30default_config_static_selectorELNS0_4arch9wavefront6targetE1EEEvT1_
                                        ; -- End function
	.section	.AMDGPU.csdata,"",@progbits
; Kernel info:
; codeLenInByte = 0
; NumSgprs: 6
; NumVgprs: 0
; NumAgprs: 0
; TotalNumVgprs: 0
; ScratchSize: 0
; MemoryBound: 0
; FloatMode: 240
; IeeeMode: 1
; LDSByteSize: 0 bytes/workgroup (compile time only)
; SGPRBlocks: 0
; VGPRBlocks: 0
; NumSGPRsForWavesPerEU: 6
; NumVGPRsForWavesPerEU: 1
; AccumOffset: 4
; Occupancy: 8
; WaveLimiterHint : 0
; COMPUTE_PGM_RSRC2:SCRATCH_EN: 0
; COMPUTE_PGM_RSRC2:USER_SGPR: 2
; COMPUTE_PGM_RSRC2:TRAP_HANDLER: 0
; COMPUTE_PGM_RSRC2:TGID_X_EN: 1
; COMPUTE_PGM_RSRC2:TGID_Y_EN: 0
; COMPUTE_PGM_RSRC2:TGID_Z_EN: 0
; COMPUTE_PGM_RSRC2:TIDIG_COMP_CNT: 0
; COMPUTE_PGM_RSRC3_GFX90A:ACCUM_OFFSET: 0
; COMPUTE_PGM_RSRC3_GFX90A:TG_SPLIT: 0
	.section	.text._ZN7rocprim17ROCPRIM_400000_NS6detail17trampoline_kernelINS0_14default_configENS1_33run_length_encode_config_selectorIfjNS0_4plusIjEEEEZZNS1_33reduce_by_key_impl_wrapped_configILNS1_25lookback_scan_determinismE0ES3_S7_PKfNS0_17constant_iteratorIjlEEPfPlSF_S6_NS0_8equal_toIfEEEE10hipError_tPvRmT2_T3_mT4_T5_T6_T7_T8_P12ihipStream_tbENKUlT_T0_E_clISt17integral_constantIbLb0EESZ_EEDaSU_SV_EUlSU_E_NS1_11comp_targetILNS1_3genE5ELNS1_11target_archE942ELNS1_3gpuE9ELNS1_3repE0EEENS1_30default_config_static_selectorELNS0_4arch9wavefront6targetE1EEEvT1_,"axG",@progbits,_ZN7rocprim17ROCPRIM_400000_NS6detail17trampoline_kernelINS0_14default_configENS1_33run_length_encode_config_selectorIfjNS0_4plusIjEEEEZZNS1_33reduce_by_key_impl_wrapped_configILNS1_25lookback_scan_determinismE0ES3_S7_PKfNS0_17constant_iteratorIjlEEPfPlSF_S6_NS0_8equal_toIfEEEE10hipError_tPvRmT2_T3_mT4_T5_T6_T7_T8_P12ihipStream_tbENKUlT_T0_E_clISt17integral_constantIbLb0EESZ_EEDaSU_SV_EUlSU_E_NS1_11comp_targetILNS1_3genE5ELNS1_11target_archE942ELNS1_3gpuE9ELNS1_3repE0EEENS1_30default_config_static_selectorELNS0_4arch9wavefront6targetE1EEEvT1_,comdat
	.protected	_ZN7rocprim17ROCPRIM_400000_NS6detail17trampoline_kernelINS0_14default_configENS1_33run_length_encode_config_selectorIfjNS0_4plusIjEEEEZZNS1_33reduce_by_key_impl_wrapped_configILNS1_25lookback_scan_determinismE0ES3_S7_PKfNS0_17constant_iteratorIjlEEPfPlSF_S6_NS0_8equal_toIfEEEE10hipError_tPvRmT2_T3_mT4_T5_T6_T7_T8_P12ihipStream_tbENKUlT_T0_E_clISt17integral_constantIbLb0EESZ_EEDaSU_SV_EUlSU_E_NS1_11comp_targetILNS1_3genE5ELNS1_11target_archE942ELNS1_3gpuE9ELNS1_3repE0EEENS1_30default_config_static_selectorELNS0_4arch9wavefront6targetE1EEEvT1_ ; -- Begin function _ZN7rocprim17ROCPRIM_400000_NS6detail17trampoline_kernelINS0_14default_configENS1_33run_length_encode_config_selectorIfjNS0_4plusIjEEEEZZNS1_33reduce_by_key_impl_wrapped_configILNS1_25lookback_scan_determinismE0ES3_S7_PKfNS0_17constant_iteratorIjlEEPfPlSF_S6_NS0_8equal_toIfEEEE10hipError_tPvRmT2_T3_mT4_T5_T6_T7_T8_P12ihipStream_tbENKUlT_T0_E_clISt17integral_constantIbLb0EESZ_EEDaSU_SV_EUlSU_E_NS1_11comp_targetILNS1_3genE5ELNS1_11target_archE942ELNS1_3gpuE9ELNS1_3repE0EEENS1_30default_config_static_selectorELNS0_4arch9wavefront6targetE1EEEvT1_
	.globl	_ZN7rocprim17ROCPRIM_400000_NS6detail17trampoline_kernelINS0_14default_configENS1_33run_length_encode_config_selectorIfjNS0_4plusIjEEEEZZNS1_33reduce_by_key_impl_wrapped_configILNS1_25lookback_scan_determinismE0ES3_S7_PKfNS0_17constant_iteratorIjlEEPfPlSF_S6_NS0_8equal_toIfEEEE10hipError_tPvRmT2_T3_mT4_T5_T6_T7_T8_P12ihipStream_tbENKUlT_T0_E_clISt17integral_constantIbLb0EESZ_EEDaSU_SV_EUlSU_E_NS1_11comp_targetILNS1_3genE5ELNS1_11target_archE942ELNS1_3gpuE9ELNS1_3repE0EEENS1_30default_config_static_selectorELNS0_4arch9wavefront6targetE1EEEvT1_
	.p2align	8
	.type	_ZN7rocprim17ROCPRIM_400000_NS6detail17trampoline_kernelINS0_14default_configENS1_33run_length_encode_config_selectorIfjNS0_4plusIjEEEEZZNS1_33reduce_by_key_impl_wrapped_configILNS1_25lookback_scan_determinismE0ES3_S7_PKfNS0_17constant_iteratorIjlEEPfPlSF_S6_NS0_8equal_toIfEEEE10hipError_tPvRmT2_T3_mT4_T5_T6_T7_T8_P12ihipStream_tbENKUlT_T0_E_clISt17integral_constantIbLb0EESZ_EEDaSU_SV_EUlSU_E_NS1_11comp_targetILNS1_3genE5ELNS1_11target_archE942ELNS1_3gpuE9ELNS1_3repE0EEENS1_30default_config_static_selectorELNS0_4arch9wavefront6targetE1EEEvT1_,@function
_ZN7rocprim17ROCPRIM_400000_NS6detail17trampoline_kernelINS0_14default_configENS1_33run_length_encode_config_selectorIfjNS0_4plusIjEEEEZZNS1_33reduce_by_key_impl_wrapped_configILNS1_25lookback_scan_determinismE0ES3_S7_PKfNS0_17constant_iteratorIjlEEPfPlSF_S6_NS0_8equal_toIfEEEE10hipError_tPvRmT2_T3_mT4_T5_T6_T7_T8_P12ihipStream_tbENKUlT_T0_E_clISt17integral_constantIbLb0EESZ_EEDaSU_SV_EUlSU_E_NS1_11comp_targetILNS1_3genE5ELNS1_11target_archE942ELNS1_3gpuE9ELNS1_3repE0EEENS1_30default_config_static_selectorELNS0_4arch9wavefront6targetE1EEEvT1_: ; @_ZN7rocprim17ROCPRIM_400000_NS6detail17trampoline_kernelINS0_14default_configENS1_33run_length_encode_config_selectorIfjNS0_4plusIjEEEEZZNS1_33reduce_by_key_impl_wrapped_configILNS1_25lookback_scan_determinismE0ES3_S7_PKfNS0_17constant_iteratorIjlEEPfPlSF_S6_NS0_8equal_toIfEEEE10hipError_tPvRmT2_T3_mT4_T5_T6_T7_T8_P12ihipStream_tbENKUlT_T0_E_clISt17integral_constantIbLb0EESZ_EEDaSU_SV_EUlSU_E_NS1_11comp_targetILNS1_3genE5ELNS1_11target_archE942ELNS1_3gpuE9ELNS1_3repE0EEENS1_30default_config_static_selectorELNS0_4arch9wavefront6targetE1EEEvT1_
; %bb.0:
	s_load_dwordx8 s[36:43], s[0:1], 0x40
	s_load_dwordx4 s[4:7], s[0:1], 0x0
	s_load_dword s3, s[0:1], 0x10
	s_load_dwordx4 s[44:47], s[0:1], 0x60
	s_mov_b64 s[10:11], -1
	s_waitcnt lgkmcnt(0)
	s_mul_i32 s8, s40, s39
	s_mul_hi_u32 s9, s40, s38
	s_add_i32 s8, s9, s8
	s_mul_i32 s9, s41, s38
	s_add_i32 s8, s8, s9
	s_lshl_b64 s[6:7], s[6:7], 2
	s_add_u32 s6, s4, s6
	s_addc_u32 s7, s5, s7
	s_mul_i32 s4, s2, 0x1e00
	s_mov_b32 s5, 0
	s_lshl_b64 s[4:5], s[4:5], 2
	s_mul_i32 s9, s40, s38
	s_add_u32 s40, s6, s4
	s_addc_u32 s41, s7, s5
	s_add_u32 s4, s9, s2
	s_addc_u32 s5, s8, 0
	s_add_u32 s8, s42, -1
	s_addc_u32 s9, s43, -1
	s_cmp_eq_u64 s[4:5], s[8:9]
	s_cselect_b64 s[48:49], -1, 0
	s_cmp_lg_u64 s[4:5], s[8:9]
	s_cselect_b64 s[6:7], -1, 0
	s_mul_i32 s33, s8, 0xffffe200
	s_and_b64 vcc, exec, s[48:49]
	s_cbranch_vccnz .LBB374_2
; %bb.1:
	v_lshlrev_b32_e32 v2, 2, v0
	v_mov_b32_e32 v3, 0
	v_lshl_add_u64 v[4:5], s[40:41], 0, v[2:3]
	v_add_co_u32_e32 v6, vcc, 0x1000, v4
	global_load_dword v1, v2, s[40:41]
	global_load_dword v3, v2, s[40:41] offset:2048
	v_addc_co_u32_e32 v7, vcc, 0, v5, vcc
	v_add_co_u32_e32 v8, vcc, 0x2000, v4
	s_nop 1
	v_addc_co_u32_e32 v9, vcc, 0, v5, vcc
	v_add_co_u32_e32 v10, vcc, 0x3000, v4
	s_mov_b64 s[8:9], -1
	s_nop 0
	v_addc_co_u32_e32 v11, vcc, 0, v5, vcc
	v_add_co_u32_e32 v12, vcc, 0x4000, v4
	s_nop 1
	v_addc_co_u32_e32 v13, vcc, 0, v5, vcc
	global_load_dword v14, v[6:7], off
	global_load_dword v15, v[6:7], off offset:2048
	global_load_dword v16, v[8:9], off
	global_load_dword v17, v[8:9], off offset:2048
	;; [unrolled: 2-line block ×4, first 2 shown]
	v_add_co_u32_e32 v6, vcc, 0x5000, v4
	s_nop 1
	v_addc_co_u32_e32 v7, vcc, 0, v5, vcc
	v_add_co_u32_e32 v8, vcc, 0x6000, v4
	s_nop 1
	v_addc_co_u32_e32 v9, vcc, 0, v5, vcc
	global_load_dword v10, v[6:7], off
	global_load_dword v11, v[6:7], off offset:2048
	global_load_dword v12, v[8:9], off
	global_load_dword v13, v[8:9], off offset:2048
	v_add_co_u32_e32 v4, vcc, 0x7000, v4
	s_nop 1
	v_addc_co_u32_e32 v5, vcc, 0, v5, vcc
	global_load_dword v4, v[4:5], off
	v_mad_u32_u24 v5, v0, 56, v2
	s_waitcnt vmcnt(13)
	ds_write2st64_b32 v2, v1, v3 offset1:8
	s_waitcnt vmcnt(11)
	ds_write2st64_b32 v2, v14, v15 offset0:16 offset1:24
	s_waitcnt vmcnt(9)
	ds_write2st64_b32 v2, v16, v17 offset0:32 offset1:40
	;; [unrolled: 2-line block ×6, first 2 shown]
	s_waitcnt vmcnt(0)
	ds_write_b32 v2, v4 offset:28672
	s_waitcnt lgkmcnt(0)
	s_barrier
	ds_read2_b32 v[20:21], v5 offset1:1
	ds_read2_b32 v[18:19], v5 offset0:2 offset1:3
	ds_read2_b32 v[16:17], v5 offset0:4 offset1:5
	;; [unrolled: 1-line block ×6, first 2 shown]
	ds_read_b32 v1, v5 offset:56
	s_waitcnt lgkmcnt(7)
	v_mov_b32_e32 v22, v20
	s_waitcnt lgkmcnt(6)
	v_mov_b32_e32 v23, v18
	;; [unrolled: 2-line block ×7, first 2 shown]
	s_add_i32 s33, s33, s44
	s_cbranch_execz .LBB374_3
	s_branch .LBB374_34
.LBB374_2:
	s_mov_b64 s[8:9], 0
                                        ; implicit-def: $vgpr1
                                        ; implicit-def: $vgpr8
                                        ; implicit-def: $vgpr10
                                        ; implicit-def: $vgpr12
                                        ; implicit-def: $vgpr14
                                        ; implicit-def: $vgpr16
                                        ; implicit-def: $vgpr18
                                        ; implicit-def: $vgpr20
                                        ; implicit-def: $vgpr2_vgpr3
                                        ; implicit-def: $vgpr4_vgpr5
                                        ; implicit-def: $vgpr22_vgpr23
                                        ; implicit-def: $vgpr6_vgpr7
	s_add_i32 s33, s33, s44
	s_andn2_b64 vcc, exec, s[10:11]
	s_cbranch_vccnz .LBB374_34
.LBB374_3:
	v_cmp_gt_u32_e32 vcc, s33, v0
                                        ; implicit-def: $vgpr1
	s_and_saveexec_b64 s[8:9], vcc
	s_cbranch_execz .LBB374_5
; %bb.4:
	s_waitcnt lgkmcnt(0)
	v_lshlrev_b32_e32 v1, 2, v0
	global_load_dword v1, v1, s[40:41]
.LBB374_5:
	s_or_b64 exec, exec, s[8:9]
	v_or_b32_e32 v2, 0x200, v0
	v_cmp_gt_u32_e32 vcc, s33, v2
                                        ; implicit-def: $vgpr2
	s_and_saveexec_b64 s[8:9], vcc
	s_cbranch_execz .LBB374_7
; %bb.6:
	v_lshlrev_b32_e32 v2, 2, v0
	global_load_dword v2, v2, s[40:41] offset:2048
.LBB374_7:
	s_or_b64 exec, exec, s[8:9]
	v_or_b32_e32 v4, 0x400, v0
	v_cmp_gt_u32_e32 vcc, s33, v4
                                        ; implicit-def: $vgpr3
	s_and_saveexec_b64 s[8:9], vcc
	s_cbranch_execz .LBB374_9
; %bb.8:
	v_lshlrev_b32_e32 v3, 2, v4
	global_load_dword v3, v3, s[40:41]
.LBB374_9:
	s_or_b64 exec, exec, s[8:9]
	v_or_b32_e32 v5, 0x600, v0
	v_cmp_gt_u32_e32 vcc, s33, v5
                                        ; implicit-def: $vgpr4
	s_and_saveexec_b64 s[8:9], vcc
	s_cbranch_execz .LBB374_11
; %bb.10:
	v_lshlrev_b32_e32 v4, 2, v5
	global_load_dword v4, v4, s[40:41]
.LBB374_11:
	s_or_b64 exec, exec, s[8:9]
	v_or_b32_e32 v6, 0x800, v0
	v_cmp_gt_u32_e32 vcc, s33, v6
                                        ; implicit-def: $vgpr5
	s_and_saveexec_b64 s[8:9], vcc
	s_cbranch_execz .LBB374_13
; %bb.12:
	v_lshlrev_b32_e32 v5, 2, v6
	global_load_dword v5, v5, s[40:41]
.LBB374_13:
	s_or_b64 exec, exec, s[8:9]
	v_or_b32_e32 v7, 0xa00, v0
	v_cmp_gt_u32_e32 vcc, s33, v7
                                        ; implicit-def: $vgpr6
	s_and_saveexec_b64 s[8:9], vcc
	s_cbranch_execz .LBB374_15
; %bb.14:
	v_lshlrev_b32_e32 v6, 2, v7
	global_load_dword v6, v6, s[40:41]
.LBB374_15:
	s_or_b64 exec, exec, s[8:9]
	v_or_b32_e32 v8, 0xc00, v0
	v_cmp_gt_u32_e32 vcc, s33, v8
                                        ; implicit-def: $vgpr7
	s_and_saveexec_b64 s[8:9], vcc
	s_cbranch_execz .LBB374_17
; %bb.16:
	v_lshlrev_b32_e32 v7, 2, v8
	global_load_dword v7, v7, s[40:41]
.LBB374_17:
	s_or_b64 exec, exec, s[8:9]
	v_or_b32_e32 v9, 0xe00, v0
	v_cmp_gt_u32_e32 vcc, s33, v9
                                        ; implicit-def: $vgpr8
	s_and_saveexec_b64 s[8:9], vcc
	s_cbranch_execz .LBB374_19
; %bb.18:
	v_lshlrev_b32_e32 v8, 2, v9
	global_load_dword v8, v8, s[40:41]
.LBB374_19:
	s_or_b64 exec, exec, s[8:9]
	v_or_b32_e32 v10, 0x1000, v0
	v_cmp_gt_u32_e32 vcc, s33, v10
                                        ; implicit-def: $vgpr9
	s_and_saveexec_b64 s[8:9], vcc
	s_cbranch_execz .LBB374_21
; %bb.20:
	v_lshlrev_b32_e32 v9, 2, v10
	global_load_dword v9, v9, s[40:41]
.LBB374_21:
	s_or_b64 exec, exec, s[8:9]
	v_or_b32_e32 v11, 0x1200, v0
	v_cmp_gt_u32_e32 vcc, s33, v11
                                        ; implicit-def: $vgpr10
	s_and_saveexec_b64 s[8:9], vcc
	s_cbranch_execz .LBB374_23
; %bb.22:
	v_lshlrev_b32_e32 v10, 2, v11
	global_load_dword v10, v10, s[40:41]
.LBB374_23:
	s_or_b64 exec, exec, s[8:9]
	v_or_b32_e32 v12, 0x1400, v0
	v_cmp_gt_u32_e32 vcc, s33, v12
                                        ; implicit-def: $vgpr11
	s_and_saveexec_b64 s[8:9], vcc
	s_cbranch_execz .LBB374_25
; %bb.24:
	v_lshlrev_b32_e32 v11, 2, v12
	global_load_dword v11, v11, s[40:41]
.LBB374_25:
	s_or_b64 exec, exec, s[8:9]
	v_or_b32_e32 v13, 0x1600, v0
	v_cmp_gt_u32_e32 vcc, s33, v13
                                        ; implicit-def: $vgpr12
	s_and_saveexec_b64 s[8:9], vcc
	s_cbranch_execz .LBB374_27
; %bb.26:
	v_lshlrev_b32_e32 v12, 2, v13
	global_load_dword v12, v12, s[40:41]
.LBB374_27:
	s_or_b64 exec, exec, s[8:9]
	v_or_b32_e32 v14, 0x1800, v0
	v_cmp_gt_u32_e32 vcc, s33, v14
                                        ; implicit-def: $vgpr13
	s_and_saveexec_b64 s[8:9], vcc
	s_cbranch_execz .LBB374_29
; %bb.28:
	v_lshlrev_b32_e32 v13, 2, v14
	global_load_dword v13, v13, s[40:41]
.LBB374_29:
	s_or_b64 exec, exec, s[8:9]
	v_or_b32_e32 v15, 0x1a00, v0
	v_cmp_gt_u32_e32 vcc, s33, v15
                                        ; implicit-def: $vgpr14
	s_and_saveexec_b64 s[8:9], vcc
	s_cbranch_execz .LBB374_31
; %bb.30:
	v_lshlrev_b32_e32 v14, 2, v15
	global_load_dword v14, v14, s[40:41]
.LBB374_31:
	s_or_b64 exec, exec, s[8:9]
	v_or_b32_e32 v16, 0x1c00, v0
	v_cmp_gt_u32_e32 vcc, s33, v16
                                        ; implicit-def: $vgpr15
	s_and_saveexec_b64 s[8:9], vcc
	s_cbranch_execz .LBB374_33
; %bb.32:
	v_lshlrev_b32_e32 v15, 2, v16
	global_load_dword v15, v15, s[40:41]
.LBB374_33:
	s_or_b64 exec, exec, s[8:9]
	v_lshlrev_b32_e32 v16, 2, v0
	s_waitcnt vmcnt(0) lgkmcnt(0)
	ds_write2st64_b32 v16, v1, v2 offset1:8
	ds_write2st64_b32 v16, v3, v4 offset0:16 offset1:24
	ds_write2st64_b32 v16, v5, v6 offset0:32 offset1:40
	;; [unrolled: 1-line block ×6, first 2 shown]
	ds_write_b32 v16, v15 offset:28672
	v_mad_u32_u24 v1, v0, 56, v16
	s_waitcnt lgkmcnt(0)
	s_barrier
	ds_read2_b32 v[20:21], v1 offset1:1
	ds_read2_b32 v[18:19], v1 offset0:2 offset1:3
	ds_read2_b32 v[16:17], v1 offset0:4 offset1:5
	;; [unrolled: 1-line block ×6, first 2 shown]
	ds_read_b32 v1, v1 offset:56
	v_mad_u32_u24 v2, v0, 15, 14
	v_cmp_gt_u32_e64 s[8:9], s33, v2
	s_waitcnt lgkmcnt(7)
	v_mov_b32_e32 v22, v20
	s_waitcnt lgkmcnt(6)
	v_mov_b32_e32 v23, v18
	;; [unrolled: 2-line block ×7, first 2 shown]
.LBB374_34:
	v_mov_b32_e32 v52, s3
                                        ; implicit-def: $vgpr53
	s_and_saveexec_b64 s[10:11], s[8:9]
; %bb.35:
	v_mov_b32_e32 v53, s3
; %bb.36:
	s_or_b64 exec, exec, s[10:11]
	s_load_dwordx2 s[52:53], s[0:1], 0x70
	s_cmp_eq_u64 s[4:5], 0
	s_cselect_b64 s[50:51], -1, 0
	s_cmp_lg_u64 s[4:5], 0
	s_mov_b64 s[42:43], 0
	s_cselect_b64 s[8:9], -1, 0
	s_and_b64 vcc, exec, s[6:7]
	s_waitcnt lgkmcnt(0)
	s_barrier
	s_cbranch_vccz .LBB374_42
; %bb.37:
	s_and_b64 vcc, exec, s[8:9]
	s_cbranch_vccz .LBB374_43
; %bb.38:
	s_add_u32 s6, s40, -4
	s_addc_u32 s7, s41, -1
	s_load_dword s3, s[6:7], 0x0
	v_lshlrev_b32_e32 v24, 2, v0
	v_cmp_ne_u32_e32 vcc, 0, v0
	ds_write_b32 v24, v1
	s_waitcnt lgkmcnt(0)
	v_mov_b32_e32 v7, s3
	s_barrier
	s_and_saveexec_b64 s[6:7], vcc
	s_cbranch_execz .LBB374_40
; %bb.39:
	v_add_u32_e32 v7, -4, v24
	ds_read_b32 v7, v7
.LBB374_40:
	s_or_b64 exec, exec, s[6:7]
	v_cmp_neq_f32_e32 vcc, v22, v21
	s_waitcnt lgkmcnt(0)
	v_cmp_neq_f32_e64 s[6:7], v7, v20
	v_cndmask_b32_e64 v69, 0, 1, vcc
	v_cmp_neq_f32_e32 vcc, v23, v21
	s_mov_b64 s[42:43], -1
	s_nop 0
	v_cndmask_b32_e64 v68, 0, 1, vcc
	v_cmp_neq_f32_e32 vcc, v23, v19
	s_nop 1
	v_cndmask_b32_e64 v67, 0, 1, vcc
	v_cmp_neq_f32_e32 vcc, v4, v19
	;; [unrolled: 3-line block ×12, first 2 shown]
	s_nop 1
	v_cndmask_b32_e64 v56, 0, 1, vcc
.LBB374_41:
                                        ; implicit-def: $sgpr3
	s_branch .LBB374_55
.LBB374_42:
                                        ; implicit-def: $sgpr6_sgpr7
                                        ; implicit-def: $vgpr56
                                        ; implicit-def: $vgpr57
                                        ; implicit-def: $vgpr58
                                        ; implicit-def: $vgpr59
                                        ; implicit-def: $vgpr60
                                        ; implicit-def: $vgpr61
                                        ; implicit-def: $vgpr62
                                        ; implicit-def: $vgpr63
                                        ; implicit-def: $vgpr64
                                        ; implicit-def: $vgpr65
                                        ; implicit-def: $vgpr66
                                        ; implicit-def: $vgpr67
                                        ; implicit-def: $vgpr68
                                        ; implicit-def: $vgpr69
                                        ; implicit-def: $sgpr3
	s_cbranch_execnz .LBB374_47
	s_branch .LBB374_55
.LBB374_43:
                                        ; implicit-def: $sgpr6_sgpr7
                                        ; implicit-def: $vgpr56
                                        ; implicit-def: $vgpr57
                                        ; implicit-def: $vgpr58
                                        ; implicit-def: $vgpr59
                                        ; implicit-def: $vgpr60
                                        ; implicit-def: $vgpr61
                                        ; implicit-def: $vgpr62
                                        ; implicit-def: $vgpr63
                                        ; implicit-def: $vgpr64
                                        ; implicit-def: $vgpr65
                                        ; implicit-def: $vgpr66
                                        ; implicit-def: $vgpr67
                                        ; implicit-def: $vgpr68
                                        ; implicit-def: $vgpr69
	s_cbranch_execz .LBB374_41
; %bb.44:
	v_cmp_neq_f32_e32 vcc, v21, v22
	v_lshlrev_b32_e32 v7, 2, v0
	ds_write_b32 v7, v1
	v_cndmask_b32_e64 v69, 0, 1, vcc
	v_cmp_neq_f32_e32 vcc, v21, v23
	s_waitcnt lgkmcnt(0)
	s_barrier
	v_cndmask_b32_e64 v68, 0, 1, vcc
	v_cmp_neq_f32_e32 vcc, v23, v19
	s_waitcnt lgkmcnt(0)
                                        ; implicit-def: $sgpr6_sgpr7
	s_nop 0
	v_cndmask_b32_e64 v67, 0, 1, vcc
	v_cmp_neq_f32_e32 vcc, v4, v19
	s_nop 1
	v_cndmask_b32_e64 v66, 0, 1, vcc
	v_cmp_neq_f32_e32 vcc, v17, v4
	;; [unrolled: 3-line block ×11, first 2 shown]
	s_nop 1
	v_cndmask_b32_e64 v56, 0, 1, vcc
	v_cmp_ne_u32_e32 vcc, 0, v0
	s_and_saveexec_b64 s[10:11], vcc
	s_xor_b64 s[10:11], exec, s[10:11]
	s_cbranch_execz .LBB374_46
; %bb.45:
	v_add_u32_e32 v2, -4, v7
	ds_read_b32 v2, v2
	s_or_b64 s[42:43], s[42:43], exec
	s_waitcnt lgkmcnt(0)
	v_cmp_neq_f32_e32 vcc, v2, v20
	s_and_b64 s[6:7], vcc, exec
.LBB374_46:
	s_or_b64 exec, exec, s[10:11]
	s_mov_b32 s3, 1
	s_branch .LBB374_55
.LBB374_47:
	s_mul_i32 s3, s5, 0xffffe200
	s_mul_hi_u32 s5, s4, 0xffffe200
	s_sub_i32 s5, s5, s4
	s_add_i32 s5, s5, s3
	s_mul_i32 s3, s4, 0xffffe200
	s_add_u32 s44, s3, s44
	s_addc_u32 s45, s5, s45
	s_and_b64 vcc, exec, s[8:9]
	v_cmp_neq_f32_e64 s[30:31], v9, v1
	v_cmp_neq_f32_e64 s[28:29], v8, v9
	;; [unrolled: 1-line block ×14, first 2 shown]
	v_mad_u32_u24 v2, v0, 15, 14
	v_mad_u32_u24 v42, v0, 15, 13
	;; [unrolled: 1-line block ×14, first 2 shown]
	v_cmp_ne_u32_e64 s[8:9], 0, v0
	s_cbranch_vccz .LBB374_52
; %bb.48:
	v_mov_b32_e32 v3, 0
	s_add_u32 s40, s40, -4
	v_cmp_gt_u64_e32 vcc, s[44:45], v[2:3]
	v_mov_b32_e32 v43, v3
	s_addc_u32 s41, s41, -1
	s_and_b64 s[30:31], vcc, s[30:31]
	v_cmp_gt_u64_e32 vcc, s[44:45], v[42:43]
	v_mov_b32_e32 v41, v3
	s_and_b64 s[28:29], vcc, s[28:29]
	v_cmp_gt_u64_e32 vcc, s[44:45], v[40:41]
	v_mov_b32_e32 v39, v3
	;; [unrolled: 3-line block ×8, first 2 shown]
	s_load_dword s3, s[40:41], 0x0
	s_and_b64 s[14:15], vcc, s[14:15]
	v_cmp_gt_u64_e32 vcc, s[44:45], v[26:27]
	v_mov_b32_e32 v25, v3
	s_and_b64 s[12:13], vcc, s[12:13]
	v_cmp_gt_u64_e32 vcc, s[44:45], v[24:25]
	v_mov_b32_e32 v23, v3
	;; [unrolled: 3-line block ×4, first 2 shown]
	s_and_b64 s[4:5], vcc, s[4:5]
	v_cmp_gt_u64_e32 vcc, s[44:45], v[4:5]
	v_lshlrev_b32_e32 v45, 2, v0
	v_mul_u32_u24_e32 v44, 15, v0
	s_and_b64 s[34:35], vcc, s[34:35]
	s_waitcnt lgkmcnt(0)
	v_mov_b32_e32 v5, s3
	ds_write_b32 v45, v1
	s_waitcnt lgkmcnt(0)
	s_barrier
	s_and_saveexec_b64 s[40:41], s[8:9]
	s_cbranch_execz .LBB374_50
; %bb.49:
	v_add_u32_e32 v5, -4, v45
	ds_read_b32 v5, v5
.LBB374_50:
	s_or_b64 exec, exec, s[40:41]
	v_mov_b32_e32 v45, v3
	v_cndmask_b32_e64 v68, 0, 1, s[4:5]
	v_cmp_gt_u64_e32 vcc, s[44:45], v[44:45]
	s_waitcnt lgkmcnt(0)
	v_cmp_neq_f32_e64 s[4:5], v5, v20
	v_cndmask_b32_e64 v56, 0, 1, s[30:31]
	v_cndmask_b32_e64 v57, 0, 1, s[28:29]
	;; [unrolled: 1-line block ×13, first 2 shown]
	s_and_b64 s[6:7], vcc, s[4:5]
	s_mov_b64 s[42:43], -1
.LBB374_51:
                                        ; implicit-def: $sgpr3
	v_mov_b32_e32 v70, s3
	s_and_saveexec_b64 s[4:5], s[42:43]
	s_cbranch_execnz .LBB374_56
	s_branch .LBB374_57
.LBB374_52:
                                        ; implicit-def: $sgpr6_sgpr7
                                        ; implicit-def: $vgpr56
                                        ; implicit-def: $vgpr57
                                        ; implicit-def: $vgpr58
                                        ; implicit-def: $vgpr59
                                        ; implicit-def: $vgpr60
                                        ; implicit-def: $vgpr61
                                        ; implicit-def: $vgpr62
                                        ; implicit-def: $vgpr63
                                        ; implicit-def: $vgpr64
                                        ; implicit-def: $vgpr65
                                        ; implicit-def: $vgpr66
                                        ; implicit-def: $vgpr67
                                        ; implicit-def: $vgpr68
                                        ; implicit-def: $vgpr69
	s_cbranch_execz .LBB374_51
; %bb.53:
	v_mov_b32_e32 v3, 0
	v_cmp_gt_u64_e32 vcc, s[44:45], v[2:3]
	v_cmp_neq_f32_e64 s[4:5], v9, v1
	s_and_b64 s[4:5], vcc, s[4:5]
	v_mov_b32_e32 v43, v3
	v_cndmask_b32_e64 v56, 0, 1, s[4:5]
	v_cmp_gt_u64_e32 vcc, s[44:45], v[42:43]
	v_cmp_neq_f32_e64 s[4:5], v8, v9
	s_and_b64 s[4:5], vcc, s[4:5]
	v_mov_b32_e32 v41, v3
	v_cndmask_b32_e64 v57, 0, 1, s[4:5]
	;; [unrolled: 5-line block ×13, first 2 shown]
	v_cmp_gt_u64_e32 vcc, s[44:45], v[4:5]
	v_cmp_neq_f32_e64 s[4:5], v20, v21
	s_and_b64 s[4:5], vcc, s[4:5]
	v_lshlrev_b32_e32 v44, 2, v0
	s_mov_b32 s3, 1
	v_cndmask_b32_e64 v69, 0, 1, s[4:5]
	v_cmp_ne_u32_e32 vcc, 0, v0
	ds_write_b32 v44, v1
	s_waitcnt lgkmcnt(0)
	s_barrier
	s_waitcnt lgkmcnt(0)
                                        ; implicit-def: $sgpr6_sgpr7
	s_and_saveexec_b64 s[8:9], vcc
	s_cbranch_execz .LBB374_146
; %bb.54:
	v_add_u32_e32 v2, -4, v44
	ds_read_b32 v4, v2
	v_mul_u32_u24_e32 v2, 15, v0
	v_cmp_gt_u64_e32 vcc, s[44:45], v[2:3]
	s_or_b64 s[42:43], s[42:43], exec
	s_waitcnt lgkmcnt(0)
	v_cmp_neq_f32_e64 s[4:5], v4, v20
	s_and_b64 s[4:5], vcc, s[4:5]
	s_and_b64 s[6:7], s[4:5], exec
	s_or_b64 exec, exec, s[8:9]
.LBB374_55:
	v_mov_b32_e32 v70, s3
	s_and_saveexec_b64 s[4:5], s[42:43]
.LBB374_56:
	v_cndmask_b32_e64 v70, 0, 1, s[6:7]
.LBB374_57:
	s_or_b64 exec, exec, s[4:5]
	s_load_dwordx4 s[40:43], s[0:1], 0x20
	s_load_dwordx2 s[34:35], s[0:1], 0x30
	s_cmp_eq_u64 s[38:39], 0
	v_add3_u32 v2, v69, v70, v68
	s_cselect_b64 s[38:39], -1, 0
	s_cmp_lg_u32 s2, 0
	v_cmp_eq_u32_e64 s[24:25], 0, v69
	v_cmp_eq_u32_e64 s[22:23], 0, v68
	;; [unrolled: 1-line block ×3, first 2 shown]
	v_add3_u32 v72, v2, v67, v66
	v_cmp_eq_u32_e64 s[18:19], 0, v66
	v_cmp_eq_u32_e64 s[16:17], 0, v65
	v_cmp_eq_u32_e64 s[14:15], 0, v64
	v_cmp_eq_u32_e64 s[12:13], 0, v63
	v_cmp_eq_u32_e64 s[10:11], 0, v62
	v_cmp_eq_u32_e64 s[8:9], 0, v61
	v_cmp_eq_u32_e64 s[6:7], 0, v60
	v_cmp_eq_u32_e64 s[4:5], 0, v59
	v_cmp_eq_u32_e64 s[28:29], 0, v58
	v_cmp_eq_u32_e64 s[0:1], 0, v57
	v_cmp_eq_u32_e32 vcc, 0, v56
	v_mbcnt_lo_u32_b32 v71, -1, 0
	v_lshrrev_b32_e32 v54, 6, v0
	v_or_b32_e32 v55, 63, v0
	s_cbranch_scc0 .LBB374_84
; %bb.58:
	v_cndmask_b32_e64 v2, 0, v52, s[24:25]
	v_add_u32_e32 v2, v2, v52
	v_cndmask_b32_e64 v2, 0, v2, s[22:23]
	v_add_u32_e32 v2, v2, v52
	;; [unrolled: 2-line block ×11, first 2 shown]
	v_cndmask_b32_e64 v2, 0, v2, s[28:29]
	v_add3_u32 v3, v72, v65, v64
	v_add_u32_e32 v2, v2, v52
	v_add3_u32 v3, v3, v63, v62
	v_cndmask_b32_e64 v2, 0, v2, s[0:1]
	v_add3_u32 v3, v3, v61, v60
	v_add_u32_e32 v2, v2, v52
	v_add3_u32 v3, v3, v59, v58
	v_cndmask_b32_e32 v2, 0, v2, vcc
	v_add3_u32 v3, v3, v57, v56
	v_add_u32_e32 v2, v2, v53
	v_mbcnt_hi_u32_b32 v25, -1, v71
	v_and_b32_e32 v4, 15, v25
	v_mov_b32_dpp v6, v2 row_shr:1 row_mask:0xf bank_mask:0xf
	v_cmp_eq_u32_e32 vcc, 0, v3
	v_mov_b32_dpp v5, v3 row_shr:1 row_mask:0xf bank_mask:0xf
	v_cmp_lt_u32_e64 s[26:27], 1, v4
	v_cndmask_b32_e32 v6, 0, v6, vcc
	v_cmp_eq_u32_e32 vcc, 0, v4
	s_nop 1
	v_cndmask_b32_e64 v5, v5, 0, vcc
	v_add_u32_e32 v3, v5, v3
	v_cndmask_b32_e64 v5, v6, 0, vcc
	v_add_u32_e32 v2, v5, v2
	v_cmp_eq_u32_e32 vcc, 0, v3
	v_mov_b32_dpp v5, v3 row_shr:2 row_mask:0xf bank_mask:0xf
	v_mov_b32_dpp v6, v2 row_shr:2 row_mask:0xf bank_mask:0xf
	v_cndmask_b32_e64 v5, 0, v5, s[26:27]
	s_and_b64 vcc, s[26:27], vcc
	v_cndmask_b32_e32 v6, 0, v6, vcc
	v_add_u32_e32 v3, v3, v5
	v_add_u32_e32 v2, v6, v2
	v_cmp_eq_u32_e32 vcc, 0, v3
	v_mov_b32_dpp v5, v3 row_shr:4 row_mask:0xf bank_mask:0xf
	v_cmp_lt_u32_e64 s[26:27], 3, v4
	v_mov_b32_dpp v6, v2 row_shr:4 row_mask:0xf bank_mask:0xf
	s_and_b64 vcc, s[26:27], vcc
	v_cndmask_b32_e64 v5, 0, v5, s[26:27]
	v_cndmask_b32_e32 v6, 0, v6, vcc
	v_add_u32_e32 v3, v5, v3
	v_add_u32_e32 v2, v2, v6
	v_cmp_eq_u32_e32 vcc, 0, v3
	v_cmp_lt_u32_e64 s[26:27], 7, v4
	v_mov_b32_dpp v5, v3 row_shr:8 row_mask:0xf bank_mask:0xf
	v_mov_b32_dpp v6, v2 row_shr:8 row_mask:0xf bank_mask:0xf
	s_and_b64 vcc, s[26:27], vcc
	v_cndmask_b32_e64 v4, 0, v5, s[26:27]
	v_cndmask_b32_e32 v5, 0, v6, vcc
	v_add_u32_e32 v2, v5, v2
	v_add_u32_e32 v3, v4, v3
	v_bfe_i32 v6, v25, 4, 1
	v_mov_b32_dpp v5, v2 row_bcast:15 row_mask:0xf bank_mask:0xf
	v_mov_b32_dpp v4, v3 row_bcast:15 row_mask:0xf bank_mask:0xf
	v_cmp_eq_u32_e32 vcc, 0, v3
	v_and_b32_e32 v4, v6, v4
	v_add_u32_e32 v3, v4, v3
	v_cndmask_b32_e32 v5, 0, v5, vcc
	v_and_b32_e32 v4, v6, v5
	v_add_u32_e32 v4, v4, v2
	v_mov_b32_dpp v2, v3 row_bcast:31 row_mask:0xf bank_mask:0xf
	v_cmp_eq_u32_e32 vcc, 0, v3
	v_cmp_lt_u32_e64 s[26:27], 31, v25
	v_mov_b32_dpp v5, v4 row_bcast:31 row_mask:0xf bank_mask:0xf
	s_and_b64 vcc, s[26:27], vcc
	v_cndmask_b32_e64 v2, 0, v2, s[26:27]
	v_add_u32_e32 v2, v2, v3
	v_cndmask_b32_e32 v3, 0, v5, vcc
	v_add_u32_e32 v3, v3, v4
	v_cmp_eq_u32_e32 vcc, v55, v0
	v_lshlrev_b32_e32 v4, 3, v54
	s_and_saveexec_b64 s[26:27], vcc
	s_cbranch_execz .LBB374_60
; %bb.59:
	ds_write_b64 v4, v[2:3] offset:4112
.LBB374_60:
	s_or_b64 exec, exec, s[26:27]
	v_cmp_gt_u32_e32 vcc, 8, v0
	s_waitcnt lgkmcnt(0)
	s_barrier
	s_and_saveexec_b64 s[30:31], vcc
	s_cbranch_execz .LBB374_62
; %bb.61:
	v_lshlrev_b32_e32 v5, 3, v0
	ds_read_b64 v[6:7], v5 offset:4112
	v_and_b32_e32 v22, 7, v25
	v_cmp_lt_u32_e64 s[26:27], 1, v22
	s_waitcnt lgkmcnt(0)
	v_mov_b32_dpp v24, v7 row_shr:1 row_mask:0xf bank_mask:0xf
	v_cmp_eq_u32_e32 vcc, 0, v6
	v_mov_b32_dpp v23, v6 row_shr:1 row_mask:0xf bank_mask:0xf
	s_nop 0
	v_cndmask_b32_e32 v24, 0, v24, vcc
	v_cmp_eq_u32_e32 vcc, 0, v22
	s_nop 1
	v_cndmask_b32_e64 v23, v23, 0, vcc
	v_add_u32_e32 v6, v23, v6
	v_cndmask_b32_e64 v23, v24, 0, vcc
	v_add_u32_e32 v7, v23, v7
	v_cmp_eq_u32_e32 vcc, 0, v6
	v_mov_b32_dpp v23, v6 row_shr:2 row_mask:0xf bank_mask:0xf
	v_mov_b32_dpp v24, v7 row_shr:2 row_mask:0xf bank_mask:0xf
	v_cndmask_b32_e64 v23, 0, v23, s[26:27]
	s_and_b64 vcc, s[26:27], vcc
	v_cndmask_b32_e32 v24, 0, v24, vcc
	v_add_u32_e32 v6, v23, v6
	v_add_u32_e32 v7, v24, v7
	v_cmp_eq_u32_e32 vcc, 0, v6
	v_mov_b32_dpp v23, v6 row_shr:4 row_mask:0xf bank_mask:0xf
	v_cmp_lt_u32_e64 s[26:27], 3, v22
	v_mov_b32_dpp v24, v7 row_shr:4 row_mask:0xf bank_mask:0xf
	s_and_b64 vcc, s[26:27], vcc
	v_cndmask_b32_e64 v22, 0, v23, s[26:27]
	v_add_u32_e32 v6, v22, v6
	v_cndmask_b32_e32 v22, 0, v24, vcc
	v_add_u32_e32 v7, v22, v7
	ds_write_b64 v5, v[6:7] offset:4112
.LBB374_62:
	s_or_b64 exec, exec, s[30:31]
	v_cmp_gt_u32_e32 vcc, 64, v0
	v_cmp_lt_u32_e64 s[26:27], 63, v0
	v_mov_b32_e32 v22, 0
	v_mov_b32_e32 v23, 0
	s_waitcnt lgkmcnt(0)
	s_barrier
	s_and_saveexec_b64 s[30:31], s[26:27]
	s_cbranch_execz .LBB374_64
; %bb.63:
	ds_read_b64 v[22:23], v4 offset:4104
	v_cmp_eq_u32_e64 s[26:27], 0, v2
	s_waitcnt lgkmcnt(0)
	v_add_u32_e32 v4, v22, v2
	v_cndmask_b32_e64 v2, 0, v23, s[26:27]
	v_add_u32_e32 v3, v2, v3
	v_mov_b32_e32 v2, v4
.LBB374_64:
	s_or_b64 exec, exec, s[30:31]
	v_add_u32_e32 v4, -1, v25
	v_and_b32_e32 v5, 64, v25
	v_cmp_lt_i32_e64 s[26:27], v4, v5
	s_nop 1
	v_cndmask_b32_e64 v4, v4, v25, s[26:27]
	v_lshlrev_b32_e32 v4, 2, v4
	ds_bpermute_b32 v30, v4, v2
	ds_bpermute_b32 v31, v4, v3
	v_cmp_eq_u32_e64 s[26:27], 0, v25
	s_and_saveexec_b64 s[44:45], vcc
	s_cbranch_execz .LBB374_83
; %bb.65:
	v_mov_b32_e32 v7, 0
	ds_read_b64 v[2:3], v7 offset:4168
	s_waitcnt lgkmcnt(0)
	v_readfirstlane_b32 s3, v2
	v_readfirstlane_b32 s56, v3
	s_and_saveexec_b64 s[30:31], s[26:27]
	s_cbranch_execz .LBB374_67
; %bb.66:
	s_add_i32 s54, s2, 64
	s_mov_b32 s55, 0
	s_lshl_b64 s[58:59], s[54:55], 4
	s_add_u32 s58, s36, s58
	s_addc_u32 s59, s37, s59
	s_and_b32 s61, s56, 0xff000000
	s_mov_b32 s60, s55
	s_and_b32 s63, s56, 0xff0000
	s_mov_b32 s62, s55
	s_or_b64 s[60:61], s[62:63], s[60:61]
	s_and_b32 s63, s56, 0xff00
	s_or_b64 s[60:61], s[60:61], s[62:63]
	s_and_b32 s63, s56, 0xff
	s_or_b64 s[54:55], s[60:61], s[62:63]
	v_mov_b32_e32 v4, s3
	v_mov_b32_e32 v5, s55
	;; [unrolled: 1-line block ×3, first 2 shown]
	v_mov_b64_e32 v[2:3], s[58:59]
	;;#ASMSTART
	global_store_dwordx4 v[2:3], v[4:7] off sc1	
s_waitcnt vmcnt(0)
	;;#ASMEND
.LBB374_67:
	s_or_b64 exec, exec, s[30:31]
	v_xad_u32 v24, v25, -1, s2
	v_add_u32_e32 v6, 64, v24
	v_lshl_add_u64 v[26:27], v[6:7], 4, s[36:37]
	;;#ASMSTART
	global_load_dwordx4 v[2:5], v[26:27] off sc1	
s_waitcnt vmcnt(0)
	;;#ASMEND
	s_nop 0
	v_and_b32_e32 v5, 0xff, v3
	v_and_b32_e32 v6, 0xff00, v3
	v_or3_b32 v2, v2, 0, 0
	v_and_b32_e32 v28, 0xff000000, v3
	v_or3_b32 v5, 0, v5, v6
	;; [unrolled: 2-line block ×3, first 2 shown]
	v_or3_b32 v2, v2, 0, 0
	v_cmp_eq_u16_sdwa s[54:55], v4, v7 src0_sel:BYTE_0 src1_sel:DWORD
	s_and_saveexec_b64 s[30:31], s[54:55]
	s_cbranch_execz .LBB374_71
; %bb.68:
	s_mov_b64 s[54:55], 0
	v_mov_b32_e32 v6, 0
.LBB374_69:                             ; =>This Inner Loop Header: Depth=1
	;;#ASMSTART
	global_load_dwordx4 v[2:5], v[26:27] off sc1	
s_waitcnt vmcnt(0)
	;;#ASMEND
	s_nop 0
	v_cmp_ne_u16_sdwa s[58:59], v4, v6 src0_sel:BYTE_0 src1_sel:DWORD
	s_or_b64 s[54:55], s[58:59], s[54:55]
	s_andn2_b64 exec, exec, s[54:55]
	s_cbranch_execnz .LBB374_69
; %bb.70:
	s_or_b64 exec, exec, s[54:55]
.LBB374_71:
	s_or_b64 exec, exec, s[30:31]
	v_mov_b32_e32 v32, 2
	v_cmp_eq_u16_sdwa s[30:31], v4, v32 src0_sel:BYTE_0 src1_sel:DWORD
	v_lshlrev_b64 v[26:27], v25, -1
	v_and_b32_e32 v33, 63, v25
	v_and_b32_e32 v5, s31, v27
	v_or_b32_e32 v5, 0x80000000, v5
	v_cmp_ne_u32_e32 vcc, 63, v33
	v_and_b32_e32 v6, s30, v26
	v_ffbl_b32_e32 v5, v5
	v_addc_co_u32_e32 v7, vcc, 0, v25, vcc
	v_add_u32_e32 v5, 32, v5
	v_ffbl_b32_e32 v6, v6
	v_lshlrev_b32_e32 v34, 2, v7
	v_min_u32_e32 v5, v6, v5
	ds_bpermute_b32 v6, v34, v3
	v_cmp_eq_u32_e32 vcc, 0, v2
	v_cmp_lt_u32_e64 s[30:31], v33, v5
	ds_bpermute_b32 v7, v34, v2
	s_and_b64 vcc, s[30:31], vcc
	s_waitcnt lgkmcnt(1)
	v_cndmask_b32_e32 v6, 0, v6, vcc
	v_cmp_gt_u32_e32 vcc, 62, v33
	v_add_u32_e32 v3, v6, v3
	s_waitcnt lgkmcnt(0)
	v_cndmask_b32_e64 v7, 0, v7, s[30:31]
	v_cndmask_b32_e64 v6, 0, 1, vcc
	v_lshlrev_b32_e32 v6, 1, v6
	v_add_lshl_u32 v35, v6, v25, 2
	ds_bpermute_b32 v6, v35, v3
	v_add_u32_e32 v2, v7, v2
	ds_bpermute_b32 v7, v35, v2
	v_add_u32_e32 v36, 2, v33
	v_cmp_eq_u32_e32 vcc, 0, v2
	v_add_u32_e32 v38, 4, v33
	v_add_u32_e32 v40, 8, v33
	s_waitcnt lgkmcnt(1)
	v_cndmask_b32_e32 v6, 0, v6, vcc
	v_cmp_gt_u32_e32 vcc, v36, v5
	v_add_u32_e32 v42, 16, v33
	v_add_u32_e32 v44, 32, v33
	v_cndmask_b32_e64 v6, v6, 0, vcc
	v_add_u32_e32 v3, v6, v3
	s_waitcnt lgkmcnt(0)
	v_cndmask_b32_e64 v6, v7, 0, vcc
	v_cmp_gt_u32_e32 vcc, 60, v33
	v_add_u32_e32 v2, v2, v6
	s_nop 0
	v_cndmask_b32_e64 v7, 0, 1, vcc
	v_lshlrev_b32_e32 v7, 2, v7
	v_add_lshl_u32 v37, v7, v25, 2
	ds_bpermute_b32 v7, v37, v3
	ds_bpermute_b32 v6, v37, v2
	v_cmp_eq_u32_e32 vcc, 0, v2
	s_waitcnt lgkmcnt(1)
	s_nop 0
	v_cndmask_b32_e32 v7, 0, v7, vcc
	v_cmp_gt_u32_e32 vcc, v38, v5
	s_nop 1
	v_cndmask_b32_e64 v7, v7, 0, vcc
	s_waitcnt lgkmcnt(0)
	v_cndmask_b32_e64 v6, v6, 0, vcc
	v_cmp_gt_u32_e32 vcc, 56, v33
	v_add_u32_e32 v3, v3, v7
	v_add_u32_e32 v2, v2, v6
	v_cndmask_b32_e64 v7, 0, 1, vcc
	v_lshlrev_b32_e32 v7, 3, v7
	v_add_lshl_u32 v39, v7, v25, 2
	ds_bpermute_b32 v7, v39, v3
	ds_bpermute_b32 v6, v39, v2
	v_cmp_eq_u32_e32 vcc, 0, v2
	s_waitcnt lgkmcnt(1)
	s_nop 0
	v_cndmask_b32_e32 v7, 0, v7, vcc
	v_cmp_gt_u32_e32 vcc, v40, v5
	s_nop 1
	v_cndmask_b32_e64 v7, v7, 0, vcc
	s_waitcnt lgkmcnt(0)
	v_cndmask_b32_e64 v6, v6, 0, vcc
	v_cmp_gt_u32_e32 vcc, 48, v33
	v_add_u32_e32 v3, v3, v7
	v_add_u32_e32 v2, v2, v6
	;; [unrolled: 17-line block ×3, first 2 shown]
	v_cndmask_b32_e64 v7, 0, 1, vcc
	v_lshlrev_b32_e32 v7, 5, v7
	v_add_lshl_u32 v43, v7, v25, 2
	ds_bpermute_b32 v7, v43, v3
	ds_bpermute_b32 v6, v43, v2
	v_cmp_eq_u32_e32 vcc, 0, v2
	v_mov_b32_e32 v25, 0
	s_waitcnt lgkmcnt(1)
	v_cndmask_b32_e32 v7, 0, v7, vcc
	v_cmp_gt_u32_e32 vcc, v44, v5
	s_nop 1
	v_cndmask_b32_e64 v5, v7, 0, vcc
	v_add_u32_e32 v3, v5, v3
	s_waitcnt lgkmcnt(0)
	v_cndmask_b32_e64 v5, v6, 0, vcc
	v_add_u32_e32 v2, v5, v2
	s_branch .LBB374_73
.LBB374_72:                             ;   in Loop: Header=BB374_73 Depth=1
	s_or_b64 exec, exec, s[30:31]
	v_cmp_eq_u16_sdwa s[30:31], v4, v32 src0_sel:BYTE_0 src1_sel:DWORD
	v_cmp_eq_u32_e32 vcc, 0, v2
	ds_bpermute_b32 v29, v34, v2
	v_and_b32_e32 v5, s31, v27
	v_or_b32_e32 v5, 0x80000000, v5
	v_and_b32_e32 v28, s30, v26
	v_ffbl_b32_e32 v5, v5
	v_add_u32_e32 v5, 32, v5
	v_ffbl_b32_e32 v28, v28
	v_min_u32_e32 v5, v28, v5
	ds_bpermute_b32 v28, v34, v3
	v_cmp_lt_u32_e64 s[30:31], v33, v5
	s_and_b64 vcc, s[30:31], vcc
	v_subrev_u32_e32 v24, 64, v24
	s_waitcnt lgkmcnt(1)
	v_cndmask_b32_e64 v29, 0, v29, s[30:31]
	s_waitcnt lgkmcnt(0)
	v_cndmask_b32_e32 v28, 0, v28, vcc
	v_add_u32_e32 v3, v28, v3
	ds_bpermute_b32 v28, v35, v3
	v_add_u32_e32 v2, v29, v2
	v_cmp_eq_u32_e32 vcc, 0, v2
	ds_bpermute_b32 v29, v35, v2
	s_waitcnt lgkmcnt(1)
	v_cndmask_b32_e32 v28, 0, v28, vcc
	v_cmp_gt_u32_e32 vcc, v36, v5
	s_nop 1
	v_cndmask_b32_e64 v28, v28, 0, vcc
	v_add_u32_e32 v3, v28, v3
	ds_bpermute_b32 v28, v37, v3
	s_waitcnt lgkmcnt(1)
	v_cndmask_b32_e64 v29, v29, 0, vcc
	v_add_u32_e32 v2, v2, v29
	v_cmp_eq_u32_e32 vcc, 0, v2
	ds_bpermute_b32 v29, v37, v2
	s_waitcnt lgkmcnt(1)
	v_cndmask_b32_e32 v28, 0, v28, vcc
	v_cmp_gt_u32_e32 vcc, v38, v5
	s_nop 1
	v_cndmask_b32_e64 v28, v28, 0, vcc
	v_add_u32_e32 v3, v3, v28
	ds_bpermute_b32 v28, v39, v3
	s_waitcnt lgkmcnt(1)
	v_cndmask_b32_e64 v29, v29, 0, vcc
	v_add_u32_e32 v2, v2, v29
	ds_bpermute_b32 v29, v39, v2
	v_cmp_eq_u32_e32 vcc, 0, v2
	s_waitcnt lgkmcnt(1)
	s_nop 0
	v_cndmask_b32_e32 v28, 0, v28, vcc
	v_cmp_gt_u32_e32 vcc, v40, v5
	s_nop 1
	v_cndmask_b32_e64 v28, v28, 0, vcc
	v_add_u32_e32 v3, v3, v28
	ds_bpermute_b32 v28, v41, v3
	s_waitcnt lgkmcnt(1)
	v_cndmask_b32_e64 v29, v29, 0, vcc
	v_add_u32_e32 v2, v2, v29
	ds_bpermute_b32 v29, v41, v2
	v_cmp_eq_u32_e32 vcc, 0, v2
	s_waitcnt lgkmcnt(1)
	s_nop 0
	;; [unrolled: 13-line block ×3, first 2 shown]
	v_cndmask_b32_e32 v28, 0, v28, vcc
	v_cmp_gt_u32_e32 vcc, v44, v5
	s_nop 1
	v_cndmask_b32_e64 v5, v28, 0, vcc
	v_add_u32_e32 v3, v5, v3
	s_waitcnt lgkmcnt(0)
	v_cndmask_b32_e64 v5, v29, 0, vcc
	v_cmp_eq_u32_e32 vcc, 0, v6
	v_add3_u32 v2, v2, v6, v5
	s_nop 0
	v_cndmask_b32_e32 v3, 0, v3, vcc
	v_add_u32_e32 v3, v3, v7
.LBB374_73:                             ; =>This Loop Header: Depth=1
                                        ;     Child Loop BB374_76 Depth 2
	v_cmp_ne_u16_sdwa s[30:31], v4, v32 src0_sel:BYTE_0 src1_sel:DWORD
	v_mov_b32_e32 v7, v3
	v_mov_b32_e32 v6, v2
	v_cndmask_b32_e64 v3, 0, 1, s[30:31]
	;;#ASMSTART
	;;#ASMEND
	s_nop 0
	v_cmp_ne_u32_e32 vcc, 0, v3
	s_cmp_lg_u64 vcc, exec
	s_cbranch_scc1 .LBB374_78
; %bb.74:                               ;   in Loop: Header=BB374_73 Depth=1
	v_lshl_add_u64 v[28:29], v[24:25], 4, s[36:37]
	;;#ASMSTART
	global_load_dwordx4 v[2:5], v[28:29] off sc1	
s_waitcnt vmcnt(0)
	;;#ASMEND
	s_nop 0
	v_and_b32_e32 v5, 0xff, v3
	v_and_b32_e32 v45, 0xff00, v3
	v_or3_b32 v2, v2, 0, 0
	v_and_b32_e32 v46, 0xff000000, v3
	v_or3_b32 v5, 0, v5, v45
	;; [unrolled: 2-line block ×3, first 2 shown]
	v_or3_b32 v2, v2, 0, 0
	v_cmp_eq_u16_sdwa s[54:55], v4, v25 src0_sel:BYTE_0 src1_sel:DWORD
	s_and_saveexec_b64 s[30:31], s[54:55]
	s_cbranch_execz .LBB374_72
; %bb.75:                               ;   in Loop: Header=BB374_73 Depth=1
	s_mov_b64 s[54:55], 0
.LBB374_76:                             ;   Parent Loop BB374_73 Depth=1
                                        ; =>  This Inner Loop Header: Depth=2
	;;#ASMSTART
	global_load_dwordx4 v[2:5], v[28:29] off sc1	
s_waitcnt vmcnt(0)
	;;#ASMEND
	s_nop 0
	v_cmp_ne_u16_sdwa s[58:59], v4, v25 src0_sel:BYTE_0 src1_sel:DWORD
	s_or_b64 s[54:55], s[58:59], s[54:55]
	s_andn2_b64 exec, exec, s[54:55]
	s_cbranch_execnz .LBB374_76
; %bb.77:                               ;   in Loop: Header=BB374_73 Depth=1
	s_or_b64 exec, exec, s[54:55]
	s_branch .LBB374_72
.LBB374_78:                             ;   in Loop: Header=BB374_73 Depth=1
                                        ; implicit-def: $vgpr3
                                        ; implicit-def: $vgpr2
                                        ; implicit-def: $vgpr4
	s_cbranch_execz .LBB374_73
; %bb.79:
	s_and_saveexec_b64 s[30:31], s[26:27]
	s_cbranch_execz .LBB374_81
; %bb.80:
	s_cmp_eq_u32 s3, 0
	s_cselect_b64 vcc, -1, 0
	s_mov_b32 s55, 0
	v_cndmask_b32_e32 v2, 0, v7, vcc
	s_add_i32 s54, s2, 64
	v_add_u32_e32 v2, s56, v2
	s_lshl_b64 s[54:55], s[54:55], 4
	s_add_u32 s54, s36, s54
	v_and_b32_e32 v3, 0xff000000, v2
	v_and_b32_e32 v4, 0xff0000, v2
	s_addc_u32 s55, s37, s55
	v_or_b32_e32 v3, v4, v3
	v_and_b32_e32 v4, 0xff00, v2
	v_and_b32_e32 v2, 0xff, v2
	v_add_u32_e32 v24, s3, v6
	v_mov_b32_e32 v27, 0
	v_or3_b32 v25, v3, v4, v2
	v_mov_b32_e32 v26, 2
	v_mov_b64_e32 v[2:3], s[54:55]
	;;#ASMSTART
	global_store_dwordx4 v[2:3], v[24:27] off sc1	
s_waitcnt vmcnt(0)
	;;#ASMEND
	v_mov_b32_e32 v4, s3
	v_mov_b32_e32 v5, s56
	ds_write_b128 v27, v[4:7] offset:4096
.LBB374_81:
	s_or_b64 exec, exec, s[30:31]
	v_cmp_eq_u32_e32 vcc, 0, v0
	s_and_b64 exec, exec, vcc
	s_cbranch_execz .LBB374_83
; %bb.82:
	v_mov_b32_e32 v2, 0
	ds_write_b64 v2, v[6:7] offset:4168
.LBB374_83:
	s_or_b64 exec, exec, s[44:45]
	v_mov_b32_e32 v4, 0
	s_waitcnt lgkmcnt(0)
	s_barrier
	ds_read_b64 v[2:3], v4 offset:4168
	v_cndmask_b32_e64 v6, v30, v22, s[26:27]
	v_cmp_eq_u32_e32 vcc, 0, v6
	v_cndmask_b32_e64 v5, v31, v23, s[26:27]
	s_waitcnt lgkmcnt(0)
	v_cndmask_b32_e32 v7, 0, v3, vcc
	v_add_u32_e32 v5, v7, v5
	v_cmp_eq_u32_e32 vcc, 0, v0
	s_barrier
	s_nop 0
	v_cndmask_b32_e32 v51, v5, v3, vcc
	v_cndmask_b32_e64 v3, v6, 0, vcc
	v_cmp_eq_u32_e32 vcc, 0, v70
	v_add_u32_e32 v50, v2, v3
	v_add_u32_e32 v48, v50, v70
	v_cndmask_b32_e32 v2, 0, v51, vcc
	v_add_u32_e32 v49, v2, v52
	v_cndmask_b32_e64 v2, 0, v49, s[24:25]
	v_add_u32_e32 v47, v2, v52
	v_cndmask_b32_e64 v2, 0, v47, s[22:23]
	;; [unrolled: 2-line block ×8, first 2 shown]
	v_add_u32_e32 v33, v2, v52
	v_add_u32_e32 v46, v48, v69
	v_cndmask_b32_e64 v2, 0, v33, s[8:9]
	v_add_u32_e32 v44, v46, v68
	v_add_u32_e32 v31, v2, v52
	v_add_u32_e32 v42, v44, v67
	v_cndmask_b32_e64 v2, 0, v31, s[6:7]
	v_add_u32_e32 v40, v42, v66
	;; [unrolled: 4-line block ×3, first 2 shown]
	v_add_u32_e32 v27, v2, v52
	ds_read_b128 v[2:5], v4 offset:4096
	v_add_u32_e32 v34, v36, v63
	v_add_u32_e32 v32, v34, v62
	v_add_u32_e32 v30, v32, v61
	v_add_u32_e32 v28, v30, v60
	v_cndmask_b32_e64 v6, 0, v27, s[28:29]
	v_add_u32_e32 v26, v28, v59
	v_add_u32_e32 v23, v6, v52
	s_waitcnt lgkmcnt(0)
	v_cmp_eq_u32_e32 vcc, 0, v2
	v_add_u32_e32 v22, v26, v58
	v_cndmask_b32_e64 v6, 0, v23, s[0:1]
	v_cndmask_b32_e32 v5, 0, v5, vcc
	v_add_u32_e32 v24, v22, v57
	v_add_u32_e32 v25, v6, v52
	;; [unrolled: 1-line block ×3, first 2 shown]
	s_branch .LBB374_96
.LBB374_84:
                                        ; implicit-def: $vgpr2
                                        ; implicit-def: $vgpr6
                                        ; implicit-def: $vgpr24_vgpr25
                                        ; implicit-def: $vgpr22_vgpr23
                                        ; implicit-def: $vgpr26_vgpr27
                                        ; implicit-def: $vgpr28_vgpr29
                                        ; implicit-def: $vgpr50_vgpr51
                                        ; implicit-def: $vgpr48_vgpr49
                                        ; implicit-def: $vgpr46_vgpr47
                                        ; implicit-def: $vgpr44_vgpr45
                                        ; implicit-def: $vgpr42_vgpr43
                                        ; implicit-def: $vgpr40_vgpr41
                                        ; implicit-def: $vgpr38_vgpr39
                                        ; implicit-def: $vgpr36_vgpr37
                                        ; implicit-def: $vgpr34_vgpr35
                                        ; implicit-def: $vgpr32_vgpr33
                                        ; implicit-def: $vgpr30_vgpr31
	s_cbranch_execz .LBB374_96
; %bb.85:
	s_and_b64 s[0:1], s[38:39], exec
	s_cselect_b32 s1, 0, s53
	s_cselect_b32 s0, 0, s52
	s_cmp_eq_u64 s[0:1], 0
	v_mov_b32_e32 v6, v52
	s_cbranch_scc1 .LBB374_87
; %bb.86:
	v_mov_b32_e32 v2, 0
	global_load_dword v6, v2, s[0:1]
.LBB374_87:
	v_cmp_eq_u32_e64 s[0:1], 0, v69
	v_cmp_eq_u32_e64 s[2:3], 0, v68
	v_cmp_eq_u32_e64 s[4:5], 0, v67
	v_cndmask_b32_e64 v2, 0, v52, s[0:1]
	v_add_u32_e32 v2, v2, v52
	v_cndmask_b32_e64 v2, 0, v2, s[2:3]
	v_add_u32_e32 v2, v2, v52
	v_cndmask_b32_e64 v2, 0, v2, s[4:5]
	v_add_u32_e32 v2, v2, v52
	v_cmp_eq_u32_e64 s[6:7], 0, v66
	v_cmp_eq_u32_e64 s[8:9], 0, v65
	v_cmp_eq_u32_e64 s[10:11], 0, v64
	v_cndmask_b32_e64 v2, 0, v2, s[6:7]
	v_add_u32_e32 v2, v2, v52
	v_cndmask_b32_e64 v2, 0, v2, s[8:9]
	v_add_u32_e32 v2, v2, v52
	v_cndmask_b32_e64 v2, 0, v2, s[10:11]
	v_add_u32_e32 v2, v2, v52
	;; [unrolled: 9-line block ×3, first 2 shown]
	v_cmp_eq_u32_e64 s[18:19], 0, v60
	v_cmp_eq_u32_e64 s[20:21], 0, v59
	;; [unrolled: 1-line block ×3, first 2 shown]
	v_cndmask_b32_e64 v2, 0, v2, s[18:19]
	v_add_u32_e32 v2, v2, v52
	v_cndmask_b32_e64 v2, 0, v2, s[20:21]
	v_add_u32_e32 v2, v2, v52
	v_cndmask_b32_e64 v2, 0, v2, s[22:23]
	v_add3_u32 v3, v72, v65, v64
	v_add_u32_e32 v2, v2, v52
	v_cmp_eq_u32_e32 vcc, 0, v57
	v_add3_u32 v3, v3, v63, v62
	v_add3_u32 v3, v3, v61, v60
	v_cndmask_b32_e32 v2, 0, v2, vcc
	v_add_u32_e32 v2, v2, v52
	v_cmp_eq_u32_e64 s[24:25], 0, v56
	v_add3_u32 v3, v3, v59, v58
	v_add3_u32 v3, v3, v57, v56
	v_cndmask_b32_e64 v2, 0, v2, s[24:25]
	v_add_u32_e32 v2, v2, v53
	v_mbcnt_hi_u32_b32 v7, -1, v71
	v_and_b32_e32 v4, 15, v7
	v_mov_b32_dpp v22, v2 row_shr:1 row_mask:0xf bank_mask:0xf
	v_cmp_eq_u32_e64 s[24:25], 0, v3
	v_mov_b32_dpp v5, v3 row_shr:1 row_mask:0xf bank_mask:0xf
	v_cmp_lt_u32_e64 s[26:27], 1, v4
	v_cndmask_b32_e64 v22, 0, v22, s[24:25]
	v_cmp_eq_u32_e64 s[24:25], 0, v4
	s_nop 1
	v_cndmask_b32_e64 v5, v5, 0, s[24:25]
	v_add_u32_e32 v3, v5, v3
	v_cndmask_b32_e64 v5, v22, 0, s[24:25]
	v_add_u32_e32 v2, v5, v2
	v_cmp_eq_u32_e64 s[24:25], 0, v3
	v_mov_b32_dpp v5, v3 row_shr:2 row_mask:0xf bank_mask:0xf
	v_mov_b32_dpp v22, v2 row_shr:2 row_mask:0xf bank_mask:0xf
	v_cndmask_b32_e64 v5, 0, v5, s[26:27]
	s_and_b64 s[24:25], s[26:27], s[24:25]
	v_cndmask_b32_e64 v22, 0, v22, s[24:25]
	v_add_u32_e32 v3, v3, v5
	v_add_u32_e32 v2, v22, v2
	v_cmp_eq_u32_e64 s[24:25], 0, v3
	v_mov_b32_dpp v5, v3 row_shr:4 row_mask:0xf bank_mask:0xf
	v_cmp_lt_u32_e64 s[26:27], 3, v4
	v_mov_b32_dpp v22, v2 row_shr:4 row_mask:0xf bank_mask:0xf
	s_and_b64 s[24:25], s[26:27], s[24:25]
	v_cndmask_b32_e64 v5, 0, v5, s[26:27]
	v_cndmask_b32_e64 v22, 0, v22, s[24:25]
	v_add_u32_e32 v3, v5, v3
	v_add_u32_e32 v2, v2, v22
	v_cmp_eq_u32_e64 s[24:25], 0, v3
	v_cmp_lt_u32_e64 s[26:27], 7, v4
	v_mov_b32_dpp v5, v3 row_shr:8 row_mask:0xf bank_mask:0xf
	v_mov_b32_dpp v22, v2 row_shr:8 row_mask:0xf bank_mask:0xf
	s_and_b64 s[24:25], s[26:27], s[24:25]
	v_cndmask_b32_e64 v4, 0, v5, s[26:27]
	v_cndmask_b32_e64 v5, 0, v22, s[24:25]
	v_add_u32_e32 v2, v5, v2
	v_add_u32_e32 v3, v4, v3
	v_bfe_i32 v22, v7, 4, 1
	v_mov_b32_dpp v5, v2 row_bcast:15 row_mask:0xf bank_mask:0xf
	v_mov_b32_dpp v4, v3 row_bcast:15 row_mask:0xf bank_mask:0xf
	v_cmp_eq_u32_e64 s[24:25], 0, v3
	v_and_b32_e32 v4, v22, v4
	v_add_u32_e32 v3, v4, v3
	v_cndmask_b32_e64 v5, 0, v5, s[24:25]
	v_and_b32_e32 v4, v22, v5
	v_add_u32_e32 v4, v4, v2
	v_mov_b32_dpp v2, v3 row_bcast:31 row_mask:0xf bank_mask:0xf
	v_cmp_eq_u32_e64 s[24:25], 0, v3
	v_cmp_lt_u32_e64 s[26:27], 31, v7
	v_mov_b32_dpp v5, v4 row_bcast:31 row_mask:0xf bank_mask:0xf
	s_and_b64 s[24:25], s[26:27], s[24:25]
	v_cndmask_b32_e64 v2, 0, v2, s[26:27]
	v_add_u32_e32 v2, v2, v3
	v_cndmask_b32_e64 v3, 0, v5, s[24:25]
	v_add_u32_e32 v3, v3, v4
	v_cmp_eq_u32_e64 s[24:25], v55, v0
	v_lshlrev_b32_e32 v5, 3, v54
	s_and_saveexec_b64 s[26:27], s[24:25]
	s_cbranch_execz .LBB374_89
; %bb.88:
	ds_write_b64 v5, v[2:3] offset:4112
.LBB374_89:
	s_or_b64 exec, exec, s[26:27]
	v_cmp_gt_u32_e64 s[24:25], 8, v0
	s_waitcnt lgkmcnt(0)
	s_barrier
	s_and_saveexec_b64 s[28:29], s[24:25]
	s_cbranch_execz .LBB374_91
; %bb.90:
	v_lshlrev_b32_e32 v4, 3, v0
	ds_read_b64 v[22:23], v4 offset:4112
	v_and_b32_e32 v24, 7, v7
	v_cmp_lt_u32_e64 s[26:27], 1, v24
	s_waitcnt lgkmcnt(0)
	v_mov_b32_dpp v26, v23 row_shr:1 row_mask:0xf bank_mask:0xf
	v_cmp_eq_u32_e64 s[24:25], 0, v22
	v_mov_b32_dpp v25, v22 row_shr:1 row_mask:0xf bank_mask:0xf
	s_nop 0
	v_cndmask_b32_e64 v26, 0, v26, s[24:25]
	v_cmp_eq_u32_e64 s[24:25], 0, v24
	s_nop 1
	v_cndmask_b32_e64 v25, v25, 0, s[24:25]
	v_add_u32_e32 v22, v25, v22
	v_cndmask_b32_e64 v25, v26, 0, s[24:25]
	v_add_u32_e32 v23, v25, v23
	v_cmp_eq_u32_e64 s[24:25], 0, v22
	v_mov_b32_dpp v25, v22 row_shr:2 row_mask:0xf bank_mask:0xf
	v_mov_b32_dpp v26, v23 row_shr:2 row_mask:0xf bank_mask:0xf
	v_cndmask_b32_e64 v25, 0, v25, s[26:27]
	s_and_b64 s[24:25], s[26:27], s[24:25]
	v_cndmask_b32_e64 v26, 0, v26, s[24:25]
	v_add_u32_e32 v22, v25, v22
	v_add_u32_e32 v23, v26, v23
	v_cmp_eq_u32_e64 s[24:25], 0, v22
	v_mov_b32_dpp v25, v22 row_shr:4 row_mask:0xf bank_mask:0xf
	v_cmp_lt_u32_e64 s[26:27], 3, v24
	v_mov_b32_dpp v26, v23 row_shr:4 row_mask:0xf bank_mask:0xf
	s_and_b64 s[24:25], s[26:27], s[24:25]
	v_cndmask_b32_e64 v24, 0, v25, s[26:27]
	v_add_u32_e32 v22, v24, v22
	v_cndmask_b32_e64 v24, 0, v26, s[24:25]
	v_add_u32_e32 v23, v24, v23
	ds_write_b64 v4, v[22:23] offset:4112
.LBB374_91:
	s_or_b64 exec, exec, s[28:29]
	v_cmp_lt_u32_e64 s[24:25], 63, v0
	v_mov_b32_e32 v23, 0
	v_mov_b32_e32 v4, 0
	s_waitcnt vmcnt(0)
	v_mov_b32_e32 v22, v6
	s_waitcnt lgkmcnt(0)
	s_barrier
	s_and_saveexec_b64 s[26:27], s[24:25]
	s_cbranch_execz .LBB374_93
; %bb.92:
	ds_read_b64 v[4:5], v5 offset:4104
	s_waitcnt lgkmcnt(0)
	v_cmp_eq_u32_e64 s[24:25], 0, v4
	s_nop 1
	v_cndmask_b32_e64 v22, 0, v6, s[24:25]
	v_add_u32_e32 v22, v22, v5
.LBB374_93:
	s_or_b64 exec, exec, s[26:27]
	v_cmp_eq_u32_e64 s[24:25], 0, v2
	v_add_u32_e32 v5, v4, v2
	v_and_b32_e32 v24, 64, v7
	v_cndmask_b32_e64 v2, 0, v22, s[24:25]
	v_add_u32_e32 v2, v2, v3
	v_add_u32_e32 v3, -1, v7
	v_cmp_lt_i32_e64 s[24:25], v3, v24
	v_cmp_eq_u32_e64 s[26:27], 0, v70
	s_nop 0
	v_cndmask_b32_e64 v3, v3, v7, s[24:25]
	v_lshlrev_b32_e32 v3, 2, v3
	ds_bpermute_b32 v5, v3, v5
	ds_bpermute_b32 v2, v3, v2
	v_cmp_eq_u32_e64 s[24:25], 0, v7
	s_waitcnt lgkmcnt(1)
	s_nop 0
	v_cndmask_b32_e64 v3, v5, v4, s[24:25]
	s_waitcnt lgkmcnt(0)
	v_cndmask_b32_e64 v2, v2, v22, s[24:25]
	v_cmp_eq_u32_e64 s[24:25], 0, v0
	s_nop 1
	v_cndmask_b32_e64 v51, v2, v6, s[24:25]
	v_cndmask_b32_e64 v2, 0, v51, s[26:27]
	v_add_u32_e32 v49, v2, v52
	v_cndmask_b32_e64 v2, 0, v49, s[0:1]
	v_add_u32_e32 v47, v2, v52
	;; [unrolled: 2-line block ×8, first 2 shown]
	v_cndmask_b32_e64 v50, v3, 0, s[24:25]
	v_cndmask_b32_e64 v2, 0, v35, s[14:15]
	v_add_u32_e32 v48, v50, v70
	v_add_u32_e32 v33, v2, v52
	v_add_u32_e32 v46, v48, v69
	v_cndmask_b32_e64 v2, 0, v33, s[16:17]
	v_add_u32_e32 v44, v46, v68
	v_add_u32_e32 v31, v2, v52
	v_add_u32_e32 v42, v44, v67
	;; [unrolled: 4-line block ×3, first 2 shown]
	v_cndmask_b32_e64 v2, 0, v29, s[20:21]
	v_add_u32_e32 v36, v38, v64
	v_add_u32_e32 v27, v2, v52
	ds_read_b64 v[2:3], v23 offset:4168
	v_add_u32_e32 v34, v36, v63
	v_add_u32_e32 v32, v34, v62
	;; [unrolled: 1-line block ×3, first 2 shown]
	v_cndmask_b32_e64 v4, 0, v27, s[22:23]
	v_add_u32_e32 v28, v30, v60
	v_add_u32_e32 v23, v4, v52
	;; [unrolled: 1-line block ×3, first 2 shown]
	v_cndmask_b32_e32 v4, 0, v23, vcc
	s_waitcnt lgkmcnt(0)
	v_cmp_eq_u32_e32 vcc, 0, v2
	v_add_u32_e32 v22, v26, v58
	v_add_u32_e32 v25, v4, v52
	v_cndmask_b32_e32 v4, 0, v6, vcc
	v_add_u32_e32 v24, v22, v57
	v_add_u32_e32 v6, v4, v3
	s_and_saveexec_b64 s[0:1], s[24:25]
	s_cbranch_execz .LBB374_95
; %bb.94:
	s_add_u32 s2, s36, 0x400
	v_and_b32_e32 v3, 0xff000000, v6
	v_and_b32_e32 v4, 0xff0000, v6
	s_addc_u32 s3, s37, 0
	v_or_b32_e32 v3, v4, v3
	v_and_b32_e32 v4, 0xff00, v6
	v_and_b32_e32 v7, 0xff, v6
	v_mov_b32_e32 v5, 0
	v_or3_b32 v3, v3, v4, v7
	v_mov_b32_e32 v4, 2
	v_mov_b64_e32 v[52:53], s[2:3]
	;;#ASMSTART
	global_store_dwordx4 v[52:53], v[2:5] off sc1	
s_waitcnt vmcnt(0)
	;;#ASMEND
.LBB374_95:
	s_or_b64 exec, exec, s[0:1]
	v_mov_b32_e32 v4, 0
.LBB374_96:
	s_and_b64 s[0:1], s[38:39], exec
	s_cselect_b32 s1, 0, s47
	s_cselect_b32 s0, 0, s46
	s_cmp_eq_u64 s[0:1], 0
	v_mov_b64_e32 v[52:53], 0
	s_waitcnt lgkmcnt(0)
	s_barrier
	s_cbranch_scc1 .LBB374_98
; %bb.97:
	v_mov_b32_e32 v3, 0
	global_load_dwordx2 v[52:53], v3, s[0:1]
.LBB374_98:
	v_cmp_eq_u32_e32 vcc, 0, v70
	s_waitcnt vmcnt(0)
	v_lshlrev_b64 v[54:55], 2, v[52:53]
	v_mov_b32_e32 v5, 0
	v_cndmask_b32_e64 v3, 1, 2, vcc
	v_cmp_eq_u32_e32 vcc, 0, v69
	s_movk_i32 s30, 0x200
	v_lshl_add_u64 v[54:55], s[40:41], 0, v[54:55]
	v_cndmask_b32_e64 v7, 1, 2, vcc
	v_cmp_eq_u32_e32 vcc, 0, v68
	v_and_b32_e32 v3, v7, v3
	v_lshlrev_b64 v[72:73], 2, v[4:5]
	v_cndmask_b32_e64 v7, 1, 2, vcc
	v_cmp_eq_u32_e32 vcc, 0, v67
	v_and_b32_e32 v3, v3, v7
	v_lshl_add_u64 v[54:55], v[54:55], 0, v[72:73]
	v_cndmask_b32_e64 v7, 1, 2, vcc
	v_cmp_eq_u32_e32 vcc, 0, v66
	v_and_b32_e32 v3, v3, v7
	v_cmp_ne_u32_e64 s[28:29], 0, v70
	v_cndmask_b32_e64 v7, 1, 2, vcc
	v_cmp_eq_u32_e32 vcc, 0, v65
	v_and_b32_e32 v3, v3, v7
	v_cmp_ne_u32_e64 s[26:27], 0, v69
	v_cndmask_b32_e64 v7, 1, 2, vcc
	v_cmp_eq_u32_e32 vcc, 0, v64
	v_and_b32_e32 v3, v3, v7
	v_cmp_ne_u32_e64 s[24:25], 0, v68
	v_cndmask_b32_e64 v7, 1, 2, vcc
	v_cmp_eq_u32_e32 vcc, 0, v63
	v_and_b32_e32 v3, v3, v7
	v_cmp_ne_u32_e64 s[22:23], 0, v67
	v_cndmask_b32_e64 v7, 1, 2, vcc
	v_cmp_eq_u32_e32 vcc, 0, v62
	v_and_b32_e32 v3, v3, v7
	v_cmp_ne_u32_e64 s[20:21], 0, v66
	v_cndmask_b32_e64 v7, 1, 2, vcc
	v_cmp_eq_u32_e32 vcc, 0, v61
	v_and_b32_e32 v3, v3, v7
	v_cmp_ne_u32_e64 s[18:19], 0, v65
	v_cndmask_b32_e64 v7, 1, 2, vcc
	v_cmp_eq_u32_e32 vcc, 0, v60
	v_and_b32_e32 v3, v3, v7
	v_cmp_ne_u32_e64 s[16:17], 0, v64
	v_cndmask_b32_e64 v7, 1, 2, vcc
	v_cmp_eq_u32_e32 vcc, 0, v59
	v_and_b32_e32 v3, v3, v7
	v_cmp_ne_u32_e64 s[14:15], 0, v63
	v_cndmask_b32_e64 v7, 1, 2, vcc
	v_cmp_eq_u32_e32 vcc, 0, v58
	v_and_b32_e32 v3, v3, v7
	v_cmp_ne_u32_e64 s[12:13], 0, v62
	v_cndmask_b32_e64 v7, 1, 2, vcc
	v_cmp_eq_u32_e32 vcc, 0, v57
	v_and_b32_e32 v3, v3, v7
	v_cmp_ne_u32_e64 s[10:11], 0, v61
	v_cndmask_b32_e64 v7, 1, 2, vcc
	v_cmp_eq_u32_e32 vcc, 0, v56
	v_and_b32_e32 v3, v3, v7
	v_cmp_ne_u32_e64 s[8:9], 0, v60
	v_cndmask_b32_e64 v7, 1, 2, vcc
	v_and_b32_e32 v3, v3, v7
	v_cmp_gt_u32_e32 vcc, s30, v2
	v_cmp_ne_u32_e64 s[6:7], 0, v59
	v_cmp_ne_u32_e64 s[4:5], 0, v58
	;; [unrolled: 1-line block ×4, first 2 shown]
	s_mov_b64 s[36:37], -1
	v_cmp_gt_i16_e64 s[30:31], 2, v3
	s_cbranch_vccz .LBB374_105
; %bb.99:
	s_and_saveexec_b64 s[36:37], s[30:31]
	s_cbranch_execz .LBB374_104
; %bb.100:
	v_cmp_ne_u16_e32 vcc, 1, v3
	s_mov_b64 s[38:39], 0
	s_and_saveexec_b64 s[30:31], vcc
	s_xor_b64 s[30:31], exec, s[30:31]
	s_cbranch_execnz .LBB374_147
; %bb.101:
	s_andn2_saveexec_b64 s[30:31], s[30:31]
	s_cbranch_execnz .LBB374_163
.LBB374_102:
	s_or_b64 exec, exec, s[30:31]
	s_and_b64 exec, exec, s[38:39]
	s_cbranch_execz .LBB374_104
.LBB374_103:
	v_sub_u32_e32 v72, v24, v4
	v_mov_b32_e32 v73, 0
	v_lshl_add_u64 v[72:73], v[72:73], 2, v[54:55]
	global_store_dword v[72:73], v1, off
.LBB374_104:
	s_or_b64 exec, exec, s[36:37]
	s_mov_b64 s[36:37], 0
.LBB374_105:
	s_and_b64 vcc, exec, s[36:37]
	s_cbranch_vccz .LBB374_125
; %bb.106:
	v_cmp_gt_i16_e32 vcc, 2, v3
	s_and_saveexec_b64 s[30:31], vcc
	s_cbranch_execz .LBB374_111
; %bb.107:
	v_cmp_ne_u16_e32 vcc, 1, v3
	s_mov_b64 s[38:39], 0
	s_and_saveexec_b64 s[36:37], vcc
	s_xor_b64 s[36:37], exec, s[36:37]
	s_cbranch_execnz .LBB374_164
; %bb.108:
	s_andn2_saveexec_b64 s[0:1], s[36:37]
	s_cbranch_execnz .LBB374_180
.LBB374_109:
	s_or_b64 exec, exec, s[0:1]
	s_and_b64 exec, exec, s[38:39]
	s_cbranch_execz .LBB374_111
.LBB374_110:
	v_sub_u32_e32 v3, v24, v4
	v_lshlrev_b32_e32 v3, 2, v3
	ds_write_b32 v3, v1
.LBB374_111:
	s_or_b64 exec, exec, s[30:31]
	v_cmp_lt_u32_e32 vcc, v0, v2
	s_waitcnt lgkmcnt(0)
	s_barrier
	s_and_saveexec_b64 s[0:1], vcc
	s_cbranch_execz .LBB374_124
; %bb.112:
	v_xad_u32 v1, v0, -1, v2
	s_movk_i32 s2, 0x1ff
	v_cmp_lt_u32_e32 vcc, s2, v1
	s_mov_b64 s[4:5], -1
	v_mov_b32_e32 v8, v0
	s_and_saveexec_b64 s[2:3], vcc
	s_cbranch_execz .LBB374_121
; %bb.113:
	v_lshrrev_b32_e32 v3, 9, v1
	v_add_u32_e32 v8, -1, v3
	v_or_b32_e32 v1, 0x200, v0
	v_lshrrev_b32_e32 v7, 1, v8
	v_add_u32_e32 v7, 1, v7
	v_cmp_lt_u32_e32 vcc, 13, v8
	v_mov_b32_e32 v14, 0
	v_mov_b64_e32 v[8:9], v[0:1]
	s_and_saveexec_b64 s[4:5], vcc
	s_cbranch_execz .LBB374_117
; %bb.114:
	v_and_b32_e32 v12, -8, v7
	v_lshlrev_b32_e32 v13, 2, v0
	s_mov_b32 s8, 0
	s_mov_b64 s[6:7], 0
	v_mov_b32_e32 v11, 0
	v_mov_b64_e32 v[8:9], v[0:1]
.LBB374_115:                            ; =>This Inner Loop Header: Depth=1
	ds_read2st64_b32 v[16:17], v13 offset1:8
	v_mov_b32_e32 v10, v8
	ds_read2st64_b32 v[76:77], v13 offset0:48 offset1:56
	v_lshl_add_u64 v[94:95], v[10:11], 2, v[54:55]
	v_mov_b32_e32 v10, v9
	ds_read2st64_b32 v[18:19], v13 offset0:16 offset1:24
	ds_read2st64_b32 v[80:81], v13 offset0:64 offset1:72
	v_lshl_add_u64 v[98:99], v[10:11], 2, v[54:55]
	v_add_u32_e32 v10, 0x400, v8
	ds_read2st64_b32 v[84:85], v13 offset0:80 offset1:88
	v_lshl_add_u64 v[100:101], v[10:11], 2, v[54:55]
	v_add_u32_e32 v10, 0x800, v8
	v_add_u32_e32 v14, 0x400, v9
	v_mov_b32_e32 v15, v11
	v_add_u32_e32 v20, 0x800, v9
	ds_read2st64_b32 v[72:73], v13 offset0:32 offset1:40
	v_mov_b32_e32 v21, v11
	ds_read2st64_b32 v[88:89], v13 offset0:96 offset1:104
	v_lshl_add_u64 v[102:103], v[10:11], 2, v[54:55]
	v_add_u32_e32 v10, 0xc00, v8
	v_add_u32_e32 v74, 0xc00, v9
	v_mov_b32_e32 v75, v11
	ds_read2st64_b32 v[92:93], v13 offset0:112 offset1:120
	v_lshl_add_u64 v[96:97], v[14:15], 2, v[54:55]
	v_lshl_add_u64 v[20:21], v[20:21], 2, v[54:55]
	s_waitcnt lgkmcnt(7)
	global_store_dword v[94:95], v16, off
	global_store_dword v[98:99], v17, off
	s_waitcnt lgkmcnt(5)
	global_store_dword v[100:101], v18, off
	global_store_dword v[96:97], v19, off
	;; [unrolled: 3-line block ×3, first 2 shown]
	v_lshl_add_u64 v[16:17], v[10:11], 2, v[54:55]
	v_add_u32_e32 v10, 0x1000, v8
	v_add_u32_e32 v78, 0x1000, v9
	v_mov_b32_e32 v79, v11
	v_lshl_add_u64 v[74:75], v[74:75], 2, v[54:55]
	global_store_dword v[16:17], v76, off
	global_store_dword v[74:75], v77, off
	v_lshl_add_u64 v[16:17], v[10:11], 2, v[54:55]
	v_add_u32_e32 v10, 0x1400, v8
	v_add_u32_e32 v82, 0x1400, v9
	v_mov_b32_e32 v83, v11
	v_add_u32_e32 v12, -8, v12
	v_lshl_add_u64 v[78:79], v[78:79], 2, v[54:55]
	global_store_dword v[16:17], v80, off
	global_store_dword v[78:79], v81, off
	v_lshl_add_u64 v[16:17], v[10:11], 2, v[54:55]
	v_add_u32_e32 v10, 0x1800, v8
	v_add_u32_e32 v86, 0x1800, v9
	v_mov_b32_e32 v87, v11
	s_add_i32 s8, s8, 16
	v_lshl_add_u64 v[82:83], v[82:83], 2, v[54:55]
	v_cmp_eq_u32_e32 vcc, 0, v12
	global_store_dword v[16:17], v84, off
	global_store_dword v[82:83], v85, off
	v_lshl_add_u64 v[16:17], v[10:11], 2, v[54:55]
	v_add_u32_e32 v10, 0x1c00, v8
	v_add_u32_e32 v90, 0x1c00, v9
	v_mov_b32_e32 v91, v11
	v_add_u32_e32 v13, 0x8000, v13
	v_lshl_add_u64 v[86:87], v[86:87], 2, v[54:55]
	v_add_u32_e32 v9, 0x2000, v9
	v_mov_b32_e32 v14, s8
	s_or_b64 s[6:7], vcc, s[6:7]
	v_add_u32_e32 v8, 0x2000, v8
	s_waitcnt lgkmcnt(1)
	global_store_dword v[16:17], v88, off
	global_store_dword v[86:87], v89, off
	v_lshl_add_u64 v[16:17], v[10:11], 2, v[54:55]
	v_lshl_add_u64 v[90:91], v[90:91], 2, v[54:55]
	s_waitcnt lgkmcnt(0)
	global_store_dword v[16:17], v92, off
	global_store_dword v[90:91], v93, off
	s_andn2_b64 exec, exec, s[6:7]
	s_cbranch_execnz .LBB374_115
; %bb.116:
	s_or_b64 exec, exec, s[6:7]
.LBB374_117:
	s_or_b64 exec, exec, s[4:5]
	v_and_b32_e32 v1, 7, v7
	v_cmp_ne_u32_e32 vcc, 0, v1
	s_and_saveexec_b64 s[4:5], vcc
	s_cbranch_execz .LBB374_120
; %bb.118:
	v_lshlrev_b32_e32 v7, 2, v0
	v_lshl_or_b32 v7, v14, 11, v7
	s_mov_b64 s[6:7], 0
	v_mov_b32_e32 v11, 0
.LBB374_119:                            ; =>This Inner Loop Header: Depth=1
	ds_read2st64_b32 v[12:13], v7 offset1:8
	v_add_u32_e32 v1, -1, v1
	v_mov_b32_e32 v10, v8
	v_cmp_eq_u32_e32 vcc, 0, v1
	v_add_u32_e32 v8, 0x400, v8
	v_add_u32_e32 v7, 0x1000, v7
	v_lshl_add_u64 v[14:15], v[10:11], 2, v[54:55]
	v_mov_b32_e32 v10, v9
	v_add_u32_e32 v9, 0x400, v9
	s_or_b64 s[6:7], vcc, s[6:7]
	v_lshl_add_u64 v[16:17], v[10:11], 2, v[54:55]
	s_waitcnt lgkmcnt(0)
	global_store_dword v[14:15], v12, off
	global_store_dword v[16:17], v13, off
	s_andn2_b64 exec, exec, s[6:7]
	s_cbranch_execnz .LBB374_119
.LBB374_120:
	s_or_b64 exec, exec, s[4:5]
	v_add_u32_e32 v1, 1, v3
	v_and_b32_e32 v3, 0xfffffe, v1
	v_cmp_ne_u32_e32 vcc, v1, v3
	v_lshl_or_b32 v8, v3, 9, v0
	s_orn2_b64 s[4:5], vcc, exec
.LBB374_121:
	s_or_b64 exec, exec, s[2:3]
	s_and_b64 exec, exec, s[4:5]
	s_cbranch_execz .LBB374_124
; %bb.122:
	v_lshlrev_b32_e32 v1, 2, v8
	s_mov_b64 s[2:3], 0
	v_mov_b32_e32 v9, 0
.LBB374_123:                            ; =>This Inner Loop Header: Depth=1
	ds_read_b32 v3, v1
	v_lshl_add_u64 v[10:11], v[8:9], 2, v[54:55]
	v_add_u32_e32 v8, 0x200, v8
	v_cmp_ge_u32_e32 vcc, v8, v2
	v_add_u32_e32 v1, 0x800, v1
	s_or_b64 s[2:3], vcc, s[2:3]
	s_waitcnt lgkmcnt(0)
	global_store_dword v[10:11], v3, off
	s_andn2_b64 exec, exec, s[2:3]
	s_cbranch_execnz .LBB374_123
.LBB374_124:
	s_or_b64 exec, exec, s[0:1]
.LBB374_125:
	s_cmpk_lg_i32 s33, 0x1e00
	s_cselect_b64 s[0:1], -1, 0
	v_cndmask_b32_e64 v16, 0, 1, s[50:51]
	s_and_b64 s[0:1], s[48:49], s[0:1]
	v_cmp_eq_u32_e32 vcc, 0, v0
	v_sub_u32_e32 v1, v2, v16
	v_cndmask_b32_e64 v3, 0, 1, s[0:1]
	s_and_b64 s[0:1], vcc, s[50:51]
	v_add_u32_e32 v1, v1, v3
	v_cndmask_b32_e64 v3, v70, 0, s[0:1]
	s_mul_hi_u32 s0, s33, 0x88888889
	s_lshr_b32 s0, s0, 3
	v_mad_i32_i24 v7, v0, -15, s33
	v_cmp_eq_u32_e32 vcc, s0, v0
	v_cmp_ne_u32_e64 s[0:1], 0, v7
	s_and_b64 vcc, s[48:49], vcc
	s_mov_b32 s2, 0
	v_cndmask_b32_e64 v8, 1, v3, s[0:1]
	v_cmp_ne_u32_e64 s[0:1], 1, v7
	s_movk_i32 s30, 0x200
	s_mov_b64 s[36:37], -1
	v_cndmask_b32_e64 v9, 1, v69, s[0:1]
	v_cmp_ne_u32_e64 s[0:1], 2, v7
	s_barrier
	s_nop 0
	v_cndmask_b32_e64 v10, 1, v68, s[0:1]
	v_cmp_ne_u32_e64 s[0:1], 3, v7
	s_nop 1
	v_cndmask_b32_e64 v11, 1, v67, s[0:1]
	v_cmp_ne_u32_e64 s[0:1], 4, v7
	;; [unrolled: 3-line block ×7, first 2 shown]
	v_cndmask_b32_e32 v55, v62, v17, vcc
	v_cndmask_b32_e32 v62, v69, v9, vcc
	v_cndmask_b32_e64 v18, 1, v61, s[0:1]
	v_cmp_ne_u32_e64 s[0:1], 10, v7
	v_cndmask_b32_e32 v18, v61, v18, vcc
	v_cndmask_b32_e32 v61, v68, v10, vcc
	v_cndmask_b32_e64 v19, 1, v60, s[0:1]
	v_cmp_ne_u32_e64 s[0:1], 11, v7
	;; [unrolled: 4-line block ×5, first 2 shown]
	v_cndmask_b32_e32 v54, v57, v54, vcc
	v_cndmask_b32_e32 v57, v64, v14, vcc
	v_cndmask_b32_e64 v7, 1, v56, s[0:1]
	v_cndmask_b32_e32 v7, v56, v7, vcc
	v_cndmask_b32_e32 v56, v63, v15, vcc
	;; [unrolled: 1-line block ×3, first 2 shown]
	v_mov_b32_e32 v17, s2
	v_cmp_eq_u32_e32 vcc, 0, v63
	v_lshl_add_u64 v[14:15], v[16:17], 0, -1
	v_add_u32_e32 v3, v4, v16
	v_cndmask_b32_e64 v16, 1, 2, vcc
	v_cmp_eq_u32_e32 vcc, 0, v62
	v_lshlrev_b64 v[10:11], 3, v[52:53]
	v_cmp_ne_u32_e64 s[0:1], 0, v7
	v_cndmask_b32_e64 v17, 1, 2, vcc
	v_cmp_eq_u32_e32 vcc, 0, v61
	v_and_b32_e32 v16, v17, v16
	v_lshl_add_u64 v[8:9], s[42:43], 0, v[10:11]
	v_cndmask_b32_e64 v17, 1, 2, vcc
	v_cmp_eq_u32_e32 vcc, 0, v60
	v_and_b32_e32 v16, v16, v17
	v_lshlrev_b64 v[12:13], 3, v[4:5]
	v_cndmask_b32_e64 v17, 1, 2, vcc
	v_cmp_eq_u32_e32 vcc, 0, v59
	v_and_b32_e32 v16, v16, v17
	v_lshl_add_u64 v[8:9], v[8:9], 0, v[12:13]
	v_cndmask_b32_e64 v17, 1, 2, vcc
	v_cmp_eq_u32_e32 vcc, 0, v58
	v_and_b32_e32 v16, v16, v17
	v_cmp_ne_u32_e64 s[28:29], 0, v63
	v_cndmask_b32_e64 v17, 1, 2, vcc
	v_cmp_eq_u32_e32 vcc, 0, v57
	v_and_b32_e32 v16, v16, v17
	v_cmp_ne_u32_e64 s[26:27], 0, v62
	;; [unrolled: 4-line block ×10, first 2 shown]
	v_cndmask_b32_e64 v7, 1, 2, vcc
	v_and_b32_e32 v7, v16, v7
	v_cmp_gt_u32_e32 vcc, s30, v1
	v_cmp_ne_u32_e64 s[8:9], 0, v19
	v_cmp_ne_u32_e64 s[6:7], 0, v20
	;; [unrolled: 1-line block ×4, first 2 shown]
	v_cmp_gt_i16_e64 s[30:31], 2, v7
	s_cbranch_vccz .LBB374_132
; %bb.126:
	s_and_saveexec_b64 s[36:37], s[30:31]
	s_cbranch_execz .LBB374_131
; %bb.127:
	v_lshlrev_b64 v[16:17], 3, v[14:15]
	v_lshl_add_u64 v[16:17], v[8:9], 0, v[16:17]
	v_cmp_ne_u16_e32 vcc, 1, v7
	s_mov_b64 s[38:39], 0
	s_and_saveexec_b64 s[30:31], vcc
	s_xor_b64 s[30:31], exec, s[30:31]
	s_cbranch_execnz .LBB374_181
; %bb.128:
	s_andn2_saveexec_b64 s[30:31], s[30:31]
	s_cbranch_execnz .LBB374_197
.LBB374_129:
	s_or_b64 exec, exec, s[30:31]
	s_and_b64 exec, exec, s[38:39]
	s_cbranch_execz .LBB374_131
.LBB374_130:
	v_mov_b32_e32 v19, 0
	v_sub_u32_e32 v20, v24, v3
	v_mov_b32_e32 v21, v19
	v_mov_b32_e32 v18, v25
	v_lshl_add_u64 v[16:17], v[20:21], 3, v[16:17]
	global_store_dwordx2 v[16:17], v[18:19], off
.LBB374_131:
	s_or_b64 exec, exec, s[36:37]
	s_mov_b64 s[36:37], 0
.LBB374_132:
	s_and_b64 vcc, exec, s[36:37]
	s_cbranch_vccz .LBB374_142
; %bb.133:
	v_cmp_gt_i16_e32 vcc, 2, v7
	s_and_saveexec_b64 s[30:31], vcc
	s_cbranch_execz .LBB374_138
; %bb.134:
	v_cmp_ne_u16_e32 vcc, 1, v7
	s_mov_b64 s[38:39], 0
	s_and_saveexec_b64 s[36:37], vcc
	s_xor_b64 s[36:37], exec, s[36:37]
	s_cbranch_execnz .LBB374_198
; %bb.135:
	s_andn2_saveexec_b64 s[0:1], s[36:37]
	s_cbranch_execnz .LBB374_214
.LBB374_136:
	s_or_b64 exec, exec, s[0:1]
	s_and_b64 exec, exec, s[38:39]
	s_cbranch_execz .LBB374_138
.LBB374_137:
	v_sub_u32_e32 v3, v24, v3
	v_lshlrev_b32_e32 v3, 2, v3
	ds_write_b32 v3, v25
.LBB374_138:
	s_or_b64 exec, exec, s[30:31]
	v_cmp_lt_u32_e32 vcc, v0, v1
	s_waitcnt lgkmcnt(0)
	s_barrier
	s_and_saveexec_b64 s[0:1], vcc
	s_cbranch_execz .LBB374_141
; %bb.139:
	v_lshlrev_b64 v[14:15], 3, v[14:15]
	v_lshl_add_u64 v[10:11], v[10:11], 0, v[14:15]
	v_lshl_add_u64 v[12:13], v[10:11], 0, v[12:13]
	v_lshlrev_b32_e32 v10, 3, v0
	v_mov_b32_e32 v11, 0
	v_lshl_add_u64 v[12:13], s[42:43], 0, v[12:13]
	v_lshlrev_b32_e32 v3, 2, v0
	v_lshl_add_u64 v[12:13], v[12:13], 0, v[10:11]
	s_mov_b64 s[2:3], 0
	s_mov_b64 s[4:5], 0x1000
	v_mov_b32_e32 v7, v0
.LBB374_140:                            ; =>This Inner Loop Header: Depth=1
	ds_read_b32 v10, v3
	v_add_u32_e32 v7, 0x200, v7
	v_cmp_ge_u32_e32 vcc, v7, v1
	v_add_u32_e32 v3, 0x800, v3
	s_or_b64 s[2:3], vcc, s[2:3]
	s_waitcnt lgkmcnt(0)
	global_store_dwordx2 v[12:13], v[10:11], off
	v_lshl_add_u64 v[12:13], v[12:13], 0, s[4:5]
	s_andn2_b64 exec, exec, s[2:3]
	s_cbranch_execnz .LBB374_140
.LBB374_141:
	s_or_b64 exec, exec, s[0:1]
.LBB374_142:
	s_movk_i32 s0, 0x1ff
	v_cmp_eq_u32_e32 vcc, s0, v0
	s_and_b64 s[0:1], vcc, s[48:49]
	s_and_saveexec_b64 s[2:3], s[0:1]
	s_cbranch_execz .LBB374_145
; %bb.143:
	v_mov_b32_e32 v3, 0
	v_lshl_add_u64 v[0:1], v[2:3], 0, v[4:5]
	v_lshl_add_u64 v[0:1], v[0:1], 0, v[52:53]
	s_cmpk_lg_i32 s33, 0x1e00
	global_store_dwordx2 v3, v[0:1], s[34:35]
	s_cbranch_scc1 .LBB374_145
; %bb.144:
	v_lshlrev_b64 v[0:1], 3, v[2:3]
	v_mov_b32_e32 v7, v3
	v_lshl_add_u64 v[0:1], v[8:9], 0, v[0:1]
	global_store_dwordx2 v[0:1], v[6:7], off offset:-8
.LBB374_145:
	s_endpgm
.LBB374_146:
	s_or_b64 exec, exec, s[8:9]
	v_mov_b32_e32 v70, s3
	s_and_saveexec_b64 s[4:5], s[42:43]
	s_cbranch_execnz .LBB374_56
	s_branch .LBB374_57
.LBB374_147:
	s_and_saveexec_b64 s[38:39], s[28:29]
	s_cbranch_execnz .LBB374_215
; %bb.148:
	s_or_b64 exec, exec, s[38:39]
	s_and_saveexec_b64 s[38:39], s[26:27]
	s_cbranch_execnz .LBB374_216
.LBB374_149:
	s_or_b64 exec, exec, s[38:39]
	s_and_saveexec_b64 s[38:39], s[24:25]
	s_cbranch_execnz .LBB374_217
.LBB374_150:
	s_or_b64 exec, exec, s[38:39]
	s_and_saveexec_b64 s[38:39], s[22:23]
	s_cbranch_execnz .LBB374_218
.LBB374_151:
	s_or_b64 exec, exec, s[38:39]
	s_and_saveexec_b64 s[38:39], s[20:21]
	s_cbranch_execnz .LBB374_219
.LBB374_152:
	s_or_b64 exec, exec, s[38:39]
	s_and_saveexec_b64 s[38:39], s[18:19]
	s_cbranch_execnz .LBB374_220
.LBB374_153:
	s_or_b64 exec, exec, s[38:39]
	s_and_saveexec_b64 s[38:39], s[16:17]
	s_cbranch_execnz .LBB374_221
.LBB374_154:
	s_or_b64 exec, exec, s[38:39]
	s_and_saveexec_b64 s[38:39], s[14:15]
	s_cbranch_execnz .LBB374_222
.LBB374_155:
	s_or_b64 exec, exec, s[38:39]
	s_and_saveexec_b64 s[38:39], s[12:13]
	s_cbranch_execnz .LBB374_223
.LBB374_156:
	s_or_b64 exec, exec, s[38:39]
	s_and_saveexec_b64 s[38:39], s[10:11]
	s_cbranch_execnz .LBB374_224
.LBB374_157:
	s_or_b64 exec, exec, s[38:39]
	s_and_saveexec_b64 s[38:39], s[8:9]
	s_cbranch_execnz .LBB374_225
.LBB374_158:
	s_or_b64 exec, exec, s[38:39]
	s_and_saveexec_b64 s[38:39], s[6:7]
	s_cbranch_execnz .LBB374_226
.LBB374_159:
	s_or_b64 exec, exec, s[38:39]
	s_and_saveexec_b64 s[38:39], s[4:5]
	s_cbranch_execnz .LBB374_227
.LBB374_160:
	s_or_b64 exec, exec, s[38:39]
	s_and_saveexec_b64 s[38:39], s[2:3]
	s_cbranch_execz .LBB374_162
.LBB374_161:
	v_sub_u32_e32 v72, v22, v4
	v_mov_b32_e32 v73, 0
	v_lshl_add_u64 v[72:73], v[72:73], 2, v[54:55]
	global_store_dword v[72:73], v9, off
.LBB374_162:
	s_or_b64 exec, exec, s[38:39]
	s_and_b64 s[38:39], s[0:1], exec
	s_andn2_saveexec_b64 s[30:31], s[30:31]
	s_cbranch_execz .LBB374_102
.LBB374_163:
	v_sub_u32_e32 v72, v50, v4
	v_mov_b32_e32 v73, 0
	v_lshl_add_u64 v[74:75], v[72:73], 2, v[54:55]
	v_sub_u32_e32 v72, v48, v4
	global_store_dword v[74:75], v20, off
	v_lshl_add_u64 v[74:75], v[72:73], 2, v[54:55]
	v_sub_u32_e32 v72, v46, v4
	global_store_dword v[74:75], v21, off
	;; [unrolled: 3-line block ×12, first 2 shown]
	v_lshl_add_u64 v[74:75], v[72:73], 2, v[54:55]
	v_sub_u32_e32 v72, v22, v4
	v_lshl_add_u64 v[72:73], v[72:73], 2, v[54:55]
	s_or_b64 s[38:39], s[38:39], exec
	global_store_dword v[74:75], v8, off
	global_store_dword v[72:73], v9, off
	s_or_b64 exec, exec, s[30:31]
	s_and_b64 exec, exec, s[38:39]
	s_cbranch_execnz .LBB374_103
	s_branch .LBB374_104
.LBB374_164:
	s_and_saveexec_b64 s[38:39], s[28:29]
	s_cbranch_execnz .LBB374_228
; %bb.165:
	s_or_b64 exec, exec, s[38:39]
	s_and_saveexec_b64 s[28:29], s[26:27]
	s_cbranch_execnz .LBB374_229
.LBB374_166:
	s_or_b64 exec, exec, s[28:29]
	s_and_saveexec_b64 s[26:27], s[24:25]
	s_cbranch_execnz .LBB374_230
.LBB374_167:
	s_or_b64 exec, exec, s[26:27]
	s_and_saveexec_b64 s[24:25], s[22:23]
	s_cbranch_execnz .LBB374_231
.LBB374_168:
	s_or_b64 exec, exec, s[24:25]
	s_and_saveexec_b64 s[22:23], s[20:21]
	s_cbranch_execnz .LBB374_232
.LBB374_169:
	s_or_b64 exec, exec, s[22:23]
	s_and_saveexec_b64 s[20:21], s[18:19]
	s_cbranch_execnz .LBB374_233
.LBB374_170:
	s_or_b64 exec, exec, s[20:21]
	s_and_saveexec_b64 s[18:19], s[16:17]
	s_cbranch_execnz .LBB374_234
.LBB374_171:
	s_or_b64 exec, exec, s[18:19]
	s_and_saveexec_b64 s[16:17], s[14:15]
	s_cbranch_execnz .LBB374_235
.LBB374_172:
	s_or_b64 exec, exec, s[16:17]
	s_and_saveexec_b64 s[14:15], s[12:13]
	s_cbranch_execnz .LBB374_236
.LBB374_173:
	s_or_b64 exec, exec, s[14:15]
	s_and_saveexec_b64 s[12:13], s[10:11]
	s_cbranch_execnz .LBB374_237
.LBB374_174:
	s_or_b64 exec, exec, s[12:13]
	s_and_saveexec_b64 s[10:11], s[8:9]
	s_cbranch_execnz .LBB374_238
.LBB374_175:
	s_or_b64 exec, exec, s[10:11]
	s_and_saveexec_b64 s[8:9], s[6:7]
	s_cbranch_execnz .LBB374_239
.LBB374_176:
	s_or_b64 exec, exec, s[8:9]
	s_and_saveexec_b64 s[6:7], s[4:5]
	s_cbranch_execnz .LBB374_240
.LBB374_177:
	s_or_b64 exec, exec, s[6:7]
	s_and_saveexec_b64 s[4:5], s[2:3]
	s_cbranch_execz .LBB374_179
.LBB374_178:
	v_sub_u32_e32 v3, v22, v4
	v_lshlrev_b32_e32 v3, 2, v3
	ds_write_b32 v3, v9
.LBB374_179:
	s_or_b64 exec, exec, s[4:5]
	s_and_b64 s[38:39], s[0:1], exec
                                        ; implicit-def: $vgpr9
                                        ; implicit-def: $vgpr11
                                        ; implicit-def: $vgpr13
                                        ; implicit-def: $vgpr15
                                        ; implicit-def: $vgpr17
                                        ; implicit-def: $vgpr19
                                        ; implicit-def: $vgpr21
	s_andn2_saveexec_b64 s[0:1], s[36:37]
	s_cbranch_execz .LBB374_109
.LBB374_180:
	v_sub_u32_e32 v3, v50, v4
	v_lshlrev_b32_e32 v3, 2, v3
	ds_write_b32 v3, v20
	v_sub_u32_e32 v3, v48, v4
	v_lshlrev_b32_e32 v3, 2, v3
	ds_write_b32 v3, v21
	;; [unrolled: 3-line block ×13, first 2 shown]
	v_sub_u32_e32 v3, v22, v4
	v_lshlrev_b32_e32 v3, 2, v3
	s_or_b64 s[38:39], s[38:39], exec
	ds_write_b32 v3, v9
	s_or_b64 exec, exec, s[0:1]
	s_and_b64 exec, exec, s[38:39]
	s_cbranch_execnz .LBB374_110
	s_branch .LBB374_111
.LBB374_181:
	s_and_saveexec_b64 s[38:39], s[28:29]
	s_cbranch_execnz .LBB374_241
; %bb.182:
	s_or_b64 exec, exec, s[38:39]
	s_and_saveexec_b64 s[38:39], s[26:27]
	s_cbranch_execnz .LBB374_242
.LBB374_183:
	s_or_b64 exec, exec, s[38:39]
	s_and_saveexec_b64 s[38:39], s[24:25]
	s_cbranch_execnz .LBB374_243
.LBB374_184:
	s_or_b64 exec, exec, s[38:39]
	s_and_saveexec_b64 s[38:39], s[22:23]
	s_cbranch_execnz .LBB374_244
.LBB374_185:
	s_or_b64 exec, exec, s[38:39]
	s_and_saveexec_b64 s[38:39], s[20:21]
	s_cbranch_execnz .LBB374_245
.LBB374_186:
	s_or_b64 exec, exec, s[38:39]
	s_and_saveexec_b64 s[38:39], s[18:19]
	s_cbranch_execnz .LBB374_246
.LBB374_187:
	s_or_b64 exec, exec, s[38:39]
	s_and_saveexec_b64 s[38:39], s[16:17]
	s_cbranch_execnz .LBB374_247
.LBB374_188:
	s_or_b64 exec, exec, s[38:39]
	s_and_saveexec_b64 s[38:39], s[14:15]
	s_cbranch_execnz .LBB374_248
.LBB374_189:
	s_or_b64 exec, exec, s[38:39]
	s_and_saveexec_b64 s[38:39], s[12:13]
	s_cbranch_execnz .LBB374_249
.LBB374_190:
	s_or_b64 exec, exec, s[38:39]
	s_and_saveexec_b64 s[38:39], s[10:11]
	s_cbranch_execnz .LBB374_250
.LBB374_191:
	s_or_b64 exec, exec, s[38:39]
	s_and_saveexec_b64 s[38:39], s[8:9]
	s_cbranch_execnz .LBB374_251
.LBB374_192:
	s_or_b64 exec, exec, s[38:39]
	s_and_saveexec_b64 s[38:39], s[6:7]
	s_cbranch_execnz .LBB374_252
.LBB374_193:
	s_or_b64 exec, exec, s[38:39]
	s_and_saveexec_b64 s[38:39], s[4:5]
	s_cbranch_execnz .LBB374_253
.LBB374_194:
	s_or_b64 exec, exec, s[38:39]
	s_and_saveexec_b64 s[38:39], s[2:3]
	s_cbranch_execz .LBB374_196
.LBB374_195:
	v_sub_u32_e32 v18, v22, v3
	v_mov_b32_e32 v19, 0
	v_lshl_add_u64 v[20:21], v[18:19], 3, v[16:17]
	v_mov_b32_e32 v18, v23
	global_store_dwordx2 v[20:21], v[18:19], off
.LBB374_196:
	s_or_b64 exec, exec, s[38:39]
	s_and_b64 s[38:39], s[0:1], exec
	s_andn2_saveexec_b64 s[30:31], s[30:31]
	s_cbranch_execz .LBB374_129
.LBB374_197:
	v_mov_b32_e32 v19, 0
	v_sub_u32_e32 v20, v50, v3
	v_mov_b32_e32 v21, v19
	v_mov_b32_e32 v18, v51
	v_lshl_add_u64 v[20:21], v[20:21], 3, v[16:17]
	global_store_dwordx2 v[20:21], v[18:19], off
	v_sub_u32_e32 v20, v48, v3
	v_mov_b32_e32 v21, v19
	v_mov_b32_e32 v18, v49
	v_lshl_add_u64 v[20:21], v[20:21], 3, v[16:17]
	global_store_dwordx2 v[20:21], v[18:19], off
	v_sub_u32_e32 v20, v46, v3
	v_mov_b32_e32 v21, v19
	v_mov_b32_e32 v18, v47
	v_lshl_add_u64 v[20:21], v[20:21], 3, v[16:17]
	global_store_dwordx2 v[20:21], v[18:19], off
	v_sub_u32_e32 v20, v44, v3
	v_mov_b32_e32 v21, v19
	v_mov_b32_e32 v18, v45
	v_lshl_add_u64 v[20:21], v[20:21], 3, v[16:17]
	global_store_dwordx2 v[20:21], v[18:19], off
	v_sub_u32_e32 v20, v42, v3
	v_mov_b32_e32 v21, v19
	v_mov_b32_e32 v18, v43
	v_lshl_add_u64 v[20:21], v[20:21], 3, v[16:17]
	global_store_dwordx2 v[20:21], v[18:19], off
	v_sub_u32_e32 v20, v40, v3
	v_mov_b32_e32 v21, v19
	v_mov_b32_e32 v18, v41
	v_lshl_add_u64 v[20:21], v[20:21], 3, v[16:17]
	global_store_dwordx2 v[20:21], v[18:19], off
	v_sub_u32_e32 v20, v38, v3
	v_mov_b32_e32 v21, v19
	v_mov_b32_e32 v18, v39
	v_lshl_add_u64 v[20:21], v[20:21], 3, v[16:17]
	global_store_dwordx2 v[20:21], v[18:19], off
	v_sub_u32_e32 v20, v36, v3
	v_mov_b32_e32 v21, v19
	v_mov_b32_e32 v18, v37
	v_lshl_add_u64 v[20:21], v[20:21], 3, v[16:17]
	global_store_dwordx2 v[20:21], v[18:19], off
	v_sub_u32_e32 v20, v34, v3
	v_mov_b32_e32 v21, v19
	v_mov_b32_e32 v18, v35
	v_lshl_add_u64 v[20:21], v[20:21], 3, v[16:17]
	global_store_dwordx2 v[20:21], v[18:19], off
	v_sub_u32_e32 v20, v32, v3
	v_mov_b32_e32 v21, v19
	v_mov_b32_e32 v18, v33
	v_lshl_add_u64 v[20:21], v[20:21], 3, v[16:17]
	global_store_dwordx2 v[20:21], v[18:19], off
	v_sub_u32_e32 v20, v30, v3
	v_mov_b32_e32 v21, v19
	v_mov_b32_e32 v18, v31
	v_lshl_add_u64 v[20:21], v[20:21], 3, v[16:17]
	global_store_dwordx2 v[20:21], v[18:19], off
	v_sub_u32_e32 v20, v28, v3
	v_mov_b32_e32 v21, v19
	v_mov_b32_e32 v18, v29
	v_lshl_add_u64 v[20:21], v[20:21], 3, v[16:17]
	global_store_dwordx2 v[20:21], v[18:19], off
	v_sub_u32_e32 v20, v26, v3
	v_mov_b32_e32 v21, v19
	v_mov_b32_e32 v18, v27
	v_lshl_add_u64 v[20:21], v[20:21], 3, v[16:17]
	global_store_dwordx2 v[20:21], v[18:19], off
	v_sub_u32_e32 v20, v22, v3
	v_mov_b32_e32 v21, v19
	v_mov_b32_e32 v18, v23
	v_lshl_add_u64 v[20:21], v[20:21], 3, v[16:17]
	s_or_b64 s[38:39], s[38:39], exec
	global_store_dwordx2 v[20:21], v[18:19], off
	s_or_b64 exec, exec, s[30:31]
	s_and_b64 exec, exec, s[38:39]
	s_cbranch_execnz .LBB374_130
	s_branch .LBB374_131
.LBB374_198:
	s_and_saveexec_b64 s[38:39], s[28:29]
	s_cbranch_execnz .LBB374_254
; %bb.199:
	s_or_b64 exec, exec, s[38:39]
	s_and_saveexec_b64 s[28:29], s[26:27]
	s_cbranch_execnz .LBB374_255
.LBB374_200:
	s_or_b64 exec, exec, s[28:29]
	s_and_saveexec_b64 s[26:27], s[24:25]
	s_cbranch_execnz .LBB374_256
.LBB374_201:
	s_or_b64 exec, exec, s[26:27]
	s_and_saveexec_b64 s[24:25], s[22:23]
	s_cbranch_execnz .LBB374_257
.LBB374_202:
	s_or_b64 exec, exec, s[24:25]
	s_and_saveexec_b64 s[22:23], s[20:21]
	s_cbranch_execnz .LBB374_258
.LBB374_203:
	s_or_b64 exec, exec, s[22:23]
	s_and_saveexec_b64 s[20:21], s[18:19]
	s_cbranch_execnz .LBB374_259
.LBB374_204:
	s_or_b64 exec, exec, s[20:21]
	s_and_saveexec_b64 s[18:19], s[16:17]
	s_cbranch_execnz .LBB374_260
.LBB374_205:
	s_or_b64 exec, exec, s[18:19]
	s_and_saveexec_b64 s[16:17], s[14:15]
	s_cbranch_execnz .LBB374_261
.LBB374_206:
	s_or_b64 exec, exec, s[16:17]
	s_and_saveexec_b64 s[14:15], s[12:13]
	s_cbranch_execnz .LBB374_262
.LBB374_207:
	s_or_b64 exec, exec, s[14:15]
	s_and_saveexec_b64 s[12:13], s[10:11]
	s_cbranch_execnz .LBB374_263
.LBB374_208:
	s_or_b64 exec, exec, s[12:13]
	s_and_saveexec_b64 s[10:11], s[8:9]
	s_cbranch_execnz .LBB374_264
.LBB374_209:
	s_or_b64 exec, exec, s[10:11]
	s_and_saveexec_b64 s[8:9], s[6:7]
	s_cbranch_execnz .LBB374_265
.LBB374_210:
	s_or_b64 exec, exec, s[8:9]
	s_and_saveexec_b64 s[6:7], s[4:5]
	s_cbranch_execnz .LBB374_266
.LBB374_211:
	s_or_b64 exec, exec, s[6:7]
	s_and_saveexec_b64 s[4:5], s[2:3]
	s_cbranch_execz .LBB374_213
.LBB374_212:
	v_sub_u32_e32 v7, v22, v3
	v_lshlrev_b32_e32 v7, 2, v7
	ds_write_b32 v7, v23
.LBB374_213:
	s_or_b64 exec, exec, s[4:5]
	s_and_b64 s[38:39], s[0:1], exec
                                        ; implicit-def: $vgpr22_vgpr23
                                        ; implicit-def: $vgpr26_vgpr27
                                        ; implicit-def: $vgpr28_vgpr29
                                        ; implicit-def: $vgpr50_vgpr51
                                        ; implicit-def: $vgpr48_vgpr49
                                        ; implicit-def: $vgpr46_vgpr47
                                        ; implicit-def: $vgpr44_vgpr45
                                        ; implicit-def: $vgpr42_vgpr43
                                        ; implicit-def: $vgpr40_vgpr41
                                        ; implicit-def: $vgpr38_vgpr39
                                        ; implicit-def: $vgpr36_vgpr37
                                        ; implicit-def: $vgpr34_vgpr35
                                        ; implicit-def: $vgpr32_vgpr33
                                        ; implicit-def: $vgpr30_vgpr31
	s_andn2_saveexec_b64 s[0:1], s[36:37]
	s_cbranch_execz .LBB374_136
.LBB374_214:
	v_sub_u32_e32 v7, v50, v3
	v_lshlrev_b32_e32 v7, 2, v7
	ds_write_b32 v7, v51
	v_sub_u32_e32 v7, v48, v3
	v_lshlrev_b32_e32 v7, 2, v7
	ds_write_b32 v7, v49
	;; [unrolled: 3-line block ×13, first 2 shown]
	v_sub_u32_e32 v7, v22, v3
	v_lshlrev_b32_e32 v7, 2, v7
	s_or_b64 s[38:39], s[38:39], exec
	ds_write_b32 v7, v23
	s_or_b64 exec, exec, s[0:1]
	s_and_b64 exec, exec, s[38:39]
	s_cbranch_execnz .LBB374_137
	s_branch .LBB374_138
.LBB374_215:
	v_sub_u32_e32 v72, v50, v4
	v_mov_b32_e32 v73, 0
	v_lshl_add_u64 v[72:73], v[72:73], 2, v[54:55]
	global_store_dword v[72:73], v20, off
	s_or_b64 exec, exec, s[38:39]
	s_and_saveexec_b64 s[38:39], s[26:27]
	s_cbranch_execz .LBB374_149
.LBB374_216:
	v_sub_u32_e32 v72, v48, v4
	v_mov_b32_e32 v73, 0
	v_lshl_add_u64 v[72:73], v[72:73], 2, v[54:55]
	global_store_dword v[72:73], v21, off
	s_or_b64 exec, exec, s[38:39]
	s_and_saveexec_b64 s[38:39], s[24:25]
	s_cbranch_execz .LBB374_150
.LBB374_217:
	v_sub_u32_e32 v72, v46, v4
	v_mov_b32_e32 v73, 0
	v_lshl_add_u64 v[72:73], v[72:73], 2, v[54:55]
	global_store_dword v[72:73], v18, off
	s_or_b64 exec, exec, s[38:39]
	s_and_saveexec_b64 s[38:39], s[22:23]
	s_cbranch_execz .LBB374_151
.LBB374_218:
	v_sub_u32_e32 v72, v44, v4
	v_mov_b32_e32 v73, 0
	v_lshl_add_u64 v[72:73], v[72:73], 2, v[54:55]
	global_store_dword v[72:73], v19, off
	s_or_b64 exec, exec, s[38:39]
	s_and_saveexec_b64 s[38:39], s[20:21]
	s_cbranch_execz .LBB374_152
.LBB374_219:
	v_sub_u32_e32 v72, v42, v4
	v_mov_b32_e32 v73, 0
	v_lshl_add_u64 v[72:73], v[72:73], 2, v[54:55]
	global_store_dword v[72:73], v16, off
	s_or_b64 exec, exec, s[38:39]
	s_and_saveexec_b64 s[38:39], s[18:19]
	s_cbranch_execz .LBB374_153
.LBB374_220:
	v_sub_u32_e32 v72, v40, v4
	v_mov_b32_e32 v73, 0
	v_lshl_add_u64 v[72:73], v[72:73], 2, v[54:55]
	global_store_dword v[72:73], v17, off
	s_or_b64 exec, exec, s[38:39]
	s_and_saveexec_b64 s[38:39], s[16:17]
	s_cbranch_execz .LBB374_154
.LBB374_221:
	v_sub_u32_e32 v72, v38, v4
	v_mov_b32_e32 v73, 0
	v_lshl_add_u64 v[72:73], v[72:73], 2, v[54:55]
	global_store_dword v[72:73], v14, off
	s_or_b64 exec, exec, s[38:39]
	s_and_saveexec_b64 s[38:39], s[14:15]
	s_cbranch_execz .LBB374_155
.LBB374_222:
	v_sub_u32_e32 v72, v36, v4
	v_mov_b32_e32 v73, 0
	v_lshl_add_u64 v[72:73], v[72:73], 2, v[54:55]
	global_store_dword v[72:73], v15, off
	s_or_b64 exec, exec, s[38:39]
	s_and_saveexec_b64 s[38:39], s[12:13]
	s_cbranch_execz .LBB374_156
.LBB374_223:
	v_sub_u32_e32 v72, v34, v4
	v_mov_b32_e32 v73, 0
	v_lshl_add_u64 v[72:73], v[72:73], 2, v[54:55]
	global_store_dword v[72:73], v12, off
	s_or_b64 exec, exec, s[38:39]
	s_and_saveexec_b64 s[38:39], s[10:11]
	s_cbranch_execz .LBB374_157
.LBB374_224:
	v_sub_u32_e32 v72, v32, v4
	v_mov_b32_e32 v73, 0
	v_lshl_add_u64 v[72:73], v[72:73], 2, v[54:55]
	global_store_dword v[72:73], v13, off
	s_or_b64 exec, exec, s[38:39]
	s_and_saveexec_b64 s[38:39], s[8:9]
	s_cbranch_execz .LBB374_158
.LBB374_225:
	v_sub_u32_e32 v72, v30, v4
	v_mov_b32_e32 v73, 0
	v_lshl_add_u64 v[72:73], v[72:73], 2, v[54:55]
	global_store_dword v[72:73], v10, off
	s_or_b64 exec, exec, s[38:39]
	s_and_saveexec_b64 s[38:39], s[6:7]
	s_cbranch_execz .LBB374_159
.LBB374_226:
	v_sub_u32_e32 v72, v28, v4
	v_mov_b32_e32 v73, 0
	v_lshl_add_u64 v[72:73], v[72:73], 2, v[54:55]
	global_store_dword v[72:73], v11, off
	s_or_b64 exec, exec, s[38:39]
	s_and_saveexec_b64 s[38:39], s[4:5]
	s_cbranch_execz .LBB374_160
.LBB374_227:
	v_sub_u32_e32 v72, v26, v4
	v_mov_b32_e32 v73, 0
	v_lshl_add_u64 v[72:73], v[72:73], 2, v[54:55]
	global_store_dword v[72:73], v8, off
	s_or_b64 exec, exec, s[38:39]
	s_and_saveexec_b64 s[38:39], s[2:3]
	s_cbranch_execnz .LBB374_161
	s_branch .LBB374_162
.LBB374_228:
	v_sub_u32_e32 v3, v50, v4
	v_lshlrev_b32_e32 v3, 2, v3
	ds_write_b32 v3, v20
	s_or_b64 exec, exec, s[38:39]
	s_and_saveexec_b64 s[28:29], s[26:27]
	s_cbranch_execz .LBB374_166
.LBB374_229:
	v_sub_u32_e32 v3, v48, v4
	v_lshlrev_b32_e32 v3, 2, v3
	ds_write_b32 v3, v21
	s_or_b64 exec, exec, s[28:29]
	s_and_saveexec_b64 s[26:27], s[24:25]
	s_cbranch_execz .LBB374_167
.LBB374_230:
	v_sub_u32_e32 v3, v46, v4
	v_lshlrev_b32_e32 v3, 2, v3
	ds_write_b32 v3, v18
	s_or_b64 exec, exec, s[26:27]
	s_and_saveexec_b64 s[24:25], s[22:23]
	s_cbranch_execz .LBB374_168
.LBB374_231:
	v_sub_u32_e32 v3, v44, v4
	v_lshlrev_b32_e32 v3, 2, v3
	ds_write_b32 v3, v19
	s_or_b64 exec, exec, s[24:25]
	s_and_saveexec_b64 s[22:23], s[20:21]
	s_cbranch_execz .LBB374_169
.LBB374_232:
	v_sub_u32_e32 v3, v42, v4
	v_lshlrev_b32_e32 v3, 2, v3
	ds_write_b32 v3, v16
	s_or_b64 exec, exec, s[22:23]
	s_and_saveexec_b64 s[20:21], s[18:19]
	s_cbranch_execz .LBB374_170
.LBB374_233:
	v_sub_u32_e32 v3, v40, v4
	v_lshlrev_b32_e32 v3, 2, v3
	ds_write_b32 v3, v17
	s_or_b64 exec, exec, s[20:21]
	s_and_saveexec_b64 s[18:19], s[16:17]
	s_cbranch_execz .LBB374_171
.LBB374_234:
	v_sub_u32_e32 v3, v38, v4
	v_lshlrev_b32_e32 v3, 2, v3
	ds_write_b32 v3, v14
	s_or_b64 exec, exec, s[18:19]
	s_and_saveexec_b64 s[16:17], s[14:15]
	s_cbranch_execz .LBB374_172
.LBB374_235:
	v_sub_u32_e32 v3, v36, v4
	v_lshlrev_b32_e32 v3, 2, v3
	ds_write_b32 v3, v15
	s_or_b64 exec, exec, s[16:17]
	s_and_saveexec_b64 s[14:15], s[12:13]
	s_cbranch_execz .LBB374_173
.LBB374_236:
	v_sub_u32_e32 v3, v34, v4
	v_lshlrev_b32_e32 v3, 2, v3
	ds_write_b32 v3, v12
	s_or_b64 exec, exec, s[14:15]
	s_and_saveexec_b64 s[12:13], s[10:11]
	s_cbranch_execz .LBB374_174
.LBB374_237:
	v_sub_u32_e32 v3, v32, v4
	v_lshlrev_b32_e32 v3, 2, v3
	ds_write_b32 v3, v13
	s_or_b64 exec, exec, s[12:13]
	s_and_saveexec_b64 s[10:11], s[8:9]
	s_cbranch_execz .LBB374_175
.LBB374_238:
	v_sub_u32_e32 v3, v30, v4
	v_lshlrev_b32_e32 v3, 2, v3
	ds_write_b32 v3, v10
	s_or_b64 exec, exec, s[10:11]
	s_and_saveexec_b64 s[8:9], s[6:7]
	s_cbranch_execz .LBB374_176
.LBB374_239:
	v_sub_u32_e32 v3, v28, v4
	v_lshlrev_b32_e32 v3, 2, v3
	ds_write_b32 v3, v11
	s_or_b64 exec, exec, s[8:9]
	s_and_saveexec_b64 s[6:7], s[4:5]
	s_cbranch_execz .LBB374_177
.LBB374_240:
	v_sub_u32_e32 v3, v26, v4
	v_lshlrev_b32_e32 v3, 2, v3
	ds_write_b32 v3, v8
	s_or_b64 exec, exec, s[6:7]
	s_and_saveexec_b64 s[4:5], s[2:3]
	s_cbranch_execnz .LBB374_178
	s_branch .LBB374_179
.LBB374_241:
	v_sub_u32_e32 v18, v50, v3
	v_mov_b32_e32 v19, 0
	v_lshl_add_u64 v[20:21], v[18:19], 3, v[16:17]
	v_mov_b32_e32 v18, v51
	global_store_dwordx2 v[20:21], v[18:19], off
	s_or_b64 exec, exec, s[38:39]
	s_and_saveexec_b64 s[38:39], s[26:27]
	s_cbranch_execz .LBB374_183
.LBB374_242:
	v_sub_u32_e32 v18, v48, v3
	v_mov_b32_e32 v19, 0
	v_lshl_add_u64 v[20:21], v[18:19], 3, v[16:17]
	v_mov_b32_e32 v18, v49
	global_store_dwordx2 v[20:21], v[18:19], off
	s_or_b64 exec, exec, s[38:39]
	s_and_saveexec_b64 s[38:39], s[24:25]
	s_cbranch_execz .LBB374_184
.LBB374_243:
	v_sub_u32_e32 v18, v46, v3
	v_mov_b32_e32 v19, 0
	v_lshl_add_u64 v[20:21], v[18:19], 3, v[16:17]
	v_mov_b32_e32 v18, v47
	global_store_dwordx2 v[20:21], v[18:19], off
	s_or_b64 exec, exec, s[38:39]
	s_and_saveexec_b64 s[38:39], s[22:23]
	s_cbranch_execz .LBB374_185
.LBB374_244:
	v_sub_u32_e32 v18, v44, v3
	v_mov_b32_e32 v19, 0
	v_lshl_add_u64 v[20:21], v[18:19], 3, v[16:17]
	v_mov_b32_e32 v18, v45
	global_store_dwordx2 v[20:21], v[18:19], off
	s_or_b64 exec, exec, s[38:39]
	s_and_saveexec_b64 s[38:39], s[20:21]
	s_cbranch_execz .LBB374_186
.LBB374_245:
	v_sub_u32_e32 v18, v42, v3
	v_mov_b32_e32 v19, 0
	v_lshl_add_u64 v[20:21], v[18:19], 3, v[16:17]
	v_mov_b32_e32 v18, v43
	global_store_dwordx2 v[20:21], v[18:19], off
	s_or_b64 exec, exec, s[38:39]
	s_and_saveexec_b64 s[38:39], s[18:19]
	s_cbranch_execz .LBB374_187
.LBB374_246:
	v_sub_u32_e32 v18, v40, v3
	v_mov_b32_e32 v19, 0
	v_lshl_add_u64 v[20:21], v[18:19], 3, v[16:17]
	v_mov_b32_e32 v18, v41
	global_store_dwordx2 v[20:21], v[18:19], off
	s_or_b64 exec, exec, s[38:39]
	s_and_saveexec_b64 s[38:39], s[16:17]
	s_cbranch_execz .LBB374_188
.LBB374_247:
	v_sub_u32_e32 v18, v38, v3
	v_mov_b32_e32 v19, 0
	v_lshl_add_u64 v[20:21], v[18:19], 3, v[16:17]
	v_mov_b32_e32 v18, v39
	global_store_dwordx2 v[20:21], v[18:19], off
	s_or_b64 exec, exec, s[38:39]
	s_and_saveexec_b64 s[38:39], s[14:15]
	s_cbranch_execz .LBB374_189
.LBB374_248:
	v_sub_u32_e32 v18, v36, v3
	v_mov_b32_e32 v19, 0
	v_lshl_add_u64 v[20:21], v[18:19], 3, v[16:17]
	v_mov_b32_e32 v18, v37
	global_store_dwordx2 v[20:21], v[18:19], off
	s_or_b64 exec, exec, s[38:39]
	s_and_saveexec_b64 s[38:39], s[12:13]
	s_cbranch_execz .LBB374_190
.LBB374_249:
	v_sub_u32_e32 v18, v34, v3
	v_mov_b32_e32 v19, 0
	v_lshl_add_u64 v[20:21], v[18:19], 3, v[16:17]
	v_mov_b32_e32 v18, v35
	global_store_dwordx2 v[20:21], v[18:19], off
	s_or_b64 exec, exec, s[38:39]
	s_and_saveexec_b64 s[38:39], s[10:11]
	s_cbranch_execz .LBB374_191
.LBB374_250:
	v_sub_u32_e32 v18, v32, v3
	v_mov_b32_e32 v19, 0
	v_lshl_add_u64 v[20:21], v[18:19], 3, v[16:17]
	v_mov_b32_e32 v18, v33
	global_store_dwordx2 v[20:21], v[18:19], off
	s_or_b64 exec, exec, s[38:39]
	s_and_saveexec_b64 s[38:39], s[8:9]
	s_cbranch_execz .LBB374_192
.LBB374_251:
	v_sub_u32_e32 v18, v30, v3
	v_mov_b32_e32 v19, 0
	v_lshl_add_u64 v[20:21], v[18:19], 3, v[16:17]
	v_mov_b32_e32 v18, v31
	global_store_dwordx2 v[20:21], v[18:19], off
	s_or_b64 exec, exec, s[38:39]
	s_and_saveexec_b64 s[38:39], s[6:7]
	s_cbranch_execz .LBB374_193
.LBB374_252:
	v_sub_u32_e32 v18, v28, v3
	v_mov_b32_e32 v19, 0
	v_lshl_add_u64 v[20:21], v[18:19], 3, v[16:17]
	v_mov_b32_e32 v18, v29
	global_store_dwordx2 v[20:21], v[18:19], off
	s_or_b64 exec, exec, s[38:39]
	s_and_saveexec_b64 s[38:39], s[4:5]
	s_cbranch_execz .LBB374_194
.LBB374_253:
	v_sub_u32_e32 v18, v26, v3
	v_mov_b32_e32 v19, 0
	v_lshl_add_u64 v[20:21], v[18:19], 3, v[16:17]
	v_mov_b32_e32 v18, v27
	global_store_dwordx2 v[20:21], v[18:19], off
	s_or_b64 exec, exec, s[38:39]
	s_and_saveexec_b64 s[38:39], s[2:3]
	s_cbranch_execnz .LBB374_195
	s_branch .LBB374_196
.LBB374_254:
	v_sub_u32_e32 v7, v50, v3
	v_lshlrev_b32_e32 v7, 2, v7
	ds_write_b32 v7, v51
	s_or_b64 exec, exec, s[38:39]
	s_and_saveexec_b64 s[28:29], s[26:27]
	s_cbranch_execz .LBB374_200
.LBB374_255:
	v_sub_u32_e32 v7, v48, v3
	v_lshlrev_b32_e32 v7, 2, v7
	ds_write_b32 v7, v49
	s_or_b64 exec, exec, s[28:29]
	s_and_saveexec_b64 s[26:27], s[24:25]
	s_cbranch_execz .LBB374_201
.LBB374_256:
	v_sub_u32_e32 v7, v46, v3
	v_lshlrev_b32_e32 v7, 2, v7
	ds_write_b32 v7, v47
	s_or_b64 exec, exec, s[26:27]
	s_and_saveexec_b64 s[24:25], s[22:23]
	s_cbranch_execz .LBB374_202
.LBB374_257:
	v_sub_u32_e32 v7, v44, v3
	v_lshlrev_b32_e32 v7, 2, v7
	ds_write_b32 v7, v45
	s_or_b64 exec, exec, s[24:25]
	s_and_saveexec_b64 s[22:23], s[20:21]
	s_cbranch_execz .LBB374_203
.LBB374_258:
	v_sub_u32_e32 v7, v42, v3
	v_lshlrev_b32_e32 v7, 2, v7
	ds_write_b32 v7, v43
	s_or_b64 exec, exec, s[22:23]
	s_and_saveexec_b64 s[20:21], s[18:19]
	s_cbranch_execz .LBB374_204
.LBB374_259:
	v_sub_u32_e32 v7, v40, v3
	v_lshlrev_b32_e32 v7, 2, v7
	ds_write_b32 v7, v41
	s_or_b64 exec, exec, s[20:21]
	s_and_saveexec_b64 s[18:19], s[16:17]
	s_cbranch_execz .LBB374_205
.LBB374_260:
	v_sub_u32_e32 v7, v38, v3
	v_lshlrev_b32_e32 v7, 2, v7
	ds_write_b32 v7, v39
	s_or_b64 exec, exec, s[18:19]
	s_and_saveexec_b64 s[16:17], s[14:15]
	s_cbranch_execz .LBB374_206
.LBB374_261:
	v_sub_u32_e32 v7, v36, v3
	v_lshlrev_b32_e32 v7, 2, v7
	ds_write_b32 v7, v37
	s_or_b64 exec, exec, s[16:17]
	s_and_saveexec_b64 s[14:15], s[12:13]
	s_cbranch_execz .LBB374_207
.LBB374_262:
	v_sub_u32_e32 v7, v34, v3
	v_lshlrev_b32_e32 v7, 2, v7
	ds_write_b32 v7, v35
	s_or_b64 exec, exec, s[14:15]
	s_and_saveexec_b64 s[12:13], s[10:11]
	s_cbranch_execz .LBB374_208
.LBB374_263:
	v_sub_u32_e32 v7, v32, v3
	v_lshlrev_b32_e32 v7, 2, v7
	ds_write_b32 v7, v33
	s_or_b64 exec, exec, s[12:13]
	s_and_saveexec_b64 s[10:11], s[8:9]
	s_cbranch_execz .LBB374_209
.LBB374_264:
	v_sub_u32_e32 v7, v30, v3
	v_lshlrev_b32_e32 v7, 2, v7
	ds_write_b32 v7, v31
	s_or_b64 exec, exec, s[10:11]
	s_and_saveexec_b64 s[8:9], s[6:7]
	s_cbranch_execz .LBB374_210
.LBB374_265:
	v_sub_u32_e32 v7, v28, v3
	v_lshlrev_b32_e32 v7, 2, v7
	ds_write_b32 v7, v29
	s_or_b64 exec, exec, s[8:9]
	s_and_saveexec_b64 s[6:7], s[4:5]
	s_cbranch_execz .LBB374_211
.LBB374_266:
	v_sub_u32_e32 v7, v26, v3
	v_lshlrev_b32_e32 v7, 2, v7
	ds_write_b32 v7, v27
	s_or_b64 exec, exec, s[6:7]
	s_and_saveexec_b64 s[4:5], s[2:3]
	s_cbranch_execnz .LBB374_212
	s_branch .LBB374_213
	.section	.rodata,"a",@progbits
	.p2align	6, 0x0
	.amdhsa_kernel _ZN7rocprim17ROCPRIM_400000_NS6detail17trampoline_kernelINS0_14default_configENS1_33run_length_encode_config_selectorIfjNS0_4plusIjEEEEZZNS1_33reduce_by_key_impl_wrapped_configILNS1_25lookback_scan_determinismE0ES3_S7_PKfNS0_17constant_iteratorIjlEEPfPlSF_S6_NS0_8equal_toIfEEEE10hipError_tPvRmT2_T3_mT4_T5_T6_T7_T8_P12ihipStream_tbENKUlT_T0_E_clISt17integral_constantIbLb0EESZ_EEDaSU_SV_EUlSU_E_NS1_11comp_targetILNS1_3genE5ELNS1_11target_archE942ELNS1_3gpuE9ELNS1_3repE0EEENS1_30default_config_static_selectorELNS0_4arch9wavefront6targetE1EEEvT1_
		.amdhsa_group_segment_fixed_size 30720
		.amdhsa_private_segment_fixed_size 0
		.amdhsa_kernarg_size 128
		.amdhsa_user_sgpr_count 2
		.amdhsa_user_sgpr_dispatch_ptr 0
		.amdhsa_user_sgpr_queue_ptr 0
		.amdhsa_user_sgpr_kernarg_segment_ptr 1
		.amdhsa_user_sgpr_dispatch_id 0
		.amdhsa_user_sgpr_kernarg_preload_length 0
		.amdhsa_user_sgpr_kernarg_preload_offset 0
		.amdhsa_user_sgpr_private_segment_size 0
		.amdhsa_uses_dynamic_stack 0
		.amdhsa_enable_private_segment 0
		.amdhsa_system_sgpr_workgroup_id_x 1
		.amdhsa_system_sgpr_workgroup_id_y 0
		.amdhsa_system_sgpr_workgroup_id_z 0
		.amdhsa_system_sgpr_workgroup_info 0
		.amdhsa_system_vgpr_workitem_id 0
		.amdhsa_next_free_vgpr 104
		.amdhsa_next_free_sgpr 64
		.amdhsa_accum_offset 104
		.amdhsa_reserve_vcc 1
		.amdhsa_float_round_mode_32 0
		.amdhsa_float_round_mode_16_64 0
		.amdhsa_float_denorm_mode_32 3
		.amdhsa_float_denorm_mode_16_64 3
		.amdhsa_dx10_clamp 1
		.amdhsa_ieee_mode 1
		.amdhsa_fp16_overflow 0
		.amdhsa_tg_split 0
		.amdhsa_exception_fp_ieee_invalid_op 0
		.amdhsa_exception_fp_denorm_src 0
		.amdhsa_exception_fp_ieee_div_zero 0
		.amdhsa_exception_fp_ieee_overflow 0
		.amdhsa_exception_fp_ieee_underflow 0
		.amdhsa_exception_fp_ieee_inexact 0
		.amdhsa_exception_int_div_zero 0
	.end_amdhsa_kernel
	.section	.text._ZN7rocprim17ROCPRIM_400000_NS6detail17trampoline_kernelINS0_14default_configENS1_33run_length_encode_config_selectorIfjNS0_4plusIjEEEEZZNS1_33reduce_by_key_impl_wrapped_configILNS1_25lookback_scan_determinismE0ES3_S7_PKfNS0_17constant_iteratorIjlEEPfPlSF_S6_NS0_8equal_toIfEEEE10hipError_tPvRmT2_T3_mT4_T5_T6_T7_T8_P12ihipStream_tbENKUlT_T0_E_clISt17integral_constantIbLb0EESZ_EEDaSU_SV_EUlSU_E_NS1_11comp_targetILNS1_3genE5ELNS1_11target_archE942ELNS1_3gpuE9ELNS1_3repE0EEENS1_30default_config_static_selectorELNS0_4arch9wavefront6targetE1EEEvT1_,"axG",@progbits,_ZN7rocprim17ROCPRIM_400000_NS6detail17trampoline_kernelINS0_14default_configENS1_33run_length_encode_config_selectorIfjNS0_4plusIjEEEEZZNS1_33reduce_by_key_impl_wrapped_configILNS1_25lookback_scan_determinismE0ES3_S7_PKfNS0_17constant_iteratorIjlEEPfPlSF_S6_NS0_8equal_toIfEEEE10hipError_tPvRmT2_T3_mT4_T5_T6_T7_T8_P12ihipStream_tbENKUlT_T0_E_clISt17integral_constantIbLb0EESZ_EEDaSU_SV_EUlSU_E_NS1_11comp_targetILNS1_3genE5ELNS1_11target_archE942ELNS1_3gpuE9ELNS1_3repE0EEENS1_30default_config_static_selectorELNS0_4arch9wavefront6targetE1EEEvT1_,comdat
.Lfunc_end374:
	.size	_ZN7rocprim17ROCPRIM_400000_NS6detail17trampoline_kernelINS0_14default_configENS1_33run_length_encode_config_selectorIfjNS0_4plusIjEEEEZZNS1_33reduce_by_key_impl_wrapped_configILNS1_25lookback_scan_determinismE0ES3_S7_PKfNS0_17constant_iteratorIjlEEPfPlSF_S6_NS0_8equal_toIfEEEE10hipError_tPvRmT2_T3_mT4_T5_T6_T7_T8_P12ihipStream_tbENKUlT_T0_E_clISt17integral_constantIbLb0EESZ_EEDaSU_SV_EUlSU_E_NS1_11comp_targetILNS1_3genE5ELNS1_11target_archE942ELNS1_3gpuE9ELNS1_3repE0EEENS1_30default_config_static_selectorELNS0_4arch9wavefront6targetE1EEEvT1_, .Lfunc_end374-_ZN7rocprim17ROCPRIM_400000_NS6detail17trampoline_kernelINS0_14default_configENS1_33run_length_encode_config_selectorIfjNS0_4plusIjEEEEZZNS1_33reduce_by_key_impl_wrapped_configILNS1_25lookback_scan_determinismE0ES3_S7_PKfNS0_17constant_iteratorIjlEEPfPlSF_S6_NS0_8equal_toIfEEEE10hipError_tPvRmT2_T3_mT4_T5_T6_T7_T8_P12ihipStream_tbENKUlT_T0_E_clISt17integral_constantIbLb0EESZ_EEDaSU_SV_EUlSU_E_NS1_11comp_targetILNS1_3genE5ELNS1_11target_archE942ELNS1_3gpuE9ELNS1_3repE0EEENS1_30default_config_static_selectorELNS0_4arch9wavefront6targetE1EEEvT1_
                                        ; -- End function
	.section	.AMDGPU.csdata,"",@progbits
; Kernel info:
; codeLenInByte = 14608
; NumSgprs: 70
; NumVgprs: 104
; NumAgprs: 0
; TotalNumVgprs: 104
; ScratchSize: 0
; MemoryBound: 0
; FloatMode: 240
; IeeeMode: 1
; LDSByteSize: 30720 bytes/workgroup (compile time only)
; SGPRBlocks: 8
; VGPRBlocks: 12
; NumSGPRsForWavesPerEU: 70
; NumVGPRsForWavesPerEU: 104
; AccumOffset: 104
; Occupancy: 4
; WaveLimiterHint : 1
; COMPUTE_PGM_RSRC2:SCRATCH_EN: 0
; COMPUTE_PGM_RSRC2:USER_SGPR: 2
; COMPUTE_PGM_RSRC2:TRAP_HANDLER: 0
; COMPUTE_PGM_RSRC2:TGID_X_EN: 1
; COMPUTE_PGM_RSRC2:TGID_Y_EN: 0
; COMPUTE_PGM_RSRC2:TGID_Z_EN: 0
; COMPUTE_PGM_RSRC2:TIDIG_COMP_CNT: 0
; COMPUTE_PGM_RSRC3_GFX90A:ACCUM_OFFSET: 25
; COMPUTE_PGM_RSRC3_GFX90A:TG_SPLIT: 0
	.section	.text._ZN7rocprim17ROCPRIM_400000_NS6detail17trampoline_kernelINS0_14default_configENS1_33run_length_encode_config_selectorIfjNS0_4plusIjEEEEZZNS1_33reduce_by_key_impl_wrapped_configILNS1_25lookback_scan_determinismE0ES3_S7_PKfNS0_17constant_iteratorIjlEEPfPlSF_S6_NS0_8equal_toIfEEEE10hipError_tPvRmT2_T3_mT4_T5_T6_T7_T8_P12ihipStream_tbENKUlT_T0_E_clISt17integral_constantIbLb0EESZ_EEDaSU_SV_EUlSU_E_NS1_11comp_targetILNS1_3genE4ELNS1_11target_archE910ELNS1_3gpuE8ELNS1_3repE0EEENS1_30default_config_static_selectorELNS0_4arch9wavefront6targetE1EEEvT1_,"axG",@progbits,_ZN7rocprim17ROCPRIM_400000_NS6detail17trampoline_kernelINS0_14default_configENS1_33run_length_encode_config_selectorIfjNS0_4plusIjEEEEZZNS1_33reduce_by_key_impl_wrapped_configILNS1_25lookback_scan_determinismE0ES3_S7_PKfNS0_17constant_iteratorIjlEEPfPlSF_S6_NS0_8equal_toIfEEEE10hipError_tPvRmT2_T3_mT4_T5_T6_T7_T8_P12ihipStream_tbENKUlT_T0_E_clISt17integral_constantIbLb0EESZ_EEDaSU_SV_EUlSU_E_NS1_11comp_targetILNS1_3genE4ELNS1_11target_archE910ELNS1_3gpuE8ELNS1_3repE0EEENS1_30default_config_static_selectorELNS0_4arch9wavefront6targetE1EEEvT1_,comdat
	.protected	_ZN7rocprim17ROCPRIM_400000_NS6detail17trampoline_kernelINS0_14default_configENS1_33run_length_encode_config_selectorIfjNS0_4plusIjEEEEZZNS1_33reduce_by_key_impl_wrapped_configILNS1_25lookback_scan_determinismE0ES3_S7_PKfNS0_17constant_iteratorIjlEEPfPlSF_S6_NS0_8equal_toIfEEEE10hipError_tPvRmT2_T3_mT4_T5_T6_T7_T8_P12ihipStream_tbENKUlT_T0_E_clISt17integral_constantIbLb0EESZ_EEDaSU_SV_EUlSU_E_NS1_11comp_targetILNS1_3genE4ELNS1_11target_archE910ELNS1_3gpuE8ELNS1_3repE0EEENS1_30default_config_static_selectorELNS0_4arch9wavefront6targetE1EEEvT1_ ; -- Begin function _ZN7rocprim17ROCPRIM_400000_NS6detail17trampoline_kernelINS0_14default_configENS1_33run_length_encode_config_selectorIfjNS0_4plusIjEEEEZZNS1_33reduce_by_key_impl_wrapped_configILNS1_25lookback_scan_determinismE0ES3_S7_PKfNS0_17constant_iteratorIjlEEPfPlSF_S6_NS0_8equal_toIfEEEE10hipError_tPvRmT2_T3_mT4_T5_T6_T7_T8_P12ihipStream_tbENKUlT_T0_E_clISt17integral_constantIbLb0EESZ_EEDaSU_SV_EUlSU_E_NS1_11comp_targetILNS1_3genE4ELNS1_11target_archE910ELNS1_3gpuE8ELNS1_3repE0EEENS1_30default_config_static_selectorELNS0_4arch9wavefront6targetE1EEEvT1_
	.globl	_ZN7rocprim17ROCPRIM_400000_NS6detail17trampoline_kernelINS0_14default_configENS1_33run_length_encode_config_selectorIfjNS0_4plusIjEEEEZZNS1_33reduce_by_key_impl_wrapped_configILNS1_25lookback_scan_determinismE0ES3_S7_PKfNS0_17constant_iteratorIjlEEPfPlSF_S6_NS0_8equal_toIfEEEE10hipError_tPvRmT2_T3_mT4_T5_T6_T7_T8_P12ihipStream_tbENKUlT_T0_E_clISt17integral_constantIbLb0EESZ_EEDaSU_SV_EUlSU_E_NS1_11comp_targetILNS1_3genE4ELNS1_11target_archE910ELNS1_3gpuE8ELNS1_3repE0EEENS1_30default_config_static_selectorELNS0_4arch9wavefront6targetE1EEEvT1_
	.p2align	8
	.type	_ZN7rocprim17ROCPRIM_400000_NS6detail17trampoline_kernelINS0_14default_configENS1_33run_length_encode_config_selectorIfjNS0_4plusIjEEEEZZNS1_33reduce_by_key_impl_wrapped_configILNS1_25lookback_scan_determinismE0ES3_S7_PKfNS0_17constant_iteratorIjlEEPfPlSF_S6_NS0_8equal_toIfEEEE10hipError_tPvRmT2_T3_mT4_T5_T6_T7_T8_P12ihipStream_tbENKUlT_T0_E_clISt17integral_constantIbLb0EESZ_EEDaSU_SV_EUlSU_E_NS1_11comp_targetILNS1_3genE4ELNS1_11target_archE910ELNS1_3gpuE8ELNS1_3repE0EEENS1_30default_config_static_selectorELNS0_4arch9wavefront6targetE1EEEvT1_,@function
_ZN7rocprim17ROCPRIM_400000_NS6detail17trampoline_kernelINS0_14default_configENS1_33run_length_encode_config_selectorIfjNS0_4plusIjEEEEZZNS1_33reduce_by_key_impl_wrapped_configILNS1_25lookback_scan_determinismE0ES3_S7_PKfNS0_17constant_iteratorIjlEEPfPlSF_S6_NS0_8equal_toIfEEEE10hipError_tPvRmT2_T3_mT4_T5_T6_T7_T8_P12ihipStream_tbENKUlT_T0_E_clISt17integral_constantIbLb0EESZ_EEDaSU_SV_EUlSU_E_NS1_11comp_targetILNS1_3genE4ELNS1_11target_archE910ELNS1_3gpuE8ELNS1_3repE0EEENS1_30default_config_static_selectorELNS0_4arch9wavefront6targetE1EEEvT1_: ; @_ZN7rocprim17ROCPRIM_400000_NS6detail17trampoline_kernelINS0_14default_configENS1_33run_length_encode_config_selectorIfjNS0_4plusIjEEEEZZNS1_33reduce_by_key_impl_wrapped_configILNS1_25lookback_scan_determinismE0ES3_S7_PKfNS0_17constant_iteratorIjlEEPfPlSF_S6_NS0_8equal_toIfEEEE10hipError_tPvRmT2_T3_mT4_T5_T6_T7_T8_P12ihipStream_tbENKUlT_T0_E_clISt17integral_constantIbLb0EESZ_EEDaSU_SV_EUlSU_E_NS1_11comp_targetILNS1_3genE4ELNS1_11target_archE910ELNS1_3gpuE8ELNS1_3repE0EEENS1_30default_config_static_selectorELNS0_4arch9wavefront6targetE1EEEvT1_
; %bb.0:
	.section	.rodata,"a",@progbits
	.p2align	6, 0x0
	.amdhsa_kernel _ZN7rocprim17ROCPRIM_400000_NS6detail17trampoline_kernelINS0_14default_configENS1_33run_length_encode_config_selectorIfjNS0_4plusIjEEEEZZNS1_33reduce_by_key_impl_wrapped_configILNS1_25lookback_scan_determinismE0ES3_S7_PKfNS0_17constant_iteratorIjlEEPfPlSF_S6_NS0_8equal_toIfEEEE10hipError_tPvRmT2_T3_mT4_T5_T6_T7_T8_P12ihipStream_tbENKUlT_T0_E_clISt17integral_constantIbLb0EESZ_EEDaSU_SV_EUlSU_E_NS1_11comp_targetILNS1_3genE4ELNS1_11target_archE910ELNS1_3gpuE8ELNS1_3repE0EEENS1_30default_config_static_selectorELNS0_4arch9wavefront6targetE1EEEvT1_
		.amdhsa_group_segment_fixed_size 0
		.amdhsa_private_segment_fixed_size 0
		.amdhsa_kernarg_size 128
		.amdhsa_user_sgpr_count 2
		.amdhsa_user_sgpr_dispatch_ptr 0
		.amdhsa_user_sgpr_queue_ptr 0
		.amdhsa_user_sgpr_kernarg_segment_ptr 1
		.amdhsa_user_sgpr_dispatch_id 0
		.amdhsa_user_sgpr_kernarg_preload_length 0
		.amdhsa_user_sgpr_kernarg_preload_offset 0
		.amdhsa_user_sgpr_private_segment_size 0
		.amdhsa_uses_dynamic_stack 0
		.amdhsa_enable_private_segment 0
		.amdhsa_system_sgpr_workgroup_id_x 1
		.amdhsa_system_sgpr_workgroup_id_y 0
		.amdhsa_system_sgpr_workgroup_id_z 0
		.amdhsa_system_sgpr_workgroup_info 0
		.amdhsa_system_vgpr_workitem_id 0
		.amdhsa_next_free_vgpr 1
		.amdhsa_next_free_sgpr 0
		.amdhsa_accum_offset 4
		.amdhsa_reserve_vcc 0
		.amdhsa_float_round_mode_32 0
		.amdhsa_float_round_mode_16_64 0
		.amdhsa_float_denorm_mode_32 3
		.amdhsa_float_denorm_mode_16_64 3
		.amdhsa_dx10_clamp 1
		.amdhsa_ieee_mode 1
		.amdhsa_fp16_overflow 0
		.amdhsa_tg_split 0
		.amdhsa_exception_fp_ieee_invalid_op 0
		.amdhsa_exception_fp_denorm_src 0
		.amdhsa_exception_fp_ieee_div_zero 0
		.amdhsa_exception_fp_ieee_overflow 0
		.amdhsa_exception_fp_ieee_underflow 0
		.amdhsa_exception_fp_ieee_inexact 0
		.amdhsa_exception_int_div_zero 0
	.end_amdhsa_kernel
	.section	.text._ZN7rocprim17ROCPRIM_400000_NS6detail17trampoline_kernelINS0_14default_configENS1_33run_length_encode_config_selectorIfjNS0_4plusIjEEEEZZNS1_33reduce_by_key_impl_wrapped_configILNS1_25lookback_scan_determinismE0ES3_S7_PKfNS0_17constant_iteratorIjlEEPfPlSF_S6_NS0_8equal_toIfEEEE10hipError_tPvRmT2_T3_mT4_T5_T6_T7_T8_P12ihipStream_tbENKUlT_T0_E_clISt17integral_constantIbLb0EESZ_EEDaSU_SV_EUlSU_E_NS1_11comp_targetILNS1_3genE4ELNS1_11target_archE910ELNS1_3gpuE8ELNS1_3repE0EEENS1_30default_config_static_selectorELNS0_4arch9wavefront6targetE1EEEvT1_,"axG",@progbits,_ZN7rocprim17ROCPRIM_400000_NS6detail17trampoline_kernelINS0_14default_configENS1_33run_length_encode_config_selectorIfjNS0_4plusIjEEEEZZNS1_33reduce_by_key_impl_wrapped_configILNS1_25lookback_scan_determinismE0ES3_S7_PKfNS0_17constant_iteratorIjlEEPfPlSF_S6_NS0_8equal_toIfEEEE10hipError_tPvRmT2_T3_mT4_T5_T6_T7_T8_P12ihipStream_tbENKUlT_T0_E_clISt17integral_constantIbLb0EESZ_EEDaSU_SV_EUlSU_E_NS1_11comp_targetILNS1_3genE4ELNS1_11target_archE910ELNS1_3gpuE8ELNS1_3repE0EEENS1_30default_config_static_selectorELNS0_4arch9wavefront6targetE1EEEvT1_,comdat
.Lfunc_end375:
	.size	_ZN7rocprim17ROCPRIM_400000_NS6detail17trampoline_kernelINS0_14default_configENS1_33run_length_encode_config_selectorIfjNS0_4plusIjEEEEZZNS1_33reduce_by_key_impl_wrapped_configILNS1_25lookback_scan_determinismE0ES3_S7_PKfNS0_17constant_iteratorIjlEEPfPlSF_S6_NS0_8equal_toIfEEEE10hipError_tPvRmT2_T3_mT4_T5_T6_T7_T8_P12ihipStream_tbENKUlT_T0_E_clISt17integral_constantIbLb0EESZ_EEDaSU_SV_EUlSU_E_NS1_11comp_targetILNS1_3genE4ELNS1_11target_archE910ELNS1_3gpuE8ELNS1_3repE0EEENS1_30default_config_static_selectorELNS0_4arch9wavefront6targetE1EEEvT1_, .Lfunc_end375-_ZN7rocprim17ROCPRIM_400000_NS6detail17trampoline_kernelINS0_14default_configENS1_33run_length_encode_config_selectorIfjNS0_4plusIjEEEEZZNS1_33reduce_by_key_impl_wrapped_configILNS1_25lookback_scan_determinismE0ES3_S7_PKfNS0_17constant_iteratorIjlEEPfPlSF_S6_NS0_8equal_toIfEEEE10hipError_tPvRmT2_T3_mT4_T5_T6_T7_T8_P12ihipStream_tbENKUlT_T0_E_clISt17integral_constantIbLb0EESZ_EEDaSU_SV_EUlSU_E_NS1_11comp_targetILNS1_3genE4ELNS1_11target_archE910ELNS1_3gpuE8ELNS1_3repE0EEENS1_30default_config_static_selectorELNS0_4arch9wavefront6targetE1EEEvT1_
                                        ; -- End function
	.section	.AMDGPU.csdata,"",@progbits
; Kernel info:
; codeLenInByte = 0
; NumSgprs: 6
; NumVgprs: 0
; NumAgprs: 0
; TotalNumVgprs: 0
; ScratchSize: 0
; MemoryBound: 0
; FloatMode: 240
; IeeeMode: 1
; LDSByteSize: 0 bytes/workgroup (compile time only)
; SGPRBlocks: 0
; VGPRBlocks: 0
; NumSGPRsForWavesPerEU: 6
; NumVGPRsForWavesPerEU: 1
; AccumOffset: 4
; Occupancy: 8
; WaveLimiterHint : 0
; COMPUTE_PGM_RSRC2:SCRATCH_EN: 0
; COMPUTE_PGM_RSRC2:USER_SGPR: 2
; COMPUTE_PGM_RSRC2:TRAP_HANDLER: 0
; COMPUTE_PGM_RSRC2:TGID_X_EN: 1
; COMPUTE_PGM_RSRC2:TGID_Y_EN: 0
; COMPUTE_PGM_RSRC2:TGID_Z_EN: 0
; COMPUTE_PGM_RSRC2:TIDIG_COMP_CNT: 0
; COMPUTE_PGM_RSRC3_GFX90A:ACCUM_OFFSET: 0
; COMPUTE_PGM_RSRC3_GFX90A:TG_SPLIT: 0
	.section	.text._ZN7rocprim17ROCPRIM_400000_NS6detail17trampoline_kernelINS0_14default_configENS1_33run_length_encode_config_selectorIfjNS0_4plusIjEEEEZZNS1_33reduce_by_key_impl_wrapped_configILNS1_25lookback_scan_determinismE0ES3_S7_PKfNS0_17constant_iteratorIjlEEPfPlSF_S6_NS0_8equal_toIfEEEE10hipError_tPvRmT2_T3_mT4_T5_T6_T7_T8_P12ihipStream_tbENKUlT_T0_E_clISt17integral_constantIbLb0EESZ_EEDaSU_SV_EUlSU_E_NS1_11comp_targetILNS1_3genE3ELNS1_11target_archE908ELNS1_3gpuE7ELNS1_3repE0EEENS1_30default_config_static_selectorELNS0_4arch9wavefront6targetE1EEEvT1_,"axG",@progbits,_ZN7rocprim17ROCPRIM_400000_NS6detail17trampoline_kernelINS0_14default_configENS1_33run_length_encode_config_selectorIfjNS0_4plusIjEEEEZZNS1_33reduce_by_key_impl_wrapped_configILNS1_25lookback_scan_determinismE0ES3_S7_PKfNS0_17constant_iteratorIjlEEPfPlSF_S6_NS0_8equal_toIfEEEE10hipError_tPvRmT2_T3_mT4_T5_T6_T7_T8_P12ihipStream_tbENKUlT_T0_E_clISt17integral_constantIbLb0EESZ_EEDaSU_SV_EUlSU_E_NS1_11comp_targetILNS1_3genE3ELNS1_11target_archE908ELNS1_3gpuE7ELNS1_3repE0EEENS1_30default_config_static_selectorELNS0_4arch9wavefront6targetE1EEEvT1_,comdat
	.protected	_ZN7rocprim17ROCPRIM_400000_NS6detail17trampoline_kernelINS0_14default_configENS1_33run_length_encode_config_selectorIfjNS0_4plusIjEEEEZZNS1_33reduce_by_key_impl_wrapped_configILNS1_25lookback_scan_determinismE0ES3_S7_PKfNS0_17constant_iteratorIjlEEPfPlSF_S6_NS0_8equal_toIfEEEE10hipError_tPvRmT2_T3_mT4_T5_T6_T7_T8_P12ihipStream_tbENKUlT_T0_E_clISt17integral_constantIbLb0EESZ_EEDaSU_SV_EUlSU_E_NS1_11comp_targetILNS1_3genE3ELNS1_11target_archE908ELNS1_3gpuE7ELNS1_3repE0EEENS1_30default_config_static_selectorELNS0_4arch9wavefront6targetE1EEEvT1_ ; -- Begin function _ZN7rocprim17ROCPRIM_400000_NS6detail17trampoline_kernelINS0_14default_configENS1_33run_length_encode_config_selectorIfjNS0_4plusIjEEEEZZNS1_33reduce_by_key_impl_wrapped_configILNS1_25lookback_scan_determinismE0ES3_S7_PKfNS0_17constant_iteratorIjlEEPfPlSF_S6_NS0_8equal_toIfEEEE10hipError_tPvRmT2_T3_mT4_T5_T6_T7_T8_P12ihipStream_tbENKUlT_T0_E_clISt17integral_constantIbLb0EESZ_EEDaSU_SV_EUlSU_E_NS1_11comp_targetILNS1_3genE3ELNS1_11target_archE908ELNS1_3gpuE7ELNS1_3repE0EEENS1_30default_config_static_selectorELNS0_4arch9wavefront6targetE1EEEvT1_
	.globl	_ZN7rocprim17ROCPRIM_400000_NS6detail17trampoline_kernelINS0_14default_configENS1_33run_length_encode_config_selectorIfjNS0_4plusIjEEEEZZNS1_33reduce_by_key_impl_wrapped_configILNS1_25lookback_scan_determinismE0ES3_S7_PKfNS0_17constant_iteratorIjlEEPfPlSF_S6_NS0_8equal_toIfEEEE10hipError_tPvRmT2_T3_mT4_T5_T6_T7_T8_P12ihipStream_tbENKUlT_T0_E_clISt17integral_constantIbLb0EESZ_EEDaSU_SV_EUlSU_E_NS1_11comp_targetILNS1_3genE3ELNS1_11target_archE908ELNS1_3gpuE7ELNS1_3repE0EEENS1_30default_config_static_selectorELNS0_4arch9wavefront6targetE1EEEvT1_
	.p2align	8
	.type	_ZN7rocprim17ROCPRIM_400000_NS6detail17trampoline_kernelINS0_14default_configENS1_33run_length_encode_config_selectorIfjNS0_4plusIjEEEEZZNS1_33reduce_by_key_impl_wrapped_configILNS1_25lookback_scan_determinismE0ES3_S7_PKfNS0_17constant_iteratorIjlEEPfPlSF_S6_NS0_8equal_toIfEEEE10hipError_tPvRmT2_T3_mT4_T5_T6_T7_T8_P12ihipStream_tbENKUlT_T0_E_clISt17integral_constantIbLb0EESZ_EEDaSU_SV_EUlSU_E_NS1_11comp_targetILNS1_3genE3ELNS1_11target_archE908ELNS1_3gpuE7ELNS1_3repE0EEENS1_30default_config_static_selectorELNS0_4arch9wavefront6targetE1EEEvT1_,@function
_ZN7rocprim17ROCPRIM_400000_NS6detail17trampoline_kernelINS0_14default_configENS1_33run_length_encode_config_selectorIfjNS0_4plusIjEEEEZZNS1_33reduce_by_key_impl_wrapped_configILNS1_25lookback_scan_determinismE0ES3_S7_PKfNS0_17constant_iteratorIjlEEPfPlSF_S6_NS0_8equal_toIfEEEE10hipError_tPvRmT2_T3_mT4_T5_T6_T7_T8_P12ihipStream_tbENKUlT_T0_E_clISt17integral_constantIbLb0EESZ_EEDaSU_SV_EUlSU_E_NS1_11comp_targetILNS1_3genE3ELNS1_11target_archE908ELNS1_3gpuE7ELNS1_3repE0EEENS1_30default_config_static_selectorELNS0_4arch9wavefront6targetE1EEEvT1_: ; @_ZN7rocprim17ROCPRIM_400000_NS6detail17trampoline_kernelINS0_14default_configENS1_33run_length_encode_config_selectorIfjNS0_4plusIjEEEEZZNS1_33reduce_by_key_impl_wrapped_configILNS1_25lookback_scan_determinismE0ES3_S7_PKfNS0_17constant_iteratorIjlEEPfPlSF_S6_NS0_8equal_toIfEEEE10hipError_tPvRmT2_T3_mT4_T5_T6_T7_T8_P12ihipStream_tbENKUlT_T0_E_clISt17integral_constantIbLb0EESZ_EEDaSU_SV_EUlSU_E_NS1_11comp_targetILNS1_3genE3ELNS1_11target_archE908ELNS1_3gpuE7ELNS1_3repE0EEENS1_30default_config_static_selectorELNS0_4arch9wavefront6targetE1EEEvT1_
; %bb.0:
	.section	.rodata,"a",@progbits
	.p2align	6, 0x0
	.amdhsa_kernel _ZN7rocprim17ROCPRIM_400000_NS6detail17trampoline_kernelINS0_14default_configENS1_33run_length_encode_config_selectorIfjNS0_4plusIjEEEEZZNS1_33reduce_by_key_impl_wrapped_configILNS1_25lookback_scan_determinismE0ES3_S7_PKfNS0_17constant_iteratorIjlEEPfPlSF_S6_NS0_8equal_toIfEEEE10hipError_tPvRmT2_T3_mT4_T5_T6_T7_T8_P12ihipStream_tbENKUlT_T0_E_clISt17integral_constantIbLb0EESZ_EEDaSU_SV_EUlSU_E_NS1_11comp_targetILNS1_3genE3ELNS1_11target_archE908ELNS1_3gpuE7ELNS1_3repE0EEENS1_30default_config_static_selectorELNS0_4arch9wavefront6targetE1EEEvT1_
		.amdhsa_group_segment_fixed_size 0
		.amdhsa_private_segment_fixed_size 0
		.amdhsa_kernarg_size 128
		.amdhsa_user_sgpr_count 2
		.amdhsa_user_sgpr_dispatch_ptr 0
		.amdhsa_user_sgpr_queue_ptr 0
		.amdhsa_user_sgpr_kernarg_segment_ptr 1
		.amdhsa_user_sgpr_dispatch_id 0
		.amdhsa_user_sgpr_kernarg_preload_length 0
		.amdhsa_user_sgpr_kernarg_preload_offset 0
		.amdhsa_user_sgpr_private_segment_size 0
		.amdhsa_uses_dynamic_stack 0
		.amdhsa_enable_private_segment 0
		.amdhsa_system_sgpr_workgroup_id_x 1
		.amdhsa_system_sgpr_workgroup_id_y 0
		.amdhsa_system_sgpr_workgroup_id_z 0
		.amdhsa_system_sgpr_workgroup_info 0
		.amdhsa_system_vgpr_workitem_id 0
		.amdhsa_next_free_vgpr 1
		.amdhsa_next_free_sgpr 0
		.amdhsa_accum_offset 4
		.amdhsa_reserve_vcc 0
		.amdhsa_float_round_mode_32 0
		.amdhsa_float_round_mode_16_64 0
		.amdhsa_float_denorm_mode_32 3
		.amdhsa_float_denorm_mode_16_64 3
		.amdhsa_dx10_clamp 1
		.amdhsa_ieee_mode 1
		.amdhsa_fp16_overflow 0
		.amdhsa_tg_split 0
		.amdhsa_exception_fp_ieee_invalid_op 0
		.amdhsa_exception_fp_denorm_src 0
		.amdhsa_exception_fp_ieee_div_zero 0
		.amdhsa_exception_fp_ieee_overflow 0
		.amdhsa_exception_fp_ieee_underflow 0
		.amdhsa_exception_fp_ieee_inexact 0
		.amdhsa_exception_int_div_zero 0
	.end_amdhsa_kernel
	.section	.text._ZN7rocprim17ROCPRIM_400000_NS6detail17trampoline_kernelINS0_14default_configENS1_33run_length_encode_config_selectorIfjNS0_4plusIjEEEEZZNS1_33reduce_by_key_impl_wrapped_configILNS1_25lookback_scan_determinismE0ES3_S7_PKfNS0_17constant_iteratorIjlEEPfPlSF_S6_NS0_8equal_toIfEEEE10hipError_tPvRmT2_T3_mT4_T5_T6_T7_T8_P12ihipStream_tbENKUlT_T0_E_clISt17integral_constantIbLb0EESZ_EEDaSU_SV_EUlSU_E_NS1_11comp_targetILNS1_3genE3ELNS1_11target_archE908ELNS1_3gpuE7ELNS1_3repE0EEENS1_30default_config_static_selectorELNS0_4arch9wavefront6targetE1EEEvT1_,"axG",@progbits,_ZN7rocprim17ROCPRIM_400000_NS6detail17trampoline_kernelINS0_14default_configENS1_33run_length_encode_config_selectorIfjNS0_4plusIjEEEEZZNS1_33reduce_by_key_impl_wrapped_configILNS1_25lookback_scan_determinismE0ES3_S7_PKfNS0_17constant_iteratorIjlEEPfPlSF_S6_NS0_8equal_toIfEEEE10hipError_tPvRmT2_T3_mT4_T5_T6_T7_T8_P12ihipStream_tbENKUlT_T0_E_clISt17integral_constantIbLb0EESZ_EEDaSU_SV_EUlSU_E_NS1_11comp_targetILNS1_3genE3ELNS1_11target_archE908ELNS1_3gpuE7ELNS1_3repE0EEENS1_30default_config_static_selectorELNS0_4arch9wavefront6targetE1EEEvT1_,comdat
.Lfunc_end376:
	.size	_ZN7rocprim17ROCPRIM_400000_NS6detail17trampoline_kernelINS0_14default_configENS1_33run_length_encode_config_selectorIfjNS0_4plusIjEEEEZZNS1_33reduce_by_key_impl_wrapped_configILNS1_25lookback_scan_determinismE0ES3_S7_PKfNS0_17constant_iteratorIjlEEPfPlSF_S6_NS0_8equal_toIfEEEE10hipError_tPvRmT2_T3_mT4_T5_T6_T7_T8_P12ihipStream_tbENKUlT_T0_E_clISt17integral_constantIbLb0EESZ_EEDaSU_SV_EUlSU_E_NS1_11comp_targetILNS1_3genE3ELNS1_11target_archE908ELNS1_3gpuE7ELNS1_3repE0EEENS1_30default_config_static_selectorELNS0_4arch9wavefront6targetE1EEEvT1_, .Lfunc_end376-_ZN7rocprim17ROCPRIM_400000_NS6detail17trampoline_kernelINS0_14default_configENS1_33run_length_encode_config_selectorIfjNS0_4plusIjEEEEZZNS1_33reduce_by_key_impl_wrapped_configILNS1_25lookback_scan_determinismE0ES3_S7_PKfNS0_17constant_iteratorIjlEEPfPlSF_S6_NS0_8equal_toIfEEEE10hipError_tPvRmT2_T3_mT4_T5_T6_T7_T8_P12ihipStream_tbENKUlT_T0_E_clISt17integral_constantIbLb0EESZ_EEDaSU_SV_EUlSU_E_NS1_11comp_targetILNS1_3genE3ELNS1_11target_archE908ELNS1_3gpuE7ELNS1_3repE0EEENS1_30default_config_static_selectorELNS0_4arch9wavefront6targetE1EEEvT1_
                                        ; -- End function
	.section	.AMDGPU.csdata,"",@progbits
; Kernel info:
; codeLenInByte = 0
; NumSgprs: 6
; NumVgprs: 0
; NumAgprs: 0
; TotalNumVgprs: 0
; ScratchSize: 0
; MemoryBound: 0
; FloatMode: 240
; IeeeMode: 1
; LDSByteSize: 0 bytes/workgroup (compile time only)
; SGPRBlocks: 0
; VGPRBlocks: 0
; NumSGPRsForWavesPerEU: 6
; NumVGPRsForWavesPerEU: 1
; AccumOffset: 4
; Occupancy: 8
; WaveLimiterHint : 0
; COMPUTE_PGM_RSRC2:SCRATCH_EN: 0
; COMPUTE_PGM_RSRC2:USER_SGPR: 2
; COMPUTE_PGM_RSRC2:TRAP_HANDLER: 0
; COMPUTE_PGM_RSRC2:TGID_X_EN: 1
; COMPUTE_PGM_RSRC2:TGID_Y_EN: 0
; COMPUTE_PGM_RSRC2:TGID_Z_EN: 0
; COMPUTE_PGM_RSRC2:TIDIG_COMP_CNT: 0
; COMPUTE_PGM_RSRC3_GFX90A:ACCUM_OFFSET: 0
; COMPUTE_PGM_RSRC3_GFX90A:TG_SPLIT: 0
	.section	.text._ZN7rocprim17ROCPRIM_400000_NS6detail17trampoline_kernelINS0_14default_configENS1_33run_length_encode_config_selectorIfjNS0_4plusIjEEEEZZNS1_33reduce_by_key_impl_wrapped_configILNS1_25lookback_scan_determinismE0ES3_S7_PKfNS0_17constant_iteratorIjlEEPfPlSF_S6_NS0_8equal_toIfEEEE10hipError_tPvRmT2_T3_mT4_T5_T6_T7_T8_P12ihipStream_tbENKUlT_T0_E_clISt17integral_constantIbLb0EESZ_EEDaSU_SV_EUlSU_E_NS1_11comp_targetILNS1_3genE2ELNS1_11target_archE906ELNS1_3gpuE6ELNS1_3repE0EEENS1_30default_config_static_selectorELNS0_4arch9wavefront6targetE1EEEvT1_,"axG",@progbits,_ZN7rocprim17ROCPRIM_400000_NS6detail17trampoline_kernelINS0_14default_configENS1_33run_length_encode_config_selectorIfjNS0_4plusIjEEEEZZNS1_33reduce_by_key_impl_wrapped_configILNS1_25lookback_scan_determinismE0ES3_S7_PKfNS0_17constant_iteratorIjlEEPfPlSF_S6_NS0_8equal_toIfEEEE10hipError_tPvRmT2_T3_mT4_T5_T6_T7_T8_P12ihipStream_tbENKUlT_T0_E_clISt17integral_constantIbLb0EESZ_EEDaSU_SV_EUlSU_E_NS1_11comp_targetILNS1_3genE2ELNS1_11target_archE906ELNS1_3gpuE6ELNS1_3repE0EEENS1_30default_config_static_selectorELNS0_4arch9wavefront6targetE1EEEvT1_,comdat
	.protected	_ZN7rocprim17ROCPRIM_400000_NS6detail17trampoline_kernelINS0_14default_configENS1_33run_length_encode_config_selectorIfjNS0_4plusIjEEEEZZNS1_33reduce_by_key_impl_wrapped_configILNS1_25lookback_scan_determinismE0ES3_S7_PKfNS0_17constant_iteratorIjlEEPfPlSF_S6_NS0_8equal_toIfEEEE10hipError_tPvRmT2_T3_mT4_T5_T6_T7_T8_P12ihipStream_tbENKUlT_T0_E_clISt17integral_constantIbLb0EESZ_EEDaSU_SV_EUlSU_E_NS1_11comp_targetILNS1_3genE2ELNS1_11target_archE906ELNS1_3gpuE6ELNS1_3repE0EEENS1_30default_config_static_selectorELNS0_4arch9wavefront6targetE1EEEvT1_ ; -- Begin function _ZN7rocprim17ROCPRIM_400000_NS6detail17trampoline_kernelINS0_14default_configENS1_33run_length_encode_config_selectorIfjNS0_4plusIjEEEEZZNS1_33reduce_by_key_impl_wrapped_configILNS1_25lookback_scan_determinismE0ES3_S7_PKfNS0_17constant_iteratorIjlEEPfPlSF_S6_NS0_8equal_toIfEEEE10hipError_tPvRmT2_T3_mT4_T5_T6_T7_T8_P12ihipStream_tbENKUlT_T0_E_clISt17integral_constantIbLb0EESZ_EEDaSU_SV_EUlSU_E_NS1_11comp_targetILNS1_3genE2ELNS1_11target_archE906ELNS1_3gpuE6ELNS1_3repE0EEENS1_30default_config_static_selectorELNS0_4arch9wavefront6targetE1EEEvT1_
	.globl	_ZN7rocprim17ROCPRIM_400000_NS6detail17trampoline_kernelINS0_14default_configENS1_33run_length_encode_config_selectorIfjNS0_4plusIjEEEEZZNS1_33reduce_by_key_impl_wrapped_configILNS1_25lookback_scan_determinismE0ES3_S7_PKfNS0_17constant_iteratorIjlEEPfPlSF_S6_NS0_8equal_toIfEEEE10hipError_tPvRmT2_T3_mT4_T5_T6_T7_T8_P12ihipStream_tbENKUlT_T0_E_clISt17integral_constantIbLb0EESZ_EEDaSU_SV_EUlSU_E_NS1_11comp_targetILNS1_3genE2ELNS1_11target_archE906ELNS1_3gpuE6ELNS1_3repE0EEENS1_30default_config_static_selectorELNS0_4arch9wavefront6targetE1EEEvT1_
	.p2align	8
	.type	_ZN7rocprim17ROCPRIM_400000_NS6detail17trampoline_kernelINS0_14default_configENS1_33run_length_encode_config_selectorIfjNS0_4plusIjEEEEZZNS1_33reduce_by_key_impl_wrapped_configILNS1_25lookback_scan_determinismE0ES3_S7_PKfNS0_17constant_iteratorIjlEEPfPlSF_S6_NS0_8equal_toIfEEEE10hipError_tPvRmT2_T3_mT4_T5_T6_T7_T8_P12ihipStream_tbENKUlT_T0_E_clISt17integral_constantIbLb0EESZ_EEDaSU_SV_EUlSU_E_NS1_11comp_targetILNS1_3genE2ELNS1_11target_archE906ELNS1_3gpuE6ELNS1_3repE0EEENS1_30default_config_static_selectorELNS0_4arch9wavefront6targetE1EEEvT1_,@function
_ZN7rocprim17ROCPRIM_400000_NS6detail17trampoline_kernelINS0_14default_configENS1_33run_length_encode_config_selectorIfjNS0_4plusIjEEEEZZNS1_33reduce_by_key_impl_wrapped_configILNS1_25lookback_scan_determinismE0ES3_S7_PKfNS0_17constant_iteratorIjlEEPfPlSF_S6_NS0_8equal_toIfEEEE10hipError_tPvRmT2_T3_mT4_T5_T6_T7_T8_P12ihipStream_tbENKUlT_T0_E_clISt17integral_constantIbLb0EESZ_EEDaSU_SV_EUlSU_E_NS1_11comp_targetILNS1_3genE2ELNS1_11target_archE906ELNS1_3gpuE6ELNS1_3repE0EEENS1_30default_config_static_selectorELNS0_4arch9wavefront6targetE1EEEvT1_: ; @_ZN7rocprim17ROCPRIM_400000_NS6detail17trampoline_kernelINS0_14default_configENS1_33run_length_encode_config_selectorIfjNS0_4plusIjEEEEZZNS1_33reduce_by_key_impl_wrapped_configILNS1_25lookback_scan_determinismE0ES3_S7_PKfNS0_17constant_iteratorIjlEEPfPlSF_S6_NS0_8equal_toIfEEEE10hipError_tPvRmT2_T3_mT4_T5_T6_T7_T8_P12ihipStream_tbENKUlT_T0_E_clISt17integral_constantIbLb0EESZ_EEDaSU_SV_EUlSU_E_NS1_11comp_targetILNS1_3genE2ELNS1_11target_archE906ELNS1_3gpuE6ELNS1_3repE0EEENS1_30default_config_static_selectorELNS0_4arch9wavefront6targetE1EEEvT1_
; %bb.0:
	.section	.rodata,"a",@progbits
	.p2align	6, 0x0
	.amdhsa_kernel _ZN7rocprim17ROCPRIM_400000_NS6detail17trampoline_kernelINS0_14default_configENS1_33run_length_encode_config_selectorIfjNS0_4plusIjEEEEZZNS1_33reduce_by_key_impl_wrapped_configILNS1_25lookback_scan_determinismE0ES3_S7_PKfNS0_17constant_iteratorIjlEEPfPlSF_S6_NS0_8equal_toIfEEEE10hipError_tPvRmT2_T3_mT4_T5_T6_T7_T8_P12ihipStream_tbENKUlT_T0_E_clISt17integral_constantIbLb0EESZ_EEDaSU_SV_EUlSU_E_NS1_11comp_targetILNS1_3genE2ELNS1_11target_archE906ELNS1_3gpuE6ELNS1_3repE0EEENS1_30default_config_static_selectorELNS0_4arch9wavefront6targetE1EEEvT1_
		.amdhsa_group_segment_fixed_size 0
		.amdhsa_private_segment_fixed_size 0
		.amdhsa_kernarg_size 128
		.amdhsa_user_sgpr_count 2
		.amdhsa_user_sgpr_dispatch_ptr 0
		.amdhsa_user_sgpr_queue_ptr 0
		.amdhsa_user_sgpr_kernarg_segment_ptr 1
		.amdhsa_user_sgpr_dispatch_id 0
		.amdhsa_user_sgpr_kernarg_preload_length 0
		.amdhsa_user_sgpr_kernarg_preload_offset 0
		.amdhsa_user_sgpr_private_segment_size 0
		.amdhsa_uses_dynamic_stack 0
		.amdhsa_enable_private_segment 0
		.amdhsa_system_sgpr_workgroup_id_x 1
		.amdhsa_system_sgpr_workgroup_id_y 0
		.amdhsa_system_sgpr_workgroup_id_z 0
		.amdhsa_system_sgpr_workgroup_info 0
		.amdhsa_system_vgpr_workitem_id 0
		.amdhsa_next_free_vgpr 1
		.amdhsa_next_free_sgpr 0
		.amdhsa_accum_offset 4
		.amdhsa_reserve_vcc 0
		.amdhsa_float_round_mode_32 0
		.amdhsa_float_round_mode_16_64 0
		.amdhsa_float_denorm_mode_32 3
		.amdhsa_float_denorm_mode_16_64 3
		.amdhsa_dx10_clamp 1
		.amdhsa_ieee_mode 1
		.amdhsa_fp16_overflow 0
		.amdhsa_tg_split 0
		.amdhsa_exception_fp_ieee_invalid_op 0
		.amdhsa_exception_fp_denorm_src 0
		.amdhsa_exception_fp_ieee_div_zero 0
		.amdhsa_exception_fp_ieee_overflow 0
		.amdhsa_exception_fp_ieee_underflow 0
		.amdhsa_exception_fp_ieee_inexact 0
		.amdhsa_exception_int_div_zero 0
	.end_amdhsa_kernel
	.section	.text._ZN7rocprim17ROCPRIM_400000_NS6detail17trampoline_kernelINS0_14default_configENS1_33run_length_encode_config_selectorIfjNS0_4plusIjEEEEZZNS1_33reduce_by_key_impl_wrapped_configILNS1_25lookback_scan_determinismE0ES3_S7_PKfNS0_17constant_iteratorIjlEEPfPlSF_S6_NS0_8equal_toIfEEEE10hipError_tPvRmT2_T3_mT4_T5_T6_T7_T8_P12ihipStream_tbENKUlT_T0_E_clISt17integral_constantIbLb0EESZ_EEDaSU_SV_EUlSU_E_NS1_11comp_targetILNS1_3genE2ELNS1_11target_archE906ELNS1_3gpuE6ELNS1_3repE0EEENS1_30default_config_static_selectorELNS0_4arch9wavefront6targetE1EEEvT1_,"axG",@progbits,_ZN7rocprim17ROCPRIM_400000_NS6detail17trampoline_kernelINS0_14default_configENS1_33run_length_encode_config_selectorIfjNS0_4plusIjEEEEZZNS1_33reduce_by_key_impl_wrapped_configILNS1_25lookback_scan_determinismE0ES3_S7_PKfNS0_17constant_iteratorIjlEEPfPlSF_S6_NS0_8equal_toIfEEEE10hipError_tPvRmT2_T3_mT4_T5_T6_T7_T8_P12ihipStream_tbENKUlT_T0_E_clISt17integral_constantIbLb0EESZ_EEDaSU_SV_EUlSU_E_NS1_11comp_targetILNS1_3genE2ELNS1_11target_archE906ELNS1_3gpuE6ELNS1_3repE0EEENS1_30default_config_static_selectorELNS0_4arch9wavefront6targetE1EEEvT1_,comdat
.Lfunc_end377:
	.size	_ZN7rocprim17ROCPRIM_400000_NS6detail17trampoline_kernelINS0_14default_configENS1_33run_length_encode_config_selectorIfjNS0_4plusIjEEEEZZNS1_33reduce_by_key_impl_wrapped_configILNS1_25lookback_scan_determinismE0ES3_S7_PKfNS0_17constant_iteratorIjlEEPfPlSF_S6_NS0_8equal_toIfEEEE10hipError_tPvRmT2_T3_mT4_T5_T6_T7_T8_P12ihipStream_tbENKUlT_T0_E_clISt17integral_constantIbLb0EESZ_EEDaSU_SV_EUlSU_E_NS1_11comp_targetILNS1_3genE2ELNS1_11target_archE906ELNS1_3gpuE6ELNS1_3repE0EEENS1_30default_config_static_selectorELNS0_4arch9wavefront6targetE1EEEvT1_, .Lfunc_end377-_ZN7rocprim17ROCPRIM_400000_NS6detail17trampoline_kernelINS0_14default_configENS1_33run_length_encode_config_selectorIfjNS0_4plusIjEEEEZZNS1_33reduce_by_key_impl_wrapped_configILNS1_25lookback_scan_determinismE0ES3_S7_PKfNS0_17constant_iteratorIjlEEPfPlSF_S6_NS0_8equal_toIfEEEE10hipError_tPvRmT2_T3_mT4_T5_T6_T7_T8_P12ihipStream_tbENKUlT_T0_E_clISt17integral_constantIbLb0EESZ_EEDaSU_SV_EUlSU_E_NS1_11comp_targetILNS1_3genE2ELNS1_11target_archE906ELNS1_3gpuE6ELNS1_3repE0EEENS1_30default_config_static_selectorELNS0_4arch9wavefront6targetE1EEEvT1_
                                        ; -- End function
	.section	.AMDGPU.csdata,"",@progbits
; Kernel info:
; codeLenInByte = 0
; NumSgprs: 6
; NumVgprs: 0
; NumAgprs: 0
; TotalNumVgprs: 0
; ScratchSize: 0
; MemoryBound: 0
; FloatMode: 240
; IeeeMode: 1
; LDSByteSize: 0 bytes/workgroup (compile time only)
; SGPRBlocks: 0
; VGPRBlocks: 0
; NumSGPRsForWavesPerEU: 6
; NumVGPRsForWavesPerEU: 1
; AccumOffset: 4
; Occupancy: 8
; WaveLimiterHint : 0
; COMPUTE_PGM_RSRC2:SCRATCH_EN: 0
; COMPUTE_PGM_RSRC2:USER_SGPR: 2
; COMPUTE_PGM_RSRC2:TRAP_HANDLER: 0
; COMPUTE_PGM_RSRC2:TGID_X_EN: 1
; COMPUTE_PGM_RSRC2:TGID_Y_EN: 0
; COMPUTE_PGM_RSRC2:TGID_Z_EN: 0
; COMPUTE_PGM_RSRC2:TIDIG_COMP_CNT: 0
; COMPUTE_PGM_RSRC3_GFX90A:ACCUM_OFFSET: 0
; COMPUTE_PGM_RSRC3_GFX90A:TG_SPLIT: 0
	.section	.text._ZN7rocprim17ROCPRIM_400000_NS6detail17trampoline_kernelINS0_14default_configENS1_33run_length_encode_config_selectorIfjNS0_4plusIjEEEEZZNS1_33reduce_by_key_impl_wrapped_configILNS1_25lookback_scan_determinismE0ES3_S7_PKfNS0_17constant_iteratorIjlEEPfPlSF_S6_NS0_8equal_toIfEEEE10hipError_tPvRmT2_T3_mT4_T5_T6_T7_T8_P12ihipStream_tbENKUlT_T0_E_clISt17integral_constantIbLb0EESZ_EEDaSU_SV_EUlSU_E_NS1_11comp_targetILNS1_3genE10ELNS1_11target_archE1201ELNS1_3gpuE5ELNS1_3repE0EEENS1_30default_config_static_selectorELNS0_4arch9wavefront6targetE1EEEvT1_,"axG",@progbits,_ZN7rocprim17ROCPRIM_400000_NS6detail17trampoline_kernelINS0_14default_configENS1_33run_length_encode_config_selectorIfjNS0_4plusIjEEEEZZNS1_33reduce_by_key_impl_wrapped_configILNS1_25lookback_scan_determinismE0ES3_S7_PKfNS0_17constant_iteratorIjlEEPfPlSF_S6_NS0_8equal_toIfEEEE10hipError_tPvRmT2_T3_mT4_T5_T6_T7_T8_P12ihipStream_tbENKUlT_T0_E_clISt17integral_constantIbLb0EESZ_EEDaSU_SV_EUlSU_E_NS1_11comp_targetILNS1_3genE10ELNS1_11target_archE1201ELNS1_3gpuE5ELNS1_3repE0EEENS1_30default_config_static_selectorELNS0_4arch9wavefront6targetE1EEEvT1_,comdat
	.protected	_ZN7rocprim17ROCPRIM_400000_NS6detail17trampoline_kernelINS0_14default_configENS1_33run_length_encode_config_selectorIfjNS0_4plusIjEEEEZZNS1_33reduce_by_key_impl_wrapped_configILNS1_25lookback_scan_determinismE0ES3_S7_PKfNS0_17constant_iteratorIjlEEPfPlSF_S6_NS0_8equal_toIfEEEE10hipError_tPvRmT2_T3_mT4_T5_T6_T7_T8_P12ihipStream_tbENKUlT_T0_E_clISt17integral_constantIbLb0EESZ_EEDaSU_SV_EUlSU_E_NS1_11comp_targetILNS1_3genE10ELNS1_11target_archE1201ELNS1_3gpuE5ELNS1_3repE0EEENS1_30default_config_static_selectorELNS0_4arch9wavefront6targetE1EEEvT1_ ; -- Begin function _ZN7rocprim17ROCPRIM_400000_NS6detail17trampoline_kernelINS0_14default_configENS1_33run_length_encode_config_selectorIfjNS0_4plusIjEEEEZZNS1_33reduce_by_key_impl_wrapped_configILNS1_25lookback_scan_determinismE0ES3_S7_PKfNS0_17constant_iteratorIjlEEPfPlSF_S6_NS0_8equal_toIfEEEE10hipError_tPvRmT2_T3_mT4_T5_T6_T7_T8_P12ihipStream_tbENKUlT_T0_E_clISt17integral_constantIbLb0EESZ_EEDaSU_SV_EUlSU_E_NS1_11comp_targetILNS1_3genE10ELNS1_11target_archE1201ELNS1_3gpuE5ELNS1_3repE0EEENS1_30default_config_static_selectorELNS0_4arch9wavefront6targetE1EEEvT1_
	.globl	_ZN7rocprim17ROCPRIM_400000_NS6detail17trampoline_kernelINS0_14default_configENS1_33run_length_encode_config_selectorIfjNS0_4plusIjEEEEZZNS1_33reduce_by_key_impl_wrapped_configILNS1_25lookback_scan_determinismE0ES3_S7_PKfNS0_17constant_iteratorIjlEEPfPlSF_S6_NS0_8equal_toIfEEEE10hipError_tPvRmT2_T3_mT4_T5_T6_T7_T8_P12ihipStream_tbENKUlT_T0_E_clISt17integral_constantIbLb0EESZ_EEDaSU_SV_EUlSU_E_NS1_11comp_targetILNS1_3genE10ELNS1_11target_archE1201ELNS1_3gpuE5ELNS1_3repE0EEENS1_30default_config_static_selectorELNS0_4arch9wavefront6targetE1EEEvT1_
	.p2align	8
	.type	_ZN7rocprim17ROCPRIM_400000_NS6detail17trampoline_kernelINS0_14default_configENS1_33run_length_encode_config_selectorIfjNS0_4plusIjEEEEZZNS1_33reduce_by_key_impl_wrapped_configILNS1_25lookback_scan_determinismE0ES3_S7_PKfNS0_17constant_iteratorIjlEEPfPlSF_S6_NS0_8equal_toIfEEEE10hipError_tPvRmT2_T3_mT4_T5_T6_T7_T8_P12ihipStream_tbENKUlT_T0_E_clISt17integral_constantIbLb0EESZ_EEDaSU_SV_EUlSU_E_NS1_11comp_targetILNS1_3genE10ELNS1_11target_archE1201ELNS1_3gpuE5ELNS1_3repE0EEENS1_30default_config_static_selectorELNS0_4arch9wavefront6targetE1EEEvT1_,@function
_ZN7rocprim17ROCPRIM_400000_NS6detail17trampoline_kernelINS0_14default_configENS1_33run_length_encode_config_selectorIfjNS0_4plusIjEEEEZZNS1_33reduce_by_key_impl_wrapped_configILNS1_25lookback_scan_determinismE0ES3_S7_PKfNS0_17constant_iteratorIjlEEPfPlSF_S6_NS0_8equal_toIfEEEE10hipError_tPvRmT2_T3_mT4_T5_T6_T7_T8_P12ihipStream_tbENKUlT_T0_E_clISt17integral_constantIbLb0EESZ_EEDaSU_SV_EUlSU_E_NS1_11comp_targetILNS1_3genE10ELNS1_11target_archE1201ELNS1_3gpuE5ELNS1_3repE0EEENS1_30default_config_static_selectorELNS0_4arch9wavefront6targetE1EEEvT1_: ; @_ZN7rocprim17ROCPRIM_400000_NS6detail17trampoline_kernelINS0_14default_configENS1_33run_length_encode_config_selectorIfjNS0_4plusIjEEEEZZNS1_33reduce_by_key_impl_wrapped_configILNS1_25lookback_scan_determinismE0ES3_S7_PKfNS0_17constant_iteratorIjlEEPfPlSF_S6_NS0_8equal_toIfEEEE10hipError_tPvRmT2_T3_mT4_T5_T6_T7_T8_P12ihipStream_tbENKUlT_T0_E_clISt17integral_constantIbLb0EESZ_EEDaSU_SV_EUlSU_E_NS1_11comp_targetILNS1_3genE10ELNS1_11target_archE1201ELNS1_3gpuE5ELNS1_3repE0EEENS1_30default_config_static_selectorELNS0_4arch9wavefront6targetE1EEEvT1_
; %bb.0:
	.section	.rodata,"a",@progbits
	.p2align	6, 0x0
	.amdhsa_kernel _ZN7rocprim17ROCPRIM_400000_NS6detail17trampoline_kernelINS0_14default_configENS1_33run_length_encode_config_selectorIfjNS0_4plusIjEEEEZZNS1_33reduce_by_key_impl_wrapped_configILNS1_25lookback_scan_determinismE0ES3_S7_PKfNS0_17constant_iteratorIjlEEPfPlSF_S6_NS0_8equal_toIfEEEE10hipError_tPvRmT2_T3_mT4_T5_T6_T7_T8_P12ihipStream_tbENKUlT_T0_E_clISt17integral_constantIbLb0EESZ_EEDaSU_SV_EUlSU_E_NS1_11comp_targetILNS1_3genE10ELNS1_11target_archE1201ELNS1_3gpuE5ELNS1_3repE0EEENS1_30default_config_static_selectorELNS0_4arch9wavefront6targetE1EEEvT1_
		.amdhsa_group_segment_fixed_size 0
		.amdhsa_private_segment_fixed_size 0
		.amdhsa_kernarg_size 128
		.amdhsa_user_sgpr_count 2
		.amdhsa_user_sgpr_dispatch_ptr 0
		.amdhsa_user_sgpr_queue_ptr 0
		.amdhsa_user_sgpr_kernarg_segment_ptr 1
		.amdhsa_user_sgpr_dispatch_id 0
		.amdhsa_user_sgpr_kernarg_preload_length 0
		.amdhsa_user_sgpr_kernarg_preload_offset 0
		.amdhsa_user_sgpr_private_segment_size 0
		.amdhsa_uses_dynamic_stack 0
		.amdhsa_enable_private_segment 0
		.amdhsa_system_sgpr_workgroup_id_x 1
		.amdhsa_system_sgpr_workgroup_id_y 0
		.amdhsa_system_sgpr_workgroup_id_z 0
		.amdhsa_system_sgpr_workgroup_info 0
		.amdhsa_system_vgpr_workitem_id 0
		.amdhsa_next_free_vgpr 1
		.amdhsa_next_free_sgpr 0
		.amdhsa_accum_offset 4
		.amdhsa_reserve_vcc 0
		.amdhsa_float_round_mode_32 0
		.amdhsa_float_round_mode_16_64 0
		.amdhsa_float_denorm_mode_32 3
		.amdhsa_float_denorm_mode_16_64 3
		.amdhsa_dx10_clamp 1
		.amdhsa_ieee_mode 1
		.amdhsa_fp16_overflow 0
		.amdhsa_tg_split 0
		.amdhsa_exception_fp_ieee_invalid_op 0
		.amdhsa_exception_fp_denorm_src 0
		.amdhsa_exception_fp_ieee_div_zero 0
		.amdhsa_exception_fp_ieee_overflow 0
		.amdhsa_exception_fp_ieee_underflow 0
		.amdhsa_exception_fp_ieee_inexact 0
		.amdhsa_exception_int_div_zero 0
	.end_amdhsa_kernel
	.section	.text._ZN7rocprim17ROCPRIM_400000_NS6detail17trampoline_kernelINS0_14default_configENS1_33run_length_encode_config_selectorIfjNS0_4plusIjEEEEZZNS1_33reduce_by_key_impl_wrapped_configILNS1_25lookback_scan_determinismE0ES3_S7_PKfNS0_17constant_iteratorIjlEEPfPlSF_S6_NS0_8equal_toIfEEEE10hipError_tPvRmT2_T3_mT4_T5_T6_T7_T8_P12ihipStream_tbENKUlT_T0_E_clISt17integral_constantIbLb0EESZ_EEDaSU_SV_EUlSU_E_NS1_11comp_targetILNS1_3genE10ELNS1_11target_archE1201ELNS1_3gpuE5ELNS1_3repE0EEENS1_30default_config_static_selectorELNS0_4arch9wavefront6targetE1EEEvT1_,"axG",@progbits,_ZN7rocprim17ROCPRIM_400000_NS6detail17trampoline_kernelINS0_14default_configENS1_33run_length_encode_config_selectorIfjNS0_4plusIjEEEEZZNS1_33reduce_by_key_impl_wrapped_configILNS1_25lookback_scan_determinismE0ES3_S7_PKfNS0_17constant_iteratorIjlEEPfPlSF_S6_NS0_8equal_toIfEEEE10hipError_tPvRmT2_T3_mT4_T5_T6_T7_T8_P12ihipStream_tbENKUlT_T0_E_clISt17integral_constantIbLb0EESZ_EEDaSU_SV_EUlSU_E_NS1_11comp_targetILNS1_3genE10ELNS1_11target_archE1201ELNS1_3gpuE5ELNS1_3repE0EEENS1_30default_config_static_selectorELNS0_4arch9wavefront6targetE1EEEvT1_,comdat
.Lfunc_end378:
	.size	_ZN7rocprim17ROCPRIM_400000_NS6detail17trampoline_kernelINS0_14default_configENS1_33run_length_encode_config_selectorIfjNS0_4plusIjEEEEZZNS1_33reduce_by_key_impl_wrapped_configILNS1_25lookback_scan_determinismE0ES3_S7_PKfNS0_17constant_iteratorIjlEEPfPlSF_S6_NS0_8equal_toIfEEEE10hipError_tPvRmT2_T3_mT4_T5_T6_T7_T8_P12ihipStream_tbENKUlT_T0_E_clISt17integral_constantIbLb0EESZ_EEDaSU_SV_EUlSU_E_NS1_11comp_targetILNS1_3genE10ELNS1_11target_archE1201ELNS1_3gpuE5ELNS1_3repE0EEENS1_30default_config_static_selectorELNS0_4arch9wavefront6targetE1EEEvT1_, .Lfunc_end378-_ZN7rocprim17ROCPRIM_400000_NS6detail17trampoline_kernelINS0_14default_configENS1_33run_length_encode_config_selectorIfjNS0_4plusIjEEEEZZNS1_33reduce_by_key_impl_wrapped_configILNS1_25lookback_scan_determinismE0ES3_S7_PKfNS0_17constant_iteratorIjlEEPfPlSF_S6_NS0_8equal_toIfEEEE10hipError_tPvRmT2_T3_mT4_T5_T6_T7_T8_P12ihipStream_tbENKUlT_T0_E_clISt17integral_constantIbLb0EESZ_EEDaSU_SV_EUlSU_E_NS1_11comp_targetILNS1_3genE10ELNS1_11target_archE1201ELNS1_3gpuE5ELNS1_3repE0EEENS1_30default_config_static_selectorELNS0_4arch9wavefront6targetE1EEEvT1_
                                        ; -- End function
	.section	.AMDGPU.csdata,"",@progbits
; Kernel info:
; codeLenInByte = 0
; NumSgprs: 6
; NumVgprs: 0
; NumAgprs: 0
; TotalNumVgprs: 0
; ScratchSize: 0
; MemoryBound: 0
; FloatMode: 240
; IeeeMode: 1
; LDSByteSize: 0 bytes/workgroup (compile time only)
; SGPRBlocks: 0
; VGPRBlocks: 0
; NumSGPRsForWavesPerEU: 6
; NumVGPRsForWavesPerEU: 1
; AccumOffset: 4
; Occupancy: 8
; WaveLimiterHint : 0
; COMPUTE_PGM_RSRC2:SCRATCH_EN: 0
; COMPUTE_PGM_RSRC2:USER_SGPR: 2
; COMPUTE_PGM_RSRC2:TRAP_HANDLER: 0
; COMPUTE_PGM_RSRC2:TGID_X_EN: 1
; COMPUTE_PGM_RSRC2:TGID_Y_EN: 0
; COMPUTE_PGM_RSRC2:TGID_Z_EN: 0
; COMPUTE_PGM_RSRC2:TIDIG_COMP_CNT: 0
; COMPUTE_PGM_RSRC3_GFX90A:ACCUM_OFFSET: 0
; COMPUTE_PGM_RSRC3_GFX90A:TG_SPLIT: 0
	.section	.text._ZN7rocprim17ROCPRIM_400000_NS6detail17trampoline_kernelINS0_14default_configENS1_33run_length_encode_config_selectorIfjNS0_4plusIjEEEEZZNS1_33reduce_by_key_impl_wrapped_configILNS1_25lookback_scan_determinismE0ES3_S7_PKfNS0_17constant_iteratorIjlEEPfPlSF_S6_NS0_8equal_toIfEEEE10hipError_tPvRmT2_T3_mT4_T5_T6_T7_T8_P12ihipStream_tbENKUlT_T0_E_clISt17integral_constantIbLb0EESZ_EEDaSU_SV_EUlSU_E_NS1_11comp_targetILNS1_3genE10ELNS1_11target_archE1200ELNS1_3gpuE4ELNS1_3repE0EEENS1_30default_config_static_selectorELNS0_4arch9wavefront6targetE1EEEvT1_,"axG",@progbits,_ZN7rocprim17ROCPRIM_400000_NS6detail17trampoline_kernelINS0_14default_configENS1_33run_length_encode_config_selectorIfjNS0_4plusIjEEEEZZNS1_33reduce_by_key_impl_wrapped_configILNS1_25lookback_scan_determinismE0ES3_S7_PKfNS0_17constant_iteratorIjlEEPfPlSF_S6_NS0_8equal_toIfEEEE10hipError_tPvRmT2_T3_mT4_T5_T6_T7_T8_P12ihipStream_tbENKUlT_T0_E_clISt17integral_constantIbLb0EESZ_EEDaSU_SV_EUlSU_E_NS1_11comp_targetILNS1_3genE10ELNS1_11target_archE1200ELNS1_3gpuE4ELNS1_3repE0EEENS1_30default_config_static_selectorELNS0_4arch9wavefront6targetE1EEEvT1_,comdat
	.protected	_ZN7rocprim17ROCPRIM_400000_NS6detail17trampoline_kernelINS0_14default_configENS1_33run_length_encode_config_selectorIfjNS0_4plusIjEEEEZZNS1_33reduce_by_key_impl_wrapped_configILNS1_25lookback_scan_determinismE0ES3_S7_PKfNS0_17constant_iteratorIjlEEPfPlSF_S6_NS0_8equal_toIfEEEE10hipError_tPvRmT2_T3_mT4_T5_T6_T7_T8_P12ihipStream_tbENKUlT_T0_E_clISt17integral_constantIbLb0EESZ_EEDaSU_SV_EUlSU_E_NS1_11comp_targetILNS1_3genE10ELNS1_11target_archE1200ELNS1_3gpuE4ELNS1_3repE0EEENS1_30default_config_static_selectorELNS0_4arch9wavefront6targetE1EEEvT1_ ; -- Begin function _ZN7rocprim17ROCPRIM_400000_NS6detail17trampoline_kernelINS0_14default_configENS1_33run_length_encode_config_selectorIfjNS0_4plusIjEEEEZZNS1_33reduce_by_key_impl_wrapped_configILNS1_25lookback_scan_determinismE0ES3_S7_PKfNS0_17constant_iteratorIjlEEPfPlSF_S6_NS0_8equal_toIfEEEE10hipError_tPvRmT2_T3_mT4_T5_T6_T7_T8_P12ihipStream_tbENKUlT_T0_E_clISt17integral_constantIbLb0EESZ_EEDaSU_SV_EUlSU_E_NS1_11comp_targetILNS1_3genE10ELNS1_11target_archE1200ELNS1_3gpuE4ELNS1_3repE0EEENS1_30default_config_static_selectorELNS0_4arch9wavefront6targetE1EEEvT1_
	.globl	_ZN7rocprim17ROCPRIM_400000_NS6detail17trampoline_kernelINS0_14default_configENS1_33run_length_encode_config_selectorIfjNS0_4plusIjEEEEZZNS1_33reduce_by_key_impl_wrapped_configILNS1_25lookback_scan_determinismE0ES3_S7_PKfNS0_17constant_iteratorIjlEEPfPlSF_S6_NS0_8equal_toIfEEEE10hipError_tPvRmT2_T3_mT4_T5_T6_T7_T8_P12ihipStream_tbENKUlT_T0_E_clISt17integral_constantIbLb0EESZ_EEDaSU_SV_EUlSU_E_NS1_11comp_targetILNS1_3genE10ELNS1_11target_archE1200ELNS1_3gpuE4ELNS1_3repE0EEENS1_30default_config_static_selectorELNS0_4arch9wavefront6targetE1EEEvT1_
	.p2align	8
	.type	_ZN7rocprim17ROCPRIM_400000_NS6detail17trampoline_kernelINS0_14default_configENS1_33run_length_encode_config_selectorIfjNS0_4plusIjEEEEZZNS1_33reduce_by_key_impl_wrapped_configILNS1_25lookback_scan_determinismE0ES3_S7_PKfNS0_17constant_iteratorIjlEEPfPlSF_S6_NS0_8equal_toIfEEEE10hipError_tPvRmT2_T3_mT4_T5_T6_T7_T8_P12ihipStream_tbENKUlT_T0_E_clISt17integral_constantIbLb0EESZ_EEDaSU_SV_EUlSU_E_NS1_11comp_targetILNS1_3genE10ELNS1_11target_archE1200ELNS1_3gpuE4ELNS1_3repE0EEENS1_30default_config_static_selectorELNS0_4arch9wavefront6targetE1EEEvT1_,@function
_ZN7rocprim17ROCPRIM_400000_NS6detail17trampoline_kernelINS0_14default_configENS1_33run_length_encode_config_selectorIfjNS0_4plusIjEEEEZZNS1_33reduce_by_key_impl_wrapped_configILNS1_25lookback_scan_determinismE0ES3_S7_PKfNS0_17constant_iteratorIjlEEPfPlSF_S6_NS0_8equal_toIfEEEE10hipError_tPvRmT2_T3_mT4_T5_T6_T7_T8_P12ihipStream_tbENKUlT_T0_E_clISt17integral_constantIbLb0EESZ_EEDaSU_SV_EUlSU_E_NS1_11comp_targetILNS1_3genE10ELNS1_11target_archE1200ELNS1_3gpuE4ELNS1_3repE0EEENS1_30default_config_static_selectorELNS0_4arch9wavefront6targetE1EEEvT1_: ; @_ZN7rocprim17ROCPRIM_400000_NS6detail17trampoline_kernelINS0_14default_configENS1_33run_length_encode_config_selectorIfjNS0_4plusIjEEEEZZNS1_33reduce_by_key_impl_wrapped_configILNS1_25lookback_scan_determinismE0ES3_S7_PKfNS0_17constant_iteratorIjlEEPfPlSF_S6_NS0_8equal_toIfEEEE10hipError_tPvRmT2_T3_mT4_T5_T6_T7_T8_P12ihipStream_tbENKUlT_T0_E_clISt17integral_constantIbLb0EESZ_EEDaSU_SV_EUlSU_E_NS1_11comp_targetILNS1_3genE10ELNS1_11target_archE1200ELNS1_3gpuE4ELNS1_3repE0EEENS1_30default_config_static_selectorELNS0_4arch9wavefront6targetE1EEEvT1_
; %bb.0:
	.section	.rodata,"a",@progbits
	.p2align	6, 0x0
	.amdhsa_kernel _ZN7rocprim17ROCPRIM_400000_NS6detail17trampoline_kernelINS0_14default_configENS1_33run_length_encode_config_selectorIfjNS0_4plusIjEEEEZZNS1_33reduce_by_key_impl_wrapped_configILNS1_25lookback_scan_determinismE0ES3_S7_PKfNS0_17constant_iteratorIjlEEPfPlSF_S6_NS0_8equal_toIfEEEE10hipError_tPvRmT2_T3_mT4_T5_T6_T7_T8_P12ihipStream_tbENKUlT_T0_E_clISt17integral_constantIbLb0EESZ_EEDaSU_SV_EUlSU_E_NS1_11comp_targetILNS1_3genE10ELNS1_11target_archE1200ELNS1_3gpuE4ELNS1_3repE0EEENS1_30default_config_static_selectorELNS0_4arch9wavefront6targetE1EEEvT1_
		.amdhsa_group_segment_fixed_size 0
		.amdhsa_private_segment_fixed_size 0
		.amdhsa_kernarg_size 128
		.amdhsa_user_sgpr_count 2
		.amdhsa_user_sgpr_dispatch_ptr 0
		.amdhsa_user_sgpr_queue_ptr 0
		.amdhsa_user_sgpr_kernarg_segment_ptr 1
		.amdhsa_user_sgpr_dispatch_id 0
		.amdhsa_user_sgpr_kernarg_preload_length 0
		.amdhsa_user_sgpr_kernarg_preload_offset 0
		.amdhsa_user_sgpr_private_segment_size 0
		.amdhsa_uses_dynamic_stack 0
		.amdhsa_enable_private_segment 0
		.amdhsa_system_sgpr_workgroup_id_x 1
		.amdhsa_system_sgpr_workgroup_id_y 0
		.amdhsa_system_sgpr_workgroup_id_z 0
		.amdhsa_system_sgpr_workgroup_info 0
		.amdhsa_system_vgpr_workitem_id 0
		.amdhsa_next_free_vgpr 1
		.amdhsa_next_free_sgpr 0
		.amdhsa_accum_offset 4
		.amdhsa_reserve_vcc 0
		.amdhsa_float_round_mode_32 0
		.amdhsa_float_round_mode_16_64 0
		.amdhsa_float_denorm_mode_32 3
		.amdhsa_float_denorm_mode_16_64 3
		.amdhsa_dx10_clamp 1
		.amdhsa_ieee_mode 1
		.amdhsa_fp16_overflow 0
		.amdhsa_tg_split 0
		.amdhsa_exception_fp_ieee_invalid_op 0
		.amdhsa_exception_fp_denorm_src 0
		.amdhsa_exception_fp_ieee_div_zero 0
		.amdhsa_exception_fp_ieee_overflow 0
		.amdhsa_exception_fp_ieee_underflow 0
		.amdhsa_exception_fp_ieee_inexact 0
		.amdhsa_exception_int_div_zero 0
	.end_amdhsa_kernel
	.section	.text._ZN7rocprim17ROCPRIM_400000_NS6detail17trampoline_kernelINS0_14default_configENS1_33run_length_encode_config_selectorIfjNS0_4plusIjEEEEZZNS1_33reduce_by_key_impl_wrapped_configILNS1_25lookback_scan_determinismE0ES3_S7_PKfNS0_17constant_iteratorIjlEEPfPlSF_S6_NS0_8equal_toIfEEEE10hipError_tPvRmT2_T3_mT4_T5_T6_T7_T8_P12ihipStream_tbENKUlT_T0_E_clISt17integral_constantIbLb0EESZ_EEDaSU_SV_EUlSU_E_NS1_11comp_targetILNS1_3genE10ELNS1_11target_archE1200ELNS1_3gpuE4ELNS1_3repE0EEENS1_30default_config_static_selectorELNS0_4arch9wavefront6targetE1EEEvT1_,"axG",@progbits,_ZN7rocprim17ROCPRIM_400000_NS6detail17trampoline_kernelINS0_14default_configENS1_33run_length_encode_config_selectorIfjNS0_4plusIjEEEEZZNS1_33reduce_by_key_impl_wrapped_configILNS1_25lookback_scan_determinismE0ES3_S7_PKfNS0_17constant_iteratorIjlEEPfPlSF_S6_NS0_8equal_toIfEEEE10hipError_tPvRmT2_T3_mT4_T5_T6_T7_T8_P12ihipStream_tbENKUlT_T0_E_clISt17integral_constantIbLb0EESZ_EEDaSU_SV_EUlSU_E_NS1_11comp_targetILNS1_3genE10ELNS1_11target_archE1200ELNS1_3gpuE4ELNS1_3repE0EEENS1_30default_config_static_selectorELNS0_4arch9wavefront6targetE1EEEvT1_,comdat
.Lfunc_end379:
	.size	_ZN7rocprim17ROCPRIM_400000_NS6detail17trampoline_kernelINS0_14default_configENS1_33run_length_encode_config_selectorIfjNS0_4plusIjEEEEZZNS1_33reduce_by_key_impl_wrapped_configILNS1_25lookback_scan_determinismE0ES3_S7_PKfNS0_17constant_iteratorIjlEEPfPlSF_S6_NS0_8equal_toIfEEEE10hipError_tPvRmT2_T3_mT4_T5_T6_T7_T8_P12ihipStream_tbENKUlT_T0_E_clISt17integral_constantIbLb0EESZ_EEDaSU_SV_EUlSU_E_NS1_11comp_targetILNS1_3genE10ELNS1_11target_archE1200ELNS1_3gpuE4ELNS1_3repE0EEENS1_30default_config_static_selectorELNS0_4arch9wavefront6targetE1EEEvT1_, .Lfunc_end379-_ZN7rocprim17ROCPRIM_400000_NS6detail17trampoline_kernelINS0_14default_configENS1_33run_length_encode_config_selectorIfjNS0_4plusIjEEEEZZNS1_33reduce_by_key_impl_wrapped_configILNS1_25lookback_scan_determinismE0ES3_S7_PKfNS0_17constant_iteratorIjlEEPfPlSF_S6_NS0_8equal_toIfEEEE10hipError_tPvRmT2_T3_mT4_T5_T6_T7_T8_P12ihipStream_tbENKUlT_T0_E_clISt17integral_constantIbLb0EESZ_EEDaSU_SV_EUlSU_E_NS1_11comp_targetILNS1_3genE10ELNS1_11target_archE1200ELNS1_3gpuE4ELNS1_3repE0EEENS1_30default_config_static_selectorELNS0_4arch9wavefront6targetE1EEEvT1_
                                        ; -- End function
	.section	.AMDGPU.csdata,"",@progbits
; Kernel info:
; codeLenInByte = 0
; NumSgprs: 6
; NumVgprs: 0
; NumAgprs: 0
; TotalNumVgprs: 0
; ScratchSize: 0
; MemoryBound: 0
; FloatMode: 240
; IeeeMode: 1
; LDSByteSize: 0 bytes/workgroup (compile time only)
; SGPRBlocks: 0
; VGPRBlocks: 0
; NumSGPRsForWavesPerEU: 6
; NumVGPRsForWavesPerEU: 1
; AccumOffset: 4
; Occupancy: 8
; WaveLimiterHint : 0
; COMPUTE_PGM_RSRC2:SCRATCH_EN: 0
; COMPUTE_PGM_RSRC2:USER_SGPR: 2
; COMPUTE_PGM_RSRC2:TRAP_HANDLER: 0
; COMPUTE_PGM_RSRC2:TGID_X_EN: 1
; COMPUTE_PGM_RSRC2:TGID_Y_EN: 0
; COMPUTE_PGM_RSRC2:TGID_Z_EN: 0
; COMPUTE_PGM_RSRC2:TIDIG_COMP_CNT: 0
; COMPUTE_PGM_RSRC3_GFX90A:ACCUM_OFFSET: 0
; COMPUTE_PGM_RSRC3_GFX90A:TG_SPLIT: 0
	.section	.text._ZN7rocprim17ROCPRIM_400000_NS6detail17trampoline_kernelINS0_14default_configENS1_33run_length_encode_config_selectorIfjNS0_4plusIjEEEEZZNS1_33reduce_by_key_impl_wrapped_configILNS1_25lookback_scan_determinismE0ES3_S7_PKfNS0_17constant_iteratorIjlEEPfPlSF_S6_NS0_8equal_toIfEEEE10hipError_tPvRmT2_T3_mT4_T5_T6_T7_T8_P12ihipStream_tbENKUlT_T0_E_clISt17integral_constantIbLb0EESZ_EEDaSU_SV_EUlSU_E_NS1_11comp_targetILNS1_3genE9ELNS1_11target_archE1100ELNS1_3gpuE3ELNS1_3repE0EEENS1_30default_config_static_selectorELNS0_4arch9wavefront6targetE1EEEvT1_,"axG",@progbits,_ZN7rocprim17ROCPRIM_400000_NS6detail17trampoline_kernelINS0_14default_configENS1_33run_length_encode_config_selectorIfjNS0_4plusIjEEEEZZNS1_33reduce_by_key_impl_wrapped_configILNS1_25lookback_scan_determinismE0ES3_S7_PKfNS0_17constant_iteratorIjlEEPfPlSF_S6_NS0_8equal_toIfEEEE10hipError_tPvRmT2_T3_mT4_T5_T6_T7_T8_P12ihipStream_tbENKUlT_T0_E_clISt17integral_constantIbLb0EESZ_EEDaSU_SV_EUlSU_E_NS1_11comp_targetILNS1_3genE9ELNS1_11target_archE1100ELNS1_3gpuE3ELNS1_3repE0EEENS1_30default_config_static_selectorELNS0_4arch9wavefront6targetE1EEEvT1_,comdat
	.protected	_ZN7rocprim17ROCPRIM_400000_NS6detail17trampoline_kernelINS0_14default_configENS1_33run_length_encode_config_selectorIfjNS0_4plusIjEEEEZZNS1_33reduce_by_key_impl_wrapped_configILNS1_25lookback_scan_determinismE0ES3_S7_PKfNS0_17constant_iteratorIjlEEPfPlSF_S6_NS0_8equal_toIfEEEE10hipError_tPvRmT2_T3_mT4_T5_T6_T7_T8_P12ihipStream_tbENKUlT_T0_E_clISt17integral_constantIbLb0EESZ_EEDaSU_SV_EUlSU_E_NS1_11comp_targetILNS1_3genE9ELNS1_11target_archE1100ELNS1_3gpuE3ELNS1_3repE0EEENS1_30default_config_static_selectorELNS0_4arch9wavefront6targetE1EEEvT1_ ; -- Begin function _ZN7rocprim17ROCPRIM_400000_NS6detail17trampoline_kernelINS0_14default_configENS1_33run_length_encode_config_selectorIfjNS0_4plusIjEEEEZZNS1_33reduce_by_key_impl_wrapped_configILNS1_25lookback_scan_determinismE0ES3_S7_PKfNS0_17constant_iteratorIjlEEPfPlSF_S6_NS0_8equal_toIfEEEE10hipError_tPvRmT2_T3_mT4_T5_T6_T7_T8_P12ihipStream_tbENKUlT_T0_E_clISt17integral_constantIbLb0EESZ_EEDaSU_SV_EUlSU_E_NS1_11comp_targetILNS1_3genE9ELNS1_11target_archE1100ELNS1_3gpuE3ELNS1_3repE0EEENS1_30default_config_static_selectorELNS0_4arch9wavefront6targetE1EEEvT1_
	.globl	_ZN7rocprim17ROCPRIM_400000_NS6detail17trampoline_kernelINS0_14default_configENS1_33run_length_encode_config_selectorIfjNS0_4plusIjEEEEZZNS1_33reduce_by_key_impl_wrapped_configILNS1_25lookback_scan_determinismE0ES3_S7_PKfNS0_17constant_iteratorIjlEEPfPlSF_S6_NS0_8equal_toIfEEEE10hipError_tPvRmT2_T3_mT4_T5_T6_T7_T8_P12ihipStream_tbENKUlT_T0_E_clISt17integral_constantIbLb0EESZ_EEDaSU_SV_EUlSU_E_NS1_11comp_targetILNS1_3genE9ELNS1_11target_archE1100ELNS1_3gpuE3ELNS1_3repE0EEENS1_30default_config_static_selectorELNS0_4arch9wavefront6targetE1EEEvT1_
	.p2align	8
	.type	_ZN7rocprim17ROCPRIM_400000_NS6detail17trampoline_kernelINS0_14default_configENS1_33run_length_encode_config_selectorIfjNS0_4plusIjEEEEZZNS1_33reduce_by_key_impl_wrapped_configILNS1_25lookback_scan_determinismE0ES3_S7_PKfNS0_17constant_iteratorIjlEEPfPlSF_S6_NS0_8equal_toIfEEEE10hipError_tPvRmT2_T3_mT4_T5_T6_T7_T8_P12ihipStream_tbENKUlT_T0_E_clISt17integral_constantIbLb0EESZ_EEDaSU_SV_EUlSU_E_NS1_11comp_targetILNS1_3genE9ELNS1_11target_archE1100ELNS1_3gpuE3ELNS1_3repE0EEENS1_30default_config_static_selectorELNS0_4arch9wavefront6targetE1EEEvT1_,@function
_ZN7rocprim17ROCPRIM_400000_NS6detail17trampoline_kernelINS0_14default_configENS1_33run_length_encode_config_selectorIfjNS0_4plusIjEEEEZZNS1_33reduce_by_key_impl_wrapped_configILNS1_25lookback_scan_determinismE0ES3_S7_PKfNS0_17constant_iteratorIjlEEPfPlSF_S6_NS0_8equal_toIfEEEE10hipError_tPvRmT2_T3_mT4_T5_T6_T7_T8_P12ihipStream_tbENKUlT_T0_E_clISt17integral_constantIbLb0EESZ_EEDaSU_SV_EUlSU_E_NS1_11comp_targetILNS1_3genE9ELNS1_11target_archE1100ELNS1_3gpuE3ELNS1_3repE0EEENS1_30default_config_static_selectorELNS0_4arch9wavefront6targetE1EEEvT1_: ; @_ZN7rocprim17ROCPRIM_400000_NS6detail17trampoline_kernelINS0_14default_configENS1_33run_length_encode_config_selectorIfjNS0_4plusIjEEEEZZNS1_33reduce_by_key_impl_wrapped_configILNS1_25lookback_scan_determinismE0ES3_S7_PKfNS0_17constant_iteratorIjlEEPfPlSF_S6_NS0_8equal_toIfEEEE10hipError_tPvRmT2_T3_mT4_T5_T6_T7_T8_P12ihipStream_tbENKUlT_T0_E_clISt17integral_constantIbLb0EESZ_EEDaSU_SV_EUlSU_E_NS1_11comp_targetILNS1_3genE9ELNS1_11target_archE1100ELNS1_3gpuE3ELNS1_3repE0EEENS1_30default_config_static_selectorELNS0_4arch9wavefront6targetE1EEEvT1_
; %bb.0:
	.section	.rodata,"a",@progbits
	.p2align	6, 0x0
	.amdhsa_kernel _ZN7rocprim17ROCPRIM_400000_NS6detail17trampoline_kernelINS0_14default_configENS1_33run_length_encode_config_selectorIfjNS0_4plusIjEEEEZZNS1_33reduce_by_key_impl_wrapped_configILNS1_25lookback_scan_determinismE0ES3_S7_PKfNS0_17constant_iteratorIjlEEPfPlSF_S6_NS0_8equal_toIfEEEE10hipError_tPvRmT2_T3_mT4_T5_T6_T7_T8_P12ihipStream_tbENKUlT_T0_E_clISt17integral_constantIbLb0EESZ_EEDaSU_SV_EUlSU_E_NS1_11comp_targetILNS1_3genE9ELNS1_11target_archE1100ELNS1_3gpuE3ELNS1_3repE0EEENS1_30default_config_static_selectorELNS0_4arch9wavefront6targetE1EEEvT1_
		.amdhsa_group_segment_fixed_size 0
		.amdhsa_private_segment_fixed_size 0
		.amdhsa_kernarg_size 128
		.amdhsa_user_sgpr_count 2
		.amdhsa_user_sgpr_dispatch_ptr 0
		.amdhsa_user_sgpr_queue_ptr 0
		.amdhsa_user_sgpr_kernarg_segment_ptr 1
		.amdhsa_user_sgpr_dispatch_id 0
		.amdhsa_user_sgpr_kernarg_preload_length 0
		.amdhsa_user_sgpr_kernarg_preload_offset 0
		.amdhsa_user_sgpr_private_segment_size 0
		.amdhsa_uses_dynamic_stack 0
		.amdhsa_enable_private_segment 0
		.amdhsa_system_sgpr_workgroup_id_x 1
		.amdhsa_system_sgpr_workgroup_id_y 0
		.amdhsa_system_sgpr_workgroup_id_z 0
		.amdhsa_system_sgpr_workgroup_info 0
		.amdhsa_system_vgpr_workitem_id 0
		.amdhsa_next_free_vgpr 1
		.amdhsa_next_free_sgpr 0
		.amdhsa_accum_offset 4
		.amdhsa_reserve_vcc 0
		.amdhsa_float_round_mode_32 0
		.amdhsa_float_round_mode_16_64 0
		.amdhsa_float_denorm_mode_32 3
		.amdhsa_float_denorm_mode_16_64 3
		.amdhsa_dx10_clamp 1
		.amdhsa_ieee_mode 1
		.amdhsa_fp16_overflow 0
		.amdhsa_tg_split 0
		.amdhsa_exception_fp_ieee_invalid_op 0
		.amdhsa_exception_fp_denorm_src 0
		.amdhsa_exception_fp_ieee_div_zero 0
		.amdhsa_exception_fp_ieee_overflow 0
		.amdhsa_exception_fp_ieee_underflow 0
		.amdhsa_exception_fp_ieee_inexact 0
		.amdhsa_exception_int_div_zero 0
	.end_amdhsa_kernel
	.section	.text._ZN7rocprim17ROCPRIM_400000_NS6detail17trampoline_kernelINS0_14default_configENS1_33run_length_encode_config_selectorIfjNS0_4plusIjEEEEZZNS1_33reduce_by_key_impl_wrapped_configILNS1_25lookback_scan_determinismE0ES3_S7_PKfNS0_17constant_iteratorIjlEEPfPlSF_S6_NS0_8equal_toIfEEEE10hipError_tPvRmT2_T3_mT4_T5_T6_T7_T8_P12ihipStream_tbENKUlT_T0_E_clISt17integral_constantIbLb0EESZ_EEDaSU_SV_EUlSU_E_NS1_11comp_targetILNS1_3genE9ELNS1_11target_archE1100ELNS1_3gpuE3ELNS1_3repE0EEENS1_30default_config_static_selectorELNS0_4arch9wavefront6targetE1EEEvT1_,"axG",@progbits,_ZN7rocprim17ROCPRIM_400000_NS6detail17trampoline_kernelINS0_14default_configENS1_33run_length_encode_config_selectorIfjNS0_4plusIjEEEEZZNS1_33reduce_by_key_impl_wrapped_configILNS1_25lookback_scan_determinismE0ES3_S7_PKfNS0_17constant_iteratorIjlEEPfPlSF_S6_NS0_8equal_toIfEEEE10hipError_tPvRmT2_T3_mT4_T5_T6_T7_T8_P12ihipStream_tbENKUlT_T0_E_clISt17integral_constantIbLb0EESZ_EEDaSU_SV_EUlSU_E_NS1_11comp_targetILNS1_3genE9ELNS1_11target_archE1100ELNS1_3gpuE3ELNS1_3repE0EEENS1_30default_config_static_selectorELNS0_4arch9wavefront6targetE1EEEvT1_,comdat
.Lfunc_end380:
	.size	_ZN7rocprim17ROCPRIM_400000_NS6detail17trampoline_kernelINS0_14default_configENS1_33run_length_encode_config_selectorIfjNS0_4plusIjEEEEZZNS1_33reduce_by_key_impl_wrapped_configILNS1_25lookback_scan_determinismE0ES3_S7_PKfNS0_17constant_iteratorIjlEEPfPlSF_S6_NS0_8equal_toIfEEEE10hipError_tPvRmT2_T3_mT4_T5_T6_T7_T8_P12ihipStream_tbENKUlT_T0_E_clISt17integral_constantIbLb0EESZ_EEDaSU_SV_EUlSU_E_NS1_11comp_targetILNS1_3genE9ELNS1_11target_archE1100ELNS1_3gpuE3ELNS1_3repE0EEENS1_30default_config_static_selectorELNS0_4arch9wavefront6targetE1EEEvT1_, .Lfunc_end380-_ZN7rocprim17ROCPRIM_400000_NS6detail17trampoline_kernelINS0_14default_configENS1_33run_length_encode_config_selectorIfjNS0_4plusIjEEEEZZNS1_33reduce_by_key_impl_wrapped_configILNS1_25lookback_scan_determinismE0ES3_S7_PKfNS0_17constant_iteratorIjlEEPfPlSF_S6_NS0_8equal_toIfEEEE10hipError_tPvRmT2_T3_mT4_T5_T6_T7_T8_P12ihipStream_tbENKUlT_T0_E_clISt17integral_constantIbLb0EESZ_EEDaSU_SV_EUlSU_E_NS1_11comp_targetILNS1_3genE9ELNS1_11target_archE1100ELNS1_3gpuE3ELNS1_3repE0EEENS1_30default_config_static_selectorELNS0_4arch9wavefront6targetE1EEEvT1_
                                        ; -- End function
	.section	.AMDGPU.csdata,"",@progbits
; Kernel info:
; codeLenInByte = 0
; NumSgprs: 6
; NumVgprs: 0
; NumAgprs: 0
; TotalNumVgprs: 0
; ScratchSize: 0
; MemoryBound: 0
; FloatMode: 240
; IeeeMode: 1
; LDSByteSize: 0 bytes/workgroup (compile time only)
; SGPRBlocks: 0
; VGPRBlocks: 0
; NumSGPRsForWavesPerEU: 6
; NumVGPRsForWavesPerEU: 1
; AccumOffset: 4
; Occupancy: 8
; WaveLimiterHint : 0
; COMPUTE_PGM_RSRC2:SCRATCH_EN: 0
; COMPUTE_PGM_RSRC2:USER_SGPR: 2
; COMPUTE_PGM_RSRC2:TRAP_HANDLER: 0
; COMPUTE_PGM_RSRC2:TGID_X_EN: 1
; COMPUTE_PGM_RSRC2:TGID_Y_EN: 0
; COMPUTE_PGM_RSRC2:TGID_Z_EN: 0
; COMPUTE_PGM_RSRC2:TIDIG_COMP_CNT: 0
; COMPUTE_PGM_RSRC3_GFX90A:ACCUM_OFFSET: 0
; COMPUTE_PGM_RSRC3_GFX90A:TG_SPLIT: 0
	.section	.text._ZN7rocprim17ROCPRIM_400000_NS6detail17trampoline_kernelINS0_14default_configENS1_33run_length_encode_config_selectorIfjNS0_4plusIjEEEEZZNS1_33reduce_by_key_impl_wrapped_configILNS1_25lookback_scan_determinismE0ES3_S7_PKfNS0_17constant_iteratorIjlEEPfPlSF_S6_NS0_8equal_toIfEEEE10hipError_tPvRmT2_T3_mT4_T5_T6_T7_T8_P12ihipStream_tbENKUlT_T0_E_clISt17integral_constantIbLb0EESZ_EEDaSU_SV_EUlSU_E_NS1_11comp_targetILNS1_3genE8ELNS1_11target_archE1030ELNS1_3gpuE2ELNS1_3repE0EEENS1_30default_config_static_selectorELNS0_4arch9wavefront6targetE1EEEvT1_,"axG",@progbits,_ZN7rocprim17ROCPRIM_400000_NS6detail17trampoline_kernelINS0_14default_configENS1_33run_length_encode_config_selectorIfjNS0_4plusIjEEEEZZNS1_33reduce_by_key_impl_wrapped_configILNS1_25lookback_scan_determinismE0ES3_S7_PKfNS0_17constant_iteratorIjlEEPfPlSF_S6_NS0_8equal_toIfEEEE10hipError_tPvRmT2_T3_mT4_T5_T6_T7_T8_P12ihipStream_tbENKUlT_T0_E_clISt17integral_constantIbLb0EESZ_EEDaSU_SV_EUlSU_E_NS1_11comp_targetILNS1_3genE8ELNS1_11target_archE1030ELNS1_3gpuE2ELNS1_3repE0EEENS1_30default_config_static_selectorELNS0_4arch9wavefront6targetE1EEEvT1_,comdat
	.protected	_ZN7rocprim17ROCPRIM_400000_NS6detail17trampoline_kernelINS0_14default_configENS1_33run_length_encode_config_selectorIfjNS0_4plusIjEEEEZZNS1_33reduce_by_key_impl_wrapped_configILNS1_25lookback_scan_determinismE0ES3_S7_PKfNS0_17constant_iteratorIjlEEPfPlSF_S6_NS0_8equal_toIfEEEE10hipError_tPvRmT2_T3_mT4_T5_T6_T7_T8_P12ihipStream_tbENKUlT_T0_E_clISt17integral_constantIbLb0EESZ_EEDaSU_SV_EUlSU_E_NS1_11comp_targetILNS1_3genE8ELNS1_11target_archE1030ELNS1_3gpuE2ELNS1_3repE0EEENS1_30default_config_static_selectorELNS0_4arch9wavefront6targetE1EEEvT1_ ; -- Begin function _ZN7rocprim17ROCPRIM_400000_NS6detail17trampoline_kernelINS0_14default_configENS1_33run_length_encode_config_selectorIfjNS0_4plusIjEEEEZZNS1_33reduce_by_key_impl_wrapped_configILNS1_25lookback_scan_determinismE0ES3_S7_PKfNS0_17constant_iteratorIjlEEPfPlSF_S6_NS0_8equal_toIfEEEE10hipError_tPvRmT2_T3_mT4_T5_T6_T7_T8_P12ihipStream_tbENKUlT_T0_E_clISt17integral_constantIbLb0EESZ_EEDaSU_SV_EUlSU_E_NS1_11comp_targetILNS1_3genE8ELNS1_11target_archE1030ELNS1_3gpuE2ELNS1_3repE0EEENS1_30default_config_static_selectorELNS0_4arch9wavefront6targetE1EEEvT1_
	.globl	_ZN7rocprim17ROCPRIM_400000_NS6detail17trampoline_kernelINS0_14default_configENS1_33run_length_encode_config_selectorIfjNS0_4plusIjEEEEZZNS1_33reduce_by_key_impl_wrapped_configILNS1_25lookback_scan_determinismE0ES3_S7_PKfNS0_17constant_iteratorIjlEEPfPlSF_S6_NS0_8equal_toIfEEEE10hipError_tPvRmT2_T3_mT4_T5_T6_T7_T8_P12ihipStream_tbENKUlT_T0_E_clISt17integral_constantIbLb0EESZ_EEDaSU_SV_EUlSU_E_NS1_11comp_targetILNS1_3genE8ELNS1_11target_archE1030ELNS1_3gpuE2ELNS1_3repE0EEENS1_30default_config_static_selectorELNS0_4arch9wavefront6targetE1EEEvT1_
	.p2align	8
	.type	_ZN7rocprim17ROCPRIM_400000_NS6detail17trampoline_kernelINS0_14default_configENS1_33run_length_encode_config_selectorIfjNS0_4plusIjEEEEZZNS1_33reduce_by_key_impl_wrapped_configILNS1_25lookback_scan_determinismE0ES3_S7_PKfNS0_17constant_iteratorIjlEEPfPlSF_S6_NS0_8equal_toIfEEEE10hipError_tPvRmT2_T3_mT4_T5_T6_T7_T8_P12ihipStream_tbENKUlT_T0_E_clISt17integral_constantIbLb0EESZ_EEDaSU_SV_EUlSU_E_NS1_11comp_targetILNS1_3genE8ELNS1_11target_archE1030ELNS1_3gpuE2ELNS1_3repE0EEENS1_30default_config_static_selectorELNS0_4arch9wavefront6targetE1EEEvT1_,@function
_ZN7rocprim17ROCPRIM_400000_NS6detail17trampoline_kernelINS0_14default_configENS1_33run_length_encode_config_selectorIfjNS0_4plusIjEEEEZZNS1_33reduce_by_key_impl_wrapped_configILNS1_25lookback_scan_determinismE0ES3_S7_PKfNS0_17constant_iteratorIjlEEPfPlSF_S6_NS0_8equal_toIfEEEE10hipError_tPvRmT2_T3_mT4_T5_T6_T7_T8_P12ihipStream_tbENKUlT_T0_E_clISt17integral_constantIbLb0EESZ_EEDaSU_SV_EUlSU_E_NS1_11comp_targetILNS1_3genE8ELNS1_11target_archE1030ELNS1_3gpuE2ELNS1_3repE0EEENS1_30default_config_static_selectorELNS0_4arch9wavefront6targetE1EEEvT1_: ; @_ZN7rocprim17ROCPRIM_400000_NS6detail17trampoline_kernelINS0_14default_configENS1_33run_length_encode_config_selectorIfjNS0_4plusIjEEEEZZNS1_33reduce_by_key_impl_wrapped_configILNS1_25lookback_scan_determinismE0ES3_S7_PKfNS0_17constant_iteratorIjlEEPfPlSF_S6_NS0_8equal_toIfEEEE10hipError_tPvRmT2_T3_mT4_T5_T6_T7_T8_P12ihipStream_tbENKUlT_T0_E_clISt17integral_constantIbLb0EESZ_EEDaSU_SV_EUlSU_E_NS1_11comp_targetILNS1_3genE8ELNS1_11target_archE1030ELNS1_3gpuE2ELNS1_3repE0EEENS1_30default_config_static_selectorELNS0_4arch9wavefront6targetE1EEEvT1_
; %bb.0:
	.section	.rodata,"a",@progbits
	.p2align	6, 0x0
	.amdhsa_kernel _ZN7rocprim17ROCPRIM_400000_NS6detail17trampoline_kernelINS0_14default_configENS1_33run_length_encode_config_selectorIfjNS0_4plusIjEEEEZZNS1_33reduce_by_key_impl_wrapped_configILNS1_25lookback_scan_determinismE0ES3_S7_PKfNS0_17constant_iteratorIjlEEPfPlSF_S6_NS0_8equal_toIfEEEE10hipError_tPvRmT2_T3_mT4_T5_T6_T7_T8_P12ihipStream_tbENKUlT_T0_E_clISt17integral_constantIbLb0EESZ_EEDaSU_SV_EUlSU_E_NS1_11comp_targetILNS1_3genE8ELNS1_11target_archE1030ELNS1_3gpuE2ELNS1_3repE0EEENS1_30default_config_static_selectorELNS0_4arch9wavefront6targetE1EEEvT1_
		.amdhsa_group_segment_fixed_size 0
		.amdhsa_private_segment_fixed_size 0
		.amdhsa_kernarg_size 128
		.amdhsa_user_sgpr_count 2
		.amdhsa_user_sgpr_dispatch_ptr 0
		.amdhsa_user_sgpr_queue_ptr 0
		.amdhsa_user_sgpr_kernarg_segment_ptr 1
		.amdhsa_user_sgpr_dispatch_id 0
		.amdhsa_user_sgpr_kernarg_preload_length 0
		.amdhsa_user_sgpr_kernarg_preload_offset 0
		.amdhsa_user_sgpr_private_segment_size 0
		.amdhsa_uses_dynamic_stack 0
		.amdhsa_enable_private_segment 0
		.amdhsa_system_sgpr_workgroup_id_x 1
		.amdhsa_system_sgpr_workgroup_id_y 0
		.amdhsa_system_sgpr_workgroup_id_z 0
		.amdhsa_system_sgpr_workgroup_info 0
		.amdhsa_system_vgpr_workitem_id 0
		.amdhsa_next_free_vgpr 1
		.amdhsa_next_free_sgpr 0
		.amdhsa_accum_offset 4
		.amdhsa_reserve_vcc 0
		.amdhsa_float_round_mode_32 0
		.amdhsa_float_round_mode_16_64 0
		.amdhsa_float_denorm_mode_32 3
		.amdhsa_float_denorm_mode_16_64 3
		.amdhsa_dx10_clamp 1
		.amdhsa_ieee_mode 1
		.amdhsa_fp16_overflow 0
		.amdhsa_tg_split 0
		.amdhsa_exception_fp_ieee_invalid_op 0
		.amdhsa_exception_fp_denorm_src 0
		.amdhsa_exception_fp_ieee_div_zero 0
		.amdhsa_exception_fp_ieee_overflow 0
		.amdhsa_exception_fp_ieee_underflow 0
		.amdhsa_exception_fp_ieee_inexact 0
		.amdhsa_exception_int_div_zero 0
	.end_amdhsa_kernel
	.section	.text._ZN7rocprim17ROCPRIM_400000_NS6detail17trampoline_kernelINS0_14default_configENS1_33run_length_encode_config_selectorIfjNS0_4plusIjEEEEZZNS1_33reduce_by_key_impl_wrapped_configILNS1_25lookback_scan_determinismE0ES3_S7_PKfNS0_17constant_iteratorIjlEEPfPlSF_S6_NS0_8equal_toIfEEEE10hipError_tPvRmT2_T3_mT4_T5_T6_T7_T8_P12ihipStream_tbENKUlT_T0_E_clISt17integral_constantIbLb0EESZ_EEDaSU_SV_EUlSU_E_NS1_11comp_targetILNS1_3genE8ELNS1_11target_archE1030ELNS1_3gpuE2ELNS1_3repE0EEENS1_30default_config_static_selectorELNS0_4arch9wavefront6targetE1EEEvT1_,"axG",@progbits,_ZN7rocprim17ROCPRIM_400000_NS6detail17trampoline_kernelINS0_14default_configENS1_33run_length_encode_config_selectorIfjNS0_4plusIjEEEEZZNS1_33reduce_by_key_impl_wrapped_configILNS1_25lookback_scan_determinismE0ES3_S7_PKfNS0_17constant_iteratorIjlEEPfPlSF_S6_NS0_8equal_toIfEEEE10hipError_tPvRmT2_T3_mT4_T5_T6_T7_T8_P12ihipStream_tbENKUlT_T0_E_clISt17integral_constantIbLb0EESZ_EEDaSU_SV_EUlSU_E_NS1_11comp_targetILNS1_3genE8ELNS1_11target_archE1030ELNS1_3gpuE2ELNS1_3repE0EEENS1_30default_config_static_selectorELNS0_4arch9wavefront6targetE1EEEvT1_,comdat
.Lfunc_end381:
	.size	_ZN7rocprim17ROCPRIM_400000_NS6detail17trampoline_kernelINS0_14default_configENS1_33run_length_encode_config_selectorIfjNS0_4plusIjEEEEZZNS1_33reduce_by_key_impl_wrapped_configILNS1_25lookback_scan_determinismE0ES3_S7_PKfNS0_17constant_iteratorIjlEEPfPlSF_S6_NS0_8equal_toIfEEEE10hipError_tPvRmT2_T3_mT4_T5_T6_T7_T8_P12ihipStream_tbENKUlT_T0_E_clISt17integral_constantIbLb0EESZ_EEDaSU_SV_EUlSU_E_NS1_11comp_targetILNS1_3genE8ELNS1_11target_archE1030ELNS1_3gpuE2ELNS1_3repE0EEENS1_30default_config_static_selectorELNS0_4arch9wavefront6targetE1EEEvT1_, .Lfunc_end381-_ZN7rocprim17ROCPRIM_400000_NS6detail17trampoline_kernelINS0_14default_configENS1_33run_length_encode_config_selectorIfjNS0_4plusIjEEEEZZNS1_33reduce_by_key_impl_wrapped_configILNS1_25lookback_scan_determinismE0ES3_S7_PKfNS0_17constant_iteratorIjlEEPfPlSF_S6_NS0_8equal_toIfEEEE10hipError_tPvRmT2_T3_mT4_T5_T6_T7_T8_P12ihipStream_tbENKUlT_T0_E_clISt17integral_constantIbLb0EESZ_EEDaSU_SV_EUlSU_E_NS1_11comp_targetILNS1_3genE8ELNS1_11target_archE1030ELNS1_3gpuE2ELNS1_3repE0EEENS1_30default_config_static_selectorELNS0_4arch9wavefront6targetE1EEEvT1_
                                        ; -- End function
	.section	.AMDGPU.csdata,"",@progbits
; Kernel info:
; codeLenInByte = 0
; NumSgprs: 6
; NumVgprs: 0
; NumAgprs: 0
; TotalNumVgprs: 0
; ScratchSize: 0
; MemoryBound: 0
; FloatMode: 240
; IeeeMode: 1
; LDSByteSize: 0 bytes/workgroup (compile time only)
; SGPRBlocks: 0
; VGPRBlocks: 0
; NumSGPRsForWavesPerEU: 6
; NumVGPRsForWavesPerEU: 1
; AccumOffset: 4
; Occupancy: 8
; WaveLimiterHint : 0
; COMPUTE_PGM_RSRC2:SCRATCH_EN: 0
; COMPUTE_PGM_RSRC2:USER_SGPR: 2
; COMPUTE_PGM_RSRC2:TRAP_HANDLER: 0
; COMPUTE_PGM_RSRC2:TGID_X_EN: 1
; COMPUTE_PGM_RSRC2:TGID_Y_EN: 0
; COMPUTE_PGM_RSRC2:TGID_Z_EN: 0
; COMPUTE_PGM_RSRC2:TIDIG_COMP_CNT: 0
; COMPUTE_PGM_RSRC3_GFX90A:ACCUM_OFFSET: 0
; COMPUTE_PGM_RSRC3_GFX90A:TG_SPLIT: 0
	.section	.text._ZN7rocprim17ROCPRIM_400000_NS6detail17trampoline_kernelINS0_14default_configENS1_33run_length_encode_config_selectorIfjNS0_4plusIjEEEEZZNS1_33reduce_by_key_impl_wrapped_configILNS1_25lookback_scan_determinismE0ES3_S7_PKfNS0_17constant_iteratorIjlEEPfPlSF_S6_NS0_8equal_toIfEEEE10hipError_tPvRmT2_T3_mT4_T5_T6_T7_T8_P12ihipStream_tbENKUlT_T0_E_clISt17integral_constantIbLb1EESZ_EEDaSU_SV_EUlSU_E_NS1_11comp_targetILNS1_3genE0ELNS1_11target_archE4294967295ELNS1_3gpuE0ELNS1_3repE0EEENS1_30default_config_static_selectorELNS0_4arch9wavefront6targetE1EEEvT1_,"axG",@progbits,_ZN7rocprim17ROCPRIM_400000_NS6detail17trampoline_kernelINS0_14default_configENS1_33run_length_encode_config_selectorIfjNS0_4plusIjEEEEZZNS1_33reduce_by_key_impl_wrapped_configILNS1_25lookback_scan_determinismE0ES3_S7_PKfNS0_17constant_iteratorIjlEEPfPlSF_S6_NS0_8equal_toIfEEEE10hipError_tPvRmT2_T3_mT4_T5_T6_T7_T8_P12ihipStream_tbENKUlT_T0_E_clISt17integral_constantIbLb1EESZ_EEDaSU_SV_EUlSU_E_NS1_11comp_targetILNS1_3genE0ELNS1_11target_archE4294967295ELNS1_3gpuE0ELNS1_3repE0EEENS1_30default_config_static_selectorELNS0_4arch9wavefront6targetE1EEEvT1_,comdat
	.protected	_ZN7rocprim17ROCPRIM_400000_NS6detail17trampoline_kernelINS0_14default_configENS1_33run_length_encode_config_selectorIfjNS0_4plusIjEEEEZZNS1_33reduce_by_key_impl_wrapped_configILNS1_25lookback_scan_determinismE0ES3_S7_PKfNS0_17constant_iteratorIjlEEPfPlSF_S6_NS0_8equal_toIfEEEE10hipError_tPvRmT2_T3_mT4_T5_T6_T7_T8_P12ihipStream_tbENKUlT_T0_E_clISt17integral_constantIbLb1EESZ_EEDaSU_SV_EUlSU_E_NS1_11comp_targetILNS1_3genE0ELNS1_11target_archE4294967295ELNS1_3gpuE0ELNS1_3repE0EEENS1_30default_config_static_selectorELNS0_4arch9wavefront6targetE1EEEvT1_ ; -- Begin function _ZN7rocprim17ROCPRIM_400000_NS6detail17trampoline_kernelINS0_14default_configENS1_33run_length_encode_config_selectorIfjNS0_4plusIjEEEEZZNS1_33reduce_by_key_impl_wrapped_configILNS1_25lookback_scan_determinismE0ES3_S7_PKfNS0_17constant_iteratorIjlEEPfPlSF_S6_NS0_8equal_toIfEEEE10hipError_tPvRmT2_T3_mT4_T5_T6_T7_T8_P12ihipStream_tbENKUlT_T0_E_clISt17integral_constantIbLb1EESZ_EEDaSU_SV_EUlSU_E_NS1_11comp_targetILNS1_3genE0ELNS1_11target_archE4294967295ELNS1_3gpuE0ELNS1_3repE0EEENS1_30default_config_static_selectorELNS0_4arch9wavefront6targetE1EEEvT1_
	.globl	_ZN7rocprim17ROCPRIM_400000_NS6detail17trampoline_kernelINS0_14default_configENS1_33run_length_encode_config_selectorIfjNS0_4plusIjEEEEZZNS1_33reduce_by_key_impl_wrapped_configILNS1_25lookback_scan_determinismE0ES3_S7_PKfNS0_17constant_iteratorIjlEEPfPlSF_S6_NS0_8equal_toIfEEEE10hipError_tPvRmT2_T3_mT4_T5_T6_T7_T8_P12ihipStream_tbENKUlT_T0_E_clISt17integral_constantIbLb1EESZ_EEDaSU_SV_EUlSU_E_NS1_11comp_targetILNS1_3genE0ELNS1_11target_archE4294967295ELNS1_3gpuE0ELNS1_3repE0EEENS1_30default_config_static_selectorELNS0_4arch9wavefront6targetE1EEEvT1_
	.p2align	8
	.type	_ZN7rocprim17ROCPRIM_400000_NS6detail17trampoline_kernelINS0_14default_configENS1_33run_length_encode_config_selectorIfjNS0_4plusIjEEEEZZNS1_33reduce_by_key_impl_wrapped_configILNS1_25lookback_scan_determinismE0ES3_S7_PKfNS0_17constant_iteratorIjlEEPfPlSF_S6_NS0_8equal_toIfEEEE10hipError_tPvRmT2_T3_mT4_T5_T6_T7_T8_P12ihipStream_tbENKUlT_T0_E_clISt17integral_constantIbLb1EESZ_EEDaSU_SV_EUlSU_E_NS1_11comp_targetILNS1_3genE0ELNS1_11target_archE4294967295ELNS1_3gpuE0ELNS1_3repE0EEENS1_30default_config_static_selectorELNS0_4arch9wavefront6targetE1EEEvT1_,@function
_ZN7rocprim17ROCPRIM_400000_NS6detail17trampoline_kernelINS0_14default_configENS1_33run_length_encode_config_selectorIfjNS0_4plusIjEEEEZZNS1_33reduce_by_key_impl_wrapped_configILNS1_25lookback_scan_determinismE0ES3_S7_PKfNS0_17constant_iteratorIjlEEPfPlSF_S6_NS0_8equal_toIfEEEE10hipError_tPvRmT2_T3_mT4_T5_T6_T7_T8_P12ihipStream_tbENKUlT_T0_E_clISt17integral_constantIbLb1EESZ_EEDaSU_SV_EUlSU_E_NS1_11comp_targetILNS1_3genE0ELNS1_11target_archE4294967295ELNS1_3gpuE0ELNS1_3repE0EEENS1_30default_config_static_selectorELNS0_4arch9wavefront6targetE1EEEvT1_: ; @_ZN7rocprim17ROCPRIM_400000_NS6detail17trampoline_kernelINS0_14default_configENS1_33run_length_encode_config_selectorIfjNS0_4plusIjEEEEZZNS1_33reduce_by_key_impl_wrapped_configILNS1_25lookback_scan_determinismE0ES3_S7_PKfNS0_17constant_iteratorIjlEEPfPlSF_S6_NS0_8equal_toIfEEEE10hipError_tPvRmT2_T3_mT4_T5_T6_T7_T8_P12ihipStream_tbENKUlT_T0_E_clISt17integral_constantIbLb1EESZ_EEDaSU_SV_EUlSU_E_NS1_11comp_targetILNS1_3genE0ELNS1_11target_archE4294967295ELNS1_3gpuE0ELNS1_3repE0EEENS1_30default_config_static_selectorELNS0_4arch9wavefront6targetE1EEEvT1_
; %bb.0:
	.section	.rodata,"a",@progbits
	.p2align	6, 0x0
	.amdhsa_kernel _ZN7rocprim17ROCPRIM_400000_NS6detail17trampoline_kernelINS0_14default_configENS1_33run_length_encode_config_selectorIfjNS0_4plusIjEEEEZZNS1_33reduce_by_key_impl_wrapped_configILNS1_25lookback_scan_determinismE0ES3_S7_PKfNS0_17constant_iteratorIjlEEPfPlSF_S6_NS0_8equal_toIfEEEE10hipError_tPvRmT2_T3_mT4_T5_T6_T7_T8_P12ihipStream_tbENKUlT_T0_E_clISt17integral_constantIbLb1EESZ_EEDaSU_SV_EUlSU_E_NS1_11comp_targetILNS1_3genE0ELNS1_11target_archE4294967295ELNS1_3gpuE0ELNS1_3repE0EEENS1_30default_config_static_selectorELNS0_4arch9wavefront6targetE1EEEvT1_
		.amdhsa_group_segment_fixed_size 0
		.amdhsa_private_segment_fixed_size 0
		.amdhsa_kernarg_size 128
		.amdhsa_user_sgpr_count 2
		.amdhsa_user_sgpr_dispatch_ptr 0
		.amdhsa_user_sgpr_queue_ptr 0
		.amdhsa_user_sgpr_kernarg_segment_ptr 1
		.amdhsa_user_sgpr_dispatch_id 0
		.amdhsa_user_sgpr_kernarg_preload_length 0
		.amdhsa_user_sgpr_kernarg_preload_offset 0
		.amdhsa_user_sgpr_private_segment_size 0
		.amdhsa_uses_dynamic_stack 0
		.amdhsa_enable_private_segment 0
		.amdhsa_system_sgpr_workgroup_id_x 1
		.amdhsa_system_sgpr_workgroup_id_y 0
		.amdhsa_system_sgpr_workgroup_id_z 0
		.amdhsa_system_sgpr_workgroup_info 0
		.amdhsa_system_vgpr_workitem_id 0
		.amdhsa_next_free_vgpr 1
		.amdhsa_next_free_sgpr 0
		.amdhsa_accum_offset 4
		.amdhsa_reserve_vcc 0
		.amdhsa_float_round_mode_32 0
		.amdhsa_float_round_mode_16_64 0
		.amdhsa_float_denorm_mode_32 3
		.amdhsa_float_denorm_mode_16_64 3
		.amdhsa_dx10_clamp 1
		.amdhsa_ieee_mode 1
		.amdhsa_fp16_overflow 0
		.amdhsa_tg_split 0
		.amdhsa_exception_fp_ieee_invalid_op 0
		.amdhsa_exception_fp_denorm_src 0
		.amdhsa_exception_fp_ieee_div_zero 0
		.amdhsa_exception_fp_ieee_overflow 0
		.amdhsa_exception_fp_ieee_underflow 0
		.amdhsa_exception_fp_ieee_inexact 0
		.amdhsa_exception_int_div_zero 0
	.end_amdhsa_kernel
	.section	.text._ZN7rocprim17ROCPRIM_400000_NS6detail17trampoline_kernelINS0_14default_configENS1_33run_length_encode_config_selectorIfjNS0_4plusIjEEEEZZNS1_33reduce_by_key_impl_wrapped_configILNS1_25lookback_scan_determinismE0ES3_S7_PKfNS0_17constant_iteratorIjlEEPfPlSF_S6_NS0_8equal_toIfEEEE10hipError_tPvRmT2_T3_mT4_T5_T6_T7_T8_P12ihipStream_tbENKUlT_T0_E_clISt17integral_constantIbLb1EESZ_EEDaSU_SV_EUlSU_E_NS1_11comp_targetILNS1_3genE0ELNS1_11target_archE4294967295ELNS1_3gpuE0ELNS1_3repE0EEENS1_30default_config_static_selectorELNS0_4arch9wavefront6targetE1EEEvT1_,"axG",@progbits,_ZN7rocprim17ROCPRIM_400000_NS6detail17trampoline_kernelINS0_14default_configENS1_33run_length_encode_config_selectorIfjNS0_4plusIjEEEEZZNS1_33reduce_by_key_impl_wrapped_configILNS1_25lookback_scan_determinismE0ES3_S7_PKfNS0_17constant_iteratorIjlEEPfPlSF_S6_NS0_8equal_toIfEEEE10hipError_tPvRmT2_T3_mT4_T5_T6_T7_T8_P12ihipStream_tbENKUlT_T0_E_clISt17integral_constantIbLb1EESZ_EEDaSU_SV_EUlSU_E_NS1_11comp_targetILNS1_3genE0ELNS1_11target_archE4294967295ELNS1_3gpuE0ELNS1_3repE0EEENS1_30default_config_static_selectorELNS0_4arch9wavefront6targetE1EEEvT1_,comdat
.Lfunc_end382:
	.size	_ZN7rocprim17ROCPRIM_400000_NS6detail17trampoline_kernelINS0_14default_configENS1_33run_length_encode_config_selectorIfjNS0_4plusIjEEEEZZNS1_33reduce_by_key_impl_wrapped_configILNS1_25lookback_scan_determinismE0ES3_S7_PKfNS0_17constant_iteratorIjlEEPfPlSF_S6_NS0_8equal_toIfEEEE10hipError_tPvRmT2_T3_mT4_T5_T6_T7_T8_P12ihipStream_tbENKUlT_T0_E_clISt17integral_constantIbLb1EESZ_EEDaSU_SV_EUlSU_E_NS1_11comp_targetILNS1_3genE0ELNS1_11target_archE4294967295ELNS1_3gpuE0ELNS1_3repE0EEENS1_30default_config_static_selectorELNS0_4arch9wavefront6targetE1EEEvT1_, .Lfunc_end382-_ZN7rocprim17ROCPRIM_400000_NS6detail17trampoline_kernelINS0_14default_configENS1_33run_length_encode_config_selectorIfjNS0_4plusIjEEEEZZNS1_33reduce_by_key_impl_wrapped_configILNS1_25lookback_scan_determinismE0ES3_S7_PKfNS0_17constant_iteratorIjlEEPfPlSF_S6_NS0_8equal_toIfEEEE10hipError_tPvRmT2_T3_mT4_T5_T6_T7_T8_P12ihipStream_tbENKUlT_T0_E_clISt17integral_constantIbLb1EESZ_EEDaSU_SV_EUlSU_E_NS1_11comp_targetILNS1_3genE0ELNS1_11target_archE4294967295ELNS1_3gpuE0ELNS1_3repE0EEENS1_30default_config_static_selectorELNS0_4arch9wavefront6targetE1EEEvT1_
                                        ; -- End function
	.section	.AMDGPU.csdata,"",@progbits
; Kernel info:
; codeLenInByte = 0
; NumSgprs: 6
; NumVgprs: 0
; NumAgprs: 0
; TotalNumVgprs: 0
; ScratchSize: 0
; MemoryBound: 0
; FloatMode: 240
; IeeeMode: 1
; LDSByteSize: 0 bytes/workgroup (compile time only)
; SGPRBlocks: 0
; VGPRBlocks: 0
; NumSGPRsForWavesPerEU: 6
; NumVGPRsForWavesPerEU: 1
; AccumOffset: 4
; Occupancy: 8
; WaveLimiterHint : 0
; COMPUTE_PGM_RSRC2:SCRATCH_EN: 0
; COMPUTE_PGM_RSRC2:USER_SGPR: 2
; COMPUTE_PGM_RSRC2:TRAP_HANDLER: 0
; COMPUTE_PGM_RSRC2:TGID_X_EN: 1
; COMPUTE_PGM_RSRC2:TGID_Y_EN: 0
; COMPUTE_PGM_RSRC2:TGID_Z_EN: 0
; COMPUTE_PGM_RSRC2:TIDIG_COMP_CNT: 0
; COMPUTE_PGM_RSRC3_GFX90A:ACCUM_OFFSET: 0
; COMPUTE_PGM_RSRC3_GFX90A:TG_SPLIT: 0
	.section	.text._ZN7rocprim17ROCPRIM_400000_NS6detail17trampoline_kernelINS0_14default_configENS1_33run_length_encode_config_selectorIfjNS0_4plusIjEEEEZZNS1_33reduce_by_key_impl_wrapped_configILNS1_25lookback_scan_determinismE0ES3_S7_PKfNS0_17constant_iteratorIjlEEPfPlSF_S6_NS0_8equal_toIfEEEE10hipError_tPvRmT2_T3_mT4_T5_T6_T7_T8_P12ihipStream_tbENKUlT_T0_E_clISt17integral_constantIbLb1EESZ_EEDaSU_SV_EUlSU_E_NS1_11comp_targetILNS1_3genE5ELNS1_11target_archE942ELNS1_3gpuE9ELNS1_3repE0EEENS1_30default_config_static_selectorELNS0_4arch9wavefront6targetE1EEEvT1_,"axG",@progbits,_ZN7rocprim17ROCPRIM_400000_NS6detail17trampoline_kernelINS0_14default_configENS1_33run_length_encode_config_selectorIfjNS0_4plusIjEEEEZZNS1_33reduce_by_key_impl_wrapped_configILNS1_25lookback_scan_determinismE0ES3_S7_PKfNS0_17constant_iteratorIjlEEPfPlSF_S6_NS0_8equal_toIfEEEE10hipError_tPvRmT2_T3_mT4_T5_T6_T7_T8_P12ihipStream_tbENKUlT_T0_E_clISt17integral_constantIbLb1EESZ_EEDaSU_SV_EUlSU_E_NS1_11comp_targetILNS1_3genE5ELNS1_11target_archE942ELNS1_3gpuE9ELNS1_3repE0EEENS1_30default_config_static_selectorELNS0_4arch9wavefront6targetE1EEEvT1_,comdat
	.protected	_ZN7rocprim17ROCPRIM_400000_NS6detail17trampoline_kernelINS0_14default_configENS1_33run_length_encode_config_selectorIfjNS0_4plusIjEEEEZZNS1_33reduce_by_key_impl_wrapped_configILNS1_25lookback_scan_determinismE0ES3_S7_PKfNS0_17constant_iteratorIjlEEPfPlSF_S6_NS0_8equal_toIfEEEE10hipError_tPvRmT2_T3_mT4_T5_T6_T7_T8_P12ihipStream_tbENKUlT_T0_E_clISt17integral_constantIbLb1EESZ_EEDaSU_SV_EUlSU_E_NS1_11comp_targetILNS1_3genE5ELNS1_11target_archE942ELNS1_3gpuE9ELNS1_3repE0EEENS1_30default_config_static_selectorELNS0_4arch9wavefront6targetE1EEEvT1_ ; -- Begin function _ZN7rocprim17ROCPRIM_400000_NS6detail17trampoline_kernelINS0_14default_configENS1_33run_length_encode_config_selectorIfjNS0_4plusIjEEEEZZNS1_33reduce_by_key_impl_wrapped_configILNS1_25lookback_scan_determinismE0ES3_S7_PKfNS0_17constant_iteratorIjlEEPfPlSF_S6_NS0_8equal_toIfEEEE10hipError_tPvRmT2_T3_mT4_T5_T6_T7_T8_P12ihipStream_tbENKUlT_T0_E_clISt17integral_constantIbLb1EESZ_EEDaSU_SV_EUlSU_E_NS1_11comp_targetILNS1_3genE5ELNS1_11target_archE942ELNS1_3gpuE9ELNS1_3repE0EEENS1_30default_config_static_selectorELNS0_4arch9wavefront6targetE1EEEvT1_
	.globl	_ZN7rocprim17ROCPRIM_400000_NS6detail17trampoline_kernelINS0_14default_configENS1_33run_length_encode_config_selectorIfjNS0_4plusIjEEEEZZNS1_33reduce_by_key_impl_wrapped_configILNS1_25lookback_scan_determinismE0ES3_S7_PKfNS0_17constant_iteratorIjlEEPfPlSF_S6_NS0_8equal_toIfEEEE10hipError_tPvRmT2_T3_mT4_T5_T6_T7_T8_P12ihipStream_tbENKUlT_T0_E_clISt17integral_constantIbLb1EESZ_EEDaSU_SV_EUlSU_E_NS1_11comp_targetILNS1_3genE5ELNS1_11target_archE942ELNS1_3gpuE9ELNS1_3repE0EEENS1_30default_config_static_selectorELNS0_4arch9wavefront6targetE1EEEvT1_
	.p2align	8
	.type	_ZN7rocprim17ROCPRIM_400000_NS6detail17trampoline_kernelINS0_14default_configENS1_33run_length_encode_config_selectorIfjNS0_4plusIjEEEEZZNS1_33reduce_by_key_impl_wrapped_configILNS1_25lookback_scan_determinismE0ES3_S7_PKfNS0_17constant_iteratorIjlEEPfPlSF_S6_NS0_8equal_toIfEEEE10hipError_tPvRmT2_T3_mT4_T5_T6_T7_T8_P12ihipStream_tbENKUlT_T0_E_clISt17integral_constantIbLb1EESZ_EEDaSU_SV_EUlSU_E_NS1_11comp_targetILNS1_3genE5ELNS1_11target_archE942ELNS1_3gpuE9ELNS1_3repE0EEENS1_30default_config_static_selectorELNS0_4arch9wavefront6targetE1EEEvT1_,@function
_ZN7rocprim17ROCPRIM_400000_NS6detail17trampoline_kernelINS0_14default_configENS1_33run_length_encode_config_selectorIfjNS0_4plusIjEEEEZZNS1_33reduce_by_key_impl_wrapped_configILNS1_25lookback_scan_determinismE0ES3_S7_PKfNS0_17constant_iteratorIjlEEPfPlSF_S6_NS0_8equal_toIfEEEE10hipError_tPvRmT2_T3_mT4_T5_T6_T7_T8_P12ihipStream_tbENKUlT_T0_E_clISt17integral_constantIbLb1EESZ_EEDaSU_SV_EUlSU_E_NS1_11comp_targetILNS1_3genE5ELNS1_11target_archE942ELNS1_3gpuE9ELNS1_3repE0EEENS1_30default_config_static_selectorELNS0_4arch9wavefront6targetE1EEEvT1_: ; @_ZN7rocprim17ROCPRIM_400000_NS6detail17trampoline_kernelINS0_14default_configENS1_33run_length_encode_config_selectorIfjNS0_4plusIjEEEEZZNS1_33reduce_by_key_impl_wrapped_configILNS1_25lookback_scan_determinismE0ES3_S7_PKfNS0_17constant_iteratorIjlEEPfPlSF_S6_NS0_8equal_toIfEEEE10hipError_tPvRmT2_T3_mT4_T5_T6_T7_T8_P12ihipStream_tbENKUlT_T0_E_clISt17integral_constantIbLb1EESZ_EEDaSU_SV_EUlSU_E_NS1_11comp_targetILNS1_3genE5ELNS1_11target_archE942ELNS1_3gpuE9ELNS1_3repE0EEENS1_30default_config_static_selectorELNS0_4arch9wavefront6targetE1EEEvT1_
; %bb.0:
	s_load_dword s10, s[0:1], 0x10
	s_load_dwordx4 s[44:47], s[0:1], 0x20
	s_load_dwordx2 s[48:49], s[0:1], 0x30
	s_load_dwordx2 s[50:51], s[0:1], 0x70
	s_load_dwordx4 s[28:31], s[0:1], 0x60
	s_load_dwordx8 s[36:43], s[0:1], 0x40
	v_cmp_ne_u32_e64 s[2:3], 0, v0
	v_cmp_eq_u32_e64 s[34:35], 0, v0
	s_and_saveexec_b64 s[4:5], s[34:35]
	s_cbranch_execz .LBB383_4
; %bb.1:
	s_mov_b64 s[8:9], exec
	v_mbcnt_lo_u32_b32 v1, s8, 0
	v_mbcnt_hi_u32_b32 v1, s9, v1
	v_cmp_eq_u32_e32 vcc, 0, v1
                                        ; implicit-def: $vgpr2
	s_and_saveexec_b64 s[6:7], vcc
	s_cbranch_execz .LBB383_3
; %bb.2:
	s_load_dwordx2 s[12:13], s[0:1], 0x78
	s_bcnt1_i32_b64 s8, s[8:9]
	v_mov_b32_e32 v2, 0
	v_mov_b32_e32 v3, s8
	s_waitcnt lgkmcnt(0)
	global_atomic_add v2, v2, v3, s[12:13] sc0
.LBB383_3:
	s_or_b64 exec, exec, s[6:7]
	s_waitcnt vmcnt(0)
	v_readfirstlane_b32 s6, v2
	v_mov_b32_e32 v2, 0
	s_nop 0
	v_add_u32_e32 v1, s6, v1
	ds_write_b32 v2, v1
.LBB383_4:
	s_or_b64 exec, exec, s[4:5]
	s_load_dwordx4 s[4:7], s[0:1], 0x0
	v_mov_b32_e32 v5, 0
	s_waitcnt lgkmcnt(0)
	s_barrier
	ds_read_b32 v1, v5
	s_mul_i32 s0, s40, s39
	s_mul_hi_u32 s1, s40, s38
	s_add_i32 s0, s1, s0
	s_mul_i32 s1, s41, s38
	s_add_i32 s8, s0, s1
	s_lshl_b64 s[0:1], s[6:7], 2
	s_add_u32 s0, s4, s0
	s_movk_i32 s4, 0x1e00
	s_waitcnt lgkmcnt(0)
	v_mul_lo_u32 v4, v1, s4
	s_mul_i32 s9, s40, s38
	s_addc_u32 s1, s5, s1
	v_readfirstlane_b32 s56, v1
	v_lshlrev_b64 v[2:3], 2, v[4:5]
	v_lshl_add_u64 v[2:3], s[0:1], 0, v[2:3]
	s_add_u32 s0, s9, s56
	s_addc_u32 s1, s8, 0
	s_add_u32 s4, s42, -1
	s_addc_u32 s5, s43, -1
	s_cmp_eq_u64 s[0:1], s[4:5]
	s_cselect_b64 s[40:41], -1, 0
	s_cmp_lg_u64 s[0:1], s[4:5]
	s_mov_b64 s[8:9], -1
	s_cselect_b64 s[6:7], -1, 0
	s_mul_i32 s33, s4, 0xffffe200
	s_and_b64 vcc, exec, s[40:41]
	s_barrier
	s_cbranch_vccnz .LBB383_6
; %bb.5:
	v_lshlrev_b32_e32 v4, 2, v0
	v_lshl_add_u64 v[6:7], v[2:3], 0, v[4:5]
	v_add_co_u32_e32 v8, vcc, 0x1000, v6
	v_readfirstlane_b32 s4, v2
	s_nop 0
	v_addc_co_u32_e32 v9, vcc, 0, v7, vcc
	v_add_co_u32_e32 v10, vcc, 0x2000, v6
	v_readfirstlane_b32 s5, v3
	s_nop 0
	v_addc_co_u32_e32 v11, vcc, 0, v7, vcc
	v_add_co_u32_e32 v12, vcc, 0x3000, v6
	s_nop 1
	global_load_dword v1, v4, s[4:5]
	global_load_dword v5, v4, s[4:5] offset:2048
	v_addc_co_u32_e32 v13, vcc, 0, v7, vcc
	v_add_co_u32_e32 v14, vcc, 0x4000, v6
	s_nop 1
	v_addc_co_u32_e32 v15, vcc, 0, v7, vcc
	global_load_dword v16, v[8:9], off
	global_load_dword v17, v[8:9], off offset:2048
	global_load_dword v18, v[10:11], off
	global_load_dword v19, v[10:11], off offset:2048
	;; [unrolled: 2-line block ×4, first 2 shown]
	v_add_co_u32_e32 v8, vcc, 0x5000, v6
	s_mov_b64 s[4:5], -1
	s_nop 0
	v_addc_co_u32_e32 v9, vcc, 0, v7, vcc
	v_add_co_u32_e32 v10, vcc, 0x6000, v6
	s_nop 1
	v_addc_co_u32_e32 v11, vcc, 0, v7, vcc
	global_load_dword v12, v[8:9], off
	global_load_dword v13, v[8:9], off offset:2048
	global_load_dword v14, v[10:11], off
	global_load_dword v15, v[10:11], off offset:2048
	v_add_co_u32_e32 v6, vcc, 0x7000, v6
	s_nop 1
	v_addc_co_u32_e32 v7, vcc, 0, v7, vcc
	global_load_dword v6, v[6:7], off
	v_mad_u32_u24 v7, v0, 56, v4
	s_waitcnt vmcnt(13)
	ds_write2st64_b32 v4, v1, v5 offset1:8
	s_waitcnt vmcnt(11)
	ds_write2st64_b32 v4, v16, v17 offset0:16 offset1:24
	s_waitcnt vmcnt(9)
	ds_write2st64_b32 v4, v18, v19 offset0:32 offset1:40
	;; [unrolled: 2-line block ×6, first 2 shown]
	s_waitcnt vmcnt(0)
	ds_write_b32 v4, v6 offset:28672
	s_waitcnt lgkmcnt(0)
	s_barrier
	ds_read2_b32 v[20:21], v7 offset1:1
	ds_read2_b32 v[18:19], v7 offset0:2 offset1:3
	ds_read2_b32 v[16:17], v7 offset0:4 offset1:5
	;; [unrolled: 1-line block ×6, first 2 shown]
	ds_read_b32 v1, v7 offset:56
	s_waitcnt lgkmcnt(7)
	v_mov_b32_e32 v24, v20
	s_waitcnt lgkmcnt(6)
	v_mov_b32_e32 v25, v18
	;; [unrolled: 2-line block ×7, first 2 shown]
	s_add_i32 s33, s33, s28
	s_cbranch_execz .LBB383_7
	s_branch .LBB383_38
.LBB383_6:
	s_mov_b64 s[4:5], 0
                                        ; implicit-def: $vgpr1
                                        ; implicit-def: $vgpr8
                                        ; implicit-def: $vgpr10
                                        ; implicit-def: $vgpr12
                                        ; implicit-def: $vgpr14
                                        ; implicit-def: $vgpr16
                                        ; implicit-def: $vgpr18
                                        ; implicit-def: $vgpr20
                                        ; implicit-def: $vgpr4_vgpr5
                                        ; implicit-def: $vgpr6_vgpr7
                                        ; implicit-def: $vgpr24_vgpr25
                                        ; implicit-def: $vgpr22_vgpr23
	s_add_i32 s33, s33, s28
	s_andn2_b64 vcc, exec, s[8:9]
	s_cbranch_vccnz .LBB383_38
.LBB383_7:
	v_cmp_gt_u32_e32 vcc, s33, v0
                                        ; implicit-def: $vgpr1
	s_and_saveexec_b64 s[4:5], vcc
	s_cbranch_execz .LBB383_9
; %bb.8:
	s_waitcnt lgkmcnt(0)
	v_lshlrev_b32_e32 v1, 2, v0
	v_readfirstlane_b32 s8, v2
	v_readfirstlane_b32 s9, v3
	s_nop 4
	global_load_dword v1, v1, s[8:9]
.LBB383_9:
	s_or_b64 exec, exec, s[4:5]
	v_or_b32_e32 v4, 0x200, v0
	v_cmp_gt_u32_e32 vcc, s33, v4
                                        ; implicit-def: $vgpr4
	s_and_saveexec_b64 s[4:5], vcc
	s_cbranch_execz .LBB383_11
; %bb.10:
	v_lshlrev_b32_e32 v4, 2, v0
	v_readfirstlane_b32 s8, v2
	v_readfirstlane_b32 s9, v3
	s_nop 4
	global_load_dword v4, v4, s[8:9] offset:2048
.LBB383_11:
	s_or_b64 exec, exec, s[4:5]
	v_or_b32_e32 v6, 0x400, v0
	v_cmp_gt_u32_e32 vcc, s33, v6
                                        ; implicit-def: $vgpr5
	s_and_saveexec_b64 s[4:5], vcc
	s_cbranch_execz .LBB383_13
; %bb.12:
	v_lshlrev_b32_e32 v5, 2, v6
	v_readfirstlane_b32 s8, v2
	v_readfirstlane_b32 s9, v3
	s_nop 4
	global_load_dword v5, v5, s[8:9]
.LBB383_13:
	s_or_b64 exec, exec, s[4:5]
	v_or_b32_e32 v7, 0x600, v0
	v_cmp_gt_u32_e32 vcc, s33, v7
                                        ; implicit-def: $vgpr6
	s_and_saveexec_b64 s[4:5], vcc
	s_cbranch_execz .LBB383_15
; %bb.14:
	v_lshlrev_b32_e32 v6, 2, v7
	v_readfirstlane_b32 s8, v2
	v_readfirstlane_b32 s9, v3
	s_nop 4
	global_load_dword v6, v6, s[8:9]
.LBB383_15:
	s_or_b64 exec, exec, s[4:5]
	v_or_b32_e32 v8, 0x800, v0
	v_cmp_gt_u32_e32 vcc, s33, v8
                                        ; implicit-def: $vgpr7
	s_and_saveexec_b64 s[4:5], vcc
	s_cbranch_execz .LBB383_17
; %bb.16:
	v_lshlrev_b32_e32 v7, 2, v8
	v_readfirstlane_b32 s8, v2
	v_readfirstlane_b32 s9, v3
	s_nop 4
	global_load_dword v7, v7, s[8:9]
.LBB383_17:
	s_or_b64 exec, exec, s[4:5]
	v_or_b32_e32 v9, 0xa00, v0
	v_cmp_gt_u32_e32 vcc, s33, v9
                                        ; implicit-def: $vgpr8
	s_and_saveexec_b64 s[4:5], vcc
	s_cbranch_execz .LBB383_19
; %bb.18:
	v_lshlrev_b32_e32 v8, 2, v9
	v_readfirstlane_b32 s8, v2
	v_readfirstlane_b32 s9, v3
	s_nop 4
	global_load_dword v8, v8, s[8:9]
.LBB383_19:
	s_or_b64 exec, exec, s[4:5]
	v_or_b32_e32 v10, 0xc00, v0
	v_cmp_gt_u32_e32 vcc, s33, v10
                                        ; implicit-def: $vgpr9
	s_and_saveexec_b64 s[4:5], vcc
	s_cbranch_execz .LBB383_21
; %bb.20:
	v_lshlrev_b32_e32 v9, 2, v10
	v_readfirstlane_b32 s8, v2
	v_readfirstlane_b32 s9, v3
	s_nop 4
	global_load_dword v9, v9, s[8:9]
.LBB383_21:
	s_or_b64 exec, exec, s[4:5]
	v_or_b32_e32 v11, 0xe00, v0
	v_cmp_gt_u32_e32 vcc, s33, v11
                                        ; implicit-def: $vgpr10
	s_and_saveexec_b64 s[4:5], vcc
	s_cbranch_execz .LBB383_23
; %bb.22:
	v_lshlrev_b32_e32 v10, 2, v11
	v_readfirstlane_b32 s8, v2
	v_readfirstlane_b32 s9, v3
	s_nop 4
	global_load_dword v10, v10, s[8:9]
.LBB383_23:
	s_or_b64 exec, exec, s[4:5]
	v_or_b32_e32 v12, 0x1000, v0
	v_cmp_gt_u32_e32 vcc, s33, v12
                                        ; implicit-def: $vgpr11
	s_and_saveexec_b64 s[4:5], vcc
	s_cbranch_execz .LBB383_25
; %bb.24:
	v_lshlrev_b32_e32 v11, 2, v12
	v_readfirstlane_b32 s8, v2
	v_readfirstlane_b32 s9, v3
	s_nop 4
	global_load_dword v11, v11, s[8:9]
.LBB383_25:
	s_or_b64 exec, exec, s[4:5]
	v_or_b32_e32 v13, 0x1200, v0
	v_cmp_gt_u32_e32 vcc, s33, v13
                                        ; implicit-def: $vgpr12
	s_and_saveexec_b64 s[4:5], vcc
	s_cbranch_execz .LBB383_27
; %bb.26:
	v_lshlrev_b32_e32 v12, 2, v13
	v_readfirstlane_b32 s8, v2
	v_readfirstlane_b32 s9, v3
	s_nop 4
	global_load_dword v12, v12, s[8:9]
.LBB383_27:
	s_or_b64 exec, exec, s[4:5]
	v_or_b32_e32 v14, 0x1400, v0
	v_cmp_gt_u32_e32 vcc, s33, v14
                                        ; implicit-def: $vgpr13
	s_and_saveexec_b64 s[4:5], vcc
	s_cbranch_execz .LBB383_29
; %bb.28:
	v_lshlrev_b32_e32 v13, 2, v14
	v_readfirstlane_b32 s8, v2
	v_readfirstlane_b32 s9, v3
	s_nop 4
	global_load_dword v13, v13, s[8:9]
.LBB383_29:
	s_or_b64 exec, exec, s[4:5]
	v_or_b32_e32 v15, 0x1600, v0
	v_cmp_gt_u32_e32 vcc, s33, v15
                                        ; implicit-def: $vgpr14
	s_and_saveexec_b64 s[4:5], vcc
	s_cbranch_execz .LBB383_31
; %bb.30:
	v_lshlrev_b32_e32 v14, 2, v15
	v_readfirstlane_b32 s8, v2
	v_readfirstlane_b32 s9, v3
	s_nop 4
	global_load_dword v14, v14, s[8:9]
.LBB383_31:
	s_or_b64 exec, exec, s[4:5]
	v_or_b32_e32 v16, 0x1800, v0
	v_cmp_gt_u32_e32 vcc, s33, v16
                                        ; implicit-def: $vgpr15
	s_and_saveexec_b64 s[4:5], vcc
	s_cbranch_execz .LBB383_33
; %bb.32:
	v_lshlrev_b32_e32 v15, 2, v16
	v_readfirstlane_b32 s8, v2
	v_readfirstlane_b32 s9, v3
	s_nop 4
	global_load_dword v15, v15, s[8:9]
.LBB383_33:
	s_or_b64 exec, exec, s[4:5]
	v_or_b32_e32 v17, 0x1a00, v0
	v_cmp_gt_u32_e32 vcc, s33, v17
                                        ; implicit-def: $vgpr16
	s_and_saveexec_b64 s[4:5], vcc
	s_cbranch_execz .LBB383_35
; %bb.34:
	v_lshlrev_b32_e32 v16, 2, v17
	v_readfirstlane_b32 s8, v2
	v_readfirstlane_b32 s9, v3
	s_nop 4
	global_load_dword v16, v16, s[8:9]
.LBB383_35:
	s_or_b64 exec, exec, s[4:5]
	v_or_b32_e32 v18, 0x1c00, v0
	v_cmp_gt_u32_e32 vcc, s33, v18
                                        ; implicit-def: $vgpr17
	s_and_saveexec_b64 s[4:5], vcc
	s_cbranch_execz .LBB383_37
; %bb.36:
	v_lshlrev_b32_e32 v17, 2, v18
	v_readfirstlane_b32 s8, v2
	v_readfirstlane_b32 s9, v3
	s_nop 4
	global_load_dword v17, v17, s[8:9]
.LBB383_37:
	s_or_b64 exec, exec, s[4:5]
	v_lshlrev_b32_e32 v18, 2, v0
	s_waitcnt vmcnt(0) lgkmcnt(0)
	ds_write2st64_b32 v18, v1, v4 offset1:8
	ds_write2st64_b32 v18, v5, v6 offset0:16 offset1:24
	ds_write2st64_b32 v18, v7, v8 offset0:32 offset1:40
	;; [unrolled: 1-line block ×6, first 2 shown]
	ds_write_b32 v18, v17 offset:28672
	v_mad_u32_u24 v1, v0, 56, v18
	s_waitcnt lgkmcnt(0)
	s_barrier
	ds_read2_b32 v[20:21], v1 offset1:1
	ds_read2_b32 v[18:19], v1 offset0:2 offset1:3
	ds_read2_b32 v[16:17], v1 offset0:4 offset1:5
	;; [unrolled: 1-line block ×6, first 2 shown]
	ds_read_b32 v1, v1 offset:56
	v_mad_u32_u24 v4, v0, 15, 14
	v_cmp_gt_u32_e64 s[4:5], s33, v4
	s_waitcnt lgkmcnt(7)
	v_mov_b32_e32 v24, v20
	s_waitcnt lgkmcnt(6)
	v_mov_b32_e32 v25, v18
	;; [unrolled: 2-line block ×7, first 2 shown]
.LBB383_38:
	v_mov_b32_e32 v52, s10
                                        ; implicit-def: $vgpr53
	s_and_saveexec_b64 s[8:9], s[4:5]
; %bb.39:
	v_mov_b32_e32 v53, s10
; %bb.40:
	s_or_b64 exec, exec, s[8:9]
	s_cmp_eq_u64 s[0:1], 0
	s_cselect_b64 s[42:43], -1, 0
	s_cmp_lg_u64 s[0:1], 0
	s_mov_b64 s[4:5], 0
	s_cselect_b64 s[8:9], -1, 0
	s_and_b64 vcc, exec, s[6:7]
	s_waitcnt lgkmcnt(0)
	s_barrier
	s_cbranch_vccz .LBB383_46
; %bb.41:
	s_and_b64 vcc, exec, s[8:9]
	s_cbranch_vccz .LBB383_47
; %bb.42:
	global_load_dword v23, v[2:3], off offset:-4
	v_lshlrev_b32_e32 v26, 2, v0
	ds_write_b32 v26, v1
	s_waitcnt lgkmcnt(0)
	s_barrier
	s_and_saveexec_b64 s[4:5], s[2:3]
	s_cbranch_execz .LBB383_44
; %bb.43:
	s_waitcnt vmcnt(0)
	v_add_u32_e32 v23, -4, v26
	ds_read_b32 v23, v23
.LBB383_44:
	s_or_b64 exec, exec, s[4:5]
	v_cmp_neq_f32_e32 vcc, v24, v21
	s_waitcnt vmcnt(0) lgkmcnt(0)
	v_cmp_neq_f32_e64 s[6:7], v23, v20
	v_cndmask_b32_e64 v69, 0, 1, vcc
	v_cmp_neq_f32_e32 vcc, v25, v21
	s_mov_b64 s[4:5], -1
	s_nop 0
	v_cndmask_b32_e64 v68, 0, 1, vcc
	v_cmp_neq_f32_e32 vcc, v25, v19
	s_nop 1
	v_cndmask_b32_e64 v67, 0, 1, vcc
	v_cmp_neq_f32_e32 vcc, v6, v19
	;; [unrolled: 3-line block ×12, first 2 shown]
	s_nop 1
	v_cndmask_b32_e64 v56, 0, 1, vcc
.LBB383_45:
                                        ; implicit-def: $sgpr12
	s_branch .LBB383_59
.LBB383_46:
                                        ; implicit-def: $sgpr6_sgpr7
                                        ; implicit-def: $vgpr56
                                        ; implicit-def: $vgpr57
                                        ; implicit-def: $vgpr58
                                        ; implicit-def: $vgpr59
                                        ; implicit-def: $vgpr60
                                        ; implicit-def: $vgpr61
                                        ; implicit-def: $vgpr62
                                        ; implicit-def: $vgpr63
                                        ; implicit-def: $vgpr64
                                        ; implicit-def: $vgpr65
                                        ; implicit-def: $vgpr66
                                        ; implicit-def: $vgpr67
                                        ; implicit-def: $vgpr68
                                        ; implicit-def: $vgpr69
                                        ; implicit-def: $sgpr12
	s_cbranch_execnz .LBB383_51
	s_branch .LBB383_59
.LBB383_47:
                                        ; implicit-def: $sgpr6_sgpr7
                                        ; implicit-def: $vgpr56
                                        ; implicit-def: $vgpr57
                                        ; implicit-def: $vgpr58
                                        ; implicit-def: $vgpr59
                                        ; implicit-def: $vgpr60
                                        ; implicit-def: $vgpr61
                                        ; implicit-def: $vgpr62
                                        ; implicit-def: $vgpr63
                                        ; implicit-def: $vgpr64
                                        ; implicit-def: $vgpr65
                                        ; implicit-def: $vgpr66
                                        ; implicit-def: $vgpr67
                                        ; implicit-def: $vgpr68
                                        ; implicit-def: $vgpr69
	s_cbranch_execz .LBB383_45
; %bb.48:
	v_cmp_neq_f32_e32 vcc, v21, v24
	v_lshlrev_b32_e32 v23, 2, v0
	ds_write_b32 v23, v1
	v_cndmask_b32_e64 v69, 0, 1, vcc
	v_cmp_neq_f32_e32 vcc, v21, v25
	s_waitcnt lgkmcnt(0)
	s_barrier
	v_cndmask_b32_e64 v68, 0, 1, vcc
	v_cmp_neq_f32_e32 vcc, v25, v19
	s_waitcnt lgkmcnt(0)
                                        ; implicit-def: $sgpr6_sgpr7
	s_nop 0
	v_cndmask_b32_e64 v67, 0, 1, vcc
	v_cmp_neq_f32_e32 vcc, v6, v19
	s_nop 1
	v_cndmask_b32_e64 v66, 0, 1, vcc
	v_cmp_neq_f32_e32 vcc, v17, v6
	;; [unrolled: 3-line block ×11, first 2 shown]
	s_nop 1
	v_cndmask_b32_e64 v56, 0, 1, vcc
	s_and_saveexec_b64 s[10:11], s[2:3]
	s_xor_b64 s[10:11], exec, s[10:11]
	s_cbranch_execz .LBB383_50
; %bb.49:
	v_add_u32_e32 v4, -4, v23
	ds_read_b32 v4, v4
	s_or_b64 s[4:5], s[4:5], exec
	s_waitcnt lgkmcnt(0)
	v_cmp_neq_f32_e32 vcc, v4, v20
	s_and_b64 s[6:7], vcc, exec
.LBB383_50:
	s_or_b64 exec, exec, s[10:11]
	s_mov_b32 s12, 1
	s_branch .LBB383_59
.LBB383_51:
	s_mul_hi_u32 s6, s0, 0xffffe200
	s_mulk_i32 s1, 0xe200
	s_sub_i32 s6, s6, s0
	s_add_i32 s6, s6, s1
	s_mulk_i32 s0, 0xe200
	s_add_u32 s10, s0, s28
	s_addc_u32 s11, s6, s29
	s_and_b64 vcc, exec, s[8:9]
	s_cbranch_vccz .LBB383_56
; %bb.52:
	global_load_dword v6, v[2:3], off offset:-4
	v_mad_u32_u24 v4, v0, 15, 14
	v_mov_b32_e32 v5, 0
	v_cmp_gt_u64_e32 vcc, s[10:11], v[4:5]
	v_cmp_neq_f32_e64 s[0:1], v9, v1
	v_mad_u32_u24 v4, v0, 15, 13
	s_and_b64 s[4:5], vcc, s[0:1]
	v_cmp_gt_u64_e32 vcc, s[10:11], v[4:5]
	v_cmp_neq_f32_e64 s[0:1], v8, v9
	v_mad_u32_u24 v4, v0, 15, 12
	s_and_b64 s[6:7], vcc, s[0:1]
	v_cmp_gt_u64_e32 vcc, s[10:11], v[4:5]
	v_cmp_neq_f32_e64 s[0:1], v11, v8
	v_mad_u32_u24 v4, v0, 15, 11
	s_and_b64 s[8:9], vcc, s[0:1]
	v_cmp_gt_u64_e32 vcc, s[10:11], v[4:5]
	v_cmp_neq_f32_e64 s[0:1], v10, v11
	v_mad_u32_u24 v4, v0, 15, 10
	s_and_b64 s[12:13], vcc, s[0:1]
	v_cmp_gt_u64_e32 vcc, s[10:11], v[4:5]
	v_cmp_neq_f32_e64 s[0:1], v13, v10
	v_mad_u32_u24 v4, v0, 15, 9
	s_and_b64 s[14:15], vcc, s[0:1]
	v_cmp_gt_u64_e32 vcc, s[10:11], v[4:5]
	v_cmp_neq_f32_e64 s[0:1], v12, v13
	v_mad_u32_u24 v4, v0, 15, 8
	s_and_b64 s[16:17], vcc, s[0:1]
	v_cmp_gt_u64_e32 vcc, s[10:11], v[4:5]
	v_cmp_neq_f32_e64 s[0:1], v15, v12
	v_mad_u32_u24 v4, v0, 15, 7
	s_and_b64 s[18:19], vcc, s[0:1]
	v_cmp_gt_u64_e32 vcc, s[10:11], v[4:5]
	v_cmp_neq_f32_e64 s[0:1], v14, v15
	v_mad_u32_u24 v4, v0, 15, 6
	s_and_b64 s[20:21], vcc, s[0:1]
	v_cmp_gt_u64_e32 vcc, s[10:11], v[4:5]
	v_cmp_neq_f32_e64 s[0:1], v17, v14
	v_mad_u32_u24 v4, v0, 15, 5
	s_and_b64 s[22:23], vcc, s[0:1]
	v_cmp_gt_u64_e32 vcc, s[10:11], v[4:5]
	v_cmp_neq_f32_e64 s[0:1], v16, v17
	v_mad_u32_u24 v4, v0, 15, 4
	s_and_b64 s[24:25], vcc, s[0:1]
	v_cmp_gt_u64_e32 vcc, s[10:11], v[4:5]
	v_cmp_neq_f32_e64 s[0:1], v19, v16
	v_mad_u32_u24 v4, v0, 15, 3
	s_and_b64 s[26:27], vcc, s[0:1]
	v_cmp_gt_u64_e32 vcc, s[10:11], v[4:5]
	v_cmp_neq_f32_e64 s[0:1], v18, v19
	v_mad_u32_u24 v4, v0, 15, 2
	s_and_b64 s[28:29], vcc, s[0:1]
	v_cmp_gt_u64_e32 vcc, s[10:11], v[4:5]
	v_cmp_neq_f32_e64 s[0:1], v21, v18
	v_mad_u32_u24 v4, v0, 15, 1
	s_and_b64 s[52:53], vcc, s[0:1]
	v_cmp_gt_u64_e32 vcc, s[10:11], v[4:5]
	v_cmp_neq_f32_e64 s[0:1], v20, v21
	v_lshlrev_b32_e32 v3, 2, v0
	v_mul_u32_u24_e32 v2, 15, v0
	s_and_b64 s[0:1], vcc, s[0:1]
	ds_write_b32 v3, v1
	s_waitcnt lgkmcnt(0)
	s_barrier
	s_and_saveexec_b64 s[54:55], s[2:3]
	s_cbranch_execz .LBB383_54
; %bb.53:
	v_add_u32_e32 v3, -4, v3
	s_waitcnt vmcnt(0)
	ds_read_b32 v6, v3
.LBB383_54:
	s_or_b64 exec, exec, s[54:55]
	v_mov_b32_e32 v3, v5
	v_cndmask_b32_e64 v69, 0, 1, s[0:1]
	v_cmp_gt_u64_e32 vcc, s[10:11], v[2:3]
	s_waitcnt vmcnt(0) lgkmcnt(0)
	v_cmp_neq_f32_e64 s[0:1], v6, v20
	v_cndmask_b32_e64 v56, 0, 1, s[4:5]
	v_cndmask_b32_e64 v57, 0, 1, s[6:7]
	;; [unrolled: 1-line block ×13, first 2 shown]
	s_and_b64 s[6:7], vcc, s[0:1]
	s_mov_b64 s[4:5], -1
.LBB383_55:
                                        ; implicit-def: $sgpr12
	v_mov_b32_e32 v70, s12
	s_and_saveexec_b64 s[0:1], s[4:5]
	s_cbranch_execnz .LBB383_60
	s_branch .LBB383_61
.LBB383_56:
                                        ; implicit-def: $sgpr6_sgpr7
                                        ; implicit-def: $vgpr56
                                        ; implicit-def: $vgpr57
                                        ; implicit-def: $vgpr58
                                        ; implicit-def: $vgpr59
                                        ; implicit-def: $vgpr60
                                        ; implicit-def: $vgpr61
                                        ; implicit-def: $vgpr62
                                        ; implicit-def: $vgpr63
                                        ; implicit-def: $vgpr64
                                        ; implicit-def: $vgpr65
                                        ; implicit-def: $vgpr66
                                        ; implicit-def: $vgpr67
                                        ; implicit-def: $vgpr68
                                        ; implicit-def: $vgpr69
	s_cbranch_execz .LBB383_55
; %bb.57:
	v_mad_u32_u24 v2, v0, 15, 14
	v_mov_b32_e32 v3, 0
	v_cmp_gt_u64_e32 vcc, s[10:11], v[2:3]
	v_cmp_neq_f32_e64 s[0:1], v9, v1
	s_and_b64 s[0:1], vcc, s[0:1]
	v_mad_u32_u24 v2, v0, 15, 13
	v_cndmask_b32_e64 v56, 0, 1, s[0:1]
	v_cmp_gt_u64_e32 vcc, s[10:11], v[2:3]
	v_cmp_neq_f32_e64 s[0:1], v8, v9
	s_and_b64 s[0:1], vcc, s[0:1]
	v_mad_u32_u24 v2, v0, 15, 12
	v_cndmask_b32_e64 v57, 0, 1, s[0:1]
	;; [unrolled: 5-line block ×13, first 2 shown]
	v_cmp_gt_u64_e32 vcc, s[10:11], v[2:3]
	v_cmp_neq_f32_e64 s[0:1], v20, v21
	s_and_b64 s[0:1], vcc, s[0:1]
	v_lshlrev_b32_e32 v4, 2, v0
	s_mov_b32 s12, 1
	v_cndmask_b32_e64 v69, 0, 1, s[0:1]
	ds_write_b32 v4, v1
	s_waitcnt lgkmcnt(0)
	s_barrier
	s_waitcnt lgkmcnt(0)
                                        ; implicit-def: $sgpr6_sgpr7
	s_and_saveexec_b64 s[8:9], s[2:3]
	s_cbranch_execz .LBB383_154
; %bb.58:
	v_add_u32_e32 v2, -4, v4
	ds_read_b32 v4, v2
	v_mul_u32_u24_e32 v2, 15, v0
	v_cmp_gt_u64_e32 vcc, s[10:11], v[2:3]
	s_or_b64 s[4:5], s[4:5], exec
	s_waitcnt lgkmcnt(0)
	v_cmp_neq_f32_e64 s[0:1], v4, v20
	s_and_b64 s[0:1], vcc, s[0:1]
	s_and_b64 s[6:7], s[0:1], exec
	s_or_b64 exec, exec, s[8:9]
.LBB383_59:
	v_mov_b32_e32 v70, s12
	s_and_saveexec_b64 s[0:1], s[4:5]
.LBB383_60:
	v_cndmask_b32_e64 v70, 0, 1, s[6:7]
.LBB383_61:
	s_or_b64 exec, exec, s[0:1]
	s_cmp_eq_u64 s[38:39], 0
	v_add3_u32 v2, v69, v70, v68
	s_cselect_b64 s[38:39], -1, 0
	s_cmp_lg_u32 s56, 0
	v_cmp_eq_u32_e64 s[26:27], 0, v69
	v_cmp_eq_u32_e64 s[24:25], 0, v68
	;; [unrolled: 1-line block ×3, first 2 shown]
	v_add3_u32 v72, v2, v67, v66
	v_cmp_eq_u32_e64 s[20:21], 0, v66
	v_cmp_eq_u32_e64 s[18:19], 0, v65
	;; [unrolled: 1-line block ×10, first 2 shown]
	v_cmp_eq_u32_e32 vcc, 0, v56
	v_mbcnt_lo_u32_b32 v71, -1, 0
	v_lshrrev_b32_e32 v54, 6, v0
	v_or_b32_e32 v55, 63, v0
	s_cbranch_scc0 .LBB383_92
; %bb.62:
	v_cndmask_b32_e64 v2, 0, v52, s[26:27]
	v_add_u32_e32 v2, v2, v52
	v_cndmask_b32_e64 v2, 0, v2, s[24:25]
	v_add_u32_e32 v2, v2, v52
	;; [unrolled: 2-line block ×11, first 2 shown]
	v_cndmask_b32_e64 v2, 0, v2, s[4:5]
	v_add3_u32 v3, v72, v65, v64
	v_add_u32_e32 v2, v2, v52
	v_add3_u32 v3, v3, v63, v62
	v_cndmask_b32_e64 v2, 0, v2, s[2:3]
	v_add3_u32 v3, v3, v61, v60
	v_add_u32_e32 v2, v2, v52
	v_add3_u32 v3, v3, v59, v58
	v_cndmask_b32_e32 v2, 0, v2, vcc
	v_add3_u32 v3, v3, v57, v56
	v_add_u32_e32 v2, v2, v53
	v_mbcnt_hi_u32_b32 v25, -1, v71
	v_and_b32_e32 v4, 15, v25
	v_mov_b32_dpp v6, v2 row_shr:1 row_mask:0xf bank_mask:0xf
	v_cmp_eq_u32_e32 vcc, 0, v3
	v_mov_b32_dpp v5, v3 row_shr:1 row_mask:0xf bank_mask:0xf
	v_cmp_lt_u32_e64 s[0:1], 1, v4
	v_cndmask_b32_e32 v6, 0, v6, vcc
	v_cmp_eq_u32_e32 vcc, 0, v4
	s_nop 1
	v_cndmask_b32_e64 v5, v5, 0, vcc
	v_add_u32_e32 v3, v5, v3
	v_cndmask_b32_e64 v5, v6, 0, vcc
	v_add_u32_e32 v2, v5, v2
	v_cmp_eq_u32_e32 vcc, 0, v3
	v_mov_b32_dpp v5, v3 row_shr:2 row_mask:0xf bank_mask:0xf
	v_mov_b32_dpp v6, v2 row_shr:2 row_mask:0xf bank_mask:0xf
	v_cndmask_b32_e64 v5, 0, v5, s[0:1]
	s_and_b64 vcc, s[0:1], vcc
	v_cndmask_b32_e32 v6, 0, v6, vcc
	v_add_u32_e32 v3, v3, v5
	v_add_u32_e32 v2, v6, v2
	v_cmp_eq_u32_e32 vcc, 0, v3
	v_mov_b32_dpp v5, v3 row_shr:4 row_mask:0xf bank_mask:0xf
	v_cmp_lt_u32_e64 s[0:1], 3, v4
	v_mov_b32_dpp v6, v2 row_shr:4 row_mask:0xf bank_mask:0xf
	s_and_b64 vcc, s[0:1], vcc
	v_cndmask_b32_e64 v5, 0, v5, s[0:1]
	v_cndmask_b32_e32 v6, 0, v6, vcc
	v_add_u32_e32 v3, v5, v3
	v_add_u32_e32 v2, v2, v6
	v_cmp_eq_u32_e32 vcc, 0, v3
	v_cmp_lt_u32_e64 s[0:1], 7, v4
	v_mov_b32_dpp v5, v3 row_shr:8 row_mask:0xf bank_mask:0xf
	v_mov_b32_dpp v6, v2 row_shr:8 row_mask:0xf bank_mask:0xf
	s_and_b64 vcc, s[0:1], vcc
	v_cndmask_b32_e64 v4, 0, v5, s[0:1]
	v_cndmask_b32_e32 v5, 0, v6, vcc
	v_add_u32_e32 v2, v5, v2
	v_add_u32_e32 v3, v4, v3
	v_bfe_i32 v6, v25, 4, 1
	v_mov_b32_dpp v5, v2 row_bcast:15 row_mask:0xf bank_mask:0xf
	v_mov_b32_dpp v4, v3 row_bcast:15 row_mask:0xf bank_mask:0xf
	v_cmp_eq_u32_e32 vcc, 0, v3
	v_and_b32_e32 v4, v6, v4
	v_add_u32_e32 v3, v4, v3
	v_cndmask_b32_e32 v5, 0, v5, vcc
	v_and_b32_e32 v4, v6, v5
	v_add_u32_e32 v4, v4, v2
	v_mov_b32_dpp v2, v3 row_bcast:31 row_mask:0xf bank_mask:0xf
	v_cmp_eq_u32_e32 vcc, 0, v3
	v_cmp_lt_u32_e64 s[0:1], 31, v25
	v_mov_b32_dpp v5, v4 row_bcast:31 row_mask:0xf bank_mask:0xf
	s_and_b64 vcc, s[0:1], vcc
	v_cndmask_b32_e64 v2, 0, v2, s[0:1]
	v_add_u32_e32 v2, v2, v3
	v_cndmask_b32_e32 v3, 0, v5, vcc
	v_add_u32_e32 v3, v3, v4
	v_cmp_eq_u32_e32 vcc, v55, v0
	v_lshlrev_b32_e32 v4, 3, v54
	s_and_saveexec_b64 s[0:1], vcc
	s_cbranch_execz .LBB383_64
; %bb.63:
	ds_write_b64 v4, v[2:3] offset:4112
.LBB383_64:
	s_or_b64 exec, exec, s[0:1]
	v_cmp_gt_u32_e32 vcc, 8, v0
	s_waitcnt lgkmcnt(0)
	s_barrier
	s_and_saveexec_b64 s[28:29], vcc
	s_cbranch_execz .LBB383_66
; %bb.65:
	v_lshlrev_b32_e32 v5, 3, v0
	ds_read_b64 v[6:7], v5 offset:4112
	v_and_b32_e32 v22, 7, v25
	v_cmp_lt_u32_e64 s[0:1], 1, v22
	s_waitcnt lgkmcnt(0)
	v_mov_b32_dpp v24, v7 row_shr:1 row_mask:0xf bank_mask:0xf
	v_cmp_eq_u32_e32 vcc, 0, v6
	v_mov_b32_dpp v23, v6 row_shr:1 row_mask:0xf bank_mask:0xf
	s_nop 0
	v_cndmask_b32_e32 v24, 0, v24, vcc
	v_cmp_eq_u32_e32 vcc, 0, v22
	s_nop 1
	v_cndmask_b32_e64 v23, v23, 0, vcc
	v_add_u32_e32 v6, v23, v6
	v_cndmask_b32_e64 v23, v24, 0, vcc
	v_add_u32_e32 v7, v23, v7
	v_cmp_eq_u32_e32 vcc, 0, v6
	v_mov_b32_dpp v23, v6 row_shr:2 row_mask:0xf bank_mask:0xf
	v_mov_b32_dpp v24, v7 row_shr:2 row_mask:0xf bank_mask:0xf
	v_cndmask_b32_e64 v23, 0, v23, s[0:1]
	s_and_b64 vcc, s[0:1], vcc
	v_cndmask_b32_e32 v24, 0, v24, vcc
	v_add_u32_e32 v6, v23, v6
	v_add_u32_e32 v7, v24, v7
	v_cmp_eq_u32_e32 vcc, 0, v6
	v_mov_b32_dpp v23, v6 row_shr:4 row_mask:0xf bank_mask:0xf
	v_cmp_lt_u32_e64 s[0:1], 3, v22
	v_mov_b32_dpp v24, v7 row_shr:4 row_mask:0xf bank_mask:0xf
	s_and_b64 vcc, s[0:1], vcc
	v_cndmask_b32_e64 v22, 0, v23, s[0:1]
	v_add_u32_e32 v6, v22, v6
	v_cndmask_b32_e32 v22, 0, v24, vcc
	v_add_u32_e32 v7, v22, v7
	ds_write_b64 v5, v[6:7] offset:4112
.LBB383_66:
	s_or_b64 exec, exec, s[28:29]
	v_cmp_gt_u32_e32 vcc, 64, v0
	v_cmp_lt_u32_e64 s[0:1], 63, v0
	v_mov_b32_e32 v22, 0
	v_mov_b32_e32 v23, 0
	s_waitcnt lgkmcnt(0)
	s_barrier
	s_and_saveexec_b64 s[28:29], s[0:1]
	s_cbranch_execz .LBB383_68
; %bb.67:
	ds_read_b64 v[22:23], v4 offset:4104
	v_cmp_eq_u32_e64 s[0:1], 0, v2
	s_waitcnt lgkmcnt(0)
	v_add_u32_e32 v4, v22, v2
	v_cndmask_b32_e64 v2, 0, v23, s[0:1]
	v_add_u32_e32 v3, v2, v3
	v_mov_b32_e32 v2, v4
.LBB383_68:
	s_or_b64 exec, exec, s[28:29]
	v_add_u32_e32 v4, -1, v25
	v_and_b32_e32 v5, 64, v25
	v_cmp_lt_i32_e64 s[0:1], v4, v5
	v_cmp_eq_u32_e64 s[28:29], 0, v25
	s_nop 0
	v_cndmask_b32_e64 v4, v4, v25, s[0:1]
	v_lshlrev_b32_e32 v4, 2, v4
	ds_bpermute_b32 v30, v4, v2
	ds_bpermute_b32 v31, v4, v3
	s_and_saveexec_b64 s[52:53], vcc
	s_cbranch_execz .LBB383_91
; %bb.69:
	v_mov_b32_e32 v7, 0
	ds_read_b64 v[2:3], v7 offset:4168
	s_waitcnt lgkmcnt(0)
	v_readfirstlane_b32 s57, v2
	v_readfirstlane_b32 s58, v3
	s_and_saveexec_b64 s[0:1], s[28:29]
	s_cbranch_execz .LBB383_71
; %bb.70:
	s_add_i32 s54, s56, 64
	s_mov_b32 s55, 0
	s_lshl_b64 s[60:61], s[54:55], 4
	s_add_u32 s60, s36, s60
	s_addc_u32 s61, s37, s61
	s_and_b32 s63, s58, 0xff000000
	s_mov_b32 s62, s55
	s_and_b32 s65, s58, 0xff0000
	s_mov_b32 s64, s55
	s_or_b64 s[62:63], s[64:65], s[62:63]
	s_and_b32 s65, s58, 0xff00
	s_or_b64 s[62:63], s[62:63], s[64:65]
	s_and_b32 s65, s58, 0xff
	s_or_b64 s[54:55], s[62:63], s[64:65]
	v_mov_b32_e32 v4, s57
	v_mov_b32_e32 v5, s55
	;; [unrolled: 1-line block ×3, first 2 shown]
	v_mov_b64_e32 v[2:3], s[60:61]
	;;#ASMSTART
	global_store_dwordx4 v[2:3], v[4:7] off sc1	
s_waitcnt vmcnt(0)
	;;#ASMEND
.LBB383_71:
	s_or_b64 exec, exec, s[0:1]
	v_xad_u32 v24, v25, -1, s56
	v_add_u32_e32 v6, 64, v24
	v_lshl_add_u64 v[26:27], v[6:7], 4, s[36:37]
	;;#ASMSTART
	global_load_dwordx4 v[2:5], v[26:27] off sc1	
s_waitcnt vmcnt(0)
	;;#ASMEND
	s_nop 0
	v_and_b32_e32 v5, 0xff, v3
	v_and_b32_e32 v6, 0xff00, v3
	v_or3_b32 v2, v2, 0, 0
	v_and_b32_e32 v28, 0xff000000, v3
	v_or3_b32 v5, 0, v5, v6
	v_and_b32_e32 v3, 0xff0000, v3
	v_or3_b32 v3, v5, v3, v28
	v_or3_b32 v2, v2, 0, 0
	v_cmp_eq_u16_sdwa s[54:55], v4, v7 src0_sel:BYTE_0 src1_sel:DWORD
	s_and_saveexec_b64 s[0:1], s[54:55]
	s_cbranch_execz .LBB383_77
; %bb.72:
	s_mov_b32 s59, 1
	s_mov_b64 s[54:55], 0
	v_mov_b32_e32 v6, 0
.LBB383_73:                             ; =>This Loop Header: Depth=1
                                        ;     Child Loop BB383_74 Depth 2
	s_max_u32 s60, s59, 1
.LBB383_74:                             ;   Parent Loop BB383_73 Depth=1
                                        ; =>  This Inner Loop Header: Depth=2
	s_add_i32 s60, s60, -1
	s_cmp_eq_u32 s60, 0
	s_sleep 1
	s_cbranch_scc0 .LBB383_74
; %bb.75:                               ;   in Loop: Header=BB383_73 Depth=1
	s_cmp_lt_u32 s59, 32
	s_cselect_b64 s[60:61], -1, 0
	s_cmp_lg_u64 s[60:61], 0
	s_addc_u32 s59, s59, 0
	;;#ASMSTART
	global_load_dwordx4 v[2:5], v[26:27] off sc1	
s_waitcnt vmcnt(0)
	;;#ASMEND
	s_nop 0
	v_cmp_ne_u16_sdwa s[60:61], v4, v6 src0_sel:BYTE_0 src1_sel:DWORD
	s_or_b64 s[54:55], s[60:61], s[54:55]
	s_andn2_b64 exec, exec, s[54:55]
	s_cbranch_execnz .LBB383_73
; %bb.76:
	s_or_b64 exec, exec, s[54:55]
.LBB383_77:
	s_or_b64 exec, exec, s[0:1]
	v_mov_b32_e32 v32, 2
	v_cmp_eq_u16_sdwa s[0:1], v4, v32 src0_sel:BYTE_0 src1_sel:DWORD
	v_lshlrev_b64 v[26:27], v25, -1
	v_and_b32_e32 v33, 63, v25
	v_and_b32_e32 v5, s1, v27
	v_or_b32_e32 v5, 0x80000000, v5
	v_cmp_ne_u32_e32 vcc, 63, v33
	v_and_b32_e32 v6, s0, v26
	v_ffbl_b32_e32 v5, v5
	v_addc_co_u32_e32 v7, vcc, 0, v25, vcc
	v_add_u32_e32 v5, 32, v5
	v_ffbl_b32_e32 v6, v6
	v_lshlrev_b32_e32 v34, 2, v7
	v_min_u32_e32 v5, v6, v5
	ds_bpermute_b32 v6, v34, v3
	v_cmp_eq_u32_e32 vcc, 0, v2
	v_cmp_lt_u32_e64 s[0:1], v33, v5
	ds_bpermute_b32 v7, v34, v2
	s_and_b64 vcc, s[0:1], vcc
	s_waitcnt lgkmcnt(1)
	v_cndmask_b32_e32 v6, 0, v6, vcc
	v_cmp_gt_u32_e32 vcc, 62, v33
	v_add_u32_e32 v3, v6, v3
	s_waitcnt lgkmcnt(0)
	v_cndmask_b32_e64 v7, 0, v7, s[0:1]
	v_cndmask_b32_e64 v6, 0, 1, vcc
	v_lshlrev_b32_e32 v6, 1, v6
	v_add_lshl_u32 v35, v6, v25, 2
	ds_bpermute_b32 v6, v35, v3
	v_add_u32_e32 v2, v7, v2
	ds_bpermute_b32 v7, v35, v2
	v_add_u32_e32 v36, 2, v33
	v_cmp_eq_u32_e32 vcc, 0, v2
	v_add_u32_e32 v38, 4, v33
	v_add_u32_e32 v40, 8, v33
	s_waitcnt lgkmcnt(1)
	v_cndmask_b32_e32 v6, 0, v6, vcc
	v_cmp_gt_u32_e32 vcc, v36, v5
	v_add_u32_e32 v42, 16, v33
	v_add_u32_e32 v44, 32, v33
	v_cndmask_b32_e64 v6, v6, 0, vcc
	v_add_u32_e32 v3, v6, v3
	s_waitcnt lgkmcnt(0)
	v_cndmask_b32_e64 v6, v7, 0, vcc
	v_cmp_gt_u32_e32 vcc, 60, v33
	v_add_u32_e32 v2, v2, v6
	s_nop 0
	v_cndmask_b32_e64 v7, 0, 1, vcc
	v_lshlrev_b32_e32 v7, 2, v7
	v_add_lshl_u32 v37, v7, v25, 2
	ds_bpermute_b32 v7, v37, v3
	ds_bpermute_b32 v6, v37, v2
	v_cmp_eq_u32_e32 vcc, 0, v2
	s_waitcnt lgkmcnt(1)
	s_nop 0
	v_cndmask_b32_e32 v7, 0, v7, vcc
	v_cmp_gt_u32_e32 vcc, v38, v5
	s_nop 1
	v_cndmask_b32_e64 v7, v7, 0, vcc
	s_waitcnt lgkmcnt(0)
	v_cndmask_b32_e64 v6, v6, 0, vcc
	v_cmp_gt_u32_e32 vcc, 56, v33
	v_add_u32_e32 v3, v3, v7
	v_add_u32_e32 v2, v2, v6
	v_cndmask_b32_e64 v7, 0, 1, vcc
	v_lshlrev_b32_e32 v7, 3, v7
	v_add_lshl_u32 v39, v7, v25, 2
	ds_bpermute_b32 v7, v39, v3
	ds_bpermute_b32 v6, v39, v2
	v_cmp_eq_u32_e32 vcc, 0, v2
	s_waitcnt lgkmcnt(1)
	s_nop 0
	v_cndmask_b32_e32 v7, 0, v7, vcc
	v_cmp_gt_u32_e32 vcc, v40, v5
	s_nop 1
	v_cndmask_b32_e64 v7, v7, 0, vcc
	s_waitcnt lgkmcnt(0)
	v_cndmask_b32_e64 v6, v6, 0, vcc
	v_cmp_gt_u32_e32 vcc, 48, v33
	v_add_u32_e32 v3, v3, v7
	v_add_u32_e32 v2, v2, v6
	;; [unrolled: 17-line block ×3, first 2 shown]
	v_cndmask_b32_e64 v7, 0, 1, vcc
	v_lshlrev_b32_e32 v7, 5, v7
	v_add_lshl_u32 v43, v7, v25, 2
	ds_bpermute_b32 v7, v43, v3
	ds_bpermute_b32 v6, v43, v2
	v_cmp_eq_u32_e32 vcc, 0, v2
	v_mov_b32_e32 v25, 0
	s_waitcnt lgkmcnt(1)
	v_cndmask_b32_e32 v7, 0, v7, vcc
	v_cmp_gt_u32_e32 vcc, v44, v5
	s_nop 1
	v_cndmask_b32_e64 v5, v7, 0, vcc
	v_add_u32_e32 v3, v5, v3
	s_waitcnt lgkmcnt(0)
	v_cndmask_b32_e64 v5, v6, 0, vcc
	v_add_u32_e32 v2, v5, v2
	s_branch .LBB383_79
.LBB383_78:                             ;   in Loop: Header=BB383_79 Depth=1
	s_or_b64 exec, exec, s[0:1]
	v_cmp_eq_u16_sdwa s[0:1], v4, v32 src0_sel:BYTE_0 src1_sel:DWORD
	v_cmp_eq_u32_e32 vcc, 0, v2
	ds_bpermute_b32 v29, v34, v2
	v_and_b32_e32 v5, s1, v27
	v_or_b32_e32 v5, 0x80000000, v5
	v_and_b32_e32 v28, s0, v26
	v_ffbl_b32_e32 v5, v5
	v_add_u32_e32 v5, 32, v5
	v_ffbl_b32_e32 v28, v28
	v_min_u32_e32 v5, v28, v5
	ds_bpermute_b32 v28, v34, v3
	v_cmp_lt_u32_e64 s[0:1], v33, v5
	s_and_b64 vcc, s[0:1], vcc
	v_subrev_u32_e32 v24, 64, v24
	s_waitcnt lgkmcnt(1)
	v_cndmask_b32_e64 v29, 0, v29, s[0:1]
	s_waitcnt lgkmcnt(0)
	v_cndmask_b32_e32 v28, 0, v28, vcc
	v_add_u32_e32 v3, v28, v3
	ds_bpermute_b32 v28, v35, v3
	v_add_u32_e32 v2, v29, v2
	v_cmp_eq_u32_e32 vcc, 0, v2
	ds_bpermute_b32 v29, v35, v2
	s_waitcnt lgkmcnt(1)
	v_cndmask_b32_e32 v28, 0, v28, vcc
	v_cmp_gt_u32_e32 vcc, v36, v5
	s_nop 1
	v_cndmask_b32_e64 v28, v28, 0, vcc
	v_add_u32_e32 v3, v28, v3
	ds_bpermute_b32 v28, v37, v3
	s_waitcnt lgkmcnt(1)
	v_cndmask_b32_e64 v29, v29, 0, vcc
	v_add_u32_e32 v2, v2, v29
	v_cmp_eq_u32_e32 vcc, 0, v2
	ds_bpermute_b32 v29, v37, v2
	s_waitcnt lgkmcnt(1)
	v_cndmask_b32_e32 v28, 0, v28, vcc
	v_cmp_gt_u32_e32 vcc, v38, v5
	s_nop 1
	v_cndmask_b32_e64 v28, v28, 0, vcc
	v_add_u32_e32 v3, v3, v28
	ds_bpermute_b32 v28, v39, v3
	s_waitcnt lgkmcnt(1)
	v_cndmask_b32_e64 v29, v29, 0, vcc
	v_add_u32_e32 v2, v2, v29
	ds_bpermute_b32 v29, v39, v2
	v_cmp_eq_u32_e32 vcc, 0, v2
	s_waitcnt lgkmcnt(1)
	s_nop 0
	v_cndmask_b32_e32 v28, 0, v28, vcc
	v_cmp_gt_u32_e32 vcc, v40, v5
	s_nop 1
	v_cndmask_b32_e64 v28, v28, 0, vcc
	v_add_u32_e32 v3, v3, v28
	ds_bpermute_b32 v28, v41, v3
	s_waitcnt lgkmcnt(1)
	v_cndmask_b32_e64 v29, v29, 0, vcc
	v_add_u32_e32 v2, v2, v29
	ds_bpermute_b32 v29, v41, v2
	v_cmp_eq_u32_e32 vcc, 0, v2
	s_waitcnt lgkmcnt(1)
	s_nop 0
	;; [unrolled: 13-line block ×3, first 2 shown]
	v_cndmask_b32_e32 v28, 0, v28, vcc
	v_cmp_gt_u32_e32 vcc, v44, v5
	s_nop 1
	v_cndmask_b32_e64 v5, v28, 0, vcc
	v_add_u32_e32 v3, v5, v3
	s_waitcnt lgkmcnt(0)
	v_cndmask_b32_e64 v5, v29, 0, vcc
	v_cmp_eq_u32_e32 vcc, 0, v6
	v_add3_u32 v2, v2, v6, v5
	s_nop 0
	v_cndmask_b32_e32 v3, 0, v3, vcc
	v_add_u32_e32 v3, v3, v7
.LBB383_79:                             ; =>This Loop Header: Depth=1
                                        ;     Child Loop BB383_82 Depth 2
                                        ;       Child Loop BB383_83 Depth 3
	v_cmp_ne_u16_sdwa s[0:1], v4, v32 src0_sel:BYTE_0 src1_sel:DWORD
	v_mov_b32_e32 v7, v3
	v_mov_b32_e32 v6, v2
	v_cndmask_b32_e64 v3, 0, 1, s[0:1]
	;;#ASMSTART
	;;#ASMEND
	s_nop 0
	v_cmp_ne_u32_e32 vcc, 0, v3
	s_cmp_lg_u64 vcc, exec
	s_cbranch_scc1 .LBB383_86
; %bb.80:                               ;   in Loop: Header=BB383_79 Depth=1
	v_lshl_add_u64 v[28:29], v[24:25], 4, s[36:37]
	;;#ASMSTART
	global_load_dwordx4 v[2:5], v[28:29] off sc1	
s_waitcnt vmcnt(0)
	;;#ASMEND
	s_nop 0
	v_and_b32_e32 v5, 0xff, v3
	v_and_b32_e32 v45, 0xff00, v3
	v_or3_b32 v2, v2, 0, 0
	v_and_b32_e32 v46, 0xff000000, v3
	v_or3_b32 v5, 0, v5, v45
	;; [unrolled: 2-line block ×3, first 2 shown]
	v_or3_b32 v2, v2, 0, 0
	v_cmp_eq_u16_sdwa s[54:55], v4, v25 src0_sel:BYTE_0 src1_sel:DWORD
	s_and_saveexec_b64 s[0:1], s[54:55]
	s_cbranch_execz .LBB383_78
; %bb.81:                               ;   in Loop: Header=BB383_79 Depth=1
	s_mov_b32 s59, 1
	s_mov_b64 s[54:55], 0
.LBB383_82:                             ;   Parent Loop BB383_79 Depth=1
                                        ; =>  This Loop Header: Depth=2
                                        ;       Child Loop BB383_83 Depth 3
	s_max_u32 s60, s59, 1
.LBB383_83:                             ;   Parent Loop BB383_79 Depth=1
                                        ;     Parent Loop BB383_82 Depth=2
                                        ; =>    This Inner Loop Header: Depth=3
	s_add_i32 s60, s60, -1
	s_cmp_eq_u32 s60, 0
	s_sleep 1
	s_cbranch_scc0 .LBB383_83
; %bb.84:                               ;   in Loop: Header=BB383_82 Depth=2
	s_cmp_lt_u32 s59, 32
	s_cselect_b64 s[60:61], -1, 0
	s_cmp_lg_u64 s[60:61], 0
	s_addc_u32 s59, s59, 0
	;;#ASMSTART
	global_load_dwordx4 v[2:5], v[28:29] off sc1	
s_waitcnt vmcnt(0)
	;;#ASMEND
	s_nop 0
	v_cmp_ne_u16_sdwa s[60:61], v4, v25 src0_sel:BYTE_0 src1_sel:DWORD
	s_or_b64 s[54:55], s[60:61], s[54:55]
	s_andn2_b64 exec, exec, s[54:55]
	s_cbranch_execnz .LBB383_82
; %bb.85:                               ;   in Loop: Header=BB383_79 Depth=1
	s_or_b64 exec, exec, s[54:55]
	s_branch .LBB383_78
.LBB383_86:                             ;   in Loop: Header=BB383_79 Depth=1
                                        ; implicit-def: $vgpr3
                                        ; implicit-def: $vgpr2
                                        ; implicit-def: $vgpr4
	s_cbranch_execz .LBB383_79
; %bb.87:
	s_and_saveexec_b64 s[0:1], s[28:29]
	s_cbranch_execz .LBB383_89
; %bb.88:
	s_cmp_eq_u32 s57, 0
	s_cselect_b64 vcc, -1, 0
	s_mov_b32 s55, 0
	v_cndmask_b32_e32 v2, 0, v7, vcc
	s_add_i32 s54, s56, 64
	v_add_u32_e32 v2, s58, v2
	s_lshl_b64 s[54:55], s[54:55], 4
	s_add_u32 s54, s36, s54
	v_and_b32_e32 v3, 0xff000000, v2
	v_and_b32_e32 v4, 0xff0000, v2
	s_addc_u32 s55, s37, s55
	v_or_b32_e32 v3, v4, v3
	v_and_b32_e32 v4, 0xff00, v2
	v_and_b32_e32 v2, 0xff, v2
	v_add_u32_e32 v24, s57, v6
	v_mov_b32_e32 v27, 0
	v_or3_b32 v25, v3, v4, v2
	v_mov_b32_e32 v26, 2
	v_mov_b64_e32 v[2:3], s[54:55]
	;;#ASMSTART
	global_store_dwordx4 v[2:3], v[24:27] off sc1	
s_waitcnt vmcnt(0)
	;;#ASMEND
	v_mov_b32_e32 v4, s57
	v_mov_b32_e32 v5, s58
	ds_write_b128 v27, v[4:7] offset:4096
.LBB383_89:
	s_or_b64 exec, exec, s[0:1]
	s_and_b64 exec, exec, s[34:35]
	s_cbranch_execz .LBB383_91
; %bb.90:
	v_mov_b32_e32 v2, 0
	ds_write_b64 v2, v[6:7] offset:4168
.LBB383_91:
	s_or_b64 exec, exec, s[52:53]
	v_mov_b32_e32 v4, 0
	s_waitcnt lgkmcnt(0)
	s_barrier
	ds_read_b64 v[2:3], v4 offset:4168
	v_cndmask_b32_e64 v6, v30, v22, s[28:29]
	v_cmp_eq_u32_e32 vcc, 0, v6
	v_cndmask_b32_e64 v5, v31, v23, s[28:29]
	s_waitcnt lgkmcnt(0)
	v_cndmask_b32_e32 v7, 0, v3, vcc
	v_add_u32_e32 v5, v7, v5
	v_cndmask_b32_e64 v51, v5, v3, s[34:35]
	v_cndmask_b32_e64 v3, v6, 0, s[34:35]
	v_cmp_eq_u32_e32 vcc, 0, v70
	v_add_u32_e32 v50, v2, v3
	v_add_u32_e32 v48, v50, v70
	v_cndmask_b32_e32 v2, 0, v51, vcc
	v_add_u32_e32 v49, v2, v52
	v_cndmask_b32_e64 v2, 0, v49, s[26:27]
	v_add_u32_e32 v47, v2, v52
	v_cndmask_b32_e64 v2, 0, v47, s[24:25]
	;; [unrolled: 2-line block ×8, first 2 shown]
	v_add_u32_e32 v33, v2, v52
	v_add_u32_e32 v46, v48, v69
	v_cndmask_b32_e64 v2, 0, v33, s[10:11]
	v_add_u32_e32 v44, v46, v68
	v_add_u32_e32 v31, v2, v52
	v_add_u32_e32 v42, v44, v67
	v_cndmask_b32_e64 v2, 0, v31, s[8:9]
	v_add_u32_e32 v40, v42, v66
	;; [unrolled: 4-line block ×3, first 2 shown]
	v_add_u32_e32 v27, v2, v52
	s_barrier
	ds_read_b128 v[2:5], v4 offset:4096
	v_add_u32_e32 v34, v36, v63
	v_add_u32_e32 v32, v34, v62
	;; [unrolled: 1-line block ×4, first 2 shown]
	v_cndmask_b32_e64 v6, 0, v27, s[4:5]
	v_add_u32_e32 v26, v28, v59
	v_add_u32_e32 v23, v6, v52
	s_waitcnt lgkmcnt(0)
	v_cmp_eq_u32_e32 vcc, 0, v2
	v_add_u32_e32 v22, v26, v58
	v_cndmask_b32_e64 v6, 0, v23, s[2:3]
	v_cndmask_b32_e32 v5, 0, v5, vcc
	v_add_u32_e32 v24, v22, v57
	v_add_u32_e32 v25, v6, v52
	;; [unrolled: 1-line block ×3, first 2 shown]
	s_branch .LBB383_104
.LBB383_92:
                                        ; implicit-def: $vgpr2
                                        ; implicit-def: $vgpr6
                                        ; implicit-def: $vgpr24_vgpr25
                                        ; implicit-def: $vgpr22_vgpr23
                                        ; implicit-def: $vgpr26_vgpr27
                                        ; implicit-def: $vgpr28_vgpr29
                                        ; implicit-def: $vgpr50_vgpr51
                                        ; implicit-def: $vgpr48_vgpr49
                                        ; implicit-def: $vgpr46_vgpr47
                                        ; implicit-def: $vgpr44_vgpr45
                                        ; implicit-def: $vgpr42_vgpr43
                                        ; implicit-def: $vgpr40_vgpr41
                                        ; implicit-def: $vgpr38_vgpr39
                                        ; implicit-def: $vgpr36_vgpr37
                                        ; implicit-def: $vgpr34_vgpr35
                                        ; implicit-def: $vgpr32_vgpr33
                                        ; implicit-def: $vgpr30_vgpr31
	s_cbranch_execz .LBB383_104
; %bb.93:
	s_and_b64 s[0:1], s[38:39], exec
	s_cselect_b32 s1, 0, s51
	s_cselect_b32 s0, 0, s50
	s_cmp_eq_u64 s[0:1], 0
	v_mov_b32_e32 v6, v52
	s_cbranch_scc1 .LBB383_95
; %bb.94:
	v_mov_b32_e32 v2, 0
	global_load_dword v6, v2, s[0:1]
.LBB383_95:
	v_cmp_eq_u32_e64 s[2:3], 0, v69
	v_cmp_eq_u32_e64 s[4:5], 0, v68
	v_cmp_eq_u32_e64 s[6:7], 0, v67
	v_cndmask_b32_e64 v2, 0, v52, s[2:3]
	v_add_u32_e32 v2, v2, v52
	v_cndmask_b32_e64 v2, 0, v2, s[4:5]
	v_add_u32_e32 v2, v2, v52
	v_cndmask_b32_e64 v2, 0, v2, s[6:7]
	v_add_u32_e32 v2, v2, v52
	v_cmp_eq_u32_e64 s[8:9], 0, v66
	v_cmp_eq_u32_e64 s[10:11], 0, v65
	v_cmp_eq_u32_e64 s[12:13], 0, v64
	v_cndmask_b32_e64 v2, 0, v2, s[8:9]
	v_add_u32_e32 v2, v2, v52
	v_cndmask_b32_e64 v2, 0, v2, s[10:11]
	v_add_u32_e32 v2, v2, v52
	v_cndmask_b32_e64 v2, 0, v2, s[12:13]
	v_add_u32_e32 v2, v2, v52
	;; [unrolled: 9-line block ×3, first 2 shown]
	v_cmp_eq_u32_e64 s[20:21], 0, v60
	v_cmp_eq_u32_e64 s[22:23], 0, v59
	v_cmp_eq_u32_e64 s[24:25], 0, v58
	v_cndmask_b32_e64 v2, 0, v2, s[20:21]
	v_add_u32_e32 v2, v2, v52
	v_cndmask_b32_e64 v2, 0, v2, s[22:23]
	v_add_u32_e32 v2, v2, v52
	v_cndmask_b32_e64 v2, 0, v2, s[24:25]
	v_add3_u32 v3, v72, v65, v64
	v_add_u32_e32 v2, v2, v52
	v_cmp_eq_u32_e32 vcc, 0, v57
	v_add3_u32 v3, v3, v63, v62
	v_add3_u32 v3, v3, v61, v60
	v_cndmask_b32_e32 v2, 0, v2, vcc
	v_add_u32_e32 v2, v2, v52
	v_cmp_eq_u32_e64 s[0:1], 0, v56
	v_add3_u32 v3, v3, v59, v58
	v_add3_u32 v3, v3, v57, v56
	v_cndmask_b32_e64 v2, 0, v2, s[0:1]
	v_add_u32_e32 v2, v2, v53
	v_mbcnt_hi_u32_b32 v7, -1, v71
	v_and_b32_e32 v4, 15, v7
	v_mov_b32_dpp v22, v2 row_shr:1 row_mask:0xf bank_mask:0xf
	v_cmp_eq_u32_e64 s[0:1], 0, v3
	v_mov_b32_dpp v5, v3 row_shr:1 row_mask:0xf bank_mask:0xf
	v_cmp_lt_u32_e64 s[26:27], 1, v4
	v_cndmask_b32_e64 v22, 0, v22, s[0:1]
	v_cmp_eq_u32_e64 s[0:1], 0, v4
	s_nop 1
	v_cndmask_b32_e64 v5, v5, 0, s[0:1]
	v_add_u32_e32 v3, v5, v3
	v_cndmask_b32_e64 v5, v22, 0, s[0:1]
	v_add_u32_e32 v2, v5, v2
	v_cmp_eq_u32_e64 s[0:1], 0, v3
	v_mov_b32_dpp v5, v3 row_shr:2 row_mask:0xf bank_mask:0xf
	v_mov_b32_dpp v22, v2 row_shr:2 row_mask:0xf bank_mask:0xf
	v_cndmask_b32_e64 v5, 0, v5, s[26:27]
	s_and_b64 s[0:1], s[26:27], s[0:1]
	v_cndmask_b32_e64 v22, 0, v22, s[0:1]
	v_add_u32_e32 v3, v3, v5
	v_add_u32_e32 v2, v22, v2
	v_cmp_eq_u32_e64 s[0:1], 0, v3
	v_mov_b32_dpp v5, v3 row_shr:4 row_mask:0xf bank_mask:0xf
	v_cmp_lt_u32_e64 s[26:27], 3, v4
	v_mov_b32_dpp v22, v2 row_shr:4 row_mask:0xf bank_mask:0xf
	s_and_b64 s[0:1], s[26:27], s[0:1]
	v_cndmask_b32_e64 v5, 0, v5, s[26:27]
	v_cndmask_b32_e64 v22, 0, v22, s[0:1]
	v_add_u32_e32 v3, v5, v3
	v_add_u32_e32 v2, v2, v22
	v_cmp_eq_u32_e64 s[0:1], 0, v3
	v_cmp_lt_u32_e64 s[26:27], 7, v4
	v_mov_b32_dpp v5, v3 row_shr:8 row_mask:0xf bank_mask:0xf
	v_mov_b32_dpp v22, v2 row_shr:8 row_mask:0xf bank_mask:0xf
	s_and_b64 s[0:1], s[26:27], s[0:1]
	v_cndmask_b32_e64 v4, 0, v5, s[26:27]
	v_cndmask_b32_e64 v5, 0, v22, s[0:1]
	v_add_u32_e32 v2, v5, v2
	v_add_u32_e32 v3, v4, v3
	v_bfe_i32 v22, v7, 4, 1
	v_mov_b32_dpp v5, v2 row_bcast:15 row_mask:0xf bank_mask:0xf
	v_mov_b32_dpp v4, v3 row_bcast:15 row_mask:0xf bank_mask:0xf
	v_cmp_eq_u32_e64 s[0:1], 0, v3
	v_and_b32_e32 v4, v22, v4
	v_add_u32_e32 v3, v4, v3
	v_cndmask_b32_e64 v5, 0, v5, s[0:1]
	v_and_b32_e32 v4, v22, v5
	v_add_u32_e32 v4, v4, v2
	v_mov_b32_dpp v2, v3 row_bcast:31 row_mask:0xf bank_mask:0xf
	v_cmp_eq_u32_e64 s[0:1], 0, v3
	v_cmp_lt_u32_e64 s[26:27], 31, v7
	v_mov_b32_dpp v5, v4 row_bcast:31 row_mask:0xf bank_mask:0xf
	s_and_b64 s[0:1], s[26:27], s[0:1]
	v_cndmask_b32_e64 v2, 0, v2, s[26:27]
	v_add_u32_e32 v2, v2, v3
	v_cndmask_b32_e64 v3, 0, v5, s[0:1]
	v_add_u32_e32 v3, v3, v4
	v_cmp_eq_u32_e64 s[0:1], v55, v0
	s_and_saveexec_b64 s[26:27], s[0:1]
	s_cbranch_execz .LBB383_97
; %bb.96:
	v_lshlrev_b32_e32 v4, 3, v54
	ds_write_b64 v4, v[2:3] offset:4112
.LBB383_97:
	s_or_b64 exec, exec, s[26:27]
	v_cmp_gt_u32_e64 s[0:1], 8, v0
	s_waitcnt lgkmcnt(0)
	s_barrier
	s_and_saveexec_b64 s[28:29], s[0:1]
	s_cbranch_execz .LBB383_99
; %bb.98:
	v_lshlrev_b32_e32 v22, 3, v0
	ds_read_b64 v[4:5], v22 offset:4112
	v_and_b32_e32 v23, 7, v7
	v_cmp_lt_u32_e64 s[26:27], 1, v23
	s_waitcnt lgkmcnt(0)
	v_mov_b32_dpp v25, v5 row_shr:1 row_mask:0xf bank_mask:0xf
	v_cmp_eq_u32_e64 s[0:1], 0, v4
	v_mov_b32_dpp v24, v4 row_shr:1 row_mask:0xf bank_mask:0xf
	s_nop 0
	v_cndmask_b32_e64 v25, 0, v25, s[0:1]
	v_cmp_eq_u32_e64 s[0:1], 0, v23
	s_nop 1
	v_cndmask_b32_e64 v24, v24, 0, s[0:1]
	v_add_u32_e32 v4, v24, v4
	v_cndmask_b32_e64 v24, v25, 0, s[0:1]
	v_add_u32_e32 v5, v24, v5
	v_cmp_eq_u32_e64 s[0:1], 0, v4
	v_mov_b32_dpp v24, v4 row_shr:2 row_mask:0xf bank_mask:0xf
	v_mov_b32_dpp v25, v5 row_shr:2 row_mask:0xf bank_mask:0xf
	v_cndmask_b32_e64 v24, 0, v24, s[26:27]
	s_and_b64 s[0:1], s[26:27], s[0:1]
	v_cndmask_b32_e64 v25, 0, v25, s[0:1]
	v_add_u32_e32 v4, v24, v4
	v_add_u32_e32 v5, v25, v5
	v_cmp_eq_u32_e64 s[0:1], 0, v4
	v_mov_b32_dpp v24, v4 row_shr:4 row_mask:0xf bank_mask:0xf
	v_cmp_lt_u32_e64 s[26:27], 3, v23
	v_mov_b32_dpp v25, v5 row_shr:4 row_mask:0xf bank_mask:0xf
	s_and_b64 s[0:1], s[26:27], s[0:1]
	v_cndmask_b32_e64 v23, 0, v24, s[26:27]
	v_add_u32_e32 v4, v23, v4
	v_cndmask_b32_e64 v23, 0, v25, s[0:1]
	v_add_u32_e32 v5, v23, v5
	ds_write_b64 v22, v[4:5] offset:4112
.LBB383_99:
	s_or_b64 exec, exec, s[28:29]
	v_cmp_lt_u32_e64 s[0:1], 63, v0
	v_mov_b32_e32 v23, 0
	v_mov_b32_e32 v4, 0
	s_waitcnt vmcnt(0)
	v_mov_b32_e32 v5, v6
	s_waitcnt lgkmcnt(0)
	s_barrier
	s_and_saveexec_b64 s[26:27], s[0:1]
	s_cbranch_execz .LBB383_101
; %bb.100:
	v_lshlrev_b32_e32 v4, 3, v54
	ds_read_b64 v[4:5], v4 offset:4104
	s_waitcnt lgkmcnt(0)
	v_cmp_eq_u32_e64 s[0:1], 0, v4
	s_nop 1
	v_cndmask_b32_e64 v22, 0, v6, s[0:1]
	v_add_u32_e32 v5, v22, v5
.LBB383_101:
	s_or_b64 exec, exec, s[26:27]
	v_cmp_eq_u32_e64 s[0:1], 0, v2
	v_add_u32_e32 v22, v4, v2
	v_and_b32_e32 v24, 64, v7
	v_cndmask_b32_e64 v2, 0, v5, s[0:1]
	v_add_u32_e32 v2, v2, v3
	v_add_u32_e32 v3, -1, v7
	v_cmp_lt_i32_e64 s[0:1], v3, v24
	s_nop 1
	v_cndmask_b32_e64 v3, v3, v7, s[0:1]
	v_lshlrev_b32_e32 v3, 2, v3
	ds_bpermute_b32 v2, v3, v2
	ds_bpermute_b32 v22, v3, v22
	v_cmp_eq_u32_e64 s[0:1], 0, v7
	s_waitcnt lgkmcnt(1)
	s_nop 0
	v_cndmask_b32_e64 v2, v2, v5, s[0:1]
	s_waitcnt lgkmcnt(0)
	v_cndmask_b32_e64 v3, v22, v4, s[0:1]
	v_cndmask_b32_e64 v51, v2, v6, s[34:35]
	v_cmp_eq_u32_e64 s[0:1], 0, v70
	v_cndmask_b32_e64 v50, v3, 0, s[34:35]
	v_add_u32_e32 v48, v50, v70
	v_cndmask_b32_e64 v2, 0, v51, s[0:1]
	v_add_u32_e32 v49, v2, v52
	;; [unrolled: 2-line block ×10, first 2 shown]
	v_add_u32_e32 v46, v48, v69
	v_cndmask_b32_e64 v2, 0, v33, s[18:19]
	v_add_u32_e32 v44, v46, v68
	v_add_u32_e32 v31, v2, v52
	v_add_u32_e32 v42, v44, v67
	v_cndmask_b32_e64 v2, 0, v31, s[20:21]
	v_add_u32_e32 v40, v42, v66
	v_add_u32_e32 v29, v2, v52
	;; [unrolled: 4-line block ×3, first 2 shown]
	ds_read_b64 v[2:3], v23 offset:4168
	v_add_u32_e32 v34, v36, v63
	v_add_u32_e32 v32, v34, v62
	;; [unrolled: 1-line block ×3, first 2 shown]
	v_cndmask_b32_e64 v4, 0, v27, s[24:25]
	v_add_u32_e32 v28, v30, v60
	v_add_u32_e32 v23, v4, v52
	;; [unrolled: 1-line block ×3, first 2 shown]
	v_cndmask_b32_e32 v4, 0, v23, vcc
	s_waitcnt lgkmcnt(0)
	v_cmp_eq_u32_e32 vcc, 0, v2
	v_add_u32_e32 v22, v26, v58
	v_add_u32_e32 v25, v4, v52
	v_cndmask_b32_e32 v4, 0, v6, vcc
	v_add_u32_e32 v24, v22, v57
	v_add_u32_e32 v6, v4, v3
	s_and_saveexec_b64 s[0:1], s[34:35]
	s_cbranch_execz .LBB383_103
; %bb.102:
	s_add_u32 s2, s36, 0x400
	v_and_b32_e32 v3, 0xff000000, v6
	v_and_b32_e32 v4, 0xff0000, v6
	s_addc_u32 s3, s37, 0
	v_or_b32_e32 v3, v4, v3
	v_and_b32_e32 v4, 0xff00, v6
	v_and_b32_e32 v7, 0xff, v6
	v_mov_b32_e32 v5, 0
	v_or3_b32 v3, v3, v4, v7
	v_mov_b32_e32 v4, 2
	v_mov_b64_e32 v[52:53], s[2:3]
	;;#ASMSTART
	global_store_dwordx4 v[52:53], v[2:5] off sc1	
s_waitcnt vmcnt(0)
	;;#ASMEND
.LBB383_103:
	s_or_b64 exec, exec, s[0:1]
	v_mov_b32_e32 v4, 0
.LBB383_104:
	s_and_b64 s[0:1], s[38:39], exec
	s_cselect_b32 s1, 0, s31
	s_cselect_b32 s0, 0, s30
	s_cmp_eq_u64 s[0:1], 0
	v_mov_b64_e32 v[52:53], 0
	s_barrier
	s_cbranch_scc1 .LBB383_106
; %bb.105:
	v_mov_b32_e32 v3, 0
	global_load_dwordx2 v[52:53], v3, s[0:1]
.LBB383_106:
	v_cmp_eq_u32_e32 vcc, 0, v70
	s_waitcnt vmcnt(0)
	v_lshlrev_b64 v[54:55], 2, v[52:53]
	v_mov_b32_e32 v5, 0
	v_cndmask_b32_e64 v3, 1, 2, vcc
	v_cmp_eq_u32_e32 vcc, 0, v69
	s_movk_i32 s0, 0x200
	v_lshl_add_u64 v[54:55], s[44:45], 0, v[54:55]
	v_cndmask_b32_e64 v7, 1, 2, vcc
	v_cmp_eq_u32_e32 vcc, 0, v68
	v_and_b32_e32 v3, v7, v3
	v_lshlrev_b64 v[72:73], 2, v[4:5]
	v_cndmask_b32_e64 v7, 1, 2, vcc
	v_cmp_eq_u32_e32 vcc, 0, v67
	v_and_b32_e32 v3, v3, v7
	v_lshl_add_u64 v[54:55], v[54:55], 0, v[72:73]
	v_cndmask_b32_e64 v7, 1, 2, vcc
	v_cmp_eq_u32_e32 vcc, 0, v66
	v_and_b32_e32 v3, v3, v7
	v_cmp_ne_u32_e64 s[30:31], 0, v70
	v_cndmask_b32_e64 v7, 1, 2, vcc
	v_cmp_eq_u32_e32 vcc, 0, v65
	v_and_b32_e32 v3, v3, v7
	v_cmp_ne_u32_e64 s[28:29], 0, v69
	;; [unrolled: 4-line block ×11, first 2 shown]
	v_cndmask_b32_e64 v7, 1, 2, vcc
	v_and_b32_e32 v3, v3, v7
	v_cmp_gt_u32_e32 vcc, s0, v2
	v_cmp_ne_u32_e64 s[8:9], 0, v59
	v_cmp_ne_u32_e64 s[6:7], 0, v58
	;; [unrolled: 1-line block ×4, first 2 shown]
	s_mov_b64 s[36:37], -1
	v_cmp_gt_i16_e64 s[0:1], 2, v3
	s_cbranch_vccz .LBB383_113
; %bb.107:
	s_and_saveexec_b64 s[36:37], s[0:1]
	s_cbranch_execz .LBB383_112
; %bb.108:
	v_cmp_ne_u16_e32 vcc, 1, v3
	s_mov_b64 s[38:39], 0
	s_and_saveexec_b64 s[0:1], vcc
	s_xor_b64 s[0:1], exec, s[0:1]
	s_cbranch_execnz .LBB383_155
; %bb.109:
	s_andn2_saveexec_b64 s[0:1], s[0:1]
	s_cbranch_execnz .LBB383_171
.LBB383_110:
	s_or_b64 exec, exec, s[0:1]
	s_and_b64 exec, exec, s[38:39]
	s_cbranch_execz .LBB383_112
.LBB383_111:
	v_sub_u32_e32 v72, v24, v4
	v_mov_b32_e32 v73, 0
	v_lshl_add_u64 v[72:73], v[72:73], 2, v[54:55]
	global_store_dword v[72:73], v1, off
.LBB383_112:
	s_or_b64 exec, exec, s[36:37]
	s_mov_b64 s[36:37], 0
.LBB383_113:
	s_and_b64 vcc, exec, s[36:37]
	s_cbranch_vccz .LBB383_133
; %bb.114:
	v_cmp_gt_i16_e32 vcc, 2, v3
	s_and_saveexec_b64 s[0:1], vcc
	s_cbranch_execz .LBB383_119
; %bb.115:
	v_cmp_ne_u16_e32 vcc, 1, v3
	s_mov_b64 s[38:39], 0
	s_and_saveexec_b64 s[36:37], vcc
	s_xor_b64 s[36:37], exec, s[36:37]
	s_cbranch_execnz .LBB383_172
; %bb.116:
	s_andn2_saveexec_b64 s[2:3], s[36:37]
	s_cbranch_execnz .LBB383_188
.LBB383_117:
	s_or_b64 exec, exec, s[2:3]
	s_and_b64 exec, exec, s[38:39]
	s_cbranch_execz .LBB383_119
.LBB383_118:
	v_sub_u32_e32 v3, v24, v4
	v_lshlrev_b32_e32 v3, 2, v3
	ds_write_b32 v3, v1
.LBB383_119:
	s_or_b64 exec, exec, s[0:1]
	v_cmp_lt_u32_e32 vcc, v0, v2
	s_waitcnt lgkmcnt(0)
	s_barrier
	s_and_saveexec_b64 s[0:1], vcc
	s_cbranch_execz .LBB383_132
; %bb.120:
	v_xad_u32 v1, v0, -1, v2
	s_movk_i32 s2, 0x1ff
	v_cmp_lt_u32_e32 vcc, s2, v1
	s_mov_b64 s[4:5], -1
	v_mov_b32_e32 v8, v0
	s_and_saveexec_b64 s[2:3], vcc
	s_cbranch_execz .LBB383_129
; %bb.121:
	v_lshrrev_b32_e32 v3, 9, v1
	v_add_u32_e32 v8, -1, v3
	v_or_b32_e32 v1, 0x200, v0
	v_lshrrev_b32_e32 v7, 1, v8
	v_add_u32_e32 v7, 1, v7
	v_cmp_lt_u32_e32 vcc, 13, v8
	v_mov_b32_e32 v14, 0
	v_mov_b64_e32 v[8:9], v[0:1]
	s_and_saveexec_b64 s[4:5], vcc
	s_cbranch_execz .LBB383_125
; %bb.122:
	v_and_b32_e32 v12, -8, v7
	v_lshlrev_b32_e32 v13, 2, v0
	s_mov_b32 s8, 0
	s_mov_b64 s[6:7], 0
	v_mov_b32_e32 v11, 0
	v_mov_b64_e32 v[8:9], v[0:1]
.LBB383_123:                            ; =>This Inner Loop Header: Depth=1
	ds_read2st64_b32 v[16:17], v13 offset1:8
	v_mov_b32_e32 v10, v8
	ds_read2st64_b32 v[76:77], v13 offset0:48 offset1:56
	v_lshl_add_u64 v[94:95], v[10:11], 2, v[54:55]
	v_mov_b32_e32 v10, v9
	ds_read2st64_b32 v[18:19], v13 offset0:16 offset1:24
	ds_read2st64_b32 v[80:81], v13 offset0:64 offset1:72
	v_lshl_add_u64 v[98:99], v[10:11], 2, v[54:55]
	v_add_u32_e32 v10, 0x400, v8
	ds_read2st64_b32 v[84:85], v13 offset0:80 offset1:88
	v_lshl_add_u64 v[100:101], v[10:11], 2, v[54:55]
	v_add_u32_e32 v10, 0x800, v8
	v_add_u32_e32 v14, 0x400, v9
	v_mov_b32_e32 v15, v11
	v_add_u32_e32 v20, 0x800, v9
	ds_read2st64_b32 v[72:73], v13 offset0:32 offset1:40
	v_mov_b32_e32 v21, v11
	ds_read2st64_b32 v[88:89], v13 offset0:96 offset1:104
	v_lshl_add_u64 v[102:103], v[10:11], 2, v[54:55]
	v_add_u32_e32 v10, 0xc00, v8
	v_add_u32_e32 v74, 0xc00, v9
	v_mov_b32_e32 v75, v11
	ds_read2st64_b32 v[92:93], v13 offset0:112 offset1:120
	v_lshl_add_u64 v[96:97], v[14:15], 2, v[54:55]
	v_lshl_add_u64 v[20:21], v[20:21], 2, v[54:55]
	s_waitcnt lgkmcnt(7)
	global_store_dword v[94:95], v16, off
	global_store_dword v[98:99], v17, off
	s_waitcnt lgkmcnt(5)
	global_store_dword v[100:101], v18, off
	global_store_dword v[96:97], v19, off
	;; [unrolled: 3-line block ×3, first 2 shown]
	v_lshl_add_u64 v[16:17], v[10:11], 2, v[54:55]
	v_add_u32_e32 v10, 0x1000, v8
	v_add_u32_e32 v78, 0x1000, v9
	v_mov_b32_e32 v79, v11
	v_lshl_add_u64 v[74:75], v[74:75], 2, v[54:55]
	global_store_dword v[16:17], v76, off
	global_store_dword v[74:75], v77, off
	v_lshl_add_u64 v[16:17], v[10:11], 2, v[54:55]
	v_add_u32_e32 v10, 0x1400, v8
	v_add_u32_e32 v82, 0x1400, v9
	v_mov_b32_e32 v83, v11
	v_add_u32_e32 v12, -8, v12
	v_lshl_add_u64 v[78:79], v[78:79], 2, v[54:55]
	global_store_dword v[16:17], v80, off
	global_store_dword v[78:79], v81, off
	v_lshl_add_u64 v[16:17], v[10:11], 2, v[54:55]
	v_add_u32_e32 v10, 0x1800, v8
	v_add_u32_e32 v86, 0x1800, v9
	v_mov_b32_e32 v87, v11
	s_add_i32 s8, s8, 16
	v_lshl_add_u64 v[82:83], v[82:83], 2, v[54:55]
	v_cmp_eq_u32_e32 vcc, 0, v12
	global_store_dword v[16:17], v84, off
	global_store_dword v[82:83], v85, off
	v_lshl_add_u64 v[16:17], v[10:11], 2, v[54:55]
	v_add_u32_e32 v10, 0x1c00, v8
	v_add_u32_e32 v90, 0x1c00, v9
	v_mov_b32_e32 v91, v11
	v_add_u32_e32 v13, 0x8000, v13
	v_lshl_add_u64 v[86:87], v[86:87], 2, v[54:55]
	v_add_u32_e32 v9, 0x2000, v9
	v_mov_b32_e32 v14, s8
	s_or_b64 s[6:7], vcc, s[6:7]
	v_add_u32_e32 v8, 0x2000, v8
	s_waitcnt lgkmcnt(1)
	global_store_dword v[16:17], v88, off
	global_store_dword v[86:87], v89, off
	v_lshl_add_u64 v[16:17], v[10:11], 2, v[54:55]
	v_lshl_add_u64 v[90:91], v[90:91], 2, v[54:55]
	s_waitcnt lgkmcnt(0)
	global_store_dword v[16:17], v92, off
	global_store_dword v[90:91], v93, off
	s_andn2_b64 exec, exec, s[6:7]
	s_cbranch_execnz .LBB383_123
; %bb.124:
	s_or_b64 exec, exec, s[6:7]
.LBB383_125:
	s_or_b64 exec, exec, s[4:5]
	v_and_b32_e32 v1, 7, v7
	v_cmp_ne_u32_e32 vcc, 0, v1
	s_and_saveexec_b64 s[4:5], vcc
	s_cbranch_execz .LBB383_128
; %bb.126:
	v_lshlrev_b32_e32 v7, 2, v0
	v_lshl_or_b32 v7, v14, 11, v7
	s_mov_b64 s[6:7], 0
	v_mov_b32_e32 v11, 0
.LBB383_127:                            ; =>This Inner Loop Header: Depth=1
	ds_read2st64_b32 v[12:13], v7 offset1:8
	v_add_u32_e32 v1, -1, v1
	v_mov_b32_e32 v10, v8
	v_cmp_eq_u32_e32 vcc, 0, v1
	v_add_u32_e32 v8, 0x400, v8
	v_add_u32_e32 v7, 0x1000, v7
	v_lshl_add_u64 v[14:15], v[10:11], 2, v[54:55]
	v_mov_b32_e32 v10, v9
	v_add_u32_e32 v9, 0x400, v9
	s_or_b64 s[6:7], vcc, s[6:7]
	v_lshl_add_u64 v[16:17], v[10:11], 2, v[54:55]
	s_waitcnt lgkmcnt(0)
	global_store_dword v[14:15], v12, off
	global_store_dword v[16:17], v13, off
	s_andn2_b64 exec, exec, s[6:7]
	s_cbranch_execnz .LBB383_127
.LBB383_128:
	s_or_b64 exec, exec, s[4:5]
	v_add_u32_e32 v1, 1, v3
	v_and_b32_e32 v3, 0xfffffe, v1
	v_cmp_ne_u32_e32 vcc, v1, v3
	v_lshl_or_b32 v8, v3, 9, v0
	s_orn2_b64 s[4:5], vcc, exec
.LBB383_129:
	s_or_b64 exec, exec, s[2:3]
	s_and_b64 exec, exec, s[4:5]
	s_cbranch_execz .LBB383_132
; %bb.130:
	v_lshlrev_b32_e32 v1, 2, v8
	s_mov_b64 s[2:3], 0
	v_mov_b32_e32 v9, 0
.LBB383_131:                            ; =>This Inner Loop Header: Depth=1
	ds_read_b32 v3, v1
	v_lshl_add_u64 v[10:11], v[8:9], 2, v[54:55]
	v_add_u32_e32 v8, 0x200, v8
	v_cmp_ge_u32_e32 vcc, v8, v2
	v_add_u32_e32 v1, 0x800, v1
	s_or_b64 s[2:3], vcc, s[2:3]
	s_waitcnt lgkmcnt(0)
	global_store_dword v[10:11], v3, off
	s_andn2_b64 exec, exec, s[2:3]
	s_cbranch_execnz .LBB383_131
.LBB383_132:
	s_or_b64 exec, exec, s[0:1]
.LBB383_133:
	s_cmpk_lg_i32 s33, 0x1e00
	s_cselect_b64 s[0:1], -1, 0
	v_cndmask_b32_e64 v16, 0, 1, s[42:43]
	s_and_b64 s[0:1], s[0:1], s[40:41]
	v_sub_u32_e32 v1, v2, v16
	v_cndmask_b32_e64 v3, 0, 1, s[0:1]
	s_and_b64 s[0:1], s[34:35], s[42:43]
	v_add_u32_e32 v1, v1, v3
	v_cndmask_b32_e64 v3, v70, 0, s[0:1]
	s_mul_hi_u32 s0, s33, 0x88888889
	s_lshr_b32 s0, s0, 3
	v_mad_i32_i24 v7, v0, -15, s33
	v_cmp_eq_u32_e32 vcc, s0, v0
	v_cmp_ne_u32_e64 s[0:1], 0, v7
	s_and_b64 vcc, vcc, s[40:41]
	s_mov_b32 s2, 0
	v_cndmask_b32_e64 v8, 1, v3, s[0:1]
	v_cmp_ne_u32_e64 s[0:1], 1, v7
	s_movk_i32 s30, 0x200
	s_mov_b64 s[34:35], -1
	v_cndmask_b32_e64 v9, 1, v69, s[0:1]
	v_cmp_ne_u32_e64 s[0:1], 2, v7
	s_barrier
	s_nop 0
	v_cndmask_b32_e64 v10, 1, v68, s[0:1]
	v_cmp_ne_u32_e64 s[0:1], 3, v7
	s_nop 1
	v_cndmask_b32_e64 v11, 1, v67, s[0:1]
	v_cmp_ne_u32_e64 s[0:1], 4, v7
	;; [unrolled: 3-line block ×7, first 2 shown]
	v_cndmask_b32_e32 v55, v62, v17, vcc
	v_cndmask_b32_e32 v62, v69, v9, vcc
	v_cndmask_b32_e64 v18, 1, v61, s[0:1]
	v_cmp_ne_u32_e64 s[0:1], 10, v7
	v_cndmask_b32_e32 v18, v61, v18, vcc
	v_cndmask_b32_e32 v61, v68, v10, vcc
	v_cndmask_b32_e64 v19, 1, v60, s[0:1]
	v_cmp_ne_u32_e64 s[0:1], 11, v7
	;; [unrolled: 4-line block ×5, first 2 shown]
	v_cndmask_b32_e32 v54, v57, v54, vcc
	v_cndmask_b32_e32 v57, v64, v14, vcc
	v_cndmask_b32_e64 v7, 1, v56, s[0:1]
	v_cndmask_b32_e32 v7, v56, v7, vcc
	v_cndmask_b32_e32 v56, v63, v15, vcc
	;; [unrolled: 1-line block ×3, first 2 shown]
	v_mov_b32_e32 v17, s2
	v_cmp_eq_u32_e32 vcc, 0, v63
	v_lshl_add_u64 v[14:15], v[16:17], 0, -1
	v_add_u32_e32 v3, v4, v16
	v_cndmask_b32_e64 v16, 1, 2, vcc
	v_cmp_eq_u32_e32 vcc, 0, v62
	v_lshlrev_b64 v[10:11], 3, v[52:53]
	v_cmp_ne_u32_e64 s[0:1], 0, v7
	v_cndmask_b32_e64 v17, 1, 2, vcc
	v_cmp_eq_u32_e32 vcc, 0, v61
	v_and_b32_e32 v16, v17, v16
	v_lshl_add_u64 v[8:9], s[46:47], 0, v[10:11]
	v_cndmask_b32_e64 v17, 1, 2, vcc
	v_cmp_eq_u32_e32 vcc, 0, v60
	v_and_b32_e32 v16, v16, v17
	v_lshlrev_b64 v[12:13], 3, v[4:5]
	v_cndmask_b32_e64 v17, 1, 2, vcc
	v_cmp_eq_u32_e32 vcc, 0, v59
	v_and_b32_e32 v16, v16, v17
	v_lshl_add_u64 v[8:9], v[8:9], 0, v[12:13]
	v_cndmask_b32_e64 v17, 1, 2, vcc
	v_cmp_eq_u32_e32 vcc, 0, v58
	v_and_b32_e32 v16, v16, v17
	v_cmp_ne_u32_e64 s[28:29], 0, v63
	v_cndmask_b32_e64 v17, 1, 2, vcc
	v_cmp_eq_u32_e32 vcc, 0, v57
	v_and_b32_e32 v16, v16, v17
	v_cmp_ne_u32_e64 s[26:27], 0, v62
	;; [unrolled: 4-line block ×10, first 2 shown]
	v_cndmask_b32_e64 v7, 1, 2, vcc
	v_and_b32_e32 v7, v16, v7
	v_cmp_gt_u32_e32 vcc, s30, v1
	v_cmp_ne_u32_e64 s[8:9], 0, v19
	v_cmp_ne_u32_e64 s[6:7], 0, v20
	;; [unrolled: 1-line block ×4, first 2 shown]
	v_cmp_gt_i16_e64 s[30:31], 2, v7
	s_cbranch_vccz .LBB383_140
; %bb.134:
	s_and_saveexec_b64 s[34:35], s[30:31]
	s_cbranch_execz .LBB383_139
; %bb.135:
	v_lshlrev_b64 v[16:17], 3, v[14:15]
	v_lshl_add_u64 v[16:17], v[8:9], 0, v[16:17]
	v_cmp_ne_u16_e32 vcc, 1, v7
	s_mov_b64 s[36:37], 0
	s_and_saveexec_b64 s[30:31], vcc
	s_xor_b64 s[30:31], exec, s[30:31]
	s_cbranch_execnz .LBB383_189
; %bb.136:
	s_andn2_saveexec_b64 s[30:31], s[30:31]
	s_cbranch_execnz .LBB383_205
.LBB383_137:
	s_or_b64 exec, exec, s[30:31]
	s_and_b64 exec, exec, s[36:37]
	s_cbranch_execz .LBB383_139
.LBB383_138:
	v_mov_b32_e32 v19, 0
	v_sub_u32_e32 v20, v24, v3
	v_mov_b32_e32 v21, v19
	v_mov_b32_e32 v18, v25
	v_lshl_add_u64 v[16:17], v[20:21], 3, v[16:17]
	global_store_dwordx2 v[16:17], v[18:19], off
.LBB383_139:
	s_or_b64 exec, exec, s[34:35]
	s_mov_b64 s[34:35], 0
.LBB383_140:
	s_and_b64 vcc, exec, s[34:35]
	s_cbranch_vccz .LBB383_150
; %bb.141:
	v_cmp_gt_i16_e32 vcc, 2, v7
	s_and_saveexec_b64 s[30:31], vcc
	s_cbranch_execz .LBB383_146
; %bb.142:
	v_cmp_ne_u16_e32 vcc, 1, v7
	s_mov_b64 s[36:37], 0
	s_and_saveexec_b64 s[34:35], vcc
	s_xor_b64 s[34:35], exec, s[34:35]
	s_cbranch_execnz .LBB383_206
; %bb.143:
	s_andn2_saveexec_b64 s[0:1], s[34:35]
	s_cbranch_execnz .LBB383_222
.LBB383_144:
	s_or_b64 exec, exec, s[0:1]
	s_and_b64 exec, exec, s[36:37]
	s_cbranch_execz .LBB383_146
.LBB383_145:
	v_sub_u32_e32 v3, v24, v3
	v_lshlrev_b32_e32 v3, 2, v3
	ds_write_b32 v3, v25
.LBB383_146:
	s_or_b64 exec, exec, s[30:31]
	v_cmp_lt_u32_e32 vcc, v0, v1
	s_waitcnt lgkmcnt(0)
	s_barrier
	s_and_saveexec_b64 s[0:1], vcc
	s_cbranch_execz .LBB383_149
; %bb.147:
	v_lshlrev_b64 v[14:15], 3, v[14:15]
	v_lshl_add_u64 v[10:11], v[10:11], 0, v[14:15]
	v_lshl_add_u64 v[12:13], v[10:11], 0, v[12:13]
	v_lshlrev_b32_e32 v10, 3, v0
	v_mov_b32_e32 v11, 0
	v_lshl_add_u64 v[12:13], s[46:47], 0, v[12:13]
	v_lshlrev_b32_e32 v3, 2, v0
	v_lshl_add_u64 v[12:13], v[12:13], 0, v[10:11]
	s_mov_b64 s[2:3], 0
	s_mov_b64 s[4:5], 0x1000
	v_mov_b32_e32 v7, v0
.LBB383_148:                            ; =>This Inner Loop Header: Depth=1
	ds_read_b32 v10, v3
	v_add_u32_e32 v7, 0x200, v7
	v_cmp_ge_u32_e32 vcc, v7, v1
	v_add_u32_e32 v3, 0x800, v3
	s_or_b64 s[2:3], vcc, s[2:3]
	s_waitcnt lgkmcnt(0)
	global_store_dwordx2 v[12:13], v[10:11], off
	v_lshl_add_u64 v[12:13], v[12:13], 0, s[4:5]
	s_andn2_b64 exec, exec, s[2:3]
	s_cbranch_execnz .LBB383_148
.LBB383_149:
	s_or_b64 exec, exec, s[0:1]
.LBB383_150:
	s_movk_i32 s0, 0x1ff
	v_cmp_eq_u32_e32 vcc, s0, v0
	s_and_b64 s[0:1], vcc, s[40:41]
	s_and_saveexec_b64 s[2:3], s[0:1]
	s_cbranch_execz .LBB383_153
; %bb.151:
	v_mov_b32_e32 v3, 0
	v_lshl_add_u64 v[0:1], v[2:3], 0, v[4:5]
	v_lshl_add_u64 v[0:1], v[0:1], 0, v[52:53]
	s_cmpk_lg_i32 s33, 0x1e00
	global_store_dwordx2 v3, v[0:1], s[48:49]
	s_cbranch_scc1 .LBB383_153
; %bb.152:
	v_lshlrev_b64 v[0:1], 3, v[2:3]
	v_mov_b32_e32 v7, v3
	v_lshl_add_u64 v[0:1], v[8:9], 0, v[0:1]
	global_store_dwordx2 v[0:1], v[6:7], off offset:-8
.LBB383_153:
	s_endpgm
.LBB383_154:
	s_or_b64 exec, exec, s[8:9]
	v_mov_b32_e32 v70, s12
	s_and_saveexec_b64 s[0:1], s[4:5]
	s_cbranch_execnz .LBB383_60
	s_branch .LBB383_61
.LBB383_155:
	s_and_saveexec_b64 s[38:39], s[30:31]
	s_cbranch_execnz .LBB383_223
; %bb.156:
	s_or_b64 exec, exec, s[38:39]
	s_and_saveexec_b64 s[38:39], s[28:29]
	s_cbranch_execnz .LBB383_224
.LBB383_157:
	s_or_b64 exec, exec, s[38:39]
	s_and_saveexec_b64 s[38:39], s[26:27]
	s_cbranch_execnz .LBB383_225
.LBB383_158:
	s_or_b64 exec, exec, s[38:39]
	s_and_saveexec_b64 s[38:39], s[24:25]
	s_cbranch_execnz .LBB383_226
.LBB383_159:
	s_or_b64 exec, exec, s[38:39]
	s_and_saveexec_b64 s[38:39], s[22:23]
	s_cbranch_execnz .LBB383_227
.LBB383_160:
	s_or_b64 exec, exec, s[38:39]
	s_and_saveexec_b64 s[38:39], s[20:21]
	s_cbranch_execnz .LBB383_228
.LBB383_161:
	s_or_b64 exec, exec, s[38:39]
	s_and_saveexec_b64 s[38:39], s[18:19]
	s_cbranch_execnz .LBB383_229
.LBB383_162:
	s_or_b64 exec, exec, s[38:39]
	s_and_saveexec_b64 s[38:39], s[16:17]
	s_cbranch_execnz .LBB383_230
.LBB383_163:
	s_or_b64 exec, exec, s[38:39]
	s_and_saveexec_b64 s[38:39], s[14:15]
	s_cbranch_execnz .LBB383_231
.LBB383_164:
	s_or_b64 exec, exec, s[38:39]
	s_and_saveexec_b64 s[38:39], s[12:13]
	s_cbranch_execnz .LBB383_232
.LBB383_165:
	s_or_b64 exec, exec, s[38:39]
	s_and_saveexec_b64 s[38:39], s[10:11]
	s_cbranch_execnz .LBB383_233
.LBB383_166:
	s_or_b64 exec, exec, s[38:39]
	s_and_saveexec_b64 s[38:39], s[8:9]
	s_cbranch_execnz .LBB383_234
.LBB383_167:
	s_or_b64 exec, exec, s[38:39]
	s_and_saveexec_b64 s[38:39], s[6:7]
	s_cbranch_execnz .LBB383_235
.LBB383_168:
	s_or_b64 exec, exec, s[38:39]
	s_and_saveexec_b64 s[38:39], s[4:5]
	s_cbranch_execz .LBB383_170
.LBB383_169:
	v_sub_u32_e32 v72, v22, v4
	v_mov_b32_e32 v73, 0
	v_lshl_add_u64 v[72:73], v[72:73], 2, v[54:55]
	global_store_dword v[72:73], v9, off
.LBB383_170:
	s_or_b64 exec, exec, s[38:39]
	s_and_b64 s[38:39], s[2:3], exec
	s_andn2_saveexec_b64 s[0:1], s[0:1]
	s_cbranch_execz .LBB383_110
.LBB383_171:
	v_sub_u32_e32 v72, v50, v4
	v_mov_b32_e32 v73, 0
	v_lshl_add_u64 v[74:75], v[72:73], 2, v[54:55]
	v_sub_u32_e32 v72, v48, v4
	global_store_dword v[74:75], v20, off
	v_lshl_add_u64 v[74:75], v[72:73], 2, v[54:55]
	v_sub_u32_e32 v72, v46, v4
	global_store_dword v[74:75], v21, off
	;; [unrolled: 3-line block ×12, first 2 shown]
	v_lshl_add_u64 v[74:75], v[72:73], 2, v[54:55]
	v_sub_u32_e32 v72, v22, v4
	v_lshl_add_u64 v[72:73], v[72:73], 2, v[54:55]
	s_or_b64 s[38:39], s[38:39], exec
	global_store_dword v[74:75], v8, off
	global_store_dword v[72:73], v9, off
	s_or_b64 exec, exec, s[0:1]
	s_and_b64 exec, exec, s[38:39]
	s_cbranch_execnz .LBB383_111
	s_branch .LBB383_112
.LBB383_172:
	s_and_saveexec_b64 s[38:39], s[30:31]
	s_cbranch_execnz .LBB383_236
; %bb.173:
	s_or_b64 exec, exec, s[38:39]
	s_and_saveexec_b64 s[30:31], s[28:29]
	s_cbranch_execnz .LBB383_237
.LBB383_174:
	s_or_b64 exec, exec, s[30:31]
	s_and_saveexec_b64 s[28:29], s[26:27]
	s_cbranch_execnz .LBB383_238
.LBB383_175:
	s_or_b64 exec, exec, s[28:29]
	s_and_saveexec_b64 s[26:27], s[24:25]
	s_cbranch_execnz .LBB383_239
.LBB383_176:
	s_or_b64 exec, exec, s[26:27]
	s_and_saveexec_b64 s[24:25], s[22:23]
	s_cbranch_execnz .LBB383_240
.LBB383_177:
	s_or_b64 exec, exec, s[24:25]
	s_and_saveexec_b64 s[22:23], s[20:21]
	s_cbranch_execnz .LBB383_241
.LBB383_178:
	s_or_b64 exec, exec, s[22:23]
	s_and_saveexec_b64 s[20:21], s[18:19]
	s_cbranch_execnz .LBB383_242
.LBB383_179:
	s_or_b64 exec, exec, s[20:21]
	s_and_saveexec_b64 s[18:19], s[16:17]
	s_cbranch_execnz .LBB383_243
.LBB383_180:
	s_or_b64 exec, exec, s[18:19]
	s_and_saveexec_b64 s[16:17], s[14:15]
	s_cbranch_execnz .LBB383_244
.LBB383_181:
	s_or_b64 exec, exec, s[16:17]
	s_and_saveexec_b64 s[14:15], s[12:13]
	s_cbranch_execnz .LBB383_245
.LBB383_182:
	s_or_b64 exec, exec, s[14:15]
	s_and_saveexec_b64 s[12:13], s[10:11]
	s_cbranch_execnz .LBB383_246
.LBB383_183:
	s_or_b64 exec, exec, s[12:13]
	s_and_saveexec_b64 s[10:11], s[8:9]
	s_cbranch_execnz .LBB383_247
.LBB383_184:
	s_or_b64 exec, exec, s[10:11]
	s_and_saveexec_b64 s[8:9], s[6:7]
	s_cbranch_execnz .LBB383_248
.LBB383_185:
	s_or_b64 exec, exec, s[8:9]
	s_and_saveexec_b64 s[6:7], s[4:5]
	s_cbranch_execz .LBB383_187
.LBB383_186:
	v_sub_u32_e32 v3, v22, v4
	v_lshlrev_b32_e32 v3, 2, v3
	ds_write_b32 v3, v9
.LBB383_187:
	s_or_b64 exec, exec, s[6:7]
	s_and_b64 s[38:39], s[2:3], exec
                                        ; implicit-def: $vgpr9
                                        ; implicit-def: $vgpr11
                                        ; implicit-def: $vgpr13
                                        ; implicit-def: $vgpr15
                                        ; implicit-def: $vgpr17
                                        ; implicit-def: $vgpr19
                                        ; implicit-def: $vgpr21
	s_andn2_saveexec_b64 s[2:3], s[36:37]
	s_cbranch_execz .LBB383_117
.LBB383_188:
	v_sub_u32_e32 v3, v50, v4
	v_lshlrev_b32_e32 v3, 2, v3
	ds_write_b32 v3, v20
	v_sub_u32_e32 v3, v48, v4
	v_lshlrev_b32_e32 v3, 2, v3
	ds_write_b32 v3, v21
	;; [unrolled: 3-line block ×13, first 2 shown]
	v_sub_u32_e32 v3, v22, v4
	v_lshlrev_b32_e32 v3, 2, v3
	s_or_b64 s[38:39], s[38:39], exec
	ds_write_b32 v3, v9
	s_or_b64 exec, exec, s[2:3]
	s_and_b64 exec, exec, s[38:39]
	s_cbranch_execnz .LBB383_118
	s_branch .LBB383_119
.LBB383_189:
	s_and_saveexec_b64 s[36:37], s[28:29]
	s_cbranch_execnz .LBB383_249
; %bb.190:
	s_or_b64 exec, exec, s[36:37]
	s_and_saveexec_b64 s[36:37], s[26:27]
	s_cbranch_execnz .LBB383_250
.LBB383_191:
	s_or_b64 exec, exec, s[36:37]
	s_and_saveexec_b64 s[36:37], s[24:25]
	s_cbranch_execnz .LBB383_251
.LBB383_192:
	s_or_b64 exec, exec, s[36:37]
	s_and_saveexec_b64 s[36:37], s[22:23]
	s_cbranch_execnz .LBB383_252
.LBB383_193:
	s_or_b64 exec, exec, s[36:37]
	s_and_saveexec_b64 s[36:37], s[20:21]
	s_cbranch_execnz .LBB383_253
.LBB383_194:
	s_or_b64 exec, exec, s[36:37]
	s_and_saveexec_b64 s[36:37], s[18:19]
	s_cbranch_execnz .LBB383_254
.LBB383_195:
	s_or_b64 exec, exec, s[36:37]
	s_and_saveexec_b64 s[36:37], s[16:17]
	s_cbranch_execnz .LBB383_255
.LBB383_196:
	s_or_b64 exec, exec, s[36:37]
	s_and_saveexec_b64 s[36:37], s[14:15]
	s_cbranch_execnz .LBB383_256
.LBB383_197:
	s_or_b64 exec, exec, s[36:37]
	s_and_saveexec_b64 s[36:37], s[12:13]
	s_cbranch_execnz .LBB383_257
.LBB383_198:
	s_or_b64 exec, exec, s[36:37]
	s_and_saveexec_b64 s[36:37], s[10:11]
	s_cbranch_execnz .LBB383_258
.LBB383_199:
	s_or_b64 exec, exec, s[36:37]
	s_and_saveexec_b64 s[36:37], s[8:9]
	s_cbranch_execnz .LBB383_259
.LBB383_200:
	s_or_b64 exec, exec, s[36:37]
	s_and_saveexec_b64 s[36:37], s[6:7]
	s_cbranch_execnz .LBB383_260
.LBB383_201:
	s_or_b64 exec, exec, s[36:37]
	s_and_saveexec_b64 s[36:37], s[4:5]
	s_cbranch_execnz .LBB383_261
.LBB383_202:
	s_or_b64 exec, exec, s[36:37]
	s_and_saveexec_b64 s[36:37], s[2:3]
	s_cbranch_execz .LBB383_204
.LBB383_203:
	v_sub_u32_e32 v18, v22, v3
	v_mov_b32_e32 v19, 0
	v_lshl_add_u64 v[20:21], v[18:19], 3, v[16:17]
	v_mov_b32_e32 v18, v23
	global_store_dwordx2 v[20:21], v[18:19], off
.LBB383_204:
	s_or_b64 exec, exec, s[36:37]
	s_and_b64 s[36:37], s[0:1], exec
	s_andn2_saveexec_b64 s[30:31], s[30:31]
	s_cbranch_execz .LBB383_137
.LBB383_205:
	v_mov_b32_e32 v19, 0
	v_sub_u32_e32 v20, v50, v3
	v_mov_b32_e32 v21, v19
	v_mov_b32_e32 v18, v51
	v_lshl_add_u64 v[20:21], v[20:21], 3, v[16:17]
	global_store_dwordx2 v[20:21], v[18:19], off
	v_sub_u32_e32 v20, v48, v3
	v_mov_b32_e32 v21, v19
	v_mov_b32_e32 v18, v49
	v_lshl_add_u64 v[20:21], v[20:21], 3, v[16:17]
	global_store_dwordx2 v[20:21], v[18:19], off
	;; [unrolled: 5-line block ×13, first 2 shown]
	v_sub_u32_e32 v20, v22, v3
	v_mov_b32_e32 v21, v19
	v_mov_b32_e32 v18, v23
	v_lshl_add_u64 v[20:21], v[20:21], 3, v[16:17]
	s_or_b64 s[36:37], s[36:37], exec
	global_store_dwordx2 v[20:21], v[18:19], off
	s_or_b64 exec, exec, s[30:31]
	s_and_b64 exec, exec, s[36:37]
	s_cbranch_execnz .LBB383_138
	s_branch .LBB383_139
.LBB383_206:
	s_and_saveexec_b64 s[36:37], s[28:29]
	s_cbranch_execnz .LBB383_262
; %bb.207:
	s_or_b64 exec, exec, s[36:37]
	s_and_saveexec_b64 s[28:29], s[26:27]
	s_cbranch_execnz .LBB383_263
.LBB383_208:
	s_or_b64 exec, exec, s[28:29]
	s_and_saveexec_b64 s[26:27], s[24:25]
	s_cbranch_execnz .LBB383_264
.LBB383_209:
	s_or_b64 exec, exec, s[26:27]
	s_and_saveexec_b64 s[24:25], s[22:23]
	s_cbranch_execnz .LBB383_265
.LBB383_210:
	s_or_b64 exec, exec, s[24:25]
	s_and_saveexec_b64 s[22:23], s[20:21]
	s_cbranch_execnz .LBB383_266
.LBB383_211:
	s_or_b64 exec, exec, s[22:23]
	s_and_saveexec_b64 s[20:21], s[18:19]
	s_cbranch_execnz .LBB383_267
.LBB383_212:
	s_or_b64 exec, exec, s[20:21]
	s_and_saveexec_b64 s[18:19], s[16:17]
	s_cbranch_execnz .LBB383_268
.LBB383_213:
	s_or_b64 exec, exec, s[18:19]
	s_and_saveexec_b64 s[16:17], s[14:15]
	s_cbranch_execnz .LBB383_269
.LBB383_214:
	s_or_b64 exec, exec, s[16:17]
	s_and_saveexec_b64 s[14:15], s[12:13]
	s_cbranch_execnz .LBB383_270
.LBB383_215:
	s_or_b64 exec, exec, s[14:15]
	s_and_saveexec_b64 s[12:13], s[10:11]
	s_cbranch_execnz .LBB383_271
.LBB383_216:
	s_or_b64 exec, exec, s[12:13]
	s_and_saveexec_b64 s[10:11], s[8:9]
	s_cbranch_execnz .LBB383_272
.LBB383_217:
	s_or_b64 exec, exec, s[10:11]
	s_and_saveexec_b64 s[8:9], s[6:7]
	s_cbranch_execnz .LBB383_273
.LBB383_218:
	s_or_b64 exec, exec, s[8:9]
	s_and_saveexec_b64 s[6:7], s[4:5]
	s_cbranch_execnz .LBB383_274
.LBB383_219:
	s_or_b64 exec, exec, s[6:7]
	s_and_saveexec_b64 s[4:5], s[2:3]
	s_cbranch_execz .LBB383_221
.LBB383_220:
	v_sub_u32_e32 v7, v22, v3
	v_lshlrev_b32_e32 v7, 2, v7
	ds_write_b32 v7, v23
.LBB383_221:
	s_or_b64 exec, exec, s[4:5]
	s_and_b64 s[36:37], s[0:1], exec
                                        ; implicit-def: $vgpr22_vgpr23
                                        ; implicit-def: $vgpr26_vgpr27
                                        ; implicit-def: $vgpr28_vgpr29
                                        ; implicit-def: $vgpr50_vgpr51
                                        ; implicit-def: $vgpr48_vgpr49
                                        ; implicit-def: $vgpr46_vgpr47
                                        ; implicit-def: $vgpr44_vgpr45
                                        ; implicit-def: $vgpr42_vgpr43
                                        ; implicit-def: $vgpr40_vgpr41
                                        ; implicit-def: $vgpr38_vgpr39
                                        ; implicit-def: $vgpr36_vgpr37
                                        ; implicit-def: $vgpr34_vgpr35
                                        ; implicit-def: $vgpr32_vgpr33
                                        ; implicit-def: $vgpr30_vgpr31
	s_andn2_saveexec_b64 s[0:1], s[34:35]
	s_cbranch_execz .LBB383_144
.LBB383_222:
	v_sub_u32_e32 v7, v50, v3
	v_lshlrev_b32_e32 v7, 2, v7
	ds_write_b32 v7, v51
	v_sub_u32_e32 v7, v48, v3
	v_lshlrev_b32_e32 v7, 2, v7
	ds_write_b32 v7, v49
	;; [unrolled: 3-line block ×13, first 2 shown]
	v_sub_u32_e32 v7, v22, v3
	v_lshlrev_b32_e32 v7, 2, v7
	s_or_b64 s[36:37], s[36:37], exec
	ds_write_b32 v7, v23
	s_or_b64 exec, exec, s[0:1]
	s_and_b64 exec, exec, s[36:37]
	s_cbranch_execnz .LBB383_145
	s_branch .LBB383_146
.LBB383_223:
	v_sub_u32_e32 v72, v50, v4
	v_mov_b32_e32 v73, 0
	v_lshl_add_u64 v[72:73], v[72:73], 2, v[54:55]
	global_store_dword v[72:73], v20, off
	s_or_b64 exec, exec, s[38:39]
	s_and_saveexec_b64 s[38:39], s[28:29]
	s_cbranch_execz .LBB383_157
.LBB383_224:
	v_sub_u32_e32 v72, v48, v4
	v_mov_b32_e32 v73, 0
	v_lshl_add_u64 v[72:73], v[72:73], 2, v[54:55]
	global_store_dword v[72:73], v21, off
	s_or_b64 exec, exec, s[38:39]
	s_and_saveexec_b64 s[38:39], s[26:27]
	s_cbranch_execz .LBB383_158
.LBB383_225:
	v_sub_u32_e32 v72, v46, v4
	v_mov_b32_e32 v73, 0
	v_lshl_add_u64 v[72:73], v[72:73], 2, v[54:55]
	global_store_dword v[72:73], v18, off
	s_or_b64 exec, exec, s[38:39]
	s_and_saveexec_b64 s[38:39], s[24:25]
	s_cbranch_execz .LBB383_159
.LBB383_226:
	v_sub_u32_e32 v72, v44, v4
	v_mov_b32_e32 v73, 0
	v_lshl_add_u64 v[72:73], v[72:73], 2, v[54:55]
	global_store_dword v[72:73], v19, off
	s_or_b64 exec, exec, s[38:39]
	s_and_saveexec_b64 s[38:39], s[22:23]
	s_cbranch_execz .LBB383_160
.LBB383_227:
	v_sub_u32_e32 v72, v42, v4
	v_mov_b32_e32 v73, 0
	v_lshl_add_u64 v[72:73], v[72:73], 2, v[54:55]
	global_store_dword v[72:73], v16, off
	s_or_b64 exec, exec, s[38:39]
	s_and_saveexec_b64 s[38:39], s[20:21]
	s_cbranch_execz .LBB383_161
.LBB383_228:
	v_sub_u32_e32 v72, v40, v4
	v_mov_b32_e32 v73, 0
	v_lshl_add_u64 v[72:73], v[72:73], 2, v[54:55]
	global_store_dword v[72:73], v17, off
	s_or_b64 exec, exec, s[38:39]
	s_and_saveexec_b64 s[38:39], s[18:19]
	s_cbranch_execz .LBB383_162
.LBB383_229:
	v_sub_u32_e32 v72, v38, v4
	v_mov_b32_e32 v73, 0
	v_lshl_add_u64 v[72:73], v[72:73], 2, v[54:55]
	global_store_dword v[72:73], v14, off
	s_or_b64 exec, exec, s[38:39]
	s_and_saveexec_b64 s[38:39], s[16:17]
	s_cbranch_execz .LBB383_163
.LBB383_230:
	v_sub_u32_e32 v72, v36, v4
	v_mov_b32_e32 v73, 0
	v_lshl_add_u64 v[72:73], v[72:73], 2, v[54:55]
	global_store_dword v[72:73], v15, off
	s_or_b64 exec, exec, s[38:39]
	s_and_saveexec_b64 s[38:39], s[14:15]
	s_cbranch_execz .LBB383_164
.LBB383_231:
	v_sub_u32_e32 v72, v34, v4
	v_mov_b32_e32 v73, 0
	v_lshl_add_u64 v[72:73], v[72:73], 2, v[54:55]
	global_store_dword v[72:73], v12, off
	s_or_b64 exec, exec, s[38:39]
	s_and_saveexec_b64 s[38:39], s[12:13]
	s_cbranch_execz .LBB383_165
.LBB383_232:
	v_sub_u32_e32 v72, v32, v4
	v_mov_b32_e32 v73, 0
	v_lshl_add_u64 v[72:73], v[72:73], 2, v[54:55]
	global_store_dword v[72:73], v13, off
	s_or_b64 exec, exec, s[38:39]
	s_and_saveexec_b64 s[38:39], s[10:11]
	s_cbranch_execz .LBB383_166
.LBB383_233:
	v_sub_u32_e32 v72, v30, v4
	v_mov_b32_e32 v73, 0
	v_lshl_add_u64 v[72:73], v[72:73], 2, v[54:55]
	global_store_dword v[72:73], v10, off
	s_or_b64 exec, exec, s[38:39]
	s_and_saveexec_b64 s[38:39], s[8:9]
	s_cbranch_execz .LBB383_167
.LBB383_234:
	v_sub_u32_e32 v72, v28, v4
	v_mov_b32_e32 v73, 0
	v_lshl_add_u64 v[72:73], v[72:73], 2, v[54:55]
	global_store_dword v[72:73], v11, off
	s_or_b64 exec, exec, s[38:39]
	s_and_saveexec_b64 s[38:39], s[6:7]
	s_cbranch_execz .LBB383_168
.LBB383_235:
	v_sub_u32_e32 v72, v26, v4
	v_mov_b32_e32 v73, 0
	v_lshl_add_u64 v[72:73], v[72:73], 2, v[54:55]
	global_store_dword v[72:73], v8, off
	s_or_b64 exec, exec, s[38:39]
	s_and_saveexec_b64 s[38:39], s[4:5]
	s_cbranch_execnz .LBB383_169
	s_branch .LBB383_170
.LBB383_236:
	v_sub_u32_e32 v3, v50, v4
	v_lshlrev_b32_e32 v3, 2, v3
	ds_write_b32 v3, v20
	s_or_b64 exec, exec, s[38:39]
	s_and_saveexec_b64 s[30:31], s[28:29]
	s_cbranch_execz .LBB383_174
.LBB383_237:
	v_sub_u32_e32 v3, v48, v4
	v_lshlrev_b32_e32 v3, 2, v3
	ds_write_b32 v3, v21
	s_or_b64 exec, exec, s[30:31]
	s_and_saveexec_b64 s[28:29], s[26:27]
	s_cbranch_execz .LBB383_175
.LBB383_238:
	v_sub_u32_e32 v3, v46, v4
	v_lshlrev_b32_e32 v3, 2, v3
	ds_write_b32 v3, v18
	s_or_b64 exec, exec, s[28:29]
	s_and_saveexec_b64 s[26:27], s[24:25]
	s_cbranch_execz .LBB383_176
.LBB383_239:
	v_sub_u32_e32 v3, v44, v4
	v_lshlrev_b32_e32 v3, 2, v3
	ds_write_b32 v3, v19
	s_or_b64 exec, exec, s[26:27]
	s_and_saveexec_b64 s[24:25], s[22:23]
	s_cbranch_execz .LBB383_177
.LBB383_240:
	v_sub_u32_e32 v3, v42, v4
	v_lshlrev_b32_e32 v3, 2, v3
	ds_write_b32 v3, v16
	s_or_b64 exec, exec, s[24:25]
	s_and_saveexec_b64 s[22:23], s[20:21]
	s_cbranch_execz .LBB383_178
.LBB383_241:
	v_sub_u32_e32 v3, v40, v4
	v_lshlrev_b32_e32 v3, 2, v3
	ds_write_b32 v3, v17
	s_or_b64 exec, exec, s[22:23]
	s_and_saveexec_b64 s[20:21], s[18:19]
	s_cbranch_execz .LBB383_179
.LBB383_242:
	v_sub_u32_e32 v3, v38, v4
	v_lshlrev_b32_e32 v3, 2, v3
	ds_write_b32 v3, v14
	s_or_b64 exec, exec, s[20:21]
	s_and_saveexec_b64 s[18:19], s[16:17]
	s_cbranch_execz .LBB383_180
.LBB383_243:
	v_sub_u32_e32 v3, v36, v4
	v_lshlrev_b32_e32 v3, 2, v3
	ds_write_b32 v3, v15
	s_or_b64 exec, exec, s[18:19]
	s_and_saveexec_b64 s[16:17], s[14:15]
	s_cbranch_execz .LBB383_181
.LBB383_244:
	v_sub_u32_e32 v3, v34, v4
	v_lshlrev_b32_e32 v3, 2, v3
	ds_write_b32 v3, v12
	s_or_b64 exec, exec, s[16:17]
	s_and_saveexec_b64 s[14:15], s[12:13]
	s_cbranch_execz .LBB383_182
.LBB383_245:
	v_sub_u32_e32 v3, v32, v4
	v_lshlrev_b32_e32 v3, 2, v3
	ds_write_b32 v3, v13
	s_or_b64 exec, exec, s[14:15]
	s_and_saveexec_b64 s[12:13], s[10:11]
	s_cbranch_execz .LBB383_183
.LBB383_246:
	v_sub_u32_e32 v3, v30, v4
	v_lshlrev_b32_e32 v3, 2, v3
	ds_write_b32 v3, v10
	s_or_b64 exec, exec, s[12:13]
	s_and_saveexec_b64 s[10:11], s[8:9]
	s_cbranch_execz .LBB383_184
.LBB383_247:
	v_sub_u32_e32 v3, v28, v4
	v_lshlrev_b32_e32 v3, 2, v3
	ds_write_b32 v3, v11
	s_or_b64 exec, exec, s[10:11]
	s_and_saveexec_b64 s[8:9], s[6:7]
	s_cbranch_execz .LBB383_185
.LBB383_248:
	v_sub_u32_e32 v3, v26, v4
	v_lshlrev_b32_e32 v3, 2, v3
	ds_write_b32 v3, v8
	s_or_b64 exec, exec, s[8:9]
	s_and_saveexec_b64 s[6:7], s[4:5]
	s_cbranch_execnz .LBB383_186
	s_branch .LBB383_187
.LBB383_249:
	v_sub_u32_e32 v18, v50, v3
	v_mov_b32_e32 v19, 0
	v_lshl_add_u64 v[20:21], v[18:19], 3, v[16:17]
	v_mov_b32_e32 v18, v51
	global_store_dwordx2 v[20:21], v[18:19], off
	s_or_b64 exec, exec, s[36:37]
	s_and_saveexec_b64 s[36:37], s[26:27]
	s_cbranch_execz .LBB383_191
.LBB383_250:
	v_sub_u32_e32 v18, v48, v3
	v_mov_b32_e32 v19, 0
	v_lshl_add_u64 v[20:21], v[18:19], 3, v[16:17]
	v_mov_b32_e32 v18, v49
	global_store_dwordx2 v[20:21], v[18:19], off
	s_or_b64 exec, exec, s[36:37]
	s_and_saveexec_b64 s[36:37], s[24:25]
	s_cbranch_execz .LBB383_192
.LBB383_251:
	v_sub_u32_e32 v18, v46, v3
	v_mov_b32_e32 v19, 0
	v_lshl_add_u64 v[20:21], v[18:19], 3, v[16:17]
	v_mov_b32_e32 v18, v47
	global_store_dwordx2 v[20:21], v[18:19], off
	s_or_b64 exec, exec, s[36:37]
	s_and_saveexec_b64 s[36:37], s[22:23]
	s_cbranch_execz .LBB383_193
.LBB383_252:
	v_sub_u32_e32 v18, v44, v3
	v_mov_b32_e32 v19, 0
	v_lshl_add_u64 v[20:21], v[18:19], 3, v[16:17]
	v_mov_b32_e32 v18, v45
	global_store_dwordx2 v[20:21], v[18:19], off
	s_or_b64 exec, exec, s[36:37]
	s_and_saveexec_b64 s[36:37], s[20:21]
	s_cbranch_execz .LBB383_194
.LBB383_253:
	v_sub_u32_e32 v18, v42, v3
	v_mov_b32_e32 v19, 0
	v_lshl_add_u64 v[20:21], v[18:19], 3, v[16:17]
	v_mov_b32_e32 v18, v43
	global_store_dwordx2 v[20:21], v[18:19], off
	s_or_b64 exec, exec, s[36:37]
	s_and_saveexec_b64 s[36:37], s[18:19]
	s_cbranch_execz .LBB383_195
.LBB383_254:
	v_sub_u32_e32 v18, v40, v3
	v_mov_b32_e32 v19, 0
	v_lshl_add_u64 v[20:21], v[18:19], 3, v[16:17]
	v_mov_b32_e32 v18, v41
	global_store_dwordx2 v[20:21], v[18:19], off
	s_or_b64 exec, exec, s[36:37]
	s_and_saveexec_b64 s[36:37], s[16:17]
	s_cbranch_execz .LBB383_196
.LBB383_255:
	v_sub_u32_e32 v18, v38, v3
	v_mov_b32_e32 v19, 0
	v_lshl_add_u64 v[20:21], v[18:19], 3, v[16:17]
	v_mov_b32_e32 v18, v39
	global_store_dwordx2 v[20:21], v[18:19], off
	s_or_b64 exec, exec, s[36:37]
	s_and_saveexec_b64 s[36:37], s[14:15]
	s_cbranch_execz .LBB383_197
.LBB383_256:
	v_sub_u32_e32 v18, v36, v3
	v_mov_b32_e32 v19, 0
	v_lshl_add_u64 v[20:21], v[18:19], 3, v[16:17]
	v_mov_b32_e32 v18, v37
	global_store_dwordx2 v[20:21], v[18:19], off
	s_or_b64 exec, exec, s[36:37]
	s_and_saveexec_b64 s[36:37], s[12:13]
	s_cbranch_execz .LBB383_198
.LBB383_257:
	v_sub_u32_e32 v18, v34, v3
	v_mov_b32_e32 v19, 0
	v_lshl_add_u64 v[20:21], v[18:19], 3, v[16:17]
	v_mov_b32_e32 v18, v35
	global_store_dwordx2 v[20:21], v[18:19], off
	s_or_b64 exec, exec, s[36:37]
	s_and_saveexec_b64 s[36:37], s[10:11]
	s_cbranch_execz .LBB383_199
.LBB383_258:
	v_sub_u32_e32 v18, v32, v3
	v_mov_b32_e32 v19, 0
	v_lshl_add_u64 v[20:21], v[18:19], 3, v[16:17]
	v_mov_b32_e32 v18, v33
	global_store_dwordx2 v[20:21], v[18:19], off
	s_or_b64 exec, exec, s[36:37]
	s_and_saveexec_b64 s[36:37], s[8:9]
	s_cbranch_execz .LBB383_200
.LBB383_259:
	v_sub_u32_e32 v18, v30, v3
	v_mov_b32_e32 v19, 0
	v_lshl_add_u64 v[20:21], v[18:19], 3, v[16:17]
	v_mov_b32_e32 v18, v31
	global_store_dwordx2 v[20:21], v[18:19], off
	s_or_b64 exec, exec, s[36:37]
	s_and_saveexec_b64 s[36:37], s[6:7]
	s_cbranch_execz .LBB383_201
.LBB383_260:
	v_sub_u32_e32 v18, v28, v3
	v_mov_b32_e32 v19, 0
	v_lshl_add_u64 v[20:21], v[18:19], 3, v[16:17]
	v_mov_b32_e32 v18, v29
	global_store_dwordx2 v[20:21], v[18:19], off
	s_or_b64 exec, exec, s[36:37]
	s_and_saveexec_b64 s[36:37], s[4:5]
	s_cbranch_execz .LBB383_202
.LBB383_261:
	v_sub_u32_e32 v18, v26, v3
	v_mov_b32_e32 v19, 0
	v_lshl_add_u64 v[20:21], v[18:19], 3, v[16:17]
	v_mov_b32_e32 v18, v27
	global_store_dwordx2 v[20:21], v[18:19], off
	s_or_b64 exec, exec, s[36:37]
	s_and_saveexec_b64 s[36:37], s[2:3]
	s_cbranch_execnz .LBB383_203
	s_branch .LBB383_204
.LBB383_262:
	v_sub_u32_e32 v7, v50, v3
	v_lshlrev_b32_e32 v7, 2, v7
	ds_write_b32 v7, v51
	s_or_b64 exec, exec, s[36:37]
	s_and_saveexec_b64 s[28:29], s[26:27]
	s_cbranch_execz .LBB383_208
.LBB383_263:
	v_sub_u32_e32 v7, v48, v3
	v_lshlrev_b32_e32 v7, 2, v7
	ds_write_b32 v7, v49
	s_or_b64 exec, exec, s[28:29]
	s_and_saveexec_b64 s[26:27], s[24:25]
	s_cbranch_execz .LBB383_209
.LBB383_264:
	v_sub_u32_e32 v7, v46, v3
	v_lshlrev_b32_e32 v7, 2, v7
	ds_write_b32 v7, v47
	s_or_b64 exec, exec, s[26:27]
	s_and_saveexec_b64 s[24:25], s[22:23]
	s_cbranch_execz .LBB383_210
.LBB383_265:
	v_sub_u32_e32 v7, v44, v3
	v_lshlrev_b32_e32 v7, 2, v7
	ds_write_b32 v7, v45
	s_or_b64 exec, exec, s[24:25]
	s_and_saveexec_b64 s[22:23], s[20:21]
	s_cbranch_execz .LBB383_211
.LBB383_266:
	v_sub_u32_e32 v7, v42, v3
	v_lshlrev_b32_e32 v7, 2, v7
	ds_write_b32 v7, v43
	s_or_b64 exec, exec, s[22:23]
	s_and_saveexec_b64 s[20:21], s[18:19]
	s_cbranch_execz .LBB383_212
.LBB383_267:
	v_sub_u32_e32 v7, v40, v3
	v_lshlrev_b32_e32 v7, 2, v7
	ds_write_b32 v7, v41
	s_or_b64 exec, exec, s[20:21]
	s_and_saveexec_b64 s[18:19], s[16:17]
	s_cbranch_execz .LBB383_213
.LBB383_268:
	v_sub_u32_e32 v7, v38, v3
	v_lshlrev_b32_e32 v7, 2, v7
	ds_write_b32 v7, v39
	s_or_b64 exec, exec, s[18:19]
	s_and_saveexec_b64 s[16:17], s[14:15]
	s_cbranch_execz .LBB383_214
.LBB383_269:
	v_sub_u32_e32 v7, v36, v3
	v_lshlrev_b32_e32 v7, 2, v7
	ds_write_b32 v7, v37
	s_or_b64 exec, exec, s[16:17]
	s_and_saveexec_b64 s[14:15], s[12:13]
	s_cbranch_execz .LBB383_215
.LBB383_270:
	v_sub_u32_e32 v7, v34, v3
	v_lshlrev_b32_e32 v7, 2, v7
	ds_write_b32 v7, v35
	s_or_b64 exec, exec, s[14:15]
	s_and_saveexec_b64 s[12:13], s[10:11]
	s_cbranch_execz .LBB383_216
.LBB383_271:
	v_sub_u32_e32 v7, v32, v3
	v_lshlrev_b32_e32 v7, 2, v7
	ds_write_b32 v7, v33
	s_or_b64 exec, exec, s[12:13]
	s_and_saveexec_b64 s[10:11], s[8:9]
	s_cbranch_execz .LBB383_217
.LBB383_272:
	v_sub_u32_e32 v7, v30, v3
	v_lshlrev_b32_e32 v7, 2, v7
	ds_write_b32 v7, v31
	s_or_b64 exec, exec, s[10:11]
	s_and_saveexec_b64 s[8:9], s[6:7]
	s_cbranch_execz .LBB383_218
.LBB383_273:
	v_sub_u32_e32 v7, v28, v3
	v_lshlrev_b32_e32 v7, 2, v7
	ds_write_b32 v7, v29
	s_or_b64 exec, exec, s[8:9]
	s_and_saveexec_b64 s[6:7], s[4:5]
	s_cbranch_execz .LBB383_219
.LBB383_274:
	v_sub_u32_e32 v7, v26, v3
	v_lshlrev_b32_e32 v7, 2, v7
	ds_write_b32 v7, v27
	s_or_b64 exec, exec, s[6:7]
	s_and_saveexec_b64 s[4:5], s[2:3]
	s_cbranch_execnz .LBB383_220
	s_branch .LBB383_221
	.section	.rodata,"a",@progbits
	.p2align	6, 0x0
	.amdhsa_kernel _ZN7rocprim17ROCPRIM_400000_NS6detail17trampoline_kernelINS0_14default_configENS1_33run_length_encode_config_selectorIfjNS0_4plusIjEEEEZZNS1_33reduce_by_key_impl_wrapped_configILNS1_25lookback_scan_determinismE0ES3_S7_PKfNS0_17constant_iteratorIjlEEPfPlSF_S6_NS0_8equal_toIfEEEE10hipError_tPvRmT2_T3_mT4_T5_T6_T7_T8_P12ihipStream_tbENKUlT_T0_E_clISt17integral_constantIbLb1EESZ_EEDaSU_SV_EUlSU_E_NS1_11comp_targetILNS1_3genE5ELNS1_11target_archE942ELNS1_3gpuE9ELNS1_3repE0EEENS1_30default_config_static_selectorELNS0_4arch9wavefront6targetE1EEEvT1_
		.amdhsa_group_segment_fixed_size 30720
		.amdhsa_private_segment_fixed_size 0
		.amdhsa_kernarg_size 128
		.amdhsa_user_sgpr_count 2
		.amdhsa_user_sgpr_dispatch_ptr 0
		.amdhsa_user_sgpr_queue_ptr 0
		.amdhsa_user_sgpr_kernarg_segment_ptr 1
		.amdhsa_user_sgpr_dispatch_id 0
		.amdhsa_user_sgpr_kernarg_preload_length 0
		.amdhsa_user_sgpr_kernarg_preload_offset 0
		.amdhsa_user_sgpr_private_segment_size 0
		.amdhsa_uses_dynamic_stack 0
		.amdhsa_enable_private_segment 0
		.amdhsa_system_sgpr_workgroup_id_x 1
		.amdhsa_system_sgpr_workgroup_id_y 0
		.amdhsa_system_sgpr_workgroup_id_z 0
		.amdhsa_system_sgpr_workgroup_info 0
		.amdhsa_system_vgpr_workitem_id 0
		.amdhsa_next_free_vgpr 104
		.amdhsa_next_free_sgpr 66
		.amdhsa_accum_offset 104
		.amdhsa_reserve_vcc 1
		.amdhsa_float_round_mode_32 0
		.amdhsa_float_round_mode_16_64 0
		.amdhsa_float_denorm_mode_32 3
		.amdhsa_float_denorm_mode_16_64 3
		.amdhsa_dx10_clamp 1
		.amdhsa_ieee_mode 1
		.amdhsa_fp16_overflow 0
		.amdhsa_tg_split 0
		.amdhsa_exception_fp_ieee_invalid_op 0
		.amdhsa_exception_fp_denorm_src 0
		.amdhsa_exception_fp_ieee_div_zero 0
		.amdhsa_exception_fp_ieee_overflow 0
		.amdhsa_exception_fp_ieee_underflow 0
		.amdhsa_exception_fp_ieee_inexact 0
		.amdhsa_exception_int_div_zero 0
	.end_amdhsa_kernel
	.section	.text._ZN7rocprim17ROCPRIM_400000_NS6detail17trampoline_kernelINS0_14default_configENS1_33run_length_encode_config_selectorIfjNS0_4plusIjEEEEZZNS1_33reduce_by_key_impl_wrapped_configILNS1_25lookback_scan_determinismE0ES3_S7_PKfNS0_17constant_iteratorIjlEEPfPlSF_S6_NS0_8equal_toIfEEEE10hipError_tPvRmT2_T3_mT4_T5_T6_T7_T8_P12ihipStream_tbENKUlT_T0_E_clISt17integral_constantIbLb1EESZ_EEDaSU_SV_EUlSU_E_NS1_11comp_targetILNS1_3genE5ELNS1_11target_archE942ELNS1_3gpuE9ELNS1_3repE0EEENS1_30default_config_static_selectorELNS0_4arch9wavefront6targetE1EEEvT1_,"axG",@progbits,_ZN7rocprim17ROCPRIM_400000_NS6detail17trampoline_kernelINS0_14default_configENS1_33run_length_encode_config_selectorIfjNS0_4plusIjEEEEZZNS1_33reduce_by_key_impl_wrapped_configILNS1_25lookback_scan_determinismE0ES3_S7_PKfNS0_17constant_iteratorIjlEEPfPlSF_S6_NS0_8equal_toIfEEEE10hipError_tPvRmT2_T3_mT4_T5_T6_T7_T8_P12ihipStream_tbENKUlT_T0_E_clISt17integral_constantIbLb1EESZ_EEDaSU_SV_EUlSU_E_NS1_11comp_targetILNS1_3genE5ELNS1_11target_archE942ELNS1_3gpuE9ELNS1_3repE0EEENS1_30default_config_static_selectorELNS0_4arch9wavefront6targetE1EEEvT1_,comdat
.Lfunc_end383:
	.size	_ZN7rocprim17ROCPRIM_400000_NS6detail17trampoline_kernelINS0_14default_configENS1_33run_length_encode_config_selectorIfjNS0_4plusIjEEEEZZNS1_33reduce_by_key_impl_wrapped_configILNS1_25lookback_scan_determinismE0ES3_S7_PKfNS0_17constant_iteratorIjlEEPfPlSF_S6_NS0_8equal_toIfEEEE10hipError_tPvRmT2_T3_mT4_T5_T6_T7_T8_P12ihipStream_tbENKUlT_T0_E_clISt17integral_constantIbLb1EESZ_EEDaSU_SV_EUlSU_E_NS1_11comp_targetILNS1_3genE5ELNS1_11target_archE942ELNS1_3gpuE9ELNS1_3repE0EEENS1_30default_config_static_selectorELNS0_4arch9wavefront6targetE1EEEvT1_, .Lfunc_end383-_ZN7rocprim17ROCPRIM_400000_NS6detail17trampoline_kernelINS0_14default_configENS1_33run_length_encode_config_selectorIfjNS0_4plusIjEEEEZZNS1_33reduce_by_key_impl_wrapped_configILNS1_25lookback_scan_determinismE0ES3_S7_PKfNS0_17constant_iteratorIjlEEPfPlSF_S6_NS0_8equal_toIfEEEE10hipError_tPvRmT2_T3_mT4_T5_T6_T7_T8_P12ihipStream_tbENKUlT_T0_E_clISt17integral_constantIbLb1EESZ_EEDaSU_SV_EUlSU_E_NS1_11comp_targetILNS1_3genE5ELNS1_11target_archE942ELNS1_3gpuE9ELNS1_3repE0EEENS1_30default_config_static_selectorELNS0_4arch9wavefront6targetE1EEEvT1_
                                        ; -- End function
	.section	.AMDGPU.csdata,"",@progbits
; Kernel info:
; codeLenInByte = 14968
; NumSgprs: 72
; NumVgprs: 104
; NumAgprs: 0
; TotalNumVgprs: 104
; ScratchSize: 0
; MemoryBound: 0
; FloatMode: 240
; IeeeMode: 1
; LDSByteSize: 30720 bytes/workgroup (compile time only)
; SGPRBlocks: 8
; VGPRBlocks: 12
; NumSGPRsForWavesPerEU: 72
; NumVGPRsForWavesPerEU: 104
; AccumOffset: 104
; Occupancy: 4
; WaveLimiterHint : 1
; COMPUTE_PGM_RSRC2:SCRATCH_EN: 0
; COMPUTE_PGM_RSRC2:USER_SGPR: 2
; COMPUTE_PGM_RSRC2:TRAP_HANDLER: 0
; COMPUTE_PGM_RSRC2:TGID_X_EN: 1
; COMPUTE_PGM_RSRC2:TGID_Y_EN: 0
; COMPUTE_PGM_RSRC2:TGID_Z_EN: 0
; COMPUTE_PGM_RSRC2:TIDIG_COMP_CNT: 0
; COMPUTE_PGM_RSRC3_GFX90A:ACCUM_OFFSET: 25
; COMPUTE_PGM_RSRC3_GFX90A:TG_SPLIT: 0
	.section	.text._ZN7rocprim17ROCPRIM_400000_NS6detail17trampoline_kernelINS0_14default_configENS1_33run_length_encode_config_selectorIfjNS0_4plusIjEEEEZZNS1_33reduce_by_key_impl_wrapped_configILNS1_25lookback_scan_determinismE0ES3_S7_PKfNS0_17constant_iteratorIjlEEPfPlSF_S6_NS0_8equal_toIfEEEE10hipError_tPvRmT2_T3_mT4_T5_T6_T7_T8_P12ihipStream_tbENKUlT_T0_E_clISt17integral_constantIbLb1EESZ_EEDaSU_SV_EUlSU_E_NS1_11comp_targetILNS1_3genE4ELNS1_11target_archE910ELNS1_3gpuE8ELNS1_3repE0EEENS1_30default_config_static_selectorELNS0_4arch9wavefront6targetE1EEEvT1_,"axG",@progbits,_ZN7rocprim17ROCPRIM_400000_NS6detail17trampoline_kernelINS0_14default_configENS1_33run_length_encode_config_selectorIfjNS0_4plusIjEEEEZZNS1_33reduce_by_key_impl_wrapped_configILNS1_25lookback_scan_determinismE0ES3_S7_PKfNS0_17constant_iteratorIjlEEPfPlSF_S6_NS0_8equal_toIfEEEE10hipError_tPvRmT2_T3_mT4_T5_T6_T7_T8_P12ihipStream_tbENKUlT_T0_E_clISt17integral_constantIbLb1EESZ_EEDaSU_SV_EUlSU_E_NS1_11comp_targetILNS1_3genE4ELNS1_11target_archE910ELNS1_3gpuE8ELNS1_3repE0EEENS1_30default_config_static_selectorELNS0_4arch9wavefront6targetE1EEEvT1_,comdat
	.protected	_ZN7rocprim17ROCPRIM_400000_NS6detail17trampoline_kernelINS0_14default_configENS1_33run_length_encode_config_selectorIfjNS0_4plusIjEEEEZZNS1_33reduce_by_key_impl_wrapped_configILNS1_25lookback_scan_determinismE0ES3_S7_PKfNS0_17constant_iteratorIjlEEPfPlSF_S6_NS0_8equal_toIfEEEE10hipError_tPvRmT2_T3_mT4_T5_T6_T7_T8_P12ihipStream_tbENKUlT_T0_E_clISt17integral_constantIbLb1EESZ_EEDaSU_SV_EUlSU_E_NS1_11comp_targetILNS1_3genE4ELNS1_11target_archE910ELNS1_3gpuE8ELNS1_3repE0EEENS1_30default_config_static_selectorELNS0_4arch9wavefront6targetE1EEEvT1_ ; -- Begin function _ZN7rocprim17ROCPRIM_400000_NS6detail17trampoline_kernelINS0_14default_configENS1_33run_length_encode_config_selectorIfjNS0_4plusIjEEEEZZNS1_33reduce_by_key_impl_wrapped_configILNS1_25lookback_scan_determinismE0ES3_S7_PKfNS0_17constant_iteratorIjlEEPfPlSF_S6_NS0_8equal_toIfEEEE10hipError_tPvRmT2_T3_mT4_T5_T6_T7_T8_P12ihipStream_tbENKUlT_T0_E_clISt17integral_constantIbLb1EESZ_EEDaSU_SV_EUlSU_E_NS1_11comp_targetILNS1_3genE4ELNS1_11target_archE910ELNS1_3gpuE8ELNS1_3repE0EEENS1_30default_config_static_selectorELNS0_4arch9wavefront6targetE1EEEvT1_
	.globl	_ZN7rocprim17ROCPRIM_400000_NS6detail17trampoline_kernelINS0_14default_configENS1_33run_length_encode_config_selectorIfjNS0_4plusIjEEEEZZNS1_33reduce_by_key_impl_wrapped_configILNS1_25lookback_scan_determinismE0ES3_S7_PKfNS0_17constant_iteratorIjlEEPfPlSF_S6_NS0_8equal_toIfEEEE10hipError_tPvRmT2_T3_mT4_T5_T6_T7_T8_P12ihipStream_tbENKUlT_T0_E_clISt17integral_constantIbLb1EESZ_EEDaSU_SV_EUlSU_E_NS1_11comp_targetILNS1_3genE4ELNS1_11target_archE910ELNS1_3gpuE8ELNS1_3repE0EEENS1_30default_config_static_selectorELNS0_4arch9wavefront6targetE1EEEvT1_
	.p2align	8
	.type	_ZN7rocprim17ROCPRIM_400000_NS6detail17trampoline_kernelINS0_14default_configENS1_33run_length_encode_config_selectorIfjNS0_4plusIjEEEEZZNS1_33reduce_by_key_impl_wrapped_configILNS1_25lookback_scan_determinismE0ES3_S7_PKfNS0_17constant_iteratorIjlEEPfPlSF_S6_NS0_8equal_toIfEEEE10hipError_tPvRmT2_T3_mT4_T5_T6_T7_T8_P12ihipStream_tbENKUlT_T0_E_clISt17integral_constantIbLb1EESZ_EEDaSU_SV_EUlSU_E_NS1_11comp_targetILNS1_3genE4ELNS1_11target_archE910ELNS1_3gpuE8ELNS1_3repE0EEENS1_30default_config_static_selectorELNS0_4arch9wavefront6targetE1EEEvT1_,@function
_ZN7rocprim17ROCPRIM_400000_NS6detail17trampoline_kernelINS0_14default_configENS1_33run_length_encode_config_selectorIfjNS0_4plusIjEEEEZZNS1_33reduce_by_key_impl_wrapped_configILNS1_25lookback_scan_determinismE0ES3_S7_PKfNS0_17constant_iteratorIjlEEPfPlSF_S6_NS0_8equal_toIfEEEE10hipError_tPvRmT2_T3_mT4_T5_T6_T7_T8_P12ihipStream_tbENKUlT_T0_E_clISt17integral_constantIbLb1EESZ_EEDaSU_SV_EUlSU_E_NS1_11comp_targetILNS1_3genE4ELNS1_11target_archE910ELNS1_3gpuE8ELNS1_3repE0EEENS1_30default_config_static_selectorELNS0_4arch9wavefront6targetE1EEEvT1_: ; @_ZN7rocprim17ROCPRIM_400000_NS6detail17trampoline_kernelINS0_14default_configENS1_33run_length_encode_config_selectorIfjNS0_4plusIjEEEEZZNS1_33reduce_by_key_impl_wrapped_configILNS1_25lookback_scan_determinismE0ES3_S7_PKfNS0_17constant_iteratorIjlEEPfPlSF_S6_NS0_8equal_toIfEEEE10hipError_tPvRmT2_T3_mT4_T5_T6_T7_T8_P12ihipStream_tbENKUlT_T0_E_clISt17integral_constantIbLb1EESZ_EEDaSU_SV_EUlSU_E_NS1_11comp_targetILNS1_3genE4ELNS1_11target_archE910ELNS1_3gpuE8ELNS1_3repE0EEENS1_30default_config_static_selectorELNS0_4arch9wavefront6targetE1EEEvT1_
; %bb.0:
	.section	.rodata,"a",@progbits
	.p2align	6, 0x0
	.amdhsa_kernel _ZN7rocprim17ROCPRIM_400000_NS6detail17trampoline_kernelINS0_14default_configENS1_33run_length_encode_config_selectorIfjNS0_4plusIjEEEEZZNS1_33reduce_by_key_impl_wrapped_configILNS1_25lookback_scan_determinismE0ES3_S7_PKfNS0_17constant_iteratorIjlEEPfPlSF_S6_NS0_8equal_toIfEEEE10hipError_tPvRmT2_T3_mT4_T5_T6_T7_T8_P12ihipStream_tbENKUlT_T0_E_clISt17integral_constantIbLb1EESZ_EEDaSU_SV_EUlSU_E_NS1_11comp_targetILNS1_3genE4ELNS1_11target_archE910ELNS1_3gpuE8ELNS1_3repE0EEENS1_30default_config_static_selectorELNS0_4arch9wavefront6targetE1EEEvT1_
		.amdhsa_group_segment_fixed_size 0
		.amdhsa_private_segment_fixed_size 0
		.amdhsa_kernarg_size 128
		.amdhsa_user_sgpr_count 2
		.amdhsa_user_sgpr_dispatch_ptr 0
		.amdhsa_user_sgpr_queue_ptr 0
		.amdhsa_user_sgpr_kernarg_segment_ptr 1
		.amdhsa_user_sgpr_dispatch_id 0
		.amdhsa_user_sgpr_kernarg_preload_length 0
		.amdhsa_user_sgpr_kernarg_preload_offset 0
		.amdhsa_user_sgpr_private_segment_size 0
		.amdhsa_uses_dynamic_stack 0
		.amdhsa_enable_private_segment 0
		.amdhsa_system_sgpr_workgroup_id_x 1
		.amdhsa_system_sgpr_workgroup_id_y 0
		.amdhsa_system_sgpr_workgroup_id_z 0
		.amdhsa_system_sgpr_workgroup_info 0
		.amdhsa_system_vgpr_workitem_id 0
		.amdhsa_next_free_vgpr 1
		.amdhsa_next_free_sgpr 0
		.amdhsa_accum_offset 4
		.amdhsa_reserve_vcc 0
		.amdhsa_float_round_mode_32 0
		.amdhsa_float_round_mode_16_64 0
		.amdhsa_float_denorm_mode_32 3
		.amdhsa_float_denorm_mode_16_64 3
		.amdhsa_dx10_clamp 1
		.amdhsa_ieee_mode 1
		.amdhsa_fp16_overflow 0
		.amdhsa_tg_split 0
		.amdhsa_exception_fp_ieee_invalid_op 0
		.amdhsa_exception_fp_denorm_src 0
		.amdhsa_exception_fp_ieee_div_zero 0
		.amdhsa_exception_fp_ieee_overflow 0
		.amdhsa_exception_fp_ieee_underflow 0
		.amdhsa_exception_fp_ieee_inexact 0
		.amdhsa_exception_int_div_zero 0
	.end_amdhsa_kernel
	.section	.text._ZN7rocprim17ROCPRIM_400000_NS6detail17trampoline_kernelINS0_14default_configENS1_33run_length_encode_config_selectorIfjNS0_4plusIjEEEEZZNS1_33reduce_by_key_impl_wrapped_configILNS1_25lookback_scan_determinismE0ES3_S7_PKfNS0_17constant_iteratorIjlEEPfPlSF_S6_NS0_8equal_toIfEEEE10hipError_tPvRmT2_T3_mT4_T5_T6_T7_T8_P12ihipStream_tbENKUlT_T0_E_clISt17integral_constantIbLb1EESZ_EEDaSU_SV_EUlSU_E_NS1_11comp_targetILNS1_3genE4ELNS1_11target_archE910ELNS1_3gpuE8ELNS1_3repE0EEENS1_30default_config_static_selectorELNS0_4arch9wavefront6targetE1EEEvT1_,"axG",@progbits,_ZN7rocprim17ROCPRIM_400000_NS6detail17trampoline_kernelINS0_14default_configENS1_33run_length_encode_config_selectorIfjNS0_4plusIjEEEEZZNS1_33reduce_by_key_impl_wrapped_configILNS1_25lookback_scan_determinismE0ES3_S7_PKfNS0_17constant_iteratorIjlEEPfPlSF_S6_NS0_8equal_toIfEEEE10hipError_tPvRmT2_T3_mT4_T5_T6_T7_T8_P12ihipStream_tbENKUlT_T0_E_clISt17integral_constantIbLb1EESZ_EEDaSU_SV_EUlSU_E_NS1_11comp_targetILNS1_3genE4ELNS1_11target_archE910ELNS1_3gpuE8ELNS1_3repE0EEENS1_30default_config_static_selectorELNS0_4arch9wavefront6targetE1EEEvT1_,comdat
.Lfunc_end384:
	.size	_ZN7rocprim17ROCPRIM_400000_NS6detail17trampoline_kernelINS0_14default_configENS1_33run_length_encode_config_selectorIfjNS0_4plusIjEEEEZZNS1_33reduce_by_key_impl_wrapped_configILNS1_25lookback_scan_determinismE0ES3_S7_PKfNS0_17constant_iteratorIjlEEPfPlSF_S6_NS0_8equal_toIfEEEE10hipError_tPvRmT2_T3_mT4_T5_T6_T7_T8_P12ihipStream_tbENKUlT_T0_E_clISt17integral_constantIbLb1EESZ_EEDaSU_SV_EUlSU_E_NS1_11comp_targetILNS1_3genE4ELNS1_11target_archE910ELNS1_3gpuE8ELNS1_3repE0EEENS1_30default_config_static_selectorELNS0_4arch9wavefront6targetE1EEEvT1_, .Lfunc_end384-_ZN7rocprim17ROCPRIM_400000_NS6detail17trampoline_kernelINS0_14default_configENS1_33run_length_encode_config_selectorIfjNS0_4plusIjEEEEZZNS1_33reduce_by_key_impl_wrapped_configILNS1_25lookback_scan_determinismE0ES3_S7_PKfNS0_17constant_iteratorIjlEEPfPlSF_S6_NS0_8equal_toIfEEEE10hipError_tPvRmT2_T3_mT4_T5_T6_T7_T8_P12ihipStream_tbENKUlT_T0_E_clISt17integral_constantIbLb1EESZ_EEDaSU_SV_EUlSU_E_NS1_11comp_targetILNS1_3genE4ELNS1_11target_archE910ELNS1_3gpuE8ELNS1_3repE0EEENS1_30default_config_static_selectorELNS0_4arch9wavefront6targetE1EEEvT1_
                                        ; -- End function
	.section	.AMDGPU.csdata,"",@progbits
; Kernel info:
; codeLenInByte = 0
; NumSgprs: 6
; NumVgprs: 0
; NumAgprs: 0
; TotalNumVgprs: 0
; ScratchSize: 0
; MemoryBound: 0
; FloatMode: 240
; IeeeMode: 1
; LDSByteSize: 0 bytes/workgroup (compile time only)
; SGPRBlocks: 0
; VGPRBlocks: 0
; NumSGPRsForWavesPerEU: 6
; NumVGPRsForWavesPerEU: 1
; AccumOffset: 4
; Occupancy: 8
; WaveLimiterHint : 0
; COMPUTE_PGM_RSRC2:SCRATCH_EN: 0
; COMPUTE_PGM_RSRC2:USER_SGPR: 2
; COMPUTE_PGM_RSRC2:TRAP_HANDLER: 0
; COMPUTE_PGM_RSRC2:TGID_X_EN: 1
; COMPUTE_PGM_RSRC2:TGID_Y_EN: 0
; COMPUTE_PGM_RSRC2:TGID_Z_EN: 0
; COMPUTE_PGM_RSRC2:TIDIG_COMP_CNT: 0
; COMPUTE_PGM_RSRC3_GFX90A:ACCUM_OFFSET: 0
; COMPUTE_PGM_RSRC3_GFX90A:TG_SPLIT: 0
	.section	.text._ZN7rocprim17ROCPRIM_400000_NS6detail17trampoline_kernelINS0_14default_configENS1_33run_length_encode_config_selectorIfjNS0_4plusIjEEEEZZNS1_33reduce_by_key_impl_wrapped_configILNS1_25lookback_scan_determinismE0ES3_S7_PKfNS0_17constant_iteratorIjlEEPfPlSF_S6_NS0_8equal_toIfEEEE10hipError_tPvRmT2_T3_mT4_T5_T6_T7_T8_P12ihipStream_tbENKUlT_T0_E_clISt17integral_constantIbLb1EESZ_EEDaSU_SV_EUlSU_E_NS1_11comp_targetILNS1_3genE3ELNS1_11target_archE908ELNS1_3gpuE7ELNS1_3repE0EEENS1_30default_config_static_selectorELNS0_4arch9wavefront6targetE1EEEvT1_,"axG",@progbits,_ZN7rocprim17ROCPRIM_400000_NS6detail17trampoline_kernelINS0_14default_configENS1_33run_length_encode_config_selectorIfjNS0_4plusIjEEEEZZNS1_33reduce_by_key_impl_wrapped_configILNS1_25lookback_scan_determinismE0ES3_S7_PKfNS0_17constant_iteratorIjlEEPfPlSF_S6_NS0_8equal_toIfEEEE10hipError_tPvRmT2_T3_mT4_T5_T6_T7_T8_P12ihipStream_tbENKUlT_T0_E_clISt17integral_constantIbLb1EESZ_EEDaSU_SV_EUlSU_E_NS1_11comp_targetILNS1_3genE3ELNS1_11target_archE908ELNS1_3gpuE7ELNS1_3repE0EEENS1_30default_config_static_selectorELNS0_4arch9wavefront6targetE1EEEvT1_,comdat
	.protected	_ZN7rocprim17ROCPRIM_400000_NS6detail17trampoline_kernelINS0_14default_configENS1_33run_length_encode_config_selectorIfjNS0_4plusIjEEEEZZNS1_33reduce_by_key_impl_wrapped_configILNS1_25lookback_scan_determinismE0ES3_S7_PKfNS0_17constant_iteratorIjlEEPfPlSF_S6_NS0_8equal_toIfEEEE10hipError_tPvRmT2_T3_mT4_T5_T6_T7_T8_P12ihipStream_tbENKUlT_T0_E_clISt17integral_constantIbLb1EESZ_EEDaSU_SV_EUlSU_E_NS1_11comp_targetILNS1_3genE3ELNS1_11target_archE908ELNS1_3gpuE7ELNS1_3repE0EEENS1_30default_config_static_selectorELNS0_4arch9wavefront6targetE1EEEvT1_ ; -- Begin function _ZN7rocprim17ROCPRIM_400000_NS6detail17trampoline_kernelINS0_14default_configENS1_33run_length_encode_config_selectorIfjNS0_4plusIjEEEEZZNS1_33reduce_by_key_impl_wrapped_configILNS1_25lookback_scan_determinismE0ES3_S7_PKfNS0_17constant_iteratorIjlEEPfPlSF_S6_NS0_8equal_toIfEEEE10hipError_tPvRmT2_T3_mT4_T5_T6_T7_T8_P12ihipStream_tbENKUlT_T0_E_clISt17integral_constantIbLb1EESZ_EEDaSU_SV_EUlSU_E_NS1_11comp_targetILNS1_3genE3ELNS1_11target_archE908ELNS1_3gpuE7ELNS1_3repE0EEENS1_30default_config_static_selectorELNS0_4arch9wavefront6targetE1EEEvT1_
	.globl	_ZN7rocprim17ROCPRIM_400000_NS6detail17trampoline_kernelINS0_14default_configENS1_33run_length_encode_config_selectorIfjNS0_4plusIjEEEEZZNS1_33reduce_by_key_impl_wrapped_configILNS1_25lookback_scan_determinismE0ES3_S7_PKfNS0_17constant_iteratorIjlEEPfPlSF_S6_NS0_8equal_toIfEEEE10hipError_tPvRmT2_T3_mT4_T5_T6_T7_T8_P12ihipStream_tbENKUlT_T0_E_clISt17integral_constantIbLb1EESZ_EEDaSU_SV_EUlSU_E_NS1_11comp_targetILNS1_3genE3ELNS1_11target_archE908ELNS1_3gpuE7ELNS1_3repE0EEENS1_30default_config_static_selectorELNS0_4arch9wavefront6targetE1EEEvT1_
	.p2align	8
	.type	_ZN7rocprim17ROCPRIM_400000_NS6detail17trampoline_kernelINS0_14default_configENS1_33run_length_encode_config_selectorIfjNS0_4plusIjEEEEZZNS1_33reduce_by_key_impl_wrapped_configILNS1_25lookback_scan_determinismE0ES3_S7_PKfNS0_17constant_iteratorIjlEEPfPlSF_S6_NS0_8equal_toIfEEEE10hipError_tPvRmT2_T3_mT4_T5_T6_T7_T8_P12ihipStream_tbENKUlT_T0_E_clISt17integral_constantIbLb1EESZ_EEDaSU_SV_EUlSU_E_NS1_11comp_targetILNS1_3genE3ELNS1_11target_archE908ELNS1_3gpuE7ELNS1_3repE0EEENS1_30default_config_static_selectorELNS0_4arch9wavefront6targetE1EEEvT1_,@function
_ZN7rocprim17ROCPRIM_400000_NS6detail17trampoline_kernelINS0_14default_configENS1_33run_length_encode_config_selectorIfjNS0_4plusIjEEEEZZNS1_33reduce_by_key_impl_wrapped_configILNS1_25lookback_scan_determinismE0ES3_S7_PKfNS0_17constant_iteratorIjlEEPfPlSF_S6_NS0_8equal_toIfEEEE10hipError_tPvRmT2_T3_mT4_T5_T6_T7_T8_P12ihipStream_tbENKUlT_T0_E_clISt17integral_constantIbLb1EESZ_EEDaSU_SV_EUlSU_E_NS1_11comp_targetILNS1_3genE3ELNS1_11target_archE908ELNS1_3gpuE7ELNS1_3repE0EEENS1_30default_config_static_selectorELNS0_4arch9wavefront6targetE1EEEvT1_: ; @_ZN7rocprim17ROCPRIM_400000_NS6detail17trampoline_kernelINS0_14default_configENS1_33run_length_encode_config_selectorIfjNS0_4plusIjEEEEZZNS1_33reduce_by_key_impl_wrapped_configILNS1_25lookback_scan_determinismE0ES3_S7_PKfNS0_17constant_iteratorIjlEEPfPlSF_S6_NS0_8equal_toIfEEEE10hipError_tPvRmT2_T3_mT4_T5_T6_T7_T8_P12ihipStream_tbENKUlT_T0_E_clISt17integral_constantIbLb1EESZ_EEDaSU_SV_EUlSU_E_NS1_11comp_targetILNS1_3genE3ELNS1_11target_archE908ELNS1_3gpuE7ELNS1_3repE0EEENS1_30default_config_static_selectorELNS0_4arch9wavefront6targetE1EEEvT1_
; %bb.0:
	.section	.rodata,"a",@progbits
	.p2align	6, 0x0
	.amdhsa_kernel _ZN7rocprim17ROCPRIM_400000_NS6detail17trampoline_kernelINS0_14default_configENS1_33run_length_encode_config_selectorIfjNS0_4plusIjEEEEZZNS1_33reduce_by_key_impl_wrapped_configILNS1_25lookback_scan_determinismE0ES3_S7_PKfNS0_17constant_iteratorIjlEEPfPlSF_S6_NS0_8equal_toIfEEEE10hipError_tPvRmT2_T3_mT4_T5_T6_T7_T8_P12ihipStream_tbENKUlT_T0_E_clISt17integral_constantIbLb1EESZ_EEDaSU_SV_EUlSU_E_NS1_11comp_targetILNS1_3genE3ELNS1_11target_archE908ELNS1_3gpuE7ELNS1_3repE0EEENS1_30default_config_static_selectorELNS0_4arch9wavefront6targetE1EEEvT1_
		.amdhsa_group_segment_fixed_size 0
		.amdhsa_private_segment_fixed_size 0
		.amdhsa_kernarg_size 128
		.amdhsa_user_sgpr_count 2
		.amdhsa_user_sgpr_dispatch_ptr 0
		.amdhsa_user_sgpr_queue_ptr 0
		.amdhsa_user_sgpr_kernarg_segment_ptr 1
		.amdhsa_user_sgpr_dispatch_id 0
		.amdhsa_user_sgpr_kernarg_preload_length 0
		.amdhsa_user_sgpr_kernarg_preload_offset 0
		.amdhsa_user_sgpr_private_segment_size 0
		.amdhsa_uses_dynamic_stack 0
		.amdhsa_enable_private_segment 0
		.amdhsa_system_sgpr_workgroup_id_x 1
		.amdhsa_system_sgpr_workgroup_id_y 0
		.amdhsa_system_sgpr_workgroup_id_z 0
		.amdhsa_system_sgpr_workgroup_info 0
		.amdhsa_system_vgpr_workitem_id 0
		.amdhsa_next_free_vgpr 1
		.amdhsa_next_free_sgpr 0
		.amdhsa_accum_offset 4
		.amdhsa_reserve_vcc 0
		.amdhsa_float_round_mode_32 0
		.amdhsa_float_round_mode_16_64 0
		.amdhsa_float_denorm_mode_32 3
		.amdhsa_float_denorm_mode_16_64 3
		.amdhsa_dx10_clamp 1
		.amdhsa_ieee_mode 1
		.amdhsa_fp16_overflow 0
		.amdhsa_tg_split 0
		.amdhsa_exception_fp_ieee_invalid_op 0
		.amdhsa_exception_fp_denorm_src 0
		.amdhsa_exception_fp_ieee_div_zero 0
		.amdhsa_exception_fp_ieee_overflow 0
		.amdhsa_exception_fp_ieee_underflow 0
		.amdhsa_exception_fp_ieee_inexact 0
		.amdhsa_exception_int_div_zero 0
	.end_amdhsa_kernel
	.section	.text._ZN7rocprim17ROCPRIM_400000_NS6detail17trampoline_kernelINS0_14default_configENS1_33run_length_encode_config_selectorIfjNS0_4plusIjEEEEZZNS1_33reduce_by_key_impl_wrapped_configILNS1_25lookback_scan_determinismE0ES3_S7_PKfNS0_17constant_iteratorIjlEEPfPlSF_S6_NS0_8equal_toIfEEEE10hipError_tPvRmT2_T3_mT4_T5_T6_T7_T8_P12ihipStream_tbENKUlT_T0_E_clISt17integral_constantIbLb1EESZ_EEDaSU_SV_EUlSU_E_NS1_11comp_targetILNS1_3genE3ELNS1_11target_archE908ELNS1_3gpuE7ELNS1_3repE0EEENS1_30default_config_static_selectorELNS0_4arch9wavefront6targetE1EEEvT1_,"axG",@progbits,_ZN7rocprim17ROCPRIM_400000_NS6detail17trampoline_kernelINS0_14default_configENS1_33run_length_encode_config_selectorIfjNS0_4plusIjEEEEZZNS1_33reduce_by_key_impl_wrapped_configILNS1_25lookback_scan_determinismE0ES3_S7_PKfNS0_17constant_iteratorIjlEEPfPlSF_S6_NS0_8equal_toIfEEEE10hipError_tPvRmT2_T3_mT4_T5_T6_T7_T8_P12ihipStream_tbENKUlT_T0_E_clISt17integral_constantIbLb1EESZ_EEDaSU_SV_EUlSU_E_NS1_11comp_targetILNS1_3genE3ELNS1_11target_archE908ELNS1_3gpuE7ELNS1_3repE0EEENS1_30default_config_static_selectorELNS0_4arch9wavefront6targetE1EEEvT1_,comdat
.Lfunc_end385:
	.size	_ZN7rocprim17ROCPRIM_400000_NS6detail17trampoline_kernelINS0_14default_configENS1_33run_length_encode_config_selectorIfjNS0_4plusIjEEEEZZNS1_33reduce_by_key_impl_wrapped_configILNS1_25lookback_scan_determinismE0ES3_S7_PKfNS0_17constant_iteratorIjlEEPfPlSF_S6_NS0_8equal_toIfEEEE10hipError_tPvRmT2_T3_mT4_T5_T6_T7_T8_P12ihipStream_tbENKUlT_T0_E_clISt17integral_constantIbLb1EESZ_EEDaSU_SV_EUlSU_E_NS1_11comp_targetILNS1_3genE3ELNS1_11target_archE908ELNS1_3gpuE7ELNS1_3repE0EEENS1_30default_config_static_selectorELNS0_4arch9wavefront6targetE1EEEvT1_, .Lfunc_end385-_ZN7rocprim17ROCPRIM_400000_NS6detail17trampoline_kernelINS0_14default_configENS1_33run_length_encode_config_selectorIfjNS0_4plusIjEEEEZZNS1_33reduce_by_key_impl_wrapped_configILNS1_25lookback_scan_determinismE0ES3_S7_PKfNS0_17constant_iteratorIjlEEPfPlSF_S6_NS0_8equal_toIfEEEE10hipError_tPvRmT2_T3_mT4_T5_T6_T7_T8_P12ihipStream_tbENKUlT_T0_E_clISt17integral_constantIbLb1EESZ_EEDaSU_SV_EUlSU_E_NS1_11comp_targetILNS1_3genE3ELNS1_11target_archE908ELNS1_3gpuE7ELNS1_3repE0EEENS1_30default_config_static_selectorELNS0_4arch9wavefront6targetE1EEEvT1_
                                        ; -- End function
	.section	.AMDGPU.csdata,"",@progbits
; Kernel info:
; codeLenInByte = 0
; NumSgprs: 6
; NumVgprs: 0
; NumAgprs: 0
; TotalNumVgprs: 0
; ScratchSize: 0
; MemoryBound: 0
; FloatMode: 240
; IeeeMode: 1
; LDSByteSize: 0 bytes/workgroup (compile time only)
; SGPRBlocks: 0
; VGPRBlocks: 0
; NumSGPRsForWavesPerEU: 6
; NumVGPRsForWavesPerEU: 1
; AccumOffset: 4
; Occupancy: 8
; WaveLimiterHint : 0
; COMPUTE_PGM_RSRC2:SCRATCH_EN: 0
; COMPUTE_PGM_RSRC2:USER_SGPR: 2
; COMPUTE_PGM_RSRC2:TRAP_HANDLER: 0
; COMPUTE_PGM_RSRC2:TGID_X_EN: 1
; COMPUTE_PGM_RSRC2:TGID_Y_EN: 0
; COMPUTE_PGM_RSRC2:TGID_Z_EN: 0
; COMPUTE_PGM_RSRC2:TIDIG_COMP_CNT: 0
; COMPUTE_PGM_RSRC3_GFX90A:ACCUM_OFFSET: 0
; COMPUTE_PGM_RSRC3_GFX90A:TG_SPLIT: 0
	.section	.text._ZN7rocprim17ROCPRIM_400000_NS6detail17trampoline_kernelINS0_14default_configENS1_33run_length_encode_config_selectorIfjNS0_4plusIjEEEEZZNS1_33reduce_by_key_impl_wrapped_configILNS1_25lookback_scan_determinismE0ES3_S7_PKfNS0_17constant_iteratorIjlEEPfPlSF_S6_NS0_8equal_toIfEEEE10hipError_tPvRmT2_T3_mT4_T5_T6_T7_T8_P12ihipStream_tbENKUlT_T0_E_clISt17integral_constantIbLb1EESZ_EEDaSU_SV_EUlSU_E_NS1_11comp_targetILNS1_3genE2ELNS1_11target_archE906ELNS1_3gpuE6ELNS1_3repE0EEENS1_30default_config_static_selectorELNS0_4arch9wavefront6targetE1EEEvT1_,"axG",@progbits,_ZN7rocprim17ROCPRIM_400000_NS6detail17trampoline_kernelINS0_14default_configENS1_33run_length_encode_config_selectorIfjNS0_4plusIjEEEEZZNS1_33reduce_by_key_impl_wrapped_configILNS1_25lookback_scan_determinismE0ES3_S7_PKfNS0_17constant_iteratorIjlEEPfPlSF_S6_NS0_8equal_toIfEEEE10hipError_tPvRmT2_T3_mT4_T5_T6_T7_T8_P12ihipStream_tbENKUlT_T0_E_clISt17integral_constantIbLb1EESZ_EEDaSU_SV_EUlSU_E_NS1_11comp_targetILNS1_3genE2ELNS1_11target_archE906ELNS1_3gpuE6ELNS1_3repE0EEENS1_30default_config_static_selectorELNS0_4arch9wavefront6targetE1EEEvT1_,comdat
	.protected	_ZN7rocprim17ROCPRIM_400000_NS6detail17trampoline_kernelINS0_14default_configENS1_33run_length_encode_config_selectorIfjNS0_4plusIjEEEEZZNS1_33reduce_by_key_impl_wrapped_configILNS1_25lookback_scan_determinismE0ES3_S7_PKfNS0_17constant_iteratorIjlEEPfPlSF_S6_NS0_8equal_toIfEEEE10hipError_tPvRmT2_T3_mT4_T5_T6_T7_T8_P12ihipStream_tbENKUlT_T0_E_clISt17integral_constantIbLb1EESZ_EEDaSU_SV_EUlSU_E_NS1_11comp_targetILNS1_3genE2ELNS1_11target_archE906ELNS1_3gpuE6ELNS1_3repE0EEENS1_30default_config_static_selectorELNS0_4arch9wavefront6targetE1EEEvT1_ ; -- Begin function _ZN7rocprim17ROCPRIM_400000_NS6detail17trampoline_kernelINS0_14default_configENS1_33run_length_encode_config_selectorIfjNS0_4plusIjEEEEZZNS1_33reduce_by_key_impl_wrapped_configILNS1_25lookback_scan_determinismE0ES3_S7_PKfNS0_17constant_iteratorIjlEEPfPlSF_S6_NS0_8equal_toIfEEEE10hipError_tPvRmT2_T3_mT4_T5_T6_T7_T8_P12ihipStream_tbENKUlT_T0_E_clISt17integral_constantIbLb1EESZ_EEDaSU_SV_EUlSU_E_NS1_11comp_targetILNS1_3genE2ELNS1_11target_archE906ELNS1_3gpuE6ELNS1_3repE0EEENS1_30default_config_static_selectorELNS0_4arch9wavefront6targetE1EEEvT1_
	.globl	_ZN7rocprim17ROCPRIM_400000_NS6detail17trampoline_kernelINS0_14default_configENS1_33run_length_encode_config_selectorIfjNS0_4plusIjEEEEZZNS1_33reduce_by_key_impl_wrapped_configILNS1_25lookback_scan_determinismE0ES3_S7_PKfNS0_17constant_iteratorIjlEEPfPlSF_S6_NS0_8equal_toIfEEEE10hipError_tPvRmT2_T3_mT4_T5_T6_T7_T8_P12ihipStream_tbENKUlT_T0_E_clISt17integral_constantIbLb1EESZ_EEDaSU_SV_EUlSU_E_NS1_11comp_targetILNS1_3genE2ELNS1_11target_archE906ELNS1_3gpuE6ELNS1_3repE0EEENS1_30default_config_static_selectorELNS0_4arch9wavefront6targetE1EEEvT1_
	.p2align	8
	.type	_ZN7rocprim17ROCPRIM_400000_NS6detail17trampoline_kernelINS0_14default_configENS1_33run_length_encode_config_selectorIfjNS0_4plusIjEEEEZZNS1_33reduce_by_key_impl_wrapped_configILNS1_25lookback_scan_determinismE0ES3_S7_PKfNS0_17constant_iteratorIjlEEPfPlSF_S6_NS0_8equal_toIfEEEE10hipError_tPvRmT2_T3_mT4_T5_T6_T7_T8_P12ihipStream_tbENKUlT_T0_E_clISt17integral_constantIbLb1EESZ_EEDaSU_SV_EUlSU_E_NS1_11comp_targetILNS1_3genE2ELNS1_11target_archE906ELNS1_3gpuE6ELNS1_3repE0EEENS1_30default_config_static_selectorELNS0_4arch9wavefront6targetE1EEEvT1_,@function
_ZN7rocprim17ROCPRIM_400000_NS6detail17trampoline_kernelINS0_14default_configENS1_33run_length_encode_config_selectorIfjNS0_4plusIjEEEEZZNS1_33reduce_by_key_impl_wrapped_configILNS1_25lookback_scan_determinismE0ES3_S7_PKfNS0_17constant_iteratorIjlEEPfPlSF_S6_NS0_8equal_toIfEEEE10hipError_tPvRmT2_T3_mT4_T5_T6_T7_T8_P12ihipStream_tbENKUlT_T0_E_clISt17integral_constantIbLb1EESZ_EEDaSU_SV_EUlSU_E_NS1_11comp_targetILNS1_3genE2ELNS1_11target_archE906ELNS1_3gpuE6ELNS1_3repE0EEENS1_30default_config_static_selectorELNS0_4arch9wavefront6targetE1EEEvT1_: ; @_ZN7rocprim17ROCPRIM_400000_NS6detail17trampoline_kernelINS0_14default_configENS1_33run_length_encode_config_selectorIfjNS0_4plusIjEEEEZZNS1_33reduce_by_key_impl_wrapped_configILNS1_25lookback_scan_determinismE0ES3_S7_PKfNS0_17constant_iteratorIjlEEPfPlSF_S6_NS0_8equal_toIfEEEE10hipError_tPvRmT2_T3_mT4_T5_T6_T7_T8_P12ihipStream_tbENKUlT_T0_E_clISt17integral_constantIbLb1EESZ_EEDaSU_SV_EUlSU_E_NS1_11comp_targetILNS1_3genE2ELNS1_11target_archE906ELNS1_3gpuE6ELNS1_3repE0EEENS1_30default_config_static_selectorELNS0_4arch9wavefront6targetE1EEEvT1_
; %bb.0:
	.section	.rodata,"a",@progbits
	.p2align	6, 0x0
	.amdhsa_kernel _ZN7rocprim17ROCPRIM_400000_NS6detail17trampoline_kernelINS0_14default_configENS1_33run_length_encode_config_selectorIfjNS0_4plusIjEEEEZZNS1_33reduce_by_key_impl_wrapped_configILNS1_25lookback_scan_determinismE0ES3_S7_PKfNS0_17constant_iteratorIjlEEPfPlSF_S6_NS0_8equal_toIfEEEE10hipError_tPvRmT2_T3_mT4_T5_T6_T7_T8_P12ihipStream_tbENKUlT_T0_E_clISt17integral_constantIbLb1EESZ_EEDaSU_SV_EUlSU_E_NS1_11comp_targetILNS1_3genE2ELNS1_11target_archE906ELNS1_3gpuE6ELNS1_3repE0EEENS1_30default_config_static_selectorELNS0_4arch9wavefront6targetE1EEEvT1_
		.amdhsa_group_segment_fixed_size 0
		.amdhsa_private_segment_fixed_size 0
		.amdhsa_kernarg_size 128
		.amdhsa_user_sgpr_count 2
		.amdhsa_user_sgpr_dispatch_ptr 0
		.amdhsa_user_sgpr_queue_ptr 0
		.amdhsa_user_sgpr_kernarg_segment_ptr 1
		.amdhsa_user_sgpr_dispatch_id 0
		.amdhsa_user_sgpr_kernarg_preload_length 0
		.amdhsa_user_sgpr_kernarg_preload_offset 0
		.amdhsa_user_sgpr_private_segment_size 0
		.amdhsa_uses_dynamic_stack 0
		.amdhsa_enable_private_segment 0
		.amdhsa_system_sgpr_workgroup_id_x 1
		.amdhsa_system_sgpr_workgroup_id_y 0
		.amdhsa_system_sgpr_workgroup_id_z 0
		.amdhsa_system_sgpr_workgroup_info 0
		.amdhsa_system_vgpr_workitem_id 0
		.amdhsa_next_free_vgpr 1
		.amdhsa_next_free_sgpr 0
		.amdhsa_accum_offset 4
		.amdhsa_reserve_vcc 0
		.amdhsa_float_round_mode_32 0
		.amdhsa_float_round_mode_16_64 0
		.amdhsa_float_denorm_mode_32 3
		.amdhsa_float_denorm_mode_16_64 3
		.amdhsa_dx10_clamp 1
		.amdhsa_ieee_mode 1
		.amdhsa_fp16_overflow 0
		.amdhsa_tg_split 0
		.amdhsa_exception_fp_ieee_invalid_op 0
		.amdhsa_exception_fp_denorm_src 0
		.amdhsa_exception_fp_ieee_div_zero 0
		.amdhsa_exception_fp_ieee_overflow 0
		.amdhsa_exception_fp_ieee_underflow 0
		.amdhsa_exception_fp_ieee_inexact 0
		.amdhsa_exception_int_div_zero 0
	.end_amdhsa_kernel
	.section	.text._ZN7rocprim17ROCPRIM_400000_NS6detail17trampoline_kernelINS0_14default_configENS1_33run_length_encode_config_selectorIfjNS0_4plusIjEEEEZZNS1_33reduce_by_key_impl_wrapped_configILNS1_25lookback_scan_determinismE0ES3_S7_PKfNS0_17constant_iteratorIjlEEPfPlSF_S6_NS0_8equal_toIfEEEE10hipError_tPvRmT2_T3_mT4_T5_T6_T7_T8_P12ihipStream_tbENKUlT_T0_E_clISt17integral_constantIbLb1EESZ_EEDaSU_SV_EUlSU_E_NS1_11comp_targetILNS1_3genE2ELNS1_11target_archE906ELNS1_3gpuE6ELNS1_3repE0EEENS1_30default_config_static_selectorELNS0_4arch9wavefront6targetE1EEEvT1_,"axG",@progbits,_ZN7rocprim17ROCPRIM_400000_NS6detail17trampoline_kernelINS0_14default_configENS1_33run_length_encode_config_selectorIfjNS0_4plusIjEEEEZZNS1_33reduce_by_key_impl_wrapped_configILNS1_25lookback_scan_determinismE0ES3_S7_PKfNS0_17constant_iteratorIjlEEPfPlSF_S6_NS0_8equal_toIfEEEE10hipError_tPvRmT2_T3_mT4_T5_T6_T7_T8_P12ihipStream_tbENKUlT_T0_E_clISt17integral_constantIbLb1EESZ_EEDaSU_SV_EUlSU_E_NS1_11comp_targetILNS1_3genE2ELNS1_11target_archE906ELNS1_3gpuE6ELNS1_3repE0EEENS1_30default_config_static_selectorELNS0_4arch9wavefront6targetE1EEEvT1_,comdat
.Lfunc_end386:
	.size	_ZN7rocprim17ROCPRIM_400000_NS6detail17trampoline_kernelINS0_14default_configENS1_33run_length_encode_config_selectorIfjNS0_4plusIjEEEEZZNS1_33reduce_by_key_impl_wrapped_configILNS1_25lookback_scan_determinismE0ES3_S7_PKfNS0_17constant_iteratorIjlEEPfPlSF_S6_NS0_8equal_toIfEEEE10hipError_tPvRmT2_T3_mT4_T5_T6_T7_T8_P12ihipStream_tbENKUlT_T0_E_clISt17integral_constantIbLb1EESZ_EEDaSU_SV_EUlSU_E_NS1_11comp_targetILNS1_3genE2ELNS1_11target_archE906ELNS1_3gpuE6ELNS1_3repE0EEENS1_30default_config_static_selectorELNS0_4arch9wavefront6targetE1EEEvT1_, .Lfunc_end386-_ZN7rocprim17ROCPRIM_400000_NS6detail17trampoline_kernelINS0_14default_configENS1_33run_length_encode_config_selectorIfjNS0_4plusIjEEEEZZNS1_33reduce_by_key_impl_wrapped_configILNS1_25lookback_scan_determinismE0ES3_S7_PKfNS0_17constant_iteratorIjlEEPfPlSF_S6_NS0_8equal_toIfEEEE10hipError_tPvRmT2_T3_mT4_T5_T6_T7_T8_P12ihipStream_tbENKUlT_T0_E_clISt17integral_constantIbLb1EESZ_EEDaSU_SV_EUlSU_E_NS1_11comp_targetILNS1_3genE2ELNS1_11target_archE906ELNS1_3gpuE6ELNS1_3repE0EEENS1_30default_config_static_selectorELNS0_4arch9wavefront6targetE1EEEvT1_
                                        ; -- End function
	.section	.AMDGPU.csdata,"",@progbits
; Kernel info:
; codeLenInByte = 0
; NumSgprs: 6
; NumVgprs: 0
; NumAgprs: 0
; TotalNumVgprs: 0
; ScratchSize: 0
; MemoryBound: 0
; FloatMode: 240
; IeeeMode: 1
; LDSByteSize: 0 bytes/workgroup (compile time only)
; SGPRBlocks: 0
; VGPRBlocks: 0
; NumSGPRsForWavesPerEU: 6
; NumVGPRsForWavesPerEU: 1
; AccumOffset: 4
; Occupancy: 8
; WaveLimiterHint : 0
; COMPUTE_PGM_RSRC2:SCRATCH_EN: 0
; COMPUTE_PGM_RSRC2:USER_SGPR: 2
; COMPUTE_PGM_RSRC2:TRAP_HANDLER: 0
; COMPUTE_PGM_RSRC2:TGID_X_EN: 1
; COMPUTE_PGM_RSRC2:TGID_Y_EN: 0
; COMPUTE_PGM_RSRC2:TGID_Z_EN: 0
; COMPUTE_PGM_RSRC2:TIDIG_COMP_CNT: 0
; COMPUTE_PGM_RSRC3_GFX90A:ACCUM_OFFSET: 0
; COMPUTE_PGM_RSRC3_GFX90A:TG_SPLIT: 0
	.section	.text._ZN7rocprim17ROCPRIM_400000_NS6detail17trampoline_kernelINS0_14default_configENS1_33run_length_encode_config_selectorIfjNS0_4plusIjEEEEZZNS1_33reduce_by_key_impl_wrapped_configILNS1_25lookback_scan_determinismE0ES3_S7_PKfNS0_17constant_iteratorIjlEEPfPlSF_S6_NS0_8equal_toIfEEEE10hipError_tPvRmT2_T3_mT4_T5_T6_T7_T8_P12ihipStream_tbENKUlT_T0_E_clISt17integral_constantIbLb1EESZ_EEDaSU_SV_EUlSU_E_NS1_11comp_targetILNS1_3genE10ELNS1_11target_archE1201ELNS1_3gpuE5ELNS1_3repE0EEENS1_30default_config_static_selectorELNS0_4arch9wavefront6targetE1EEEvT1_,"axG",@progbits,_ZN7rocprim17ROCPRIM_400000_NS6detail17trampoline_kernelINS0_14default_configENS1_33run_length_encode_config_selectorIfjNS0_4plusIjEEEEZZNS1_33reduce_by_key_impl_wrapped_configILNS1_25lookback_scan_determinismE0ES3_S7_PKfNS0_17constant_iteratorIjlEEPfPlSF_S6_NS0_8equal_toIfEEEE10hipError_tPvRmT2_T3_mT4_T5_T6_T7_T8_P12ihipStream_tbENKUlT_T0_E_clISt17integral_constantIbLb1EESZ_EEDaSU_SV_EUlSU_E_NS1_11comp_targetILNS1_3genE10ELNS1_11target_archE1201ELNS1_3gpuE5ELNS1_3repE0EEENS1_30default_config_static_selectorELNS0_4arch9wavefront6targetE1EEEvT1_,comdat
	.protected	_ZN7rocprim17ROCPRIM_400000_NS6detail17trampoline_kernelINS0_14default_configENS1_33run_length_encode_config_selectorIfjNS0_4plusIjEEEEZZNS1_33reduce_by_key_impl_wrapped_configILNS1_25lookback_scan_determinismE0ES3_S7_PKfNS0_17constant_iteratorIjlEEPfPlSF_S6_NS0_8equal_toIfEEEE10hipError_tPvRmT2_T3_mT4_T5_T6_T7_T8_P12ihipStream_tbENKUlT_T0_E_clISt17integral_constantIbLb1EESZ_EEDaSU_SV_EUlSU_E_NS1_11comp_targetILNS1_3genE10ELNS1_11target_archE1201ELNS1_3gpuE5ELNS1_3repE0EEENS1_30default_config_static_selectorELNS0_4arch9wavefront6targetE1EEEvT1_ ; -- Begin function _ZN7rocprim17ROCPRIM_400000_NS6detail17trampoline_kernelINS0_14default_configENS1_33run_length_encode_config_selectorIfjNS0_4plusIjEEEEZZNS1_33reduce_by_key_impl_wrapped_configILNS1_25lookback_scan_determinismE0ES3_S7_PKfNS0_17constant_iteratorIjlEEPfPlSF_S6_NS0_8equal_toIfEEEE10hipError_tPvRmT2_T3_mT4_T5_T6_T7_T8_P12ihipStream_tbENKUlT_T0_E_clISt17integral_constantIbLb1EESZ_EEDaSU_SV_EUlSU_E_NS1_11comp_targetILNS1_3genE10ELNS1_11target_archE1201ELNS1_3gpuE5ELNS1_3repE0EEENS1_30default_config_static_selectorELNS0_4arch9wavefront6targetE1EEEvT1_
	.globl	_ZN7rocprim17ROCPRIM_400000_NS6detail17trampoline_kernelINS0_14default_configENS1_33run_length_encode_config_selectorIfjNS0_4plusIjEEEEZZNS1_33reduce_by_key_impl_wrapped_configILNS1_25lookback_scan_determinismE0ES3_S7_PKfNS0_17constant_iteratorIjlEEPfPlSF_S6_NS0_8equal_toIfEEEE10hipError_tPvRmT2_T3_mT4_T5_T6_T7_T8_P12ihipStream_tbENKUlT_T0_E_clISt17integral_constantIbLb1EESZ_EEDaSU_SV_EUlSU_E_NS1_11comp_targetILNS1_3genE10ELNS1_11target_archE1201ELNS1_3gpuE5ELNS1_3repE0EEENS1_30default_config_static_selectorELNS0_4arch9wavefront6targetE1EEEvT1_
	.p2align	8
	.type	_ZN7rocprim17ROCPRIM_400000_NS6detail17trampoline_kernelINS0_14default_configENS1_33run_length_encode_config_selectorIfjNS0_4plusIjEEEEZZNS1_33reduce_by_key_impl_wrapped_configILNS1_25lookback_scan_determinismE0ES3_S7_PKfNS0_17constant_iteratorIjlEEPfPlSF_S6_NS0_8equal_toIfEEEE10hipError_tPvRmT2_T3_mT4_T5_T6_T7_T8_P12ihipStream_tbENKUlT_T0_E_clISt17integral_constantIbLb1EESZ_EEDaSU_SV_EUlSU_E_NS1_11comp_targetILNS1_3genE10ELNS1_11target_archE1201ELNS1_3gpuE5ELNS1_3repE0EEENS1_30default_config_static_selectorELNS0_4arch9wavefront6targetE1EEEvT1_,@function
_ZN7rocprim17ROCPRIM_400000_NS6detail17trampoline_kernelINS0_14default_configENS1_33run_length_encode_config_selectorIfjNS0_4plusIjEEEEZZNS1_33reduce_by_key_impl_wrapped_configILNS1_25lookback_scan_determinismE0ES3_S7_PKfNS0_17constant_iteratorIjlEEPfPlSF_S6_NS0_8equal_toIfEEEE10hipError_tPvRmT2_T3_mT4_T5_T6_T7_T8_P12ihipStream_tbENKUlT_T0_E_clISt17integral_constantIbLb1EESZ_EEDaSU_SV_EUlSU_E_NS1_11comp_targetILNS1_3genE10ELNS1_11target_archE1201ELNS1_3gpuE5ELNS1_3repE0EEENS1_30default_config_static_selectorELNS0_4arch9wavefront6targetE1EEEvT1_: ; @_ZN7rocprim17ROCPRIM_400000_NS6detail17trampoline_kernelINS0_14default_configENS1_33run_length_encode_config_selectorIfjNS0_4plusIjEEEEZZNS1_33reduce_by_key_impl_wrapped_configILNS1_25lookback_scan_determinismE0ES3_S7_PKfNS0_17constant_iteratorIjlEEPfPlSF_S6_NS0_8equal_toIfEEEE10hipError_tPvRmT2_T3_mT4_T5_T6_T7_T8_P12ihipStream_tbENKUlT_T0_E_clISt17integral_constantIbLb1EESZ_EEDaSU_SV_EUlSU_E_NS1_11comp_targetILNS1_3genE10ELNS1_11target_archE1201ELNS1_3gpuE5ELNS1_3repE0EEENS1_30default_config_static_selectorELNS0_4arch9wavefront6targetE1EEEvT1_
; %bb.0:
	.section	.rodata,"a",@progbits
	.p2align	6, 0x0
	.amdhsa_kernel _ZN7rocprim17ROCPRIM_400000_NS6detail17trampoline_kernelINS0_14default_configENS1_33run_length_encode_config_selectorIfjNS0_4plusIjEEEEZZNS1_33reduce_by_key_impl_wrapped_configILNS1_25lookback_scan_determinismE0ES3_S7_PKfNS0_17constant_iteratorIjlEEPfPlSF_S6_NS0_8equal_toIfEEEE10hipError_tPvRmT2_T3_mT4_T5_T6_T7_T8_P12ihipStream_tbENKUlT_T0_E_clISt17integral_constantIbLb1EESZ_EEDaSU_SV_EUlSU_E_NS1_11comp_targetILNS1_3genE10ELNS1_11target_archE1201ELNS1_3gpuE5ELNS1_3repE0EEENS1_30default_config_static_selectorELNS0_4arch9wavefront6targetE1EEEvT1_
		.amdhsa_group_segment_fixed_size 0
		.amdhsa_private_segment_fixed_size 0
		.amdhsa_kernarg_size 128
		.amdhsa_user_sgpr_count 2
		.amdhsa_user_sgpr_dispatch_ptr 0
		.amdhsa_user_sgpr_queue_ptr 0
		.amdhsa_user_sgpr_kernarg_segment_ptr 1
		.amdhsa_user_sgpr_dispatch_id 0
		.amdhsa_user_sgpr_kernarg_preload_length 0
		.amdhsa_user_sgpr_kernarg_preload_offset 0
		.amdhsa_user_sgpr_private_segment_size 0
		.amdhsa_uses_dynamic_stack 0
		.amdhsa_enable_private_segment 0
		.amdhsa_system_sgpr_workgroup_id_x 1
		.amdhsa_system_sgpr_workgroup_id_y 0
		.amdhsa_system_sgpr_workgroup_id_z 0
		.amdhsa_system_sgpr_workgroup_info 0
		.amdhsa_system_vgpr_workitem_id 0
		.amdhsa_next_free_vgpr 1
		.amdhsa_next_free_sgpr 0
		.amdhsa_accum_offset 4
		.amdhsa_reserve_vcc 0
		.amdhsa_float_round_mode_32 0
		.amdhsa_float_round_mode_16_64 0
		.amdhsa_float_denorm_mode_32 3
		.amdhsa_float_denorm_mode_16_64 3
		.amdhsa_dx10_clamp 1
		.amdhsa_ieee_mode 1
		.amdhsa_fp16_overflow 0
		.amdhsa_tg_split 0
		.amdhsa_exception_fp_ieee_invalid_op 0
		.amdhsa_exception_fp_denorm_src 0
		.amdhsa_exception_fp_ieee_div_zero 0
		.amdhsa_exception_fp_ieee_overflow 0
		.amdhsa_exception_fp_ieee_underflow 0
		.amdhsa_exception_fp_ieee_inexact 0
		.amdhsa_exception_int_div_zero 0
	.end_amdhsa_kernel
	.section	.text._ZN7rocprim17ROCPRIM_400000_NS6detail17trampoline_kernelINS0_14default_configENS1_33run_length_encode_config_selectorIfjNS0_4plusIjEEEEZZNS1_33reduce_by_key_impl_wrapped_configILNS1_25lookback_scan_determinismE0ES3_S7_PKfNS0_17constant_iteratorIjlEEPfPlSF_S6_NS0_8equal_toIfEEEE10hipError_tPvRmT2_T3_mT4_T5_T6_T7_T8_P12ihipStream_tbENKUlT_T0_E_clISt17integral_constantIbLb1EESZ_EEDaSU_SV_EUlSU_E_NS1_11comp_targetILNS1_3genE10ELNS1_11target_archE1201ELNS1_3gpuE5ELNS1_3repE0EEENS1_30default_config_static_selectorELNS0_4arch9wavefront6targetE1EEEvT1_,"axG",@progbits,_ZN7rocprim17ROCPRIM_400000_NS6detail17trampoline_kernelINS0_14default_configENS1_33run_length_encode_config_selectorIfjNS0_4plusIjEEEEZZNS1_33reduce_by_key_impl_wrapped_configILNS1_25lookback_scan_determinismE0ES3_S7_PKfNS0_17constant_iteratorIjlEEPfPlSF_S6_NS0_8equal_toIfEEEE10hipError_tPvRmT2_T3_mT4_T5_T6_T7_T8_P12ihipStream_tbENKUlT_T0_E_clISt17integral_constantIbLb1EESZ_EEDaSU_SV_EUlSU_E_NS1_11comp_targetILNS1_3genE10ELNS1_11target_archE1201ELNS1_3gpuE5ELNS1_3repE0EEENS1_30default_config_static_selectorELNS0_4arch9wavefront6targetE1EEEvT1_,comdat
.Lfunc_end387:
	.size	_ZN7rocprim17ROCPRIM_400000_NS6detail17trampoline_kernelINS0_14default_configENS1_33run_length_encode_config_selectorIfjNS0_4plusIjEEEEZZNS1_33reduce_by_key_impl_wrapped_configILNS1_25lookback_scan_determinismE0ES3_S7_PKfNS0_17constant_iteratorIjlEEPfPlSF_S6_NS0_8equal_toIfEEEE10hipError_tPvRmT2_T3_mT4_T5_T6_T7_T8_P12ihipStream_tbENKUlT_T0_E_clISt17integral_constantIbLb1EESZ_EEDaSU_SV_EUlSU_E_NS1_11comp_targetILNS1_3genE10ELNS1_11target_archE1201ELNS1_3gpuE5ELNS1_3repE0EEENS1_30default_config_static_selectorELNS0_4arch9wavefront6targetE1EEEvT1_, .Lfunc_end387-_ZN7rocprim17ROCPRIM_400000_NS6detail17trampoline_kernelINS0_14default_configENS1_33run_length_encode_config_selectorIfjNS0_4plusIjEEEEZZNS1_33reduce_by_key_impl_wrapped_configILNS1_25lookback_scan_determinismE0ES3_S7_PKfNS0_17constant_iteratorIjlEEPfPlSF_S6_NS0_8equal_toIfEEEE10hipError_tPvRmT2_T3_mT4_T5_T6_T7_T8_P12ihipStream_tbENKUlT_T0_E_clISt17integral_constantIbLb1EESZ_EEDaSU_SV_EUlSU_E_NS1_11comp_targetILNS1_3genE10ELNS1_11target_archE1201ELNS1_3gpuE5ELNS1_3repE0EEENS1_30default_config_static_selectorELNS0_4arch9wavefront6targetE1EEEvT1_
                                        ; -- End function
	.section	.AMDGPU.csdata,"",@progbits
; Kernel info:
; codeLenInByte = 0
; NumSgprs: 6
; NumVgprs: 0
; NumAgprs: 0
; TotalNumVgprs: 0
; ScratchSize: 0
; MemoryBound: 0
; FloatMode: 240
; IeeeMode: 1
; LDSByteSize: 0 bytes/workgroup (compile time only)
; SGPRBlocks: 0
; VGPRBlocks: 0
; NumSGPRsForWavesPerEU: 6
; NumVGPRsForWavesPerEU: 1
; AccumOffset: 4
; Occupancy: 8
; WaveLimiterHint : 0
; COMPUTE_PGM_RSRC2:SCRATCH_EN: 0
; COMPUTE_PGM_RSRC2:USER_SGPR: 2
; COMPUTE_PGM_RSRC2:TRAP_HANDLER: 0
; COMPUTE_PGM_RSRC2:TGID_X_EN: 1
; COMPUTE_PGM_RSRC2:TGID_Y_EN: 0
; COMPUTE_PGM_RSRC2:TGID_Z_EN: 0
; COMPUTE_PGM_RSRC2:TIDIG_COMP_CNT: 0
; COMPUTE_PGM_RSRC3_GFX90A:ACCUM_OFFSET: 0
; COMPUTE_PGM_RSRC3_GFX90A:TG_SPLIT: 0
	.section	.text._ZN7rocprim17ROCPRIM_400000_NS6detail17trampoline_kernelINS0_14default_configENS1_33run_length_encode_config_selectorIfjNS0_4plusIjEEEEZZNS1_33reduce_by_key_impl_wrapped_configILNS1_25lookback_scan_determinismE0ES3_S7_PKfNS0_17constant_iteratorIjlEEPfPlSF_S6_NS0_8equal_toIfEEEE10hipError_tPvRmT2_T3_mT4_T5_T6_T7_T8_P12ihipStream_tbENKUlT_T0_E_clISt17integral_constantIbLb1EESZ_EEDaSU_SV_EUlSU_E_NS1_11comp_targetILNS1_3genE10ELNS1_11target_archE1200ELNS1_3gpuE4ELNS1_3repE0EEENS1_30default_config_static_selectorELNS0_4arch9wavefront6targetE1EEEvT1_,"axG",@progbits,_ZN7rocprim17ROCPRIM_400000_NS6detail17trampoline_kernelINS0_14default_configENS1_33run_length_encode_config_selectorIfjNS0_4plusIjEEEEZZNS1_33reduce_by_key_impl_wrapped_configILNS1_25lookback_scan_determinismE0ES3_S7_PKfNS0_17constant_iteratorIjlEEPfPlSF_S6_NS0_8equal_toIfEEEE10hipError_tPvRmT2_T3_mT4_T5_T6_T7_T8_P12ihipStream_tbENKUlT_T0_E_clISt17integral_constantIbLb1EESZ_EEDaSU_SV_EUlSU_E_NS1_11comp_targetILNS1_3genE10ELNS1_11target_archE1200ELNS1_3gpuE4ELNS1_3repE0EEENS1_30default_config_static_selectorELNS0_4arch9wavefront6targetE1EEEvT1_,comdat
	.protected	_ZN7rocprim17ROCPRIM_400000_NS6detail17trampoline_kernelINS0_14default_configENS1_33run_length_encode_config_selectorIfjNS0_4plusIjEEEEZZNS1_33reduce_by_key_impl_wrapped_configILNS1_25lookback_scan_determinismE0ES3_S7_PKfNS0_17constant_iteratorIjlEEPfPlSF_S6_NS0_8equal_toIfEEEE10hipError_tPvRmT2_T3_mT4_T5_T6_T7_T8_P12ihipStream_tbENKUlT_T0_E_clISt17integral_constantIbLb1EESZ_EEDaSU_SV_EUlSU_E_NS1_11comp_targetILNS1_3genE10ELNS1_11target_archE1200ELNS1_3gpuE4ELNS1_3repE0EEENS1_30default_config_static_selectorELNS0_4arch9wavefront6targetE1EEEvT1_ ; -- Begin function _ZN7rocprim17ROCPRIM_400000_NS6detail17trampoline_kernelINS0_14default_configENS1_33run_length_encode_config_selectorIfjNS0_4plusIjEEEEZZNS1_33reduce_by_key_impl_wrapped_configILNS1_25lookback_scan_determinismE0ES3_S7_PKfNS0_17constant_iteratorIjlEEPfPlSF_S6_NS0_8equal_toIfEEEE10hipError_tPvRmT2_T3_mT4_T5_T6_T7_T8_P12ihipStream_tbENKUlT_T0_E_clISt17integral_constantIbLb1EESZ_EEDaSU_SV_EUlSU_E_NS1_11comp_targetILNS1_3genE10ELNS1_11target_archE1200ELNS1_3gpuE4ELNS1_3repE0EEENS1_30default_config_static_selectorELNS0_4arch9wavefront6targetE1EEEvT1_
	.globl	_ZN7rocprim17ROCPRIM_400000_NS6detail17trampoline_kernelINS0_14default_configENS1_33run_length_encode_config_selectorIfjNS0_4plusIjEEEEZZNS1_33reduce_by_key_impl_wrapped_configILNS1_25lookback_scan_determinismE0ES3_S7_PKfNS0_17constant_iteratorIjlEEPfPlSF_S6_NS0_8equal_toIfEEEE10hipError_tPvRmT2_T3_mT4_T5_T6_T7_T8_P12ihipStream_tbENKUlT_T0_E_clISt17integral_constantIbLb1EESZ_EEDaSU_SV_EUlSU_E_NS1_11comp_targetILNS1_3genE10ELNS1_11target_archE1200ELNS1_3gpuE4ELNS1_3repE0EEENS1_30default_config_static_selectorELNS0_4arch9wavefront6targetE1EEEvT1_
	.p2align	8
	.type	_ZN7rocprim17ROCPRIM_400000_NS6detail17trampoline_kernelINS0_14default_configENS1_33run_length_encode_config_selectorIfjNS0_4plusIjEEEEZZNS1_33reduce_by_key_impl_wrapped_configILNS1_25lookback_scan_determinismE0ES3_S7_PKfNS0_17constant_iteratorIjlEEPfPlSF_S6_NS0_8equal_toIfEEEE10hipError_tPvRmT2_T3_mT4_T5_T6_T7_T8_P12ihipStream_tbENKUlT_T0_E_clISt17integral_constantIbLb1EESZ_EEDaSU_SV_EUlSU_E_NS1_11comp_targetILNS1_3genE10ELNS1_11target_archE1200ELNS1_3gpuE4ELNS1_3repE0EEENS1_30default_config_static_selectorELNS0_4arch9wavefront6targetE1EEEvT1_,@function
_ZN7rocprim17ROCPRIM_400000_NS6detail17trampoline_kernelINS0_14default_configENS1_33run_length_encode_config_selectorIfjNS0_4plusIjEEEEZZNS1_33reduce_by_key_impl_wrapped_configILNS1_25lookback_scan_determinismE0ES3_S7_PKfNS0_17constant_iteratorIjlEEPfPlSF_S6_NS0_8equal_toIfEEEE10hipError_tPvRmT2_T3_mT4_T5_T6_T7_T8_P12ihipStream_tbENKUlT_T0_E_clISt17integral_constantIbLb1EESZ_EEDaSU_SV_EUlSU_E_NS1_11comp_targetILNS1_3genE10ELNS1_11target_archE1200ELNS1_3gpuE4ELNS1_3repE0EEENS1_30default_config_static_selectorELNS0_4arch9wavefront6targetE1EEEvT1_: ; @_ZN7rocprim17ROCPRIM_400000_NS6detail17trampoline_kernelINS0_14default_configENS1_33run_length_encode_config_selectorIfjNS0_4plusIjEEEEZZNS1_33reduce_by_key_impl_wrapped_configILNS1_25lookback_scan_determinismE0ES3_S7_PKfNS0_17constant_iteratorIjlEEPfPlSF_S6_NS0_8equal_toIfEEEE10hipError_tPvRmT2_T3_mT4_T5_T6_T7_T8_P12ihipStream_tbENKUlT_T0_E_clISt17integral_constantIbLb1EESZ_EEDaSU_SV_EUlSU_E_NS1_11comp_targetILNS1_3genE10ELNS1_11target_archE1200ELNS1_3gpuE4ELNS1_3repE0EEENS1_30default_config_static_selectorELNS0_4arch9wavefront6targetE1EEEvT1_
; %bb.0:
	.section	.rodata,"a",@progbits
	.p2align	6, 0x0
	.amdhsa_kernel _ZN7rocprim17ROCPRIM_400000_NS6detail17trampoline_kernelINS0_14default_configENS1_33run_length_encode_config_selectorIfjNS0_4plusIjEEEEZZNS1_33reduce_by_key_impl_wrapped_configILNS1_25lookback_scan_determinismE0ES3_S7_PKfNS0_17constant_iteratorIjlEEPfPlSF_S6_NS0_8equal_toIfEEEE10hipError_tPvRmT2_T3_mT4_T5_T6_T7_T8_P12ihipStream_tbENKUlT_T0_E_clISt17integral_constantIbLb1EESZ_EEDaSU_SV_EUlSU_E_NS1_11comp_targetILNS1_3genE10ELNS1_11target_archE1200ELNS1_3gpuE4ELNS1_3repE0EEENS1_30default_config_static_selectorELNS0_4arch9wavefront6targetE1EEEvT1_
		.amdhsa_group_segment_fixed_size 0
		.amdhsa_private_segment_fixed_size 0
		.amdhsa_kernarg_size 128
		.amdhsa_user_sgpr_count 2
		.amdhsa_user_sgpr_dispatch_ptr 0
		.amdhsa_user_sgpr_queue_ptr 0
		.amdhsa_user_sgpr_kernarg_segment_ptr 1
		.amdhsa_user_sgpr_dispatch_id 0
		.amdhsa_user_sgpr_kernarg_preload_length 0
		.amdhsa_user_sgpr_kernarg_preload_offset 0
		.amdhsa_user_sgpr_private_segment_size 0
		.amdhsa_uses_dynamic_stack 0
		.amdhsa_enable_private_segment 0
		.amdhsa_system_sgpr_workgroup_id_x 1
		.amdhsa_system_sgpr_workgroup_id_y 0
		.amdhsa_system_sgpr_workgroup_id_z 0
		.amdhsa_system_sgpr_workgroup_info 0
		.amdhsa_system_vgpr_workitem_id 0
		.amdhsa_next_free_vgpr 1
		.amdhsa_next_free_sgpr 0
		.amdhsa_accum_offset 4
		.amdhsa_reserve_vcc 0
		.amdhsa_float_round_mode_32 0
		.amdhsa_float_round_mode_16_64 0
		.amdhsa_float_denorm_mode_32 3
		.amdhsa_float_denorm_mode_16_64 3
		.amdhsa_dx10_clamp 1
		.amdhsa_ieee_mode 1
		.amdhsa_fp16_overflow 0
		.amdhsa_tg_split 0
		.amdhsa_exception_fp_ieee_invalid_op 0
		.amdhsa_exception_fp_denorm_src 0
		.amdhsa_exception_fp_ieee_div_zero 0
		.amdhsa_exception_fp_ieee_overflow 0
		.amdhsa_exception_fp_ieee_underflow 0
		.amdhsa_exception_fp_ieee_inexact 0
		.amdhsa_exception_int_div_zero 0
	.end_amdhsa_kernel
	.section	.text._ZN7rocprim17ROCPRIM_400000_NS6detail17trampoline_kernelINS0_14default_configENS1_33run_length_encode_config_selectorIfjNS0_4plusIjEEEEZZNS1_33reduce_by_key_impl_wrapped_configILNS1_25lookback_scan_determinismE0ES3_S7_PKfNS0_17constant_iteratorIjlEEPfPlSF_S6_NS0_8equal_toIfEEEE10hipError_tPvRmT2_T3_mT4_T5_T6_T7_T8_P12ihipStream_tbENKUlT_T0_E_clISt17integral_constantIbLb1EESZ_EEDaSU_SV_EUlSU_E_NS1_11comp_targetILNS1_3genE10ELNS1_11target_archE1200ELNS1_3gpuE4ELNS1_3repE0EEENS1_30default_config_static_selectorELNS0_4arch9wavefront6targetE1EEEvT1_,"axG",@progbits,_ZN7rocprim17ROCPRIM_400000_NS6detail17trampoline_kernelINS0_14default_configENS1_33run_length_encode_config_selectorIfjNS0_4plusIjEEEEZZNS1_33reduce_by_key_impl_wrapped_configILNS1_25lookback_scan_determinismE0ES3_S7_PKfNS0_17constant_iteratorIjlEEPfPlSF_S6_NS0_8equal_toIfEEEE10hipError_tPvRmT2_T3_mT4_T5_T6_T7_T8_P12ihipStream_tbENKUlT_T0_E_clISt17integral_constantIbLb1EESZ_EEDaSU_SV_EUlSU_E_NS1_11comp_targetILNS1_3genE10ELNS1_11target_archE1200ELNS1_3gpuE4ELNS1_3repE0EEENS1_30default_config_static_selectorELNS0_4arch9wavefront6targetE1EEEvT1_,comdat
.Lfunc_end388:
	.size	_ZN7rocprim17ROCPRIM_400000_NS6detail17trampoline_kernelINS0_14default_configENS1_33run_length_encode_config_selectorIfjNS0_4plusIjEEEEZZNS1_33reduce_by_key_impl_wrapped_configILNS1_25lookback_scan_determinismE0ES3_S7_PKfNS0_17constant_iteratorIjlEEPfPlSF_S6_NS0_8equal_toIfEEEE10hipError_tPvRmT2_T3_mT4_T5_T6_T7_T8_P12ihipStream_tbENKUlT_T0_E_clISt17integral_constantIbLb1EESZ_EEDaSU_SV_EUlSU_E_NS1_11comp_targetILNS1_3genE10ELNS1_11target_archE1200ELNS1_3gpuE4ELNS1_3repE0EEENS1_30default_config_static_selectorELNS0_4arch9wavefront6targetE1EEEvT1_, .Lfunc_end388-_ZN7rocprim17ROCPRIM_400000_NS6detail17trampoline_kernelINS0_14default_configENS1_33run_length_encode_config_selectorIfjNS0_4plusIjEEEEZZNS1_33reduce_by_key_impl_wrapped_configILNS1_25lookback_scan_determinismE0ES3_S7_PKfNS0_17constant_iteratorIjlEEPfPlSF_S6_NS0_8equal_toIfEEEE10hipError_tPvRmT2_T3_mT4_T5_T6_T7_T8_P12ihipStream_tbENKUlT_T0_E_clISt17integral_constantIbLb1EESZ_EEDaSU_SV_EUlSU_E_NS1_11comp_targetILNS1_3genE10ELNS1_11target_archE1200ELNS1_3gpuE4ELNS1_3repE0EEENS1_30default_config_static_selectorELNS0_4arch9wavefront6targetE1EEEvT1_
                                        ; -- End function
	.section	.AMDGPU.csdata,"",@progbits
; Kernel info:
; codeLenInByte = 0
; NumSgprs: 6
; NumVgprs: 0
; NumAgprs: 0
; TotalNumVgprs: 0
; ScratchSize: 0
; MemoryBound: 0
; FloatMode: 240
; IeeeMode: 1
; LDSByteSize: 0 bytes/workgroup (compile time only)
; SGPRBlocks: 0
; VGPRBlocks: 0
; NumSGPRsForWavesPerEU: 6
; NumVGPRsForWavesPerEU: 1
; AccumOffset: 4
; Occupancy: 8
; WaveLimiterHint : 0
; COMPUTE_PGM_RSRC2:SCRATCH_EN: 0
; COMPUTE_PGM_RSRC2:USER_SGPR: 2
; COMPUTE_PGM_RSRC2:TRAP_HANDLER: 0
; COMPUTE_PGM_RSRC2:TGID_X_EN: 1
; COMPUTE_PGM_RSRC2:TGID_Y_EN: 0
; COMPUTE_PGM_RSRC2:TGID_Z_EN: 0
; COMPUTE_PGM_RSRC2:TIDIG_COMP_CNT: 0
; COMPUTE_PGM_RSRC3_GFX90A:ACCUM_OFFSET: 0
; COMPUTE_PGM_RSRC3_GFX90A:TG_SPLIT: 0
	.section	.text._ZN7rocprim17ROCPRIM_400000_NS6detail17trampoline_kernelINS0_14default_configENS1_33run_length_encode_config_selectorIfjNS0_4plusIjEEEEZZNS1_33reduce_by_key_impl_wrapped_configILNS1_25lookback_scan_determinismE0ES3_S7_PKfNS0_17constant_iteratorIjlEEPfPlSF_S6_NS0_8equal_toIfEEEE10hipError_tPvRmT2_T3_mT4_T5_T6_T7_T8_P12ihipStream_tbENKUlT_T0_E_clISt17integral_constantIbLb1EESZ_EEDaSU_SV_EUlSU_E_NS1_11comp_targetILNS1_3genE9ELNS1_11target_archE1100ELNS1_3gpuE3ELNS1_3repE0EEENS1_30default_config_static_selectorELNS0_4arch9wavefront6targetE1EEEvT1_,"axG",@progbits,_ZN7rocprim17ROCPRIM_400000_NS6detail17trampoline_kernelINS0_14default_configENS1_33run_length_encode_config_selectorIfjNS0_4plusIjEEEEZZNS1_33reduce_by_key_impl_wrapped_configILNS1_25lookback_scan_determinismE0ES3_S7_PKfNS0_17constant_iteratorIjlEEPfPlSF_S6_NS0_8equal_toIfEEEE10hipError_tPvRmT2_T3_mT4_T5_T6_T7_T8_P12ihipStream_tbENKUlT_T0_E_clISt17integral_constantIbLb1EESZ_EEDaSU_SV_EUlSU_E_NS1_11comp_targetILNS1_3genE9ELNS1_11target_archE1100ELNS1_3gpuE3ELNS1_3repE0EEENS1_30default_config_static_selectorELNS0_4arch9wavefront6targetE1EEEvT1_,comdat
	.protected	_ZN7rocprim17ROCPRIM_400000_NS6detail17trampoline_kernelINS0_14default_configENS1_33run_length_encode_config_selectorIfjNS0_4plusIjEEEEZZNS1_33reduce_by_key_impl_wrapped_configILNS1_25lookback_scan_determinismE0ES3_S7_PKfNS0_17constant_iteratorIjlEEPfPlSF_S6_NS0_8equal_toIfEEEE10hipError_tPvRmT2_T3_mT4_T5_T6_T7_T8_P12ihipStream_tbENKUlT_T0_E_clISt17integral_constantIbLb1EESZ_EEDaSU_SV_EUlSU_E_NS1_11comp_targetILNS1_3genE9ELNS1_11target_archE1100ELNS1_3gpuE3ELNS1_3repE0EEENS1_30default_config_static_selectorELNS0_4arch9wavefront6targetE1EEEvT1_ ; -- Begin function _ZN7rocprim17ROCPRIM_400000_NS6detail17trampoline_kernelINS0_14default_configENS1_33run_length_encode_config_selectorIfjNS0_4plusIjEEEEZZNS1_33reduce_by_key_impl_wrapped_configILNS1_25lookback_scan_determinismE0ES3_S7_PKfNS0_17constant_iteratorIjlEEPfPlSF_S6_NS0_8equal_toIfEEEE10hipError_tPvRmT2_T3_mT4_T5_T6_T7_T8_P12ihipStream_tbENKUlT_T0_E_clISt17integral_constantIbLb1EESZ_EEDaSU_SV_EUlSU_E_NS1_11comp_targetILNS1_3genE9ELNS1_11target_archE1100ELNS1_3gpuE3ELNS1_3repE0EEENS1_30default_config_static_selectorELNS0_4arch9wavefront6targetE1EEEvT1_
	.globl	_ZN7rocprim17ROCPRIM_400000_NS6detail17trampoline_kernelINS0_14default_configENS1_33run_length_encode_config_selectorIfjNS0_4plusIjEEEEZZNS1_33reduce_by_key_impl_wrapped_configILNS1_25lookback_scan_determinismE0ES3_S7_PKfNS0_17constant_iteratorIjlEEPfPlSF_S6_NS0_8equal_toIfEEEE10hipError_tPvRmT2_T3_mT4_T5_T6_T7_T8_P12ihipStream_tbENKUlT_T0_E_clISt17integral_constantIbLb1EESZ_EEDaSU_SV_EUlSU_E_NS1_11comp_targetILNS1_3genE9ELNS1_11target_archE1100ELNS1_3gpuE3ELNS1_3repE0EEENS1_30default_config_static_selectorELNS0_4arch9wavefront6targetE1EEEvT1_
	.p2align	8
	.type	_ZN7rocprim17ROCPRIM_400000_NS6detail17trampoline_kernelINS0_14default_configENS1_33run_length_encode_config_selectorIfjNS0_4plusIjEEEEZZNS1_33reduce_by_key_impl_wrapped_configILNS1_25lookback_scan_determinismE0ES3_S7_PKfNS0_17constant_iteratorIjlEEPfPlSF_S6_NS0_8equal_toIfEEEE10hipError_tPvRmT2_T3_mT4_T5_T6_T7_T8_P12ihipStream_tbENKUlT_T0_E_clISt17integral_constantIbLb1EESZ_EEDaSU_SV_EUlSU_E_NS1_11comp_targetILNS1_3genE9ELNS1_11target_archE1100ELNS1_3gpuE3ELNS1_3repE0EEENS1_30default_config_static_selectorELNS0_4arch9wavefront6targetE1EEEvT1_,@function
_ZN7rocprim17ROCPRIM_400000_NS6detail17trampoline_kernelINS0_14default_configENS1_33run_length_encode_config_selectorIfjNS0_4plusIjEEEEZZNS1_33reduce_by_key_impl_wrapped_configILNS1_25lookback_scan_determinismE0ES3_S7_PKfNS0_17constant_iteratorIjlEEPfPlSF_S6_NS0_8equal_toIfEEEE10hipError_tPvRmT2_T3_mT4_T5_T6_T7_T8_P12ihipStream_tbENKUlT_T0_E_clISt17integral_constantIbLb1EESZ_EEDaSU_SV_EUlSU_E_NS1_11comp_targetILNS1_3genE9ELNS1_11target_archE1100ELNS1_3gpuE3ELNS1_3repE0EEENS1_30default_config_static_selectorELNS0_4arch9wavefront6targetE1EEEvT1_: ; @_ZN7rocprim17ROCPRIM_400000_NS6detail17trampoline_kernelINS0_14default_configENS1_33run_length_encode_config_selectorIfjNS0_4plusIjEEEEZZNS1_33reduce_by_key_impl_wrapped_configILNS1_25lookback_scan_determinismE0ES3_S7_PKfNS0_17constant_iteratorIjlEEPfPlSF_S6_NS0_8equal_toIfEEEE10hipError_tPvRmT2_T3_mT4_T5_T6_T7_T8_P12ihipStream_tbENKUlT_T0_E_clISt17integral_constantIbLb1EESZ_EEDaSU_SV_EUlSU_E_NS1_11comp_targetILNS1_3genE9ELNS1_11target_archE1100ELNS1_3gpuE3ELNS1_3repE0EEENS1_30default_config_static_selectorELNS0_4arch9wavefront6targetE1EEEvT1_
; %bb.0:
	.section	.rodata,"a",@progbits
	.p2align	6, 0x0
	.amdhsa_kernel _ZN7rocprim17ROCPRIM_400000_NS6detail17trampoline_kernelINS0_14default_configENS1_33run_length_encode_config_selectorIfjNS0_4plusIjEEEEZZNS1_33reduce_by_key_impl_wrapped_configILNS1_25lookback_scan_determinismE0ES3_S7_PKfNS0_17constant_iteratorIjlEEPfPlSF_S6_NS0_8equal_toIfEEEE10hipError_tPvRmT2_T3_mT4_T5_T6_T7_T8_P12ihipStream_tbENKUlT_T0_E_clISt17integral_constantIbLb1EESZ_EEDaSU_SV_EUlSU_E_NS1_11comp_targetILNS1_3genE9ELNS1_11target_archE1100ELNS1_3gpuE3ELNS1_3repE0EEENS1_30default_config_static_selectorELNS0_4arch9wavefront6targetE1EEEvT1_
		.amdhsa_group_segment_fixed_size 0
		.amdhsa_private_segment_fixed_size 0
		.amdhsa_kernarg_size 128
		.amdhsa_user_sgpr_count 2
		.amdhsa_user_sgpr_dispatch_ptr 0
		.amdhsa_user_sgpr_queue_ptr 0
		.amdhsa_user_sgpr_kernarg_segment_ptr 1
		.amdhsa_user_sgpr_dispatch_id 0
		.amdhsa_user_sgpr_kernarg_preload_length 0
		.amdhsa_user_sgpr_kernarg_preload_offset 0
		.amdhsa_user_sgpr_private_segment_size 0
		.amdhsa_uses_dynamic_stack 0
		.amdhsa_enable_private_segment 0
		.amdhsa_system_sgpr_workgroup_id_x 1
		.amdhsa_system_sgpr_workgroup_id_y 0
		.amdhsa_system_sgpr_workgroup_id_z 0
		.amdhsa_system_sgpr_workgroup_info 0
		.amdhsa_system_vgpr_workitem_id 0
		.amdhsa_next_free_vgpr 1
		.amdhsa_next_free_sgpr 0
		.amdhsa_accum_offset 4
		.amdhsa_reserve_vcc 0
		.amdhsa_float_round_mode_32 0
		.amdhsa_float_round_mode_16_64 0
		.amdhsa_float_denorm_mode_32 3
		.amdhsa_float_denorm_mode_16_64 3
		.amdhsa_dx10_clamp 1
		.amdhsa_ieee_mode 1
		.amdhsa_fp16_overflow 0
		.amdhsa_tg_split 0
		.amdhsa_exception_fp_ieee_invalid_op 0
		.amdhsa_exception_fp_denorm_src 0
		.amdhsa_exception_fp_ieee_div_zero 0
		.amdhsa_exception_fp_ieee_overflow 0
		.amdhsa_exception_fp_ieee_underflow 0
		.amdhsa_exception_fp_ieee_inexact 0
		.amdhsa_exception_int_div_zero 0
	.end_amdhsa_kernel
	.section	.text._ZN7rocprim17ROCPRIM_400000_NS6detail17trampoline_kernelINS0_14default_configENS1_33run_length_encode_config_selectorIfjNS0_4plusIjEEEEZZNS1_33reduce_by_key_impl_wrapped_configILNS1_25lookback_scan_determinismE0ES3_S7_PKfNS0_17constant_iteratorIjlEEPfPlSF_S6_NS0_8equal_toIfEEEE10hipError_tPvRmT2_T3_mT4_T5_T6_T7_T8_P12ihipStream_tbENKUlT_T0_E_clISt17integral_constantIbLb1EESZ_EEDaSU_SV_EUlSU_E_NS1_11comp_targetILNS1_3genE9ELNS1_11target_archE1100ELNS1_3gpuE3ELNS1_3repE0EEENS1_30default_config_static_selectorELNS0_4arch9wavefront6targetE1EEEvT1_,"axG",@progbits,_ZN7rocprim17ROCPRIM_400000_NS6detail17trampoline_kernelINS0_14default_configENS1_33run_length_encode_config_selectorIfjNS0_4plusIjEEEEZZNS1_33reduce_by_key_impl_wrapped_configILNS1_25lookback_scan_determinismE0ES3_S7_PKfNS0_17constant_iteratorIjlEEPfPlSF_S6_NS0_8equal_toIfEEEE10hipError_tPvRmT2_T3_mT4_T5_T6_T7_T8_P12ihipStream_tbENKUlT_T0_E_clISt17integral_constantIbLb1EESZ_EEDaSU_SV_EUlSU_E_NS1_11comp_targetILNS1_3genE9ELNS1_11target_archE1100ELNS1_3gpuE3ELNS1_3repE0EEENS1_30default_config_static_selectorELNS0_4arch9wavefront6targetE1EEEvT1_,comdat
.Lfunc_end389:
	.size	_ZN7rocprim17ROCPRIM_400000_NS6detail17trampoline_kernelINS0_14default_configENS1_33run_length_encode_config_selectorIfjNS0_4plusIjEEEEZZNS1_33reduce_by_key_impl_wrapped_configILNS1_25lookback_scan_determinismE0ES3_S7_PKfNS0_17constant_iteratorIjlEEPfPlSF_S6_NS0_8equal_toIfEEEE10hipError_tPvRmT2_T3_mT4_T5_T6_T7_T8_P12ihipStream_tbENKUlT_T0_E_clISt17integral_constantIbLb1EESZ_EEDaSU_SV_EUlSU_E_NS1_11comp_targetILNS1_3genE9ELNS1_11target_archE1100ELNS1_3gpuE3ELNS1_3repE0EEENS1_30default_config_static_selectorELNS0_4arch9wavefront6targetE1EEEvT1_, .Lfunc_end389-_ZN7rocprim17ROCPRIM_400000_NS6detail17trampoline_kernelINS0_14default_configENS1_33run_length_encode_config_selectorIfjNS0_4plusIjEEEEZZNS1_33reduce_by_key_impl_wrapped_configILNS1_25lookback_scan_determinismE0ES3_S7_PKfNS0_17constant_iteratorIjlEEPfPlSF_S6_NS0_8equal_toIfEEEE10hipError_tPvRmT2_T3_mT4_T5_T6_T7_T8_P12ihipStream_tbENKUlT_T0_E_clISt17integral_constantIbLb1EESZ_EEDaSU_SV_EUlSU_E_NS1_11comp_targetILNS1_3genE9ELNS1_11target_archE1100ELNS1_3gpuE3ELNS1_3repE0EEENS1_30default_config_static_selectorELNS0_4arch9wavefront6targetE1EEEvT1_
                                        ; -- End function
	.section	.AMDGPU.csdata,"",@progbits
; Kernel info:
; codeLenInByte = 0
; NumSgprs: 6
; NumVgprs: 0
; NumAgprs: 0
; TotalNumVgprs: 0
; ScratchSize: 0
; MemoryBound: 0
; FloatMode: 240
; IeeeMode: 1
; LDSByteSize: 0 bytes/workgroup (compile time only)
; SGPRBlocks: 0
; VGPRBlocks: 0
; NumSGPRsForWavesPerEU: 6
; NumVGPRsForWavesPerEU: 1
; AccumOffset: 4
; Occupancy: 8
; WaveLimiterHint : 0
; COMPUTE_PGM_RSRC2:SCRATCH_EN: 0
; COMPUTE_PGM_RSRC2:USER_SGPR: 2
; COMPUTE_PGM_RSRC2:TRAP_HANDLER: 0
; COMPUTE_PGM_RSRC2:TGID_X_EN: 1
; COMPUTE_PGM_RSRC2:TGID_Y_EN: 0
; COMPUTE_PGM_RSRC2:TGID_Z_EN: 0
; COMPUTE_PGM_RSRC2:TIDIG_COMP_CNT: 0
; COMPUTE_PGM_RSRC3_GFX90A:ACCUM_OFFSET: 0
; COMPUTE_PGM_RSRC3_GFX90A:TG_SPLIT: 0
	.section	.text._ZN7rocprim17ROCPRIM_400000_NS6detail17trampoline_kernelINS0_14default_configENS1_33run_length_encode_config_selectorIfjNS0_4plusIjEEEEZZNS1_33reduce_by_key_impl_wrapped_configILNS1_25lookback_scan_determinismE0ES3_S7_PKfNS0_17constant_iteratorIjlEEPfPlSF_S6_NS0_8equal_toIfEEEE10hipError_tPvRmT2_T3_mT4_T5_T6_T7_T8_P12ihipStream_tbENKUlT_T0_E_clISt17integral_constantIbLb1EESZ_EEDaSU_SV_EUlSU_E_NS1_11comp_targetILNS1_3genE8ELNS1_11target_archE1030ELNS1_3gpuE2ELNS1_3repE0EEENS1_30default_config_static_selectorELNS0_4arch9wavefront6targetE1EEEvT1_,"axG",@progbits,_ZN7rocprim17ROCPRIM_400000_NS6detail17trampoline_kernelINS0_14default_configENS1_33run_length_encode_config_selectorIfjNS0_4plusIjEEEEZZNS1_33reduce_by_key_impl_wrapped_configILNS1_25lookback_scan_determinismE0ES3_S7_PKfNS0_17constant_iteratorIjlEEPfPlSF_S6_NS0_8equal_toIfEEEE10hipError_tPvRmT2_T3_mT4_T5_T6_T7_T8_P12ihipStream_tbENKUlT_T0_E_clISt17integral_constantIbLb1EESZ_EEDaSU_SV_EUlSU_E_NS1_11comp_targetILNS1_3genE8ELNS1_11target_archE1030ELNS1_3gpuE2ELNS1_3repE0EEENS1_30default_config_static_selectorELNS0_4arch9wavefront6targetE1EEEvT1_,comdat
	.protected	_ZN7rocprim17ROCPRIM_400000_NS6detail17trampoline_kernelINS0_14default_configENS1_33run_length_encode_config_selectorIfjNS0_4plusIjEEEEZZNS1_33reduce_by_key_impl_wrapped_configILNS1_25lookback_scan_determinismE0ES3_S7_PKfNS0_17constant_iteratorIjlEEPfPlSF_S6_NS0_8equal_toIfEEEE10hipError_tPvRmT2_T3_mT4_T5_T6_T7_T8_P12ihipStream_tbENKUlT_T0_E_clISt17integral_constantIbLb1EESZ_EEDaSU_SV_EUlSU_E_NS1_11comp_targetILNS1_3genE8ELNS1_11target_archE1030ELNS1_3gpuE2ELNS1_3repE0EEENS1_30default_config_static_selectorELNS0_4arch9wavefront6targetE1EEEvT1_ ; -- Begin function _ZN7rocprim17ROCPRIM_400000_NS6detail17trampoline_kernelINS0_14default_configENS1_33run_length_encode_config_selectorIfjNS0_4plusIjEEEEZZNS1_33reduce_by_key_impl_wrapped_configILNS1_25lookback_scan_determinismE0ES3_S7_PKfNS0_17constant_iteratorIjlEEPfPlSF_S6_NS0_8equal_toIfEEEE10hipError_tPvRmT2_T3_mT4_T5_T6_T7_T8_P12ihipStream_tbENKUlT_T0_E_clISt17integral_constantIbLb1EESZ_EEDaSU_SV_EUlSU_E_NS1_11comp_targetILNS1_3genE8ELNS1_11target_archE1030ELNS1_3gpuE2ELNS1_3repE0EEENS1_30default_config_static_selectorELNS0_4arch9wavefront6targetE1EEEvT1_
	.globl	_ZN7rocprim17ROCPRIM_400000_NS6detail17trampoline_kernelINS0_14default_configENS1_33run_length_encode_config_selectorIfjNS0_4plusIjEEEEZZNS1_33reduce_by_key_impl_wrapped_configILNS1_25lookback_scan_determinismE0ES3_S7_PKfNS0_17constant_iteratorIjlEEPfPlSF_S6_NS0_8equal_toIfEEEE10hipError_tPvRmT2_T3_mT4_T5_T6_T7_T8_P12ihipStream_tbENKUlT_T0_E_clISt17integral_constantIbLb1EESZ_EEDaSU_SV_EUlSU_E_NS1_11comp_targetILNS1_3genE8ELNS1_11target_archE1030ELNS1_3gpuE2ELNS1_3repE0EEENS1_30default_config_static_selectorELNS0_4arch9wavefront6targetE1EEEvT1_
	.p2align	8
	.type	_ZN7rocprim17ROCPRIM_400000_NS6detail17trampoline_kernelINS0_14default_configENS1_33run_length_encode_config_selectorIfjNS0_4plusIjEEEEZZNS1_33reduce_by_key_impl_wrapped_configILNS1_25lookback_scan_determinismE0ES3_S7_PKfNS0_17constant_iteratorIjlEEPfPlSF_S6_NS0_8equal_toIfEEEE10hipError_tPvRmT2_T3_mT4_T5_T6_T7_T8_P12ihipStream_tbENKUlT_T0_E_clISt17integral_constantIbLb1EESZ_EEDaSU_SV_EUlSU_E_NS1_11comp_targetILNS1_3genE8ELNS1_11target_archE1030ELNS1_3gpuE2ELNS1_3repE0EEENS1_30default_config_static_selectorELNS0_4arch9wavefront6targetE1EEEvT1_,@function
_ZN7rocprim17ROCPRIM_400000_NS6detail17trampoline_kernelINS0_14default_configENS1_33run_length_encode_config_selectorIfjNS0_4plusIjEEEEZZNS1_33reduce_by_key_impl_wrapped_configILNS1_25lookback_scan_determinismE0ES3_S7_PKfNS0_17constant_iteratorIjlEEPfPlSF_S6_NS0_8equal_toIfEEEE10hipError_tPvRmT2_T3_mT4_T5_T6_T7_T8_P12ihipStream_tbENKUlT_T0_E_clISt17integral_constantIbLb1EESZ_EEDaSU_SV_EUlSU_E_NS1_11comp_targetILNS1_3genE8ELNS1_11target_archE1030ELNS1_3gpuE2ELNS1_3repE0EEENS1_30default_config_static_selectorELNS0_4arch9wavefront6targetE1EEEvT1_: ; @_ZN7rocprim17ROCPRIM_400000_NS6detail17trampoline_kernelINS0_14default_configENS1_33run_length_encode_config_selectorIfjNS0_4plusIjEEEEZZNS1_33reduce_by_key_impl_wrapped_configILNS1_25lookback_scan_determinismE0ES3_S7_PKfNS0_17constant_iteratorIjlEEPfPlSF_S6_NS0_8equal_toIfEEEE10hipError_tPvRmT2_T3_mT4_T5_T6_T7_T8_P12ihipStream_tbENKUlT_T0_E_clISt17integral_constantIbLb1EESZ_EEDaSU_SV_EUlSU_E_NS1_11comp_targetILNS1_3genE8ELNS1_11target_archE1030ELNS1_3gpuE2ELNS1_3repE0EEENS1_30default_config_static_selectorELNS0_4arch9wavefront6targetE1EEEvT1_
; %bb.0:
	.section	.rodata,"a",@progbits
	.p2align	6, 0x0
	.amdhsa_kernel _ZN7rocprim17ROCPRIM_400000_NS6detail17trampoline_kernelINS0_14default_configENS1_33run_length_encode_config_selectorIfjNS0_4plusIjEEEEZZNS1_33reduce_by_key_impl_wrapped_configILNS1_25lookback_scan_determinismE0ES3_S7_PKfNS0_17constant_iteratorIjlEEPfPlSF_S6_NS0_8equal_toIfEEEE10hipError_tPvRmT2_T3_mT4_T5_T6_T7_T8_P12ihipStream_tbENKUlT_T0_E_clISt17integral_constantIbLb1EESZ_EEDaSU_SV_EUlSU_E_NS1_11comp_targetILNS1_3genE8ELNS1_11target_archE1030ELNS1_3gpuE2ELNS1_3repE0EEENS1_30default_config_static_selectorELNS0_4arch9wavefront6targetE1EEEvT1_
		.amdhsa_group_segment_fixed_size 0
		.amdhsa_private_segment_fixed_size 0
		.amdhsa_kernarg_size 128
		.amdhsa_user_sgpr_count 2
		.amdhsa_user_sgpr_dispatch_ptr 0
		.amdhsa_user_sgpr_queue_ptr 0
		.amdhsa_user_sgpr_kernarg_segment_ptr 1
		.amdhsa_user_sgpr_dispatch_id 0
		.amdhsa_user_sgpr_kernarg_preload_length 0
		.amdhsa_user_sgpr_kernarg_preload_offset 0
		.amdhsa_user_sgpr_private_segment_size 0
		.amdhsa_uses_dynamic_stack 0
		.amdhsa_enable_private_segment 0
		.amdhsa_system_sgpr_workgroup_id_x 1
		.amdhsa_system_sgpr_workgroup_id_y 0
		.amdhsa_system_sgpr_workgroup_id_z 0
		.amdhsa_system_sgpr_workgroup_info 0
		.amdhsa_system_vgpr_workitem_id 0
		.amdhsa_next_free_vgpr 1
		.amdhsa_next_free_sgpr 0
		.amdhsa_accum_offset 4
		.amdhsa_reserve_vcc 0
		.amdhsa_float_round_mode_32 0
		.amdhsa_float_round_mode_16_64 0
		.amdhsa_float_denorm_mode_32 3
		.amdhsa_float_denorm_mode_16_64 3
		.amdhsa_dx10_clamp 1
		.amdhsa_ieee_mode 1
		.amdhsa_fp16_overflow 0
		.amdhsa_tg_split 0
		.amdhsa_exception_fp_ieee_invalid_op 0
		.amdhsa_exception_fp_denorm_src 0
		.amdhsa_exception_fp_ieee_div_zero 0
		.amdhsa_exception_fp_ieee_overflow 0
		.amdhsa_exception_fp_ieee_underflow 0
		.amdhsa_exception_fp_ieee_inexact 0
		.amdhsa_exception_int_div_zero 0
	.end_amdhsa_kernel
	.section	.text._ZN7rocprim17ROCPRIM_400000_NS6detail17trampoline_kernelINS0_14default_configENS1_33run_length_encode_config_selectorIfjNS0_4plusIjEEEEZZNS1_33reduce_by_key_impl_wrapped_configILNS1_25lookback_scan_determinismE0ES3_S7_PKfNS0_17constant_iteratorIjlEEPfPlSF_S6_NS0_8equal_toIfEEEE10hipError_tPvRmT2_T3_mT4_T5_T6_T7_T8_P12ihipStream_tbENKUlT_T0_E_clISt17integral_constantIbLb1EESZ_EEDaSU_SV_EUlSU_E_NS1_11comp_targetILNS1_3genE8ELNS1_11target_archE1030ELNS1_3gpuE2ELNS1_3repE0EEENS1_30default_config_static_selectorELNS0_4arch9wavefront6targetE1EEEvT1_,"axG",@progbits,_ZN7rocprim17ROCPRIM_400000_NS6detail17trampoline_kernelINS0_14default_configENS1_33run_length_encode_config_selectorIfjNS0_4plusIjEEEEZZNS1_33reduce_by_key_impl_wrapped_configILNS1_25lookback_scan_determinismE0ES3_S7_PKfNS0_17constant_iteratorIjlEEPfPlSF_S6_NS0_8equal_toIfEEEE10hipError_tPvRmT2_T3_mT4_T5_T6_T7_T8_P12ihipStream_tbENKUlT_T0_E_clISt17integral_constantIbLb1EESZ_EEDaSU_SV_EUlSU_E_NS1_11comp_targetILNS1_3genE8ELNS1_11target_archE1030ELNS1_3gpuE2ELNS1_3repE0EEENS1_30default_config_static_selectorELNS0_4arch9wavefront6targetE1EEEvT1_,comdat
.Lfunc_end390:
	.size	_ZN7rocprim17ROCPRIM_400000_NS6detail17trampoline_kernelINS0_14default_configENS1_33run_length_encode_config_selectorIfjNS0_4plusIjEEEEZZNS1_33reduce_by_key_impl_wrapped_configILNS1_25lookback_scan_determinismE0ES3_S7_PKfNS0_17constant_iteratorIjlEEPfPlSF_S6_NS0_8equal_toIfEEEE10hipError_tPvRmT2_T3_mT4_T5_T6_T7_T8_P12ihipStream_tbENKUlT_T0_E_clISt17integral_constantIbLb1EESZ_EEDaSU_SV_EUlSU_E_NS1_11comp_targetILNS1_3genE8ELNS1_11target_archE1030ELNS1_3gpuE2ELNS1_3repE0EEENS1_30default_config_static_selectorELNS0_4arch9wavefront6targetE1EEEvT1_, .Lfunc_end390-_ZN7rocprim17ROCPRIM_400000_NS6detail17trampoline_kernelINS0_14default_configENS1_33run_length_encode_config_selectorIfjNS0_4plusIjEEEEZZNS1_33reduce_by_key_impl_wrapped_configILNS1_25lookback_scan_determinismE0ES3_S7_PKfNS0_17constant_iteratorIjlEEPfPlSF_S6_NS0_8equal_toIfEEEE10hipError_tPvRmT2_T3_mT4_T5_T6_T7_T8_P12ihipStream_tbENKUlT_T0_E_clISt17integral_constantIbLb1EESZ_EEDaSU_SV_EUlSU_E_NS1_11comp_targetILNS1_3genE8ELNS1_11target_archE1030ELNS1_3gpuE2ELNS1_3repE0EEENS1_30default_config_static_selectorELNS0_4arch9wavefront6targetE1EEEvT1_
                                        ; -- End function
	.section	.AMDGPU.csdata,"",@progbits
; Kernel info:
; codeLenInByte = 0
; NumSgprs: 6
; NumVgprs: 0
; NumAgprs: 0
; TotalNumVgprs: 0
; ScratchSize: 0
; MemoryBound: 0
; FloatMode: 240
; IeeeMode: 1
; LDSByteSize: 0 bytes/workgroup (compile time only)
; SGPRBlocks: 0
; VGPRBlocks: 0
; NumSGPRsForWavesPerEU: 6
; NumVGPRsForWavesPerEU: 1
; AccumOffset: 4
; Occupancy: 8
; WaveLimiterHint : 0
; COMPUTE_PGM_RSRC2:SCRATCH_EN: 0
; COMPUTE_PGM_RSRC2:USER_SGPR: 2
; COMPUTE_PGM_RSRC2:TRAP_HANDLER: 0
; COMPUTE_PGM_RSRC2:TGID_X_EN: 1
; COMPUTE_PGM_RSRC2:TGID_Y_EN: 0
; COMPUTE_PGM_RSRC2:TGID_Z_EN: 0
; COMPUTE_PGM_RSRC2:TIDIG_COMP_CNT: 0
; COMPUTE_PGM_RSRC3_GFX90A:ACCUM_OFFSET: 0
; COMPUTE_PGM_RSRC3_GFX90A:TG_SPLIT: 0
	.section	.text._ZN7rocprim17ROCPRIM_400000_NS6detail17trampoline_kernelINS0_14default_configENS1_33run_length_encode_config_selectorIfjNS0_4plusIjEEEEZZNS1_33reduce_by_key_impl_wrapped_configILNS1_25lookback_scan_determinismE0ES3_S7_PKfNS0_17constant_iteratorIjlEEPfPlSF_S6_NS0_8equal_toIfEEEE10hipError_tPvRmT2_T3_mT4_T5_T6_T7_T8_P12ihipStream_tbENKUlT_T0_E_clISt17integral_constantIbLb1EESY_IbLb0EEEEDaSU_SV_EUlSU_E_NS1_11comp_targetILNS1_3genE0ELNS1_11target_archE4294967295ELNS1_3gpuE0ELNS1_3repE0EEENS1_30default_config_static_selectorELNS0_4arch9wavefront6targetE1EEEvT1_,"axG",@progbits,_ZN7rocprim17ROCPRIM_400000_NS6detail17trampoline_kernelINS0_14default_configENS1_33run_length_encode_config_selectorIfjNS0_4plusIjEEEEZZNS1_33reduce_by_key_impl_wrapped_configILNS1_25lookback_scan_determinismE0ES3_S7_PKfNS0_17constant_iteratorIjlEEPfPlSF_S6_NS0_8equal_toIfEEEE10hipError_tPvRmT2_T3_mT4_T5_T6_T7_T8_P12ihipStream_tbENKUlT_T0_E_clISt17integral_constantIbLb1EESY_IbLb0EEEEDaSU_SV_EUlSU_E_NS1_11comp_targetILNS1_3genE0ELNS1_11target_archE4294967295ELNS1_3gpuE0ELNS1_3repE0EEENS1_30default_config_static_selectorELNS0_4arch9wavefront6targetE1EEEvT1_,comdat
	.protected	_ZN7rocprim17ROCPRIM_400000_NS6detail17trampoline_kernelINS0_14default_configENS1_33run_length_encode_config_selectorIfjNS0_4plusIjEEEEZZNS1_33reduce_by_key_impl_wrapped_configILNS1_25lookback_scan_determinismE0ES3_S7_PKfNS0_17constant_iteratorIjlEEPfPlSF_S6_NS0_8equal_toIfEEEE10hipError_tPvRmT2_T3_mT4_T5_T6_T7_T8_P12ihipStream_tbENKUlT_T0_E_clISt17integral_constantIbLb1EESY_IbLb0EEEEDaSU_SV_EUlSU_E_NS1_11comp_targetILNS1_3genE0ELNS1_11target_archE4294967295ELNS1_3gpuE0ELNS1_3repE0EEENS1_30default_config_static_selectorELNS0_4arch9wavefront6targetE1EEEvT1_ ; -- Begin function _ZN7rocprim17ROCPRIM_400000_NS6detail17trampoline_kernelINS0_14default_configENS1_33run_length_encode_config_selectorIfjNS0_4plusIjEEEEZZNS1_33reduce_by_key_impl_wrapped_configILNS1_25lookback_scan_determinismE0ES3_S7_PKfNS0_17constant_iteratorIjlEEPfPlSF_S6_NS0_8equal_toIfEEEE10hipError_tPvRmT2_T3_mT4_T5_T6_T7_T8_P12ihipStream_tbENKUlT_T0_E_clISt17integral_constantIbLb1EESY_IbLb0EEEEDaSU_SV_EUlSU_E_NS1_11comp_targetILNS1_3genE0ELNS1_11target_archE4294967295ELNS1_3gpuE0ELNS1_3repE0EEENS1_30default_config_static_selectorELNS0_4arch9wavefront6targetE1EEEvT1_
	.globl	_ZN7rocprim17ROCPRIM_400000_NS6detail17trampoline_kernelINS0_14default_configENS1_33run_length_encode_config_selectorIfjNS0_4plusIjEEEEZZNS1_33reduce_by_key_impl_wrapped_configILNS1_25lookback_scan_determinismE0ES3_S7_PKfNS0_17constant_iteratorIjlEEPfPlSF_S6_NS0_8equal_toIfEEEE10hipError_tPvRmT2_T3_mT4_T5_T6_T7_T8_P12ihipStream_tbENKUlT_T0_E_clISt17integral_constantIbLb1EESY_IbLb0EEEEDaSU_SV_EUlSU_E_NS1_11comp_targetILNS1_3genE0ELNS1_11target_archE4294967295ELNS1_3gpuE0ELNS1_3repE0EEENS1_30default_config_static_selectorELNS0_4arch9wavefront6targetE1EEEvT1_
	.p2align	8
	.type	_ZN7rocprim17ROCPRIM_400000_NS6detail17trampoline_kernelINS0_14default_configENS1_33run_length_encode_config_selectorIfjNS0_4plusIjEEEEZZNS1_33reduce_by_key_impl_wrapped_configILNS1_25lookback_scan_determinismE0ES3_S7_PKfNS0_17constant_iteratorIjlEEPfPlSF_S6_NS0_8equal_toIfEEEE10hipError_tPvRmT2_T3_mT4_T5_T6_T7_T8_P12ihipStream_tbENKUlT_T0_E_clISt17integral_constantIbLb1EESY_IbLb0EEEEDaSU_SV_EUlSU_E_NS1_11comp_targetILNS1_3genE0ELNS1_11target_archE4294967295ELNS1_3gpuE0ELNS1_3repE0EEENS1_30default_config_static_selectorELNS0_4arch9wavefront6targetE1EEEvT1_,@function
_ZN7rocprim17ROCPRIM_400000_NS6detail17trampoline_kernelINS0_14default_configENS1_33run_length_encode_config_selectorIfjNS0_4plusIjEEEEZZNS1_33reduce_by_key_impl_wrapped_configILNS1_25lookback_scan_determinismE0ES3_S7_PKfNS0_17constant_iteratorIjlEEPfPlSF_S6_NS0_8equal_toIfEEEE10hipError_tPvRmT2_T3_mT4_T5_T6_T7_T8_P12ihipStream_tbENKUlT_T0_E_clISt17integral_constantIbLb1EESY_IbLb0EEEEDaSU_SV_EUlSU_E_NS1_11comp_targetILNS1_3genE0ELNS1_11target_archE4294967295ELNS1_3gpuE0ELNS1_3repE0EEENS1_30default_config_static_selectorELNS0_4arch9wavefront6targetE1EEEvT1_: ; @_ZN7rocprim17ROCPRIM_400000_NS6detail17trampoline_kernelINS0_14default_configENS1_33run_length_encode_config_selectorIfjNS0_4plusIjEEEEZZNS1_33reduce_by_key_impl_wrapped_configILNS1_25lookback_scan_determinismE0ES3_S7_PKfNS0_17constant_iteratorIjlEEPfPlSF_S6_NS0_8equal_toIfEEEE10hipError_tPvRmT2_T3_mT4_T5_T6_T7_T8_P12ihipStream_tbENKUlT_T0_E_clISt17integral_constantIbLb1EESY_IbLb0EEEEDaSU_SV_EUlSU_E_NS1_11comp_targetILNS1_3genE0ELNS1_11target_archE4294967295ELNS1_3gpuE0ELNS1_3repE0EEENS1_30default_config_static_selectorELNS0_4arch9wavefront6targetE1EEEvT1_
; %bb.0:
	.section	.rodata,"a",@progbits
	.p2align	6, 0x0
	.amdhsa_kernel _ZN7rocprim17ROCPRIM_400000_NS6detail17trampoline_kernelINS0_14default_configENS1_33run_length_encode_config_selectorIfjNS0_4plusIjEEEEZZNS1_33reduce_by_key_impl_wrapped_configILNS1_25lookback_scan_determinismE0ES3_S7_PKfNS0_17constant_iteratorIjlEEPfPlSF_S6_NS0_8equal_toIfEEEE10hipError_tPvRmT2_T3_mT4_T5_T6_T7_T8_P12ihipStream_tbENKUlT_T0_E_clISt17integral_constantIbLb1EESY_IbLb0EEEEDaSU_SV_EUlSU_E_NS1_11comp_targetILNS1_3genE0ELNS1_11target_archE4294967295ELNS1_3gpuE0ELNS1_3repE0EEENS1_30default_config_static_selectorELNS0_4arch9wavefront6targetE1EEEvT1_
		.amdhsa_group_segment_fixed_size 0
		.amdhsa_private_segment_fixed_size 0
		.amdhsa_kernarg_size 128
		.amdhsa_user_sgpr_count 2
		.amdhsa_user_sgpr_dispatch_ptr 0
		.amdhsa_user_sgpr_queue_ptr 0
		.amdhsa_user_sgpr_kernarg_segment_ptr 1
		.amdhsa_user_sgpr_dispatch_id 0
		.amdhsa_user_sgpr_kernarg_preload_length 0
		.amdhsa_user_sgpr_kernarg_preload_offset 0
		.amdhsa_user_sgpr_private_segment_size 0
		.amdhsa_uses_dynamic_stack 0
		.amdhsa_enable_private_segment 0
		.amdhsa_system_sgpr_workgroup_id_x 1
		.amdhsa_system_sgpr_workgroup_id_y 0
		.amdhsa_system_sgpr_workgroup_id_z 0
		.amdhsa_system_sgpr_workgroup_info 0
		.amdhsa_system_vgpr_workitem_id 0
		.amdhsa_next_free_vgpr 1
		.amdhsa_next_free_sgpr 0
		.amdhsa_accum_offset 4
		.amdhsa_reserve_vcc 0
		.amdhsa_float_round_mode_32 0
		.amdhsa_float_round_mode_16_64 0
		.amdhsa_float_denorm_mode_32 3
		.amdhsa_float_denorm_mode_16_64 3
		.amdhsa_dx10_clamp 1
		.amdhsa_ieee_mode 1
		.amdhsa_fp16_overflow 0
		.amdhsa_tg_split 0
		.amdhsa_exception_fp_ieee_invalid_op 0
		.amdhsa_exception_fp_denorm_src 0
		.amdhsa_exception_fp_ieee_div_zero 0
		.amdhsa_exception_fp_ieee_overflow 0
		.amdhsa_exception_fp_ieee_underflow 0
		.amdhsa_exception_fp_ieee_inexact 0
		.amdhsa_exception_int_div_zero 0
	.end_amdhsa_kernel
	.section	.text._ZN7rocprim17ROCPRIM_400000_NS6detail17trampoline_kernelINS0_14default_configENS1_33run_length_encode_config_selectorIfjNS0_4plusIjEEEEZZNS1_33reduce_by_key_impl_wrapped_configILNS1_25lookback_scan_determinismE0ES3_S7_PKfNS0_17constant_iteratorIjlEEPfPlSF_S6_NS0_8equal_toIfEEEE10hipError_tPvRmT2_T3_mT4_T5_T6_T7_T8_P12ihipStream_tbENKUlT_T0_E_clISt17integral_constantIbLb1EESY_IbLb0EEEEDaSU_SV_EUlSU_E_NS1_11comp_targetILNS1_3genE0ELNS1_11target_archE4294967295ELNS1_3gpuE0ELNS1_3repE0EEENS1_30default_config_static_selectorELNS0_4arch9wavefront6targetE1EEEvT1_,"axG",@progbits,_ZN7rocprim17ROCPRIM_400000_NS6detail17trampoline_kernelINS0_14default_configENS1_33run_length_encode_config_selectorIfjNS0_4plusIjEEEEZZNS1_33reduce_by_key_impl_wrapped_configILNS1_25lookback_scan_determinismE0ES3_S7_PKfNS0_17constant_iteratorIjlEEPfPlSF_S6_NS0_8equal_toIfEEEE10hipError_tPvRmT2_T3_mT4_T5_T6_T7_T8_P12ihipStream_tbENKUlT_T0_E_clISt17integral_constantIbLb1EESY_IbLb0EEEEDaSU_SV_EUlSU_E_NS1_11comp_targetILNS1_3genE0ELNS1_11target_archE4294967295ELNS1_3gpuE0ELNS1_3repE0EEENS1_30default_config_static_selectorELNS0_4arch9wavefront6targetE1EEEvT1_,comdat
.Lfunc_end391:
	.size	_ZN7rocprim17ROCPRIM_400000_NS6detail17trampoline_kernelINS0_14default_configENS1_33run_length_encode_config_selectorIfjNS0_4plusIjEEEEZZNS1_33reduce_by_key_impl_wrapped_configILNS1_25lookback_scan_determinismE0ES3_S7_PKfNS0_17constant_iteratorIjlEEPfPlSF_S6_NS0_8equal_toIfEEEE10hipError_tPvRmT2_T3_mT4_T5_T6_T7_T8_P12ihipStream_tbENKUlT_T0_E_clISt17integral_constantIbLb1EESY_IbLb0EEEEDaSU_SV_EUlSU_E_NS1_11comp_targetILNS1_3genE0ELNS1_11target_archE4294967295ELNS1_3gpuE0ELNS1_3repE0EEENS1_30default_config_static_selectorELNS0_4arch9wavefront6targetE1EEEvT1_, .Lfunc_end391-_ZN7rocprim17ROCPRIM_400000_NS6detail17trampoline_kernelINS0_14default_configENS1_33run_length_encode_config_selectorIfjNS0_4plusIjEEEEZZNS1_33reduce_by_key_impl_wrapped_configILNS1_25lookback_scan_determinismE0ES3_S7_PKfNS0_17constant_iteratorIjlEEPfPlSF_S6_NS0_8equal_toIfEEEE10hipError_tPvRmT2_T3_mT4_T5_T6_T7_T8_P12ihipStream_tbENKUlT_T0_E_clISt17integral_constantIbLb1EESY_IbLb0EEEEDaSU_SV_EUlSU_E_NS1_11comp_targetILNS1_3genE0ELNS1_11target_archE4294967295ELNS1_3gpuE0ELNS1_3repE0EEENS1_30default_config_static_selectorELNS0_4arch9wavefront6targetE1EEEvT1_
                                        ; -- End function
	.section	.AMDGPU.csdata,"",@progbits
; Kernel info:
; codeLenInByte = 0
; NumSgprs: 6
; NumVgprs: 0
; NumAgprs: 0
; TotalNumVgprs: 0
; ScratchSize: 0
; MemoryBound: 0
; FloatMode: 240
; IeeeMode: 1
; LDSByteSize: 0 bytes/workgroup (compile time only)
; SGPRBlocks: 0
; VGPRBlocks: 0
; NumSGPRsForWavesPerEU: 6
; NumVGPRsForWavesPerEU: 1
; AccumOffset: 4
; Occupancy: 8
; WaveLimiterHint : 0
; COMPUTE_PGM_RSRC2:SCRATCH_EN: 0
; COMPUTE_PGM_RSRC2:USER_SGPR: 2
; COMPUTE_PGM_RSRC2:TRAP_HANDLER: 0
; COMPUTE_PGM_RSRC2:TGID_X_EN: 1
; COMPUTE_PGM_RSRC2:TGID_Y_EN: 0
; COMPUTE_PGM_RSRC2:TGID_Z_EN: 0
; COMPUTE_PGM_RSRC2:TIDIG_COMP_CNT: 0
; COMPUTE_PGM_RSRC3_GFX90A:ACCUM_OFFSET: 0
; COMPUTE_PGM_RSRC3_GFX90A:TG_SPLIT: 0
	.section	.text._ZN7rocprim17ROCPRIM_400000_NS6detail17trampoline_kernelINS0_14default_configENS1_33run_length_encode_config_selectorIfjNS0_4plusIjEEEEZZNS1_33reduce_by_key_impl_wrapped_configILNS1_25lookback_scan_determinismE0ES3_S7_PKfNS0_17constant_iteratorIjlEEPfPlSF_S6_NS0_8equal_toIfEEEE10hipError_tPvRmT2_T3_mT4_T5_T6_T7_T8_P12ihipStream_tbENKUlT_T0_E_clISt17integral_constantIbLb1EESY_IbLb0EEEEDaSU_SV_EUlSU_E_NS1_11comp_targetILNS1_3genE5ELNS1_11target_archE942ELNS1_3gpuE9ELNS1_3repE0EEENS1_30default_config_static_selectorELNS0_4arch9wavefront6targetE1EEEvT1_,"axG",@progbits,_ZN7rocprim17ROCPRIM_400000_NS6detail17trampoline_kernelINS0_14default_configENS1_33run_length_encode_config_selectorIfjNS0_4plusIjEEEEZZNS1_33reduce_by_key_impl_wrapped_configILNS1_25lookback_scan_determinismE0ES3_S7_PKfNS0_17constant_iteratorIjlEEPfPlSF_S6_NS0_8equal_toIfEEEE10hipError_tPvRmT2_T3_mT4_T5_T6_T7_T8_P12ihipStream_tbENKUlT_T0_E_clISt17integral_constantIbLb1EESY_IbLb0EEEEDaSU_SV_EUlSU_E_NS1_11comp_targetILNS1_3genE5ELNS1_11target_archE942ELNS1_3gpuE9ELNS1_3repE0EEENS1_30default_config_static_selectorELNS0_4arch9wavefront6targetE1EEEvT1_,comdat
	.protected	_ZN7rocprim17ROCPRIM_400000_NS6detail17trampoline_kernelINS0_14default_configENS1_33run_length_encode_config_selectorIfjNS0_4plusIjEEEEZZNS1_33reduce_by_key_impl_wrapped_configILNS1_25lookback_scan_determinismE0ES3_S7_PKfNS0_17constant_iteratorIjlEEPfPlSF_S6_NS0_8equal_toIfEEEE10hipError_tPvRmT2_T3_mT4_T5_T6_T7_T8_P12ihipStream_tbENKUlT_T0_E_clISt17integral_constantIbLb1EESY_IbLb0EEEEDaSU_SV_EUlSU_E_NS1_11comp_targetILNS1_3genE5ELNS1_11target_archE942ELNS1_3gpuE9ELNS1_3repE0EEENS1_30default_config_static_selectorELNS0_4arch9wavefront6targetE1EEEvT1_ ; -- Begin function _ZN7rocprim17ROCPRIM_400000_NS6detail17trampoline_kernelINS0_14default_configENS1_33run_length_encode_config_selectorIfjNS0_4plusIjEEEEZZNS1_33reduce_by_key_impl_wrapped_configILNS1_25lookback_scan_determinismE0ES3_S7_PKfNS0_17constant_iteratorIjlEEPfPlSF_S6_NS0_8equal_toIfEEEE10hipError_tPvRmT2_T3_mT4_T5_T6_T7_T8_P12ihipStream_tbENKUlT_T0_E_clISt17integral_constantIbLb1EESY_IbLb0EEEEDaSU_SV_EUlSU_E_NS1_11comp_targetILNS1_3genE5ELNS1_11target_archE942ELNS1_3gpuE9ELNS1_3repE0EEENS1_30default_config_static_selectorELNS0_4arch9wavefront6targetE1EEEvT1_
	.globl	_ZN7rocprim17ROCPRIM_400000_NS6detail17trampoline_kernelINS0_14default_configENS1_33run_length_encode_config_selectorIfjNS0_4plusIjEEEEZZNS1_33reduce_by_key_impl_wrapped_configILNS1_25lookback_scan_determinismE0ES3_S7_PKfNS0_17constant_iteratorIjlEEPfPlSF_S6_NS0_8equal_toIfEEEE10hipError_tPvRmT2_T3_mT4_T5_T6_T7_T8_P12ihipStream_tbENKUlT_T0_E_clISt17integral_constantIbLb1EESY_IbLb0EEEEDaSU_SV_EUlSU_E_NS1_11comp_targetILNS1_3genE5ELNS1_11target_archE942ELNS1_3gpuE9ELNS1_3repE0EEENS1_30default_config_static_selectorELNS0_4arch9wavefront6targetE1EEEvT1_
	.p2align	8
	.type	_ZN7rocprim17ROCPRIM_400000_NS6detail17trampoline_kernelINS0_14default_configENS1_33run_length_encode_config_selectorIfjNS0_4plusIjEEEEZZNS1_33reduce_by_key_impl_wrapped_configILNS1_25lookback_scan_determinismE0ES3_S7_PKfNS0_17constant_iteratorIjlEEPfPlSF_S6_NS0_8equal_toIfEEEE10hipError_tPvRmT2_T3_mT4_T5_T6_T7_T8_P12ihipStream_tbENKUlT_T0_E_clISt17integral_constantIbLb1EESY_IbLb0EEEEDaSU_SV_EUlSU_E_NS1_11comp_targetILNS1_3genE5ELNS1_11target_archE942ELNS1_3gpuE9ELNS1_3repE0EEENS1_30default_config_static_selectorELNS0_4arch9wavefront6targetE1EEEvT1_,@function
_ZN7rocprim17ROCPRIM_400000_NS6detail17trampoline_kernelINS0_14default_configENS1_33run_length_encode_config_selectorIfjNS0_4plusIjEEEEZZNS1_33reduce_by_key_impl_wrapped_configILNS1_25lookback_scan_determinismE0ES3_S7_PKfNS0_17constant_iteratorIjlEEPfPlSF_S6_NS0_8equal_toIfEEEE10hipError_tPvRmT2_T3_mT4_T5_T6_T7_T8_P12ihipStream_tbENKUlT_T0_E_clISt17integral_constantIbLb1EESY_IbLb0EEEEDaSU_SV_EUlSU_E_NS1_11comp_targetILNS1_3genE5ELNS1_11target_archE942ELNS1_3gpuE9ELNS1_3repE0EEENS1_30default_config_static_selectorELNS0_4arch9wavefront6targetE1EEEvT1_: ; @_ZN7rocprim17ROCPRIM_400000_NS6detail17trampoline_kernelINS0_14default_configENS1_33run_length_encode_config_selectorIfjNS0_4plusIjEEEEZZNS1_33reduce_by_key_impl_wrapped_configILNS1_25lookback_scan_determinismE0ES3_S7_PKfNS0_17constant_iteratorIjlEEPfPlSF_S6_NS0_8equal_toIfEEEE10hipError_tPvRmT2_T3_mT4_T5_T6_T7_T8_P12ihipStream_tbENKUlT_T0_E_clISt17integral_constantIbLb1EESY_IbLb0EEEEDaSU_SV_EUlSU_E_NS1_11comp_targetILNS1_3genE5ELNS1_11target_archE942ELNS1_3gpuE9ELNS1_3repE0EEENS1_30default_config_static_selectorELNS0_4arch9wavefront6targetE1EEEvT1_
; %bb.0:
	s_load_dwordx8 s[36:43], s[0:1], 0x40
	s_load_dwordx4 s[4:7], s[0:1], 0x0
	s_load_dword s3, s[0:1], 0x10
	s_load_dwordx4 s[44:47], s[0:1], 0x60
	s_mov_b64 s[12:13], -1
	s_waitcnt lgkmcnt(0)
	s_mul_i32 s8, s40, s39
	s_mul_hi_u32 s9, s40, s38
	s_add_i32 s8, s9, s8
	s_mul_i32 s9, s41, s38
	s_add_i32 s8, s8, s9
	s_lshl_b64 s[6:7], s[6:7], 2
	s_add_u32 s6, s4, s6
	s_addc_u32 s7, s5, s7
	s_mul_i32 s4, s2, 0x1e00
	s_mov_b32 s5, 0
	s_lshl_b64 s[4:5], s[4:5], 2
	s_add_u32 s4, s6, s4
	s_mul_i32 s9, s40, s38
	s_addc_u32 s5, s7, s5
	s_add_u32 s6, s9, s2
	s_addc_u32 s7, s8, 0
	s_add_u32 s8, s42, -1
	s_addc_u32 s9, s43, -1
	s_cmp_eq_u64 s[6:7], s[8:9]
	s_cselect_b64 s[34:35], -1, 0
	s_cmp_lg_u64 s[6:7], s[8:9]
	s_cselect_b64 s[10:11], -1, 0
	s_mul_i32 s33, s8, 0xffffe200
	s_and_b64 vcc, exec, s[34:35]
	s_cbranch_vccnz .LBB392_2
; %bb.1:
	v_lshlrev_b32_e32 v2, 2, v0
	v_mov_b32_e32 v3, 0
	v_lshl_add_u64 v[4:5], s[4:5], 0, v[2:3]
	v_add_co_u32_e32 v6, vcc, 0x1000, v4
	global_load_dword v1, v2, s[4:5]
	global_load_dword v3, v2, s[4:5] offset:2048
	v_addc_co_u32_e32 v7, vcc, 0, v5, vcc
	v_add_co_u32_e32 v8, vcc, 0x2000, v4
	s_nop 1
	v_addc_co_u32_e32 v9, vcc, 0, v5, vcc
	v_add_co_u32_e32 v10, vcc, 0x3000, v4
	s_mov_b64 s[8:9], -1
	s_nop 0
	v_addc_co_u32_e32 v11, vcc, 0, v5, vcc
	v_add_co_u32_e32 v12, vcc, 0x4000, v4
	s_nop 1
	v_addc_co_u32_e32 v13, vcc, 0, v5, vcc
	global_load_dword v14, v[6:7], off
	global_load_dword v15, v[6:7], off offset:2048
	global_load_dword v16, v[8:9], off
	global_load_dword v17, v[8:9], off offset:2048
	;; [unrolled: 2-line block ×4, first 2 shown]
	v_add_co_u32_e32 v6, vcc, 0x5000, v4
	s_nop 1
	v_addc_co_u32_e32 v7, vcc, 0, v5, vcc
	v_add_co_u32_e32 v8, vcc, 0x6000, v4
	s_nop 1
	v_addc_co_u32_e32 v9, vcc, 0, v5, vcc
	global_load_dword v10, v[6:7], off
	global_load_dword v11, v[6:7], off offset:2048
	global_load_dword v12, v[8:9], off
	global_load_dword v13, v[8:9], off offset:2048
	v_add_co_u32_e32 v4, vcc, 0x7000, v4
	s_nop 1
	v_addc_co_u32_e32 v5, vcc, 0, v5, vcc
	global_load_dword v4, v[4:5], off
	v_mad_u32_u24 v5, v0, 56, v2
	s_waitcnt vmcnt(13)
	ds_write2st64_b32 v2, v1, v3 offset1:8
	s_waitcnt vmcnt(11)
	ds_write2st64_b32 v2, v14, v15 offset0:16 offset1:24
	s_waitcnt vmcnt(9)
	ds_write2st64_b32 v2, v16, v17 offset0:32 offset1:40
	;; [unrolled: 2-line block ×6, first 2 shown]
	s_waitcnt vmcnt(0)
	ds_write_b32 v2, v4 offset:28672
	s_waitcnt lgkmcnt(0)
	s_barrier
	ds_read2_b32 v[20:21], v5 offset1:1
	ds_read2_b32 v[18:19], v5 offset0:2 offset1:3
	ds_read2_b32 v[16:17], v5 offset0:4 offset1:5
	;; [unrolled: 1-line block ×6, first 2 shown]
	ds_read_b32 v1, v5 offset:56
	s_waitcnt lgkmcnt(7)
	v_mov_b32_e32 v22, v20
	s_waitcnt lgkmcnt(6)
	v_mov_b32_e32 v23, v18
	;; [unrolled: 2-line block ×7, first 2 shown]
	s_add_i32 s33, s33, s44
	s_cbranch_execz .LBB392_3
	s_branch .LBB392_34
.LBB392_2:
	s_mov_b64 s[8:9], 0
                                        ; implicit-def: $vgpr1
                                        ; implicit-def: $vgpr8
                                        ; implicit-def: $vgpr10
                                        ; implicit-def: $vgpr12
                                        ; implicit-def: $vgpr14
                                        ; implicit-def: $vgpr16
                                        ; implicit-def: $vgpr18
                                        ; implicit-def: $vgpr20
                                        ; implicit-def: $vgpr2_vgpr3
                                        ; implicit-def: $vgpr4_vgpr5
                                        ; implicit-def: $vgpr22_vgpr23
                                        ; implicit-def: $vgpr6_vgpr7
	s_add_i32 s33, s33, s44
	s_andn2_b64 vcc, exec, s[12:13]
	s_cbranch_vccnz .LBB392_34
.LBB392_3:
	v_cmp_gt_u32_e32 vcc, s33, v0
                                        ; implicit-def: $vgpr1
	s_and_saveexec_b64 s[8:9], vcc
	s_cbranch_execz .LBB392_5
; %bb.4:
	s_waitcnt lgkmcnt(0)
	v_lshlrev_b32_e32 v1, 2, v0
	global_load_dword v1, v1, s[4:5]
.LBB392_5:
	s_or_b64 exec, exec, s[8:9]
	v_or_b32_e32 v2, 0x200, v0
	v_cmp_gt_u32_e32 vcc, s33, v2
                                        ; implicit-def: $vgpr2
	s_and_saveexec_b64 s[8:9], vcc
	s_cbranch_execz .LBB392_7
; %bb.6:
	v_lshlrev_b32_e32 v2, 2, v0
	global_load_dword v2, v2, s[4:5] offset:2048
.LBB392_7:
	s_or_b64 exec, exec, s[8:9]
	v_or_b32_e32 v4, 0x400, v0
	v_cmp_gt_u32_e32 vcc, s33, v4
                                        ; implicit-def: $vgpr3
	s_and_saveexec_b64 s[8:9], vcc
	s_cbranch_execz .LBB392_9
; %bb.8:
	v_lshlrev_b32_e32 v3, 2, v4
	global_load_dword v3, v3, s[4:5]
.LBB392_9:
	s_or_b64 exec, exec, s[8:9]
	v_or_b32_e32 v5, 0x600, v0
	v_cmp_gt_u32_e32 vcc, s33, v5
                                        ; implicit-def: $vgpr4
	s_and_saveexec_b64 s[8:9], vcc
	s_cbranch_execz .LBB392_11
; %bb.10:
	v_lshlrev_b32_e32 v4, 2, v5
	global_load_dword v4, v4, s[4:5]
.LBB392_11:
	s_or_b64 exec, exec, s[8:9]
	v_or_b32_e32 v6, 0x800, v0
	v_cmp_gt_u32_e32 vcc, s33, v6
                                        ; implicit-def: $vgpr5
	s_and_saveexec_b64 s[8:9], vcc
	s_cbranch_execz .LBB392_13
; %bb.12:
	v_lshlrev_b32_e32 v5, 2, v6
	global_load_dword v5, v5, s[4:5]
.LBB392_13:
	s_or_b64 exec, exec, s[8:9]
	v_or_b32_e32 v7, 0xa00, v0
	v_cmp_gt_u32_e32 vcc, s33, v7
                                        ; implicit-def: $vgpr6
	s_and_saveexec_b64 s[8:9], vcc
	s_cbranch_execz .LBB392_15
; %bb.14:
	v_lshlrev_b32_e32 v6, 2, v7
	global_load_dword v6, v6, s[4:5]
.LBB392_15:
	s_or_b64 exec, exec, s[8:9]
	v_or_b32_e32 v8, 0xc00, v0
	v_cmp_gt_u32_e32 vcc, s33, v8
                                        ; implicit-def: $vgpr7
	s_and_saveexec_b64 s[8:9], vcc
	s_cbranch_execz .LBB392_17
; %bb.16:
	v_lshlrev_b32_e32 v7, 2, v8
	global_load_dword v7, v7, s[4:5]
.LBB392_17:
	s_or_b64 exec, exec, s[8:9]
	v_or_b32_e32 v9, 0xe00, v0
	v_cmp_gt_u32_e32 vcc, s33, v9
                                        ; implicit-def: $vgpr8
	s_and_saveexec_b64 s[8:9], vcc
	s_cbranch_execz .LBB392_19
; %bb.18:
	v_lshlrev_b32_e32 v8, 2, v9
	global_load_dword v8, v8, s[4:5]
.LBB392_19:
	s_or_b64 exec, exec, s[8:9]
	v_or_b32_e32 v10, 0x1000, v0
	v_cmp_gt_u32_e32 vcc, s33, v10
                                        ; implicit-def: $vgpr9
	s_and_saveexec_b64 s[8:9], vcc
	s_cbranch_execz .LBB392_21
; %bb.20:
	v_lshlrev_b32_e32 v9, 2, v10
	global_load_dword v9, v9, s[4:5]
.LBB392_21:
	s_or_b64 exec, exec, s[8:9]
	v_or_b32_e32 v11, 0x1200, v0
	v_cmp_gt_u32_e32 vcc, s33, v11
                                        ; implicit-def: $vgpr10
	s_and_saveexec_b64 s[8:9], vcc
	s_cbranch_execz .LBB392_23
; %bb.22:
	v_lshlrev_b32_e32 v10, 2, v11
	global_load_dword v10, v10, s[4:5]
.LBB392_23:
	s_or_b64 exec, exec, s[8:9]
	v_or_b32_e32 v12, 0x1400, v0
	v_cmp_gt_u32_e32 vcc, s33, v12
                                        ; implicit-def: $vgpr11
	s_and_saveexec_b64 s[8:9], vcc
	s_cbranch_execz .LBB392_25
; %bb.24:
	v_lshlrev_b32_e32 v11, 2, v12
	global_load_dword v11, v11, s[4:5]
.LBB392_25:
	s_or_b64 exec, exec, s[8:9]
	v_or_b32_e32 v13, 0x1600, v0
	v_cmp_gt_u32_e32 vcc, s33, v13
                                        ; implicit-def: $vgpr12
	s_and_saveexec_b64 s[8:9], vcc
	s_cbranch_execz .LBB392_27
; %bb.26:
	v_lshlrev_b32_e32 v12, 2, v13
	global_load_dword v12, v12, s[4:5]
.LBB392_27:
	s_or_b64 exec, exec, s[8:9]
	v_or_b32_e32 v14, 0x1800, v0
	v_cmp_gt_u32_e32 vcc, s33, v14
                                        ; implicit-def: $vgpr13
	s_and_saveexec_b64 s[8:9], vcc
	s_cbranch_execz .LBB392_29
; %bb.28:
	v_lshlrev_b32_e32 v13, 2, v14
	global_load_dword v13, v13, s[4:5]
.LBB392_29:
	s_or_b64 exec, exec, s[8:9]
	v_or_b32_e32 v15, 0x1a00, v0
	v_cmp_gt_u32_e32 vcc, s33, v15
                                        ; implicit-def: $vgpr14
	s_and_saveexec_b64 s[8:9], vcc
	s_cbranch_execz .LBB392_31
; %bb.30:
	v_lshlrev_b32_e32 v14, 2, v15
	global_load_dword v14, v14, s[4:5]
.LBB392_31:
	s_or_b64 exec, exec, s[8:9]
	v_or_b32_e32 v16, 0x1c00, v0
	v_cmp_gt_u32_e32 vcc, s33, v16
                                        ; implicit-def: $vgpr15
	s_and_saveexec_b64 s[8:9], vcc
	s_cbranch_execz .LBB392_33
; %bb.32:
	v_lshlrev_b32_e32 v15, 2, v16
	global_load_dword v15, v15, s[4:5]
.LBB392_33:
	s_or_b64 exec, exec, s[8:9]
	v_lshlrev_b32_e32 v16, 2, v0
	s_waitcnt vmcnt(0) lgkmcnt(0)
	ds_write2st64_b32 v16, v1, v2 offset1:8
	ds_write2st64_b32 v16, v3, v4 offset0:16 offset1:24
	ds_write2st64_b32 v16, v5, v6 offset0:32 offset1:40
	;; [unrolled: 1-line block ×6, first 2 shown]
	ds_write_b32 v16, v15 offset:28672
	v_mad_u32_u24 v1, v0, 56, v16
	s_waitcnt lgkmcnt(0)
	s_barrier
	ds_read2_b32 v[20:21], v1 offset1:1
	ds_read2_b32 v[18:19], v1 offset0:2 offset1:3
	ds_read2_b32 v[16:17], v1 offset0:4 offset1:5
	;; [unrolled: 1-line block ×6, first 2 shown]
	ds_read_b32 v1, v1 offset:56
	v_mad_u32_u24 v2, v0, 15, 14
	v_cmp_gt_u32_e64 s[8:9], s33, v2
	s_waitcnt lgkmcnt(7)
	v_mov_b32_e32 v22, v20
	s_waitcnt lgkmcnt(6)
	v_mov_b32_e32 v23, v18
	;; [unrolled: 2-line block ×7, first 2 shown]
.LBB392_34:
	v_mov_b32_e32 v52, s3
                                        ; implicit-def: $vgpr53
	s_and_saveexec_b64 s[12:13], s[8:9]
; %bb.35:
	v_mov_b32_e32 v53, s3
; %bb.36:
	s_or_b64 exec, exec, s[12:13]
	s_load_dwordx2 s[50:51], s[0:1], 0x70
	s_cmp_eq_u64 s[6:7], 0
	s_cselect_b64 s[48:49], -1, 0
	s_cmp_lg_u64 s[6:7], 0
	s_mov_b64 s[8:9], 0
	s_cselect_b64 s[12:13], -1, 0
	s_and_b64 vcc, exec, s[10:11]
	s_waitcnt lgkmcnt(0)
	s_barrier
	s_cbranch_vccz .LBB392_42
; %bb.37:
	s_and_b64 vcc, exec, s[12:13]
	s_cbranch_vccz .LBB392_43
; %bb.38:
	s_add_u32 s8, s4, -4
	s_addc_u32 s9, s5, -1
	s_load_dword s3, s[8:9], 0x0
	v_lshlrev_b32_e32 v24, 2, v0
	v_cmp_ne_u32_e32 vcc, 0, v0
	ds_write_b32 v24, v1
	s_waitcnt lgkmcnt(0)
	v_mov_b32_e32 v7, s3
	s_barrier
	s_and_saveexec_b64 s[8:9], vcc
	s_cbranch_execz .LBB392_40
; %bb.39:
	v_add_u32_e32 v7, -4, v24
	ds_read_b32 v7, v7
.LBB392_40:
	s_or_b64 exec, exec, s[8:9]
	v_cmp_neq_f32_e32 vcc, v22, v21
	s_waitcnt lgkmcnt(0)
	v_cmp_neq_f32_e64 s[10:11], v7, v20
	v_cndmask_b32_e64 v69, 0, 1, vcc
	v_cmp_neq_f32_e32 vcc, v23, v21
	s_mov_b64 s[8:9], -1
	s_nop 0
	v_cndmask_b32_e64 v68, 0, 1, vcc
	v_cmp_neq_f32_e32 vcc, v23, v19
	s_nop 1
	v_cndmask_b32_e64 v67, 0, 1, vcc
	v_cmp_neq_f32_e32 vcc, v4, v19
	;; [unrolled: 3-line block ×12, first 2 shown]
	s_nop 1
	v_cndmask_b32_e64 v56, 0, 1, vcc
.LBB392_41:
                                        ; implicit-def: $sgpr3
	s_branch .LBB392_55
.LBB392_42:
                                        ; implicit-def: $sgpr10_sgpr11
                                        ; implicit-def: $vgpr56
                                        ; implicit-def: $vgpr57
                                        ; implicit-def: $vgpr58
                                        ; implicit-def: $vgpr59
                                        ; implicit-def: $vgpr60
                                        ; implicit-def: $vgpr61
                                        ; implicit-def: $vgpr62
                                        ; implicit-def: $vgpr63
                                        ; implicit-def: $vgpr64
                                        ; implicit-def: $vgpr65
                                        ; implicit-def: $vgpr66
                                        ; implicit-def: $vgpr67
                                        ; implicit-def: $vgpr68
                                        ; implicit-def: $vgpr69
                                        ; implicit-def: $sgpr3
	s_cbranch_execnz .LBB392_47
	s_branch .LBB392_55
.LBB392_43:
                                        ; implicit-def: $sgpr10_sgpr11
                                        ; implicit-def: $vgpr56
                                        ; implicit-def: $vgpr57
                                        ; implicit-def: $vgpr58
                                        ; implicit-def: $vgpr59
                                        ; implicit-def: $vgpr60
                                        ; implicit-def: $vgpr61
                                        ; implicit-def: $vgpr62
                                        ; implicit-def: $vgpr63
                                        ; implicit-def: $vgpr64
                                        ; implicit-def: $vgpr65
                                        ; implicit-def: $vgpr66
                                        ; implicit-def: $vgpr67
                                        ; implicit-def: $vgpr68
                                        ; implicit-def: $vgpr69
	s_cbranch_execz .LBB392_41
; %bb.44:
	v_cmp_neq_f32_e32 vcc, v21, v22
	v_lshlrev_b32_e32 v7, 2, v0
	ds_write_b32 v7, v1
	v_cndmask_b32_e64 v69, 0, 1, vcc
	v_cmp_neq_f32_e32 vcc, v21, v23
	s_waitcnt lgkmcnt(0)
	s_barrier
	v_cndmask_b32_e64 v68, 0, 1, vcc
	v_cmp_neq_f32_e32 vcc, v23, v19
	s_waitcnt lgkmcnt(0)
                                        ; implicit-def: $sgpr10_sgpr11
	s_nop 0
	v_cndmask_b32_e64 v67, 0, 1, vcc
	v_cmp_neq_f32_e32 vcc, v4, v19
	s_nop 1
	v_cndmask_b32_e64 v66, 0, 1, vcc
	v_cmp_neq_f32_e32 vcc, v17, v4
	;; [unrolled: 3-line block ×11, first 2 shown]
	s_nop 1
	v_cndmask_b32_e64 v56, 0, 1, vcc
	v_cmp_ne_u32_e32 vcc, 0, v0
	s_and_saveexec_b64 s[14:15], vcc
	s_xor_b64 s[14:15], exec, s[14:15]
	s_cbranch_execz .LBB392_46
; %bb.45:
	v_add_u32_e32 v2, -4, v7
	ds_read_b32 v2, v2
	s_or_b64 s[8:9], s[8:9], exec
	s_waitcnt lgkmcnt(0)
	v_cmp_neq_f32_e32 vcc, v2, v20
	s_and_b64 s[10:11], vcc, exec
.LBB392_46:
	s_or_b64 exec, exec, s[14:15]
	s_mov_b32 s3, 1
	s_branch .LBB392_55
.LBB392_47:
	s_mul_i32 s3, s7, 0xffffe200
	s_mul_hi_u32 s7, s6, 0xffffe200
	s_sub_i32 s7, s7, s6
	s_add_i32 s7, s7, s3
	s_mul_i32 s3, s6, 0xffffe200
	s_add_u32 s6, s3, s44
	s_addc_u32 s7, s7, s45
	s_and_b64 vcc, exec, s[12:13]
	s_cbranch_vccz .LBB392_52
; %bb.48:
	s_add_u32 s4, s4, -4
	s_addc_u32 s5, s5, -1
	v_mad_u32_u24 v4, v0, 15, 14
	v_mov_b32_e32 v5, 0
	s_load_dword s3, s[4:5], 0x0
	v_cmp_gt_u64_e32 vcc, s[6:7], v[4:5]
	v_cmp_neq_f32_e64 s[4:5], v9, v1
	v_mad_u32_u24 v4, v0, 15, 13
	s_and_b64 s[8:9], vcc, s[4:5]
	v_cmp_gt_u64_e32 vcc, s[6:7], v[4:5]
	v_cmp_neq_f32_e64 s[4:5], v8, v9
	v_mad_u32_u24 v4, v0, 15, 12
	s_and_b64 s[10:11], vcc, s[4:5]
	;; [unrolled: 4-line block ×13, first 2 shown]
	v_cmp_gt_u64_e32 vcc, s[6:7], v[4:5]
	v_cmp_neq_f32_e64 s[4:5], v20, v21
	v_lshlrev_b32_e32 v3, 2, v0
	v_mul_u32_u24_e32 v2, 15, v0
	s_and_b64 s[4:5], vcc, s[4:5]
	v_cmp_ne_u32_e32 vcc, 0, v0
	s_waitcnt lgkmcnt(0)
	v_mov_b32_e32 v4, s3
	ds_write_b32 v3, v1
	s_waitcnt lgkmcnt(0)
	s_barrier
	s_and_saveexec_b64 s[42:43], vcc
	s_cbranch_execz .LBB392_50
; %bb.49:
	v_add_u32_e32 v3, -4, v3
	ds_read_b32 v4, v3
.LBB392_50:
	s_or_b64 exec, exec, s[42:43]
	v_mov_b32_e32 v3, v5
	v_cndmask_b32_e64 v69, 0, 1, s[4:5]
	v_cmp_gt_u64_e32 vcc, s[6:7], v[2:3]
	s_waitcnt lgkmcnt(0)
	v_cmp_neq_f32_e64 s[4:5], v4, v20
	v_cndmask_b32_e64 v56, 0, 1, s[8:9]
	v_cndmask_b32_e64 v57, 0, 1, s[10:11]
	;; [unrolled: 1-line block ×13, first 2 shown]
	s_and_b64 s[10:11], vcc, s[4:5]
	s_mov_b64 s[8:9], -1
.LBB392_51:
                                        ; implicit-def: $sgpr3
	v_mov_b32_e32 v70, s3
	s_and_saveexec_b64 s[4:5], s[8:9]
	s_cbranch_execnz .LBB392_56
	s_branch .LBB392_57
.LBB392_52:
                                        ; implicit-def: $sgpr10_sgpr11
                                        ; implicit-def: $vgpr56
                                        ; implicit-def: $vgpr57
                                        ; implicit-def: $vgpr58
                                        ; implicit-def: $vgpr59
                                        ; implicit-def: $vgpr60
                                        ; implicit-def: $vgpr61
                                        ; implicit-def: $vgpr62
                                        ; implicit-def: $vgpr63
                                        ; implicit-def: $vgpr64
                                        ; implicit-def: $vgpr65
                                        ; implicit-def: $vgpr66
                                        ; implicit-def: $vgpr67
                                        ; implicit-def: $vgpr68
                                        ; implicit-def: $vgpr69
	s_cbranch_execz .LBB392_51
; %bb.53:
	v_mad_u32_u24 v2, v0, 15, 14
	v_mov_b32_e32 v3, 0
	v_cmp_gt_u64_e32 vcc, s[6:7], v[2:3]
	v_cmp_neq_f32_e64 s[4:5], v9, v1
	s_and_b64 s[4:5], vcc, s[4:5]
	v_mad_u32_u24 v2, v0, 15, 13
	v_cndmask_b32_e64 v56, 0, 1, s[4:5]
	v_cmp_gt_u64_e32 vcc, s[6:7], v[2:3]
	v_cmp_neq_f32_e64 s[4:5], v8, v9
	s_and_b64 s[4:5], vcc, s[4:5]
	v_mad_u32_u24 v2, v0, 15, 12
	v_cndmask_b32_e64 v57, 0, 1, s[4:5]
	;; [unrolled: 5-line block ×13, first 2 shown]
	v_cmp_gt_u64_e32 vcc, s[6:7], v[2:3]
	v_cmp_neq_f32_e64 s[4:5], v20, v21
	s_and_b64 s[4:5], vcc, s[4:5]
	v_lshlrev_b32_e32 v4, 2, v0
	s_mov_b32 s3, 1
	v_cndmask_b32_e64 v69, 0, 1, s[4:5]
	v_cmp_ne_u32_e32 vcc, 0, v0
	ds_write_b32 v4, v1
	s_waitcnt lgkmcnt(0)
	s_barrier
	s_waitcnt lgkmcnt(0)
                                        ; implicit-def: $sgpr10_sgpr11
	s_and_saveexec_b64 s[12:13], vcc
	s_cbranch_execz .LBB392_150
; %bb.54:
	v_add_u32_e32 v2, -4, v4
	ds_read_b32 v4, v2
	v_mul_u32_u24_e32 v2, 15, v0
	v_cmp_gt_u64_e32 vcc, s[6:7], v[2:3]
	s_or_b64 s[8:9], s[8:9], exec
	s_waitcnt lgkmcnt(0)
	v_cmp_neq_f32_e64 s[4:5], v4, v20
	s_and_b64 s[4:5], vcc, s[4:5]
	s_and_b64 s[10:11], s[4:5], exec
	s_or_b64 exec, exec, s[12:13]
.LBB392_55:
	v_mov_b32_e32 v70, s3
	s_and_saveexec_b64 s[4:5], s[8:9]
.LBB392_56:
	v_cndmask_b32_e64 v70, 0, 1, s[10:11]
.LBB392_57:
	s_or_b64 exec, exec, s[4:5]
	s_load_dwordx4 s[40:43], s[0:1], 0x20
	s_load_dwordx2 s[44:45], s[0:1], 0x30
	s_cmp_eq_u64 s[38:39], 0
	v_add3_u32 v2, v69, v70, v68
	s_cselect_b64 s[38:39], -1, 0
	s_cmp_lg_u32 s2, 0
	v_cmp_eq_u32_e64 s[24:25], 0, v69
	v_cmp_eq_u32_e64 s[22:23], 0, v68
	;; [unrolled: 1-line block ×3, first 2 shown]
	v_add3_u32 v72, v2, v67, v66
	v_cmp_eq_u32_e64 s[18:19], 0, v66
	v_cmp_eq_u32_e64 s[16:17], 0, v65
	;; [unrolled: 1-line block ×10, first 2 shown]
	v_cmp_eq_u32_e32 vcc, 0, v56
	v_mbcnt_lo_u32_b32 v71, -1, 0
	v_lshrrev_b32_e32 v54, 6, v0
	v_or_b32_e32 v55, 63, v0
	s_cbranch_scc0 .LBB392_88
; %bb.58:
	v_cndmask_b32_e64 v2, 0, v52, s[24:25]
	v_add_u32_e32 v2, v2, v52
	v_cndmask_b32_e64 v2, 0, v2, s[22:23]
	v_add_u32_e32 v2, v2, v52
	;; [unrolled: 2-line block ×11, first 2 shown]
	v_cndmask_b32_e64 v2, 0, v2, s[28:29]
	v_add3_u32 v3, v72, v65, v64
	v_add_u32_e32 v2, v2, v52
	v_add3_u32 v3, v3, v63, v62
	v_cndmask_b32_e64 v2, 0, v2, s[0:1]
	v_add3_u32 v3, v3, v61, v60
	v_add_u32_e32 v2, v2, v52
	v_add3_u32 v3, v3, v59, v58
	v_cndmask_b32_e32 v2, 0, v2, vcc
	v_add3_u32 v3, v3, v57, v56
	v_add_u32_e32 v2, v2, v53
	v_mbcnt_hi_u32_b32 v25, -1, v71
	v_and_b32_e32 v4, 15, v25
	v_mov_b32_dpp v6, v2 row_shr:1 row_mask:0xf bank_mask:0xf
	v_cmp_eq_u32_e32 vcc, 0, v3
	v_mov_b32_dpp v5, v3 row_shr:1 row_mask:0xf bank_mask:0xf
	v_cmp_lt_u32_e64 s[26:27], 1, v4
	v_cndmask_b32_e32 v6, 0, v6, vcc
	v_cmp_eq_u32_e32 vcc, 0, v4
	s_nop 1
	v_cndmask_b32_e64 v5, v5, 0, vcc
	v_add_u32_e32 v3, v5, v3
	v_cndmask_b32_e64 v5, v6, 0, vcc
	v_add_u32_e32 v2, v5, v2
	v_cmp_eq_u32_e32 vcc, 0, v3
	v_mov_b32_dpp v5, v3 row_shr:2 row_mask:0xf bank_mask:0xf
	v_mov_b32_dpp v6, v2 row_shr:2 row_mask:0xf bank_mask:0xf
	v_cndmask_b32_e64 v5, 0, v5, s[26:27]
	s_and_b64 vcc, s[26:27], vcc
	v_cndmask_b32_e32 v6, 0, v6, vcc
	v_add_u32_e32 v3, v3, v5
	v_add_u32_e32 v2, v6, v2
	v_cmp_eq_u32_e32 vcc, 0, v3
	v_mov_b32_dpp v5, v3 row_shr:4 row_mask:0xf bank_mask:0xf
	v_cmp_lt_u32_e64 s[26:27], 3, v4
	v_mov_b32_dpp v6, v2 row_shr:4 row_mask:0xf bank_mask:0xf
	s_and_b64 vcc, s[26:27], vcc
	v_cndmask_b32_e64 v5, 0, v5, s[26:27]
	v_cndmask_b32_e32 v6, 0, v6, vcc
	v_add_u32_e32 v3, v5, v3
	v_add_u32_e32 v2, v2, v6
	v_cmp_eq_u32_e32 vcc, 0, v3
	v_cmp_lt_u32_e64 s[26:27], 7, v4
	v_mov_b32_dpp v5, v3 row_shr:8 row_mask:0xf bank_mask:0xf
	v_mov_b32_dpp v6, v2 row_shr:8 row_mask:0xf bank_mask:0xf
	s_and_b64 vcc, s[26:27], vcc
	v_cndmask_b32_e64 v4, 0, v5, s[26:27]
	v_cndmask_b32_e32 v5, 0, v6, vcc
	v_add_u32_e32 v2, v5, v2
	v_add_u32_e32 v3, v4, v3
	v_bfe_i32 v6, v25, 4, 1
	v_mov_b32_dpp v5, v2 row_bcast:15 row_mask:0xf bank_mask:0xf
	v_mov_b32_dpp v4, v3 row_bcast:15 row_mask:0xf bank_mask:0xf
	v_cmp_eq_u32_e32 vcc, 0, v3
	v_and_b32_e32 v4, v6, v4
	v_add_u32_e32 v3, v4, v3
	v_cndmask_b32_e32 v5, 0, v5, vcc
	v_and_b32_e32 v4, v6, v5
	v_add_u32_e32 v4, v4, v2
	v_mov_b32_dpp v2, v3 row_bcast:31 row_mask:0xf bank_mask:0xf
	v_cmp_eq_u32_e32 vcc, 0, v3
	v_cmp_lt_u32_e64 s[26:27], 31, v25
	v_mov_b32_dpp v5, v4 row_bcast:31 row_mask:0xf bank_mask:0xf
	s_and_b64 vcc, s[26:27], vcc
	v_cndmask_b32_e64 v2, 0, v2, s[26:27]
	v_add_u32_e32 v2, v2, v3
	v_cndmask_b32_e32 v3, 0, v5, vcc
	v_add_u32_e32 v3, v3, v4
	v_cmp_eq_u32_e32 vcc, v55, v0
	v_lshlrev_b32_e32 v4, 3, v54
	s_and_saveexec_b64 s[26:27], vcc
	s_cbranch_execz .LBB392_60
; %bb.59:
	ds_write_b64 v4, v[2:3] offset:4112
.LBB392_60:
	s_or_b64 exec, exec, s[26:27]
	v_cmp_gt_u32_e32 vcc, 8, v0
	s_waitcnt lgkmcnt(0)
	s_barrier
	s_and_saveexec_b64 s[30:31], vcc
	s_cbranch_execz .LBB392_62
; %bb.61:
	v_lshlrev_b32_e32 v5, 3, v0
	ds_read_b64 v[6:7], v5 offset:4112
	v_and_b32_e32 v22, 7, v25
	v_cmp_lt_u32_e64 s[26:27], 1, v22
	s_waitcnt lgkmcnt(0)
	v_mov_b32_dpp v24, v7 row_shr:1 row_mask:0xf bank_mask:0xf
	v_cmp_eq_u32_e32 vcc, 0, v6
	v_mov_b32_dpp v23, v6 row_shr:1 row_mask:0xf bank_mask:0xf
	s_nop 0
	v_cndmask_b32_e32 v24, 0, v24, vcc
	v_cmp_eq_u32_e32 vcc, 0, v22
	s_nop 1
	v_cndmask_b32_e64 v23, v23, 0, vcc
	v_add_u32_e32 v6, v23, v6
	v_cndmask_b32_e64 v23, v24, 0, vcc
	v_add_u32_e32 v7, v23, v7
	v_cmp_eq_u32_e32 vcc, 0, v6
	v_mov_b32_dpp v23, v6 row_shr:2 row_mask:0xf bank_mask:0xf
	v_mov_b32_dpp v24, v7 row_shr:2 row_mask:0xf bank_mask:0xf
	v_cndmask_b32_e64 v23, 0, v23, s[26:27]
	s_and_b64 vcc, s[26:27], vcc
	v_cndmask_b32_e32 v24, 0, v24, vcc
	v_add_u32_e32 v6, v23, v6
	v_add_u32_e32 v7, v24, v7
	v_cmp_eq_u32_e32 vcc, 0, v6
	v_mov_b32_dpp v23, v6 row_shr:4 row_mask:0xf bank_mask:0xf
	v_cmp_lt_u32_e64 s[26:27], 3, v22
	v_mov_b32_dpp v24, v7 row_shr:4 row_mask:0xf bank_mask:0xf
	s_and_b64 vcc, s[26:27], vcc
	v_cndmask_b32_e64 v22, 0, v23, s[26:27]
	v_add_u32_e32 v6, v22, v6
	v_cndmask_b32_e32 v22, 0, v24, vcc
	v_add_u32_e32 v7, v22, v7
	ds_write_b64 v5, v[6:7] offset:4112
.LBB392_62:
	s_or_b64 exec, exec, s[30:31]
	v_cmp_gt_u32_e32 vcc, 64, v0
	v_cmp_lt_u32_e64 s[26:27], 63, v0
	v_mov_b32_e32 v22, 0
	v_mov_b32_e32 v23, 0
	s_waitcnt lgkmcnt(0)
	s_barrier
	s_and_saveexec_b64 s[30:31], s[26:27]
	s_cbranch_execz .LBB392_64
; %bb.63:
	ds_read_b64 v[22:23], v4 offset:4104
	v_cmp_eq_u32_e64 s[26:27], 0, v2
	s_waitcnt lgkmcnt(0)
	v_add_u32_e32 v4, v22, v2
	v_cndmask_b32_e64 v2, 0, v23, s[26:27]
	v_add_u32_e32 v3, v2, v3
	v_mov_b32_e32 v2, v4
.LBB392_64:
	s_or_b64 exec, exec, s[30:31]
	v_add_u32_e32 v4, -1, v25
	v_and_b32_e32 v5, 64, v25
	v_cmp_lt_i32_e64 s[26:27], v4, v5
	s_nop 1
	v_cndmask_b32_e64 v4, v4, v25, s[26:27]
	v_lshlrev_b32_e32 v4, 2, v4
	ds_bpermute_b32 v30, v4, v2
	ds_bpermute_b32 v31, v4, v3
	v_cmp_eq_u32_e64 s[26:27], 0, v25
	s_and_saveexec_b64 s[52:53], vcc
	s_cbranch_execz .LBB392_87
; %bb.65:
	v_mov_b32_e32 v7, 0
	ds_read_b64 v[2:3], v7 offset:4168
	s_waitcnt lgkmcnt(0)
	v_readfirstlane_b32 s3, v2
	v_readfirstlane_b32 s56, v3
	s_and_saveexec_b64 s[30:31], s[26:27]
	s_cbranch_execz .LBB392_67
; %bb.66:
	s_add_i32 s54, s2, 64
	s_mov_b32 s55, 0
	s_lshl_b64 s[58:59], s[54:55], 4
	s_add_u32 s58, s36, s58
	s_addc_u32 s59, s37, s59
	s_and_b32 s61, s56, 0xff000000
	s_mov_b32 s60, s55
	s_and_b32 s63, s56, 0xff0000
	s_mov_b32 s62, s55
	s_or_b64 s[60:61], s[62:63], s[60:61]
	s_and_b32 s63, s56, 0xff00
	s_or_b64 s[60:61], s[60:61], s[62:63]
	s_and_b32 s63, s56, 0xff
	s_or_b64 s[54:55], s[60:61], s[62:63]
	v_mov_b32_e32 v4, s3
	v_mov_b32_e32 v5, s55
	;; [unrolled: 1-line block ×3, first 2 shown]
	v_mov_b64_e32 v[2:3], s[58:59]
	;;#ASMSTART
	global_store_dwordx4 v[2:3], v[4:7] off sc1	
s_waitcnt vmcnt(0)
	;;#ASMEND
.LBB392_67:
	s_or_b64 exec, exec, s[30:31]
	v_xad_u32 v24, v25, -1, s2
	v_add_u32_e32 v6, 64, v24
	v_lshl_add_u64 v[26:27], v[6:7], 4, s[36:37]
	;;#ASMSTART
	global_load_dwordx4 v[2:5], v[26:27] off sc1	
s_waitcnt vmcnt(0)
	;;#ASMEND
	s_nop 0
	v_and_b32_e32 v5, 0xff, v3
	v_and_b32_e32 v6, 0xff00, v3
	v_or3_b32 v2, v2, 0, 0
	v_and_b32_e32 v28, 0xff000000, v3
	v_or3_b32 v5, 0, v5, v6
	;; [unrolled: 2-line block ×3, first 2 shown]
	v_or3_b32 v2, v2, 0, 0
	v_cmp_eq_u16_sdwa s[54:55], v4, v7 src0_sel:BYTE_0 src1_sel:DWORD
	s_and_saveexec_b64 s[30:31], s[54:55]
	s_cbranch_execz .LBB392_73
; %bb.68:
	s_mov_b32 s57, 1
	s_mov_b64 s[54:55], 0
	v_mov_b32_e32 v6, 0
.LBB392_69:                             ; =>This Loop Header: Depth=1
                                        ;     Child Loop BB392_70 Depth 2
	s_max_u32 s58, s57, 1
.LBB392_70:                             ;   Parent Loop BB392_69 Depth=1
                                        ; =>  This Inner Loop Header: Depth=2
	s_add_i32 s58, s58, -1
	s_cmp_eq_u32 s58, 0
	s_sleep 1
	s_cbranch_scc0 .LBB392_70
; %bb.71:                               ;   in Loop: Header=BB392_69 Depth=1
	s_cmp_lt_u32 s57, 32
	s_cselect_b64 s[58:59], -1, 0
	s_cmp_lg_u64 s[58:59], 0
	s_addc_u32 s57, s57, 0
	;;#ASMSTART
	global_load_dwordx4 v[2:5], v[26:27] off sc1	
s_waitcnt vmcnt(0)
	;;#ASMEND
	s_nop 0
	v_cmp_ne_u16_sdwa s[58:59], v4, v6 src0_sel:BYTE_0 src1_sel:DWORD
	s_or_b64 s[54:55], s[58:59], s[54:55]
	s_andn2_b64 exec, exec, s[54:55]
	s_cbranch_execnz .LBB392_69
; %bb.72:
	s_or_b64 exec, exec, s[54:55]
.LBB392_73:
	s_or_b64 exec, exec, s[30:31]
	v_mov_b32_e32 v32, 2
	v_cmp_eq_u16_sdwa s[30:31], v4, v32 src0_sel:BYTE_0 src1_sel:DWORD
	v_lshlrev_b64 v[26:27], v25, -1
	v_and_b32_e32 v33, 63, v25
	v_and_b32_e32 v5, s31, v27
	v_or_b32_e32 v5, 0x80000000, v5
	v_cmp_ne_u32_e32 vcc, 63, v33
	v_and_b32_e32 v6, s30, v26
	v_ffbl_b32_e32 v5, v5
	v_addc_co_u32_e32 v7, vcc, 0, v25, vcc
	v_add_u32_e32 v5, 32, v5
	v_ffbl_b32_e32 v6, v6
	v_lshlrev_b32_e32 v34, 2, v7
	v_min_u32_e32 v5, v6, v5
	ds_bpermute_b32 v6, v34, v3
	v_cmp_eq_u32_e32 vcc, 0, v2
	v_cmp_lt_u32_e64 s[30:31], v33, v5
	ds_bpermute_b32 v7, v34, v2
	s_and_b64 vcc, s[30:31], vcc
	s_waitcnt lgkmcnt(1)
	v_cndmask_b32_e32 v6, 0, v6, vcc
	v_cmp_gt_u32_e32 vcc, 62, v33
	v_add_u32_e32 v3, v6, v3
	s_waitcnt lgkmcnt(0)
	v_cndmask_b32_e64 v7, 0, v7, s[30:31]
	v_cndmask_b32_e64 v6, 0, 1, vcc
	v_lshlrev_b32_e32 v6, 1, v6
	v_add_lshl_u32 v35, v6, v25, 2
	ds_bpermute_b32 v6, v35, v3
	v_add_u32_e32 v2, v7, v2
	ds_bpermute_b32 v7, v35, v2
	v_add_u32_e32 v36, 2, v33
	v_cmp_eq_u32_e32 vcc, 0, v2
	v_add_u32_e32 v38, 4, v33
	v_add_u32_e32 v40, 8, v33
	s_waitcnt lgkmcnt(1)
	v_cndmask_b32_e32 v6, 0, v6, vcc
	v_cmp_gt_u32_e32 vcc, v36, v5
	v_add_u32_e32 v42, 16, v33
	v_add_u32_e32 v44, 32, v33
	v_cndmask_b32_e64 v6, v6, 0, vcc
	v_add_u32_e32 v3, v6, v3
	s_waitcnt lgkmcnt(0)
	v_cndmask_b32_e64 v6, v7, 0, vcc
	v_cmp_gt_u32_e32 vcc, 60, v33
	v_add_u32_e32 v2, v2, v6
	s_nop 0
	v_cndmask_b32_e64 v7, 0, 1, vcc
	v_lshlrev_b32_e32 v7, 2, v7
	v_add_lshl_u32 v37, v7, v25, 2
	ds_bpermute_b32 v7, v37, v3
	ds_bpermute_b32 v6, v37, v2
	v_cmp_eq_u32_e32 vcc, 0, v2
	s_waitcnt lgkmcnt(1)
	s_nop 0
	v_cndmask_b32_e32 v7, 0, v7, vcc
	v_cmp_gt_u32_e32 vcc, v38, v5
	s_nop 1
	v_cndmask_b32_e64 v7, v7, 0, vcc
	s_waitcnt lgkmcnt(0)
	v_cndmask_b32_e64 v6, v6, 0, vcc
	v_cmp_gt_u32_e32 vcc, 56, v33
	v_add_u32_e32 v3, v3, v7
	v_add_u32_e32 v2, v2, v6
	v_cndmask_b32_e64 v7, 0, 1, vcc
	v_lshlrev_b32_e32 v7, 3, v7
	v_add_lshl_u32 v39, v7, v25, 2
	ds_bpermute_b32 v7, v39, v3
	ds_bpermute_b32 v6, v39, v2
	v_cmp_eq_u32_e32 vcc, 0, v2
	s_waitcnt lgkmcnt(1)
	s_nop 0
	v_cndmask_b32_e32 v7, 0, v7, vcc
	v_cmp_gt_u32_e32 vcc, v40, v5
	s_nop 1
	v_cndmask_b32_e64 v7, v7, 0, vcc
	s_waitcnt lgkmcnt(0)
	v_cndmask_b32_e64 v6, v6, 0, vcc
	v_cmp_gt_u32_e32 vcc, 48, v33
	v_add_u32_e32 v3, v3, v7
	v_add_u32_e32 v2, v2, v6
	;; [unrolled: 17-line block ×3, first 2 shown]
	v_cndmask_b32_e64 v7, 0, 1, vcc
	v_lshlrev_b32_e32 v7, 5, v7
	v_add_lshl_u32 v43, v7, v25, 2
	ds_bpermute_b32 v7, v43, v3
	ds_bpermute_b32 v6, v43, v2
	v_cmp_eq_u32_e32 vcc, 0, v2
	v_mov_b32_e32 v25, 0
	s_waitcnt lgkmcnt(1)
	v_cndmask_b32_e32 v7, 0, v7, vcc
	v_cmp_gt_u32_e32 vcc, v44, v5
	s_nop 1
	v_cndmask_b32_e64 v5, v7, 0, vcc
	v_add_u32_e32 v3, v5, v3
	s_waitcnt lgkmcnt(0)
	v_cndmask_b32_e64 v5, v6, 0, vcc
	v_add_u32_e32 v2, v5, v2
	s_branch .LBB392_75
.LBB392_74:                             ;   in Loop: Header=BB392_75 Depth=1
	s_or_b64 exec, exec, s[30:31]
	v_cmp_eq_u16_sdwa s[30:31], v4, v32 src0_sel:BYTE_0 src1_sel:DWORD
	v_cmp_eq_u32_e32 vcc, 0, v2
	ds_bpermute_b32 v29, v34, v2
	v_and_b32_e32 v5, s31, v27
	v_or_b32_e32 v5, 0x80000000, v5
	v_and_b32_e32 v28, s30, v26
	v_ffbl_b32_e32 v5, v5
	v_add_u32_e32 v5, 32, v5
	v_ffbl_b32_e32 v28, v28
	v_min_u32_e32 v5, v28, v5
	ds_bpermute_b32 v28, v34, v3
	v_cmp_lt_u32_e64 s[30:31], v33, v5
	s_and_b64 vcc, s[30:31], vcc
	v_subrev_u32_e32 v24, 64, v24
	s_waitcnt lgkmcnt(1)
	v_cndmask_b32_e64 v29, 0, v29, s[30:31]
	s_waitcnt lgkmcnt(0)
	v_cndmask_b32_e32 v28, 0, v28, vcc
	v_add_u32_e32 v3, v28, v3
	ds_bpermute_b32 v28, v35, v3
	v_add_u32_e32 v2, v29, v2
	v_cmp_eq_u32_e32 vcc, 0, v2
	ds_bpermute_b32 v29, v35, v2
	s_waitcnt lgkmcnt(1)
	v_cndmask_b32_e32 v28, 0, v28, vcc
	v_cmp_gt_u32_e32 vcc, v36, v5
	s_nop 1
	v_cndmask_b32_e64 v28, v28, 0, vcc
	v_add_u32_e32 v3, v28, v3
	ds_bpermute_b32 v28, v37, v3
	s_waitcnt lgkmcnt(1)
	v_cndmask_b32_e64 v29, v29, 0, vcc
	v_add_u32_e32 v2, v2, v29
	v_cmp_eq_u32_e32 vcc, 0, v2
	ds_bpermute_b32 v29, v37, v2
	s_waitcnt lgkmcnt(1)
	v_cndmask_b32_e32 v28, 0, v28, vcc
	v_cmp_gt_u32_e32 vcc, v38, v5
	s_nop 1
	v_cndmask_b32_e64 v28, v28, 0, vcc
	v_add_u32_e32 v3, v3, v28
	ds_bpermute_b32 v28, v39, v3
	s_waitcnt lgkmcnt(1)
	v_cndmask_b32_e64 v29, v29, 0, vcc
	v_add_u32_e32 v2, v2, v29
	ds_bpermute_b32 v29, v39, v2
	v_cmp_eq_u32_e32 vcc, 0, v2
	s_waitcnt lgkmcnt(1)
	s_nop 0
	v_cndmask_b32_e32 v28, 0, v28, vcc
	v_cmp_gt_u32_e32 vcc, v40, v5
	s_nop 1
	v_cndmask_b32_e64 v28, v28, 0, vcc
	v_add_u32_e32 v3, v3, v28
	ds_bpermute_b32 v28, v41, v3
	s_waitcnt lgkmcnt(1)
	v_cndmask_b32_e64 v29, v29, 0, vcc
	v_add_u32_e32 v2, v2, v29
	ds_bpermute_b32 v29, v41, v2
	v_cmp_eq_u32_e32 vcc, 0, v2
	s_waitcnt lgkmcnt(1)
	s_nop 0
	v_cndmask_b32_e32 v28, 0, v28, vcc
	v_cmp_gt_u32_e32 vcc, v42, v5
	s_nop 1
	v_cndmask_b32_e64 v28, v28, 0, vcc
	v_add_u32_e32 v3, v3, v28
	ds_bpermute_b32 v28, v43, v3
	s_waitcnt lgkmcnt(1)
	v_cndmask_b32_e64 v29, v29, 0, vcc
	v_add_u32_e32 v2, v2, v29
	ds_bpermute_b32 v29, v43, v2
	v_cmp_eq_u32_e32 vcc, 0, v2
	s_waitcnt lgkmcnt(1)
	s_nop 0
	v_cndmask_b32_e32 v28, 0, v28, vcc
	v_cmp_gt_u32_e32 vcc, v44, v5
	s_nop 1
	v_cndmask_b32_e64 v5, v28, 0, vcc
	v_add_u32_e32 v3, v5, v3
	s_waitcnt lgkmcnt(0)
	v_cndmask_b32_e64 v5, v29, 0, vcc
	v_cmp_eq_u32_e32 vcc, 0, v6
	v_add3_u32 v2, v2, v6, v5
	s_nop 0
	v_cndmask_b32_e32 v3, 0, v3, vcc
	v_add_u32_e32 v3, v3, v7
.LBB392_75:                             ; =>This Loop Header: Depth=1
                                        ;     Child Loop BB392_78 Depth 2
                                        ;       Child Loop BB392_79 Depth 3
	v_cmp_ne_u16_sdwa s[30:31], v4, v32 src0_sel:BYTE_0 src1_sel:DWORD
	v_mov_b32_e32 v7, v3
	v_mov_b32_e32 v6, v2
	v_cndmask_b32_e64 v3, 0, 1, s[30:31]
	;;#ASMSTART
	;;#ASMEND
	s_nop 0
	v_cmp_ne_u32_e32 vcc, 0, v3
	s_cmp_lg_u64 vcc, exec
	s_cbranch_scc1 .LBB392_82
; %bb.76:                               ;   in Loop: Header=BB392_75 Depth=1
	v_lshl_add_u64 v[28:29], v[24:25], 4, s[36:37]
	;;#ASMSTART
	global_load_dwordx4 v[2:5], v[28:29] off sc1	
s_waitcnt vmcnt(0)
	;;#ASMEND
	s_nop 0
	v_and_b32_e32 v5, 0xff, v3
	v_and_b32_e32 v45, 0xff00, v3
	v_or3_b32 v2, v2, 0, 0
	v_and_b32_e32 v46, 0xff000000, v3
	v_or3_b32 v5, 0, v5, v45
	;; [unrolled: 2-line block ×3, first 2 shown]
	v_or3_b32 v2, v2, 0, 0
	v_cmp_eq_u16_sdwa s[54:55], v4, v25 src0_sel:BYTE_0 src1_sel:DWORD
	s_and_saveexec_b64 s[30:31], s[54:55]
	s_cbranch_execz .LBB392_74
; %bb.77:                               ;   in Loop: Header=BB392_75 Depth=1
	s_mov_b32 s57, 1
	s_mov_b64 s[54:55], 0
.LBB392_78:                             ;   Parent Loop BB392_75 Depth=1
                                        ; =>  This Loop Header: Depth=2
                                        ;       Child Loop BB392_79 Depth 3
	s_max_u32 s58, s57, 1
.LBB392_79:                             ;   Parent Loop BB392_75 Depth=1
                                        ;     Parent Loop BB392_78 Depth=2
                                        ; =>    This Inner Loop Header: Depth=3
	s_add_i32 s58, s58, -1
	s_cmp_eq_u32 s58, 0
	s_sleep 1
	s_cbranch_scc0 .LBB392_79
; %bb.80:                               ;   in Loop: Header=BB392_78 Depth=2
	s_cmp_lt_u32 s57, 32
	s_cselect_b64 s[58:59], -1, 0
	s_cmp_lg_u64 s[58:59], 0
	s_addc_u32 s57, s57, 0
	;;#ASMSTART
	global_load_dwordx4 v[2:5], v[28:29] off sc1	
s_waitcnt vmcnt(0)
	;;#ASMEND
	s_nop 0
	v_cmp_ne_u16_sdwa s[58:59], v4, v25 src0_sel:BYTE_0 src1_sel:DWORD
	s_or_b64 s[54:55], s[58:59], s[54:55]
	s_andn2_b64 exec, exec, s[54:55]
	s_cbranch_execnz .LBB392_78
; %bb.81:                               ;   in Loop: Header=BB392_75 Depth=1
	s_or_b64 exec, exec, s[54:55]
	s_branch .LBB392_74
.LBB392_82:                             ;   in Loop: Header=BB392_75 Depth=1
                                        ; implicit-def: $vgpr3
                                        ; implicit-def: $vgpr2
                                        ; implicit-def: $vgpr4
	s_cbranch_execz .LBB392_75
; %bb.83:
	s_and_saveexec_b64 s[30:31], s[26:27]
	s_cbranch_execz .LBB392_85
; %bb.84:
	s_cmp_eq_u32 s3, 0
	s_cselect_b64 vcc, -1, 0
	s_mov_b32 s55, 0
	v_cndmask_b32_e32 v2, 0, v7, vcc
	s_add_i32 s54, s2, 64
	v_add_u32_e32 v2, s56, v2
	s_lshl_b64 s[54:55], s[54:55], 4
	s_add_u32 s54, s36, s54
	v_and_b32_e32 v3, 0xff000000, v2
	v_and_b32_e32 v4, 0xff0000, v2
	s_addc_u32 s55, s37, s55
	v_or_b32_e32 v3, v4, v3
	v_and_b32_e32 v4, 0xff00, v2
	v_and_b32_e32 v2, 0xff, v2
	v_add_u32_e32 v24, s3, v6
	v_mov_b32_e32 v27, 0
	v_or3_b32 v25, v3, v4, v2
	v_mov_b32_e32 v26, 2
	v_mov_b64_e32 v[2:3], s[54:55]
	;;#ASMSTART
	global_store_dwordx4 v[2:3], v[24:27] off sc1	
s_waitcnt vmcnt(0)
	;;#ASMEND
	v_mov_b32_e32 v4, s3
	v_mov_b32_e32 v5, s56
	ds_write_b128 v27, v[4:7] offset:4096
.LBB392_85:
	s_or_b64 exec, exec, s[30:31]
	v_cmp_eq_u32_e32 vcc, 0, v0
	s_and_b64 exec, exec, vcc
	s_cbranch_execz .LBB392_87
; %bb.86:
	v_mov_b32_e32 v2, 0
	ds_write_b64 v2, v[6:7] offset:4168
.LBB392_87:
	s_or_b64 exec, exec, s[52:53]
	v_mov_b32_e32 v4, 0
	s_waitcnt lgkmcnt(0)
	s_barrier
	ds_read_b64 v[2:3], v4 offset:4168
	v_cndmask_b32_e64 v6, v30, v22, s[26:27]
	v_cmp_eq_u32_e32 vcc, 0, v6
	v_cndmask_b32_e64 v5, v31, v23, s[26:27]
	s_waitcnt lgkmcnt(0)
	v_cndmask_b32_e32 v7, 0, v3, vcc
	v_add_u32_e32 v5, v7, v5
	v_cmp_eq_u32_e32 vcc, 0, v0
	s_barrier
	s_nop 0
	v_cndmask_b32_e32 v51, v5, v3, vcc
	v_cndmask_b32_e64 v3, v6, 0, vcc
	v_cmp_eq_u32_e32 vcc, 0, v70
	v_add_u32_e32 v50, v2, v3
	v_add_u32_e32 v48, v50, v70
	v_cndmask_b32_e32 v2, 0, v51, vcc
	v_add_u32_e32 v49, v2, v52
	v_cndmask_b32_e64 v2, 0, v49, s[24:25]
	v_add_u32_e32 v47, v2, v52
	v_cndmask_b32_e64 v2, 0, v47, s[22:23]
	;; [unrolled: 2-line block ×8, first 2 shown]
	v_add_u32_e32 v33, v2, v52
	v_add_u32_e32 v46, v48, v69
	v_cndmask_b32_e64 v2, 0, v33, s[8:9]
	v_add_u32_e32 v44, v46, v68
	v_add_u32_e32 v31, v2, v52
	v_add_u32_e32 v42, v44, v67
	v_cndmask_b32_e64 v2, 0, v31, s[6:7]
	v_add_u32_e32 v40, v42, v66
	;; [unrolled: 4-line block ×3, first 2 shown]
	v_add_u32_e32 v27, v2, v52
	ds_read_b128 v[2:5], v4 offset:4096
	v_add_u32_e32 v34, v36, v63
	v_add_u32_e32 v32, v34, v62
	;; [unrolled: 1-line block ×4, first 2 shown]
	v_cndmask_b32_e64 v6, 0, v27, s[28:29]
	v_add_u32_e32 v26, v28, v59
	v_add_u32_e32 v23, v6, v52
	s_waitcnt lgkmcnt(0)
	v_cmp_eq_u32_e32 vcc, 0, v2
	v_add_u32_e32 v22, v26, v58
	v_cndmask_b32_e64 v6, 0, v23, s[0:1]
	v_cndmask_b32_e32 v5, 0, v5, vcc
	v_add_u32_e32 v24, v22, v57
	v_add_u32_e32 v25, v6, v52
	;; [unrolled: 1-line block ×3, first 2 shown]
	s_branch .LBB392_100
.LBB392_88:
                                        ; implicit-def: $vgpr2
                                        ; implicit-def: $vgpr6
                                        ; implicit-def: $vgpr24_vgpr25
                                        ; implicit-def: $vgpr22_vgpr23
                                        ; implicit-def: $vgpr26_vgpr27
                                        ; implicit-def: $vgpr28_vgpr29
                                        ; implicit-def: $vgpr50_vgpr51
                                        ; implicit-def: $vgpr48_vgpr49
                                        ; implicit-def: $vgpr46_vgpr47
                                        ; implicit-def: $vgpr44_vgpr45
                                        ; implicit-def: $vgpr42_vgpr43
                                        ; implicit-def: $vgpr40_vgpr41
                                        ; implicit-def: $vgpr38_vgpr39
                                        ; implicit-def: $vgpr36_vgpr37
                                        ; implicit-def: $vgpr34_vgpr35
                                        ; implicit-def: $vgpr32_vgpr33
                                        ; implicit-def: $vgpr30_vgpr31
	s_cbranch_execz .LBB392_100
; %bb.89:
	s_and_b64 s[0:1], s[38:39], exec
	s_cselect_b32 s1, 0, s51
	s_cselect_b32 s0, 0, s50
	s_cmp_eq_u64 s[0:1], 0
	v_mov_b32_e32 v6, v52
	s_cbranch_scc1 .LBB392_91
; %bb.90:
	v_mov_b32_e32 v2, 0
	global_load_dword v6, v2, s[0:1]
.LBB392_91:
	v_cmp_eq_u32_e64 s[0:1], 0, v69
	v_cmp_eq_u32_e64 s[2:3], 0, v68
	v_cmp_eq_u32_e64 s[4:5], 0, v67
	v_cndmask_b32_e64 v2, 0, v52, s[0:1]
	v_add_u32_e32 v2, v2, v52
	v_cndmask_b32_e64 v2, 0, v2, s[2:3]
	v_add_u32_e32 v2, v2, v52
	v_cndmask_b32_e64 v2, 0, v2, s[4:5]
	v_add_u32_e32 v2, v2, v52
	v_cmp_eq_u32_e64 s[6:7], 0, v66
	v_cmp_eq_u32_e64 s[8:9], 0, v65
	v_cmp_eq_u32_e64 s[10:11], 0, v64
	v_cndmask_b32_e64 v2, 0, v2, s[6:7]
	v_add_u32_e32 v2, v2, v52
	v_cndmask_b32_e64 v2, 0, v2, s[8:9]
	v_add_u32_e32 v2, v2, v52
	v_cndmask_b32_e64 v2, 0, v2, s[10:11]
	v_add_u32_e32 v2, v2, v52
	;; [unrolled: 9-line block ×3, first 2 shown]
	v_cmp_eq_u32_e64 s[18:19], 0, v60
	v_cmp_eq_u32_e64 s[20:21], 0, v59
	;; [unrolled: 1-line block ×3, first 2 shown]
	v_cndmask_b32_e64 v2, 0, v2, s[18:19]
	v_add_u32_e32 v2, v2, v52
	v_cndmask_b32_e64 v2, 0, v2, s[20:21]
	v_add_u32_e32 v2, v2, v52
	v_cndmask_b32_e64 v2, 0, v2, s[22:23]
	v_add3_u32 v3, v72, v65, v64
	v_add_u32_e32 v2, v2, v52
	v_cmp_eq_u32_e32 vcc, 0, v57
	v_add3_u32 v3, v3, v63, v62
	v_add3_u32 v3, v3, v61, v60
	v_cndmask_b32_e32 v2, 0, v2, vcc
	v_add_u32_e32 v2, v2, v52
	v_cmp_eq_u32_e64 s[24:25], 0, v56
	v_add3_u32 v3, v3, v59, v58
	v_add3_u32 v3, v3, v57, v56
	v_cndmask_b32_e64 v2, 0, v2, s[24:25]
	v_add_u32_e32 v2, v2, v53
	v_mbcnt_hi_u32_b32 v7, -1, v71
	v_and_b32_e32 v4, 15, v7
	v_mov_b32_dpp v22, v2 row_shr:1 row_mask:0xf bank_mask:0xf
	v_cmp_eq_u32_e64 s[24:25], 0, v3
	v_mov_b32_dpp v5, v3 row_shr:1 row_mask:0xf bank_mask:0xf
	v_cmp_lt_u32_e64 s[26:27], 1, v4
	v_cndmask_b32_e64 v22, 0, v22, s[24:25]
	v_cmp_eq_u32_e64 s[24:25], 0, v4
	s_nop 1
	v_cndmask_b32_e64 v5, v5, 0, s[24:25]
	v_add_u32_e32 v3, v5, v3
	v_cndmask_b32_e64 v5, v22, 0, s[24:25]
	v_add_u32_e32 v2, v5, v2
	v_cmp_eq_u32_e64 s[24:25], 0, v3
	v_mov_b32_dpp v5, v3 row_shr:2 row_mask:0xf bank_mask:0xf
	v_mov_b32_dpp v22, v2 row_shr:2 row_mask:0xf bank_mask:0xf
	v_cndmask_b32_e64 v5, 0, v5, s[26:27]
	s_and_b64 s[24:25], s[26:27], s[24:25]
	v_cndmask_b32_e64 v22, 0, v22, s[24:25]
	v_add_u32_e32 v3, v3, v5
	v_add_u32_e32 v2, v22, v2
	v_cmp_eq_u32_e64 s[24:25], 0, v3
	v_mov_b32_dpp v5, v3 row_shr:4 row_mask:0xf bank_mask:0xf
	v_cmp_lt_u32_e64 s[26:27], 3, v4
	v_mov_b32_dpp v22, v2 row_shr:4 row_mask:0xf bank_mask:0xf
	s_and_b64 s[24:25], s[26:27], s[24:25]
	v_cndmask_b32_e64 v5, 0, v5, s[26:27]
	v_cndmask_b32_e64 v22, 0, v22, s[24:25]
	v_add_u32_e32 v3, v5, v3
	v_add_u32_e32 v2, v2, v22
	v_cmp_eq_u32_e64 s[24:25], 0, v3
	v_cmp_lt_u32_e64 s[26:27], 7, v4
	v_mov_b32_dpp v5, v3 row_shr:8 row_mask:0xf bank_mask:0xf
	v_mov_b32_dpp v22, v2 row_shr:8 row_mask:0xf bank_mask:0xf
	s_and_b64 s[24:25], s[26:27], s[24:25]
	v_cndmask_b32_e64 v4, 0, v5, s[26:27]
	v_cndmask_b32_e64 v5, 0, v22, s[24:25]
	v_add_u32_e32 v2, v5, v2
	v_add_u32_e32 v3, v4, v3
	v_bfe_i32 v22, v7, 4, 1
	v_mov_b32_dpp v5, v2 row_bcast:15 row_mask:0xf bank_mask:0xf
	v_mov_b32_dpp v4, v3 row_bcast:15 row_mask:0xf bank_mask:0xf
	v_cmp_eq_u32_e64 s[24:25], 0, v3
	v_and_b32_e32 v4, v22, v4
	v_add_u32_e32 v3, v4, v3
	v_cndmask_b32_e64 v5, 0, v5, s[24:25]
	v_and_b32_e32 v4, v22, v5
	v_add_u32_e32 v4, v4, v2
	v_mov_b32_dpp v2, v3 row_bcast:31 row_mask:0xf bank_mask:0xf
	v_cmp_eq_u32_e64 s[24:25], 0, v3
	v_cmp_lt_u32_e64 s[26:27], 31, v7
	v_mov_b32_dpp v5, v4 row_bcast:31 row_mask:0xf bank_mask:0xf
	s_and_b64 s[24:25], s[26:27], s[24:25]
	v_cndmask_b32_e64 v2, 0, v2, s[26:27]
	v_add_u32_e32 v2, v2, v3
	v_cndmask_b32_e64 v3, 0, v5, s[24:25]
	v_add_u32_e32 v3, v3, v4
	v_cmp_eq_u32_e64 s[24:25], v55, v0
	s_and_saveexec_b64 s[26:27], s[24:25]
	s_cbranch_execz .LBB392_93
; %bb.92:
	v_lshlrev_b32_e32 v4, 3, v54
	ds_write_b64 v4, v[2:3] offset:4112
.LBB392_93:
	s_or_b64 exec, exec, s[26:27]
	v_cmp_gt_u32_e64 s[24:25], 8, v0
	s_waitcnt lgkmcnt(0)
	s_barrier
	s_and_saveexec_b64 s[28:29], s[24:25]
	s_cbranch_execz .LBB392_95
; %bb.94:
	v_lshlrev_b32_e32 v22, 3, v0
	ds_read_b64 v[4:5], v22 offset:4112
	v_and_b32_e32 v23, 7, v7
	v_cmp_lt_u32_e64 s[26:27], 1, v23
	s_waitcnt lgkmcnt(0)
	v_mov_b32_dpp v25, v5 row_shr:1 row_mask:0xf bank_mask:0xf
	v_cmp_eq_u32_e64 s[24:25], 0, v4
	v_mov_b32_dpp v24, v4 row_shr:1 row_mask:0xf bank_mask:0xf
	s_nop 0
	v_cndmask_b32_e64 v25, 0, v25, s[24:25]
	v_cmp_eq_u32_e64 s[24:25], 0, v23
	s_nop 1
	v_cndmask_b32_e64 v24, v24, 0, s[24:25]
	v_add_u32_e32 v4, v24, v4
	v_cndmask_b32_e64 v24, v25, 0, s[24:25]
	v_add_u32_e32 v5, v24, v5
	v_cmp_eq_u32_e64 s[24:25], 0, v4
	v_mov_b32_dpp v24, v4 row_shr:2 row_mask:0xf bank_mask:0xf
	v_mov_b32_dpp v25, v5 row_shr:2 row_mask:0xf bank_mask:0xf
	v_cndmask_b32_e64 v24, 0, v24, s[26:27]
	s_and_b64 s[24:25], s[26:27], s[24:25]
	v_cndmask_b32_e64 v25, 0, v25, s[24:25]
	v_add_u32_e32 v4, v24, v4
	v_add_u32_e32 v5, v25, v5
	v_cmp_eq_u32_e64 s[24:25], 0, v4
	v_mov_b32_dpp v24, v4 row_shr:4 row_mask:0xf bank_mask:0xf
	v_cmp_lt_u32_e64 s[26:27], 3, v23
	v_mov_b32_dpp v25, v5 row_shr:4 row_mask:0xf bank_mask:0xf
	s_and_b64 s[24:25], s[26:27], s[24:25]
	v_cndmask_b32_e64 v23, 0, v24, s[26:27]
	v_add_u32_e32 v4, v23, v4
	v_cndmask_b32_e64 v23, 0, v25, s[24:25]
	v_add_u32_e32 v5, v23, v5
	ds_write_b64 v22, v[4:5] offset:4112
.LBB392_95:
	s_or_b64 exec, exec, s[28:29]
	v_cmp_lt_u32_e64 s[24:25], 63, v0
	v_mov_b32_e32 v23, 0
	v_mov_b32_e32 v4, 0
	s_waitcnt vmcnt(0)
	v_mov_b32_e32 v5, v6
	s_waitcnt lgkmcnt(0)
	s_barrier
	s_and_saveexec_b64 s[26:27], s[24:25]
	s_cbranch_execz .LBB392_97
; %bb.96:
	v_lshlrev_b32_e32 v4, 3, v54
	ds_read_b64 v[4:5], v4 offset:4104
	s_waitcnt lgkmcnt(0)
	v_cmp_eq_u32_e64 s[24:25], 0, v4
	s_nop 1
	v_cndmask_b32_e64 v22, 0, v6, s[24:25]
	v_add_u32_e32 v5, v22, v5
.LBB392_97:
	s_or_b64 exec, exec, s[26:27]
	v_cmp_eq_u32_e64 s[24:25], 0, v2
	v_add_u32_e32 v22, v4, v2
	v_and_b32_e32 v24, 64, v7
	v_cndmask_b32_e64 v2, 0, v5, s[24:25]
	v_add_u32_e32 v2, v2, v3
	v_add_u32_e32 v3, -1, v7
	v_cmp_lt_i32_e64 s[24:25], v3, v24
	v_cmp_eq_u32_e64 s[26:27], 0, v70
	s_nop 0
	v_cndmask_b32_e64 v3, v3, v7, s[24:25]
	v_lshlrev_b32_e32 v3, 2, v3
	ds_bpermute_b32 v22, v3, v22
	ds_bpermute_b32 v2, v3, v2
	v_cmp_eq_u32_e64 s[24:25], 0, v7
	s_waitcnt lgkmcnt(1)
	s_nop 0
	v_cndmask_b32_e64 v3, v22, v4, s[24:25]
	s_waitcnt lgkmcnt(0)
	v_cndmask_b32_e64 v2, v2, v5, s[24:25]
	v_cmp_eq_u32_e64 s[24:25], 0, v0
	s_nop 1
	v_cndmask_b32_e64 v51, v2, v6, s[24:25]
	v_cndmask_b32_e64 v2, 0, v51, s[26:27]
	v_add_u32_e32 v49, v2, v52
	v_cndmask_b32_e64 v2, 0, v49, s[0:1]
	v_add_u32_e32 v47, v2, v52
	;; [unrolled: 2-line block ×8, first 2 shown]
	v_cndmask_b32_e64 v50, v3, 0, s[24:25]
	v_cndmask_b32_e64 v2, 0, v35, s[14:15]
	v_add_u32_e32 v48, v50, v70
	v_add_u32_e32 v33, v2, v52
	v_add_u32_e32 v46, v48, v69
	v_cndmask_b32_e64 v2, 0, v33, s[16:17]
	v_add_u32_e32 v44, v46, v68
	v_add_u32_e32 v31, v2, v52
	v_add_u32_e32 v42, v44, v67
	;; [unrolled: 4-line block ×3, first 2 shown]
	v_cndmask_b32_e64 v2, 0, v29, s[20:21]
	v_add_u32_e32 v36, v38, v64
	v_add_u32_e32 v27, v2, v52
	ds_read_b64 v[2:3], v23 offset:4168
	v_add_u32_e32 v34, v36, v63
	v_add_u32_e32 v32, v34, v62
	;; [unrolled: 1-line block ×3, first 2 shown]
	v_cndmask_b32_e64 v4, 0, v27, s[22:23]
	v_add_u32_e32 v28, v30, v60
	v_add_u32_e32 v23, v4, v52
	;; [unrolled: 1-line block ×3, first 2 shown]
	v_cndmask_b32_e32 v4, 0, v23, vcc
	s_waitcnt lgkmcnt(0)
	v_cmp_eq_u32_e32 vcc, 0, v2
	v_add_u32_e32 v22, v26, v58
	v_add_u32_e32 v25, v4, v52
	v_cndmask_b32_e32 v4, 0, v6, vcc
	v_add_u32_e32 v24, v22, v57
	v_add_u32_e32 v6, v4, v3
	s_and_saveexec_b64 s[0:1], s[24:25]
	s_cbranch_execz .LBB392_99
; %bb.98:
	s_add_u32 s2, s36, 0x400
	v_and_b32_e32 v3, 0xff000000, v6
	v_and_b32_e32 v4, 0xff0000, v6
	s_addc_u32 s3, s37, 0
	v_or_b32_e32 v3, v4, v3
	v_and_b32_e32 v4, 0xff00, v6
	v_and_b32_e32 v7, 0xff, v6
	v_mov_b32_e32 v5, 0
	v_or3_b32 v3, v3, v4, v7
	v_mov_b32_e32 v4, 2
	v_mov_b64_e32 v[52:53], s[2:3]
	;;#ASMSTART
	global_store_dwordx4 v[52:53], v[2:5] off sc1	
s_waitcnt vmcnt(0)
	;;#ASMEND
.LBB392_99:
	s_or_b64 exec, exec, s[0:1]
	v_mov_b32_e32 v4, 0
.LBB392_100:
	s_and_b64 s[0:1], s[38:39], exec
	s_cselect_b32 s1, 0, s47
	s_cselect_b32 s0, 0, s46
	s_cmp_eq_u64 s[0:1], 0
	v_mov_b64_e32 v[52:53], 0
	s_waitcnt lgkmcnt(0)
	s_barrier
	s_cbranch_scc1 .LBB392_102
; %bb.101:
	v_mov_b32_e32 v3, 0
	global_load_dwordx2 v[52:53], v3, s[0:1]
.LBB392_102:
	v_cmp_eq_u32_e32 vcc, 0, v70
	s_waitcnt vmcnt(0)
	v_lshlrev_b64 v[54:55], 2, v[52:53]
	v_mov_b32_e32 v5, 0
	v_cndmask_b32_e64 v3, 1, 2, vcc
	v_cmp_eq_u32_e32 vcc, 0, v69
	s_movk_i32 s30, 0x200
	v_lshl_add_u64 v[54:55], s[40:41], 0, v[54:55]
	v_cndmask_b32_e64 v7, 1, 2, vcc
	v_cmp_eq_u32_e32 vcc, 0, v68
	v_and_b32_e32 v3, v7, v3
	v_lshlrev_b64 v[72:73], 2, v[4:5]
	v_cndmask_b32_e64 v7, 1, 2, vcc
	v_cmp_eq_u32_e32 vcc, 0, v67
	v_and_b32_e32 v3, v3, v7
	v_lshl_add_u64 v[54:55], v[54:55], 0, v[72:73]
	v_cndmask_b32_e64 v7, 1, 2, vcc
	v_cmp_eq_u32_e32 vcc, 0, v66
	v_and_b32_e32 v3, v3, v7
	v_cmp_ne_u32_e64 s[28:29], 0, v70
	v_cndmask_b32_e64 v7, 1, 2, vcc
	v_cmp_eq_u32_e32 vcc, 0, v65
	v_and_b32_e32 v3, v3, v7
	v_cmp_ne_u32_e64 s[26:27], 0, v69
	;; [unrolled: 4-line block ×11, first 2 shown]
	v_cndmask_b32_e64 v7, 1, 2, vcc
	v_and_b32_e32 v3, v3, v7
	v_cmp_gt_u32_e32 vcc, s30, v2
	v_cmp_ne_u32_e64 s[6:7], 0, v59
	v_cmp_ne_u32_e64 s[4:5], 0, v58
	;; [unrolled: 1-line block ×4, first 2 shown]
	s_mov_b64 s[36:37], -1
	v_cmp_gt_i16_e64 s[30:31], 2, v3
	s_cbranch_vccz .LBB392_109
; %bb.103:
	s_and_saveexec_b64 s[36:37], s[30:31]
	s_cbranch_execz .LBB392_108
; %bb.104:
	v_cmp_ne_u16_e32 vcc, 1, v3
	s_mov_b64 s[38:39], 0
	s_and_saveexec_b64 s[30:31], vcc
	s_xor_b64 s[30:31], exec, s[30:31]
	s_cbranch_execnz .LBB392_151
; %bb.105:
	s_andn2_saveexec_b64 s[30:31], s[30:31]
	s_cbranch_execnz .LBB392_167
.LBB392_106:
	s_or_b64 exec, exec, s[30:31]
	s_and_b64 exec, exec, s[38:39]
	s_cbranch_execz .LBB392_108
.LBB392_107:
	v_sub_u32_e32 v72, v24, v4
	v_mov_b32_e32 v73, 0
	v_lshl_add_u64 v[72:73], v[72:73], 2, v[54:55]
	global_store_dword v[72:73], v1, off
.LBB392_108:
	s_or_b64 exec, exec, s[36:37]
	s_mov_b64 s[36:37], 0
.LBB392_109:
	s_and_b64 vcc, exec, s[36:37]
	s_cbranch_vccz .LBB392_129
; %bb.110:
	v_cmp_gt_i16_e32 vcc, 2, v3
	s_and_saveexec_b64 s[30:31], vcc
	s_cbranch_execz .LBB392_115
; %bb.111:
	v_cmp_ne_u16_e32 vcc, 1, v3
	s_mov_b64 s[38:39], 0
	s_and_saveexec_b64 s[36:37], vcc
	s_xor_b64 s[36:37], exec, s[36:37]
	s_cbranch_execnz .LBB392_168
; %bb.112:
	s_andn2_saveexec_b64 s[0:1], s[36:37]
	s_cbranch_execnz .LBB392_184
.LBB392_113:
	s_or_b64 exec, exec, s[0:1]
	s_and_b64 exec, exec, s[38:39]
	s_cbranch_execz .LBB392_115
.LBB392_114:
	v_sub_u32_e32 v3, v24, v4
	v_lshlrev_b32_e32 v3, 2, v3
	ds_write_b32 v3, v1
.LBB392_115:
	s_or_b64 exec, exec, s[30:31]
	v_cmp_lt_u32_e32 vcc, v0, v2
	s_waitcnt lgkmcnt(0)
	s_barrier
	s_and_saveexec_b64 s[0:1], vcc
	s_cbranch_execz .LBB392_128
; %bb.116:
	v_xad_u32 v1, v0, -1, v2
	s_movk_i32 s2, 0x1ff
	v_cmp_lt_u32_e32 vcc, s2, v1
	s_mov_b64 s[4:5], -1
	v_mov_b32_e32 v8, v0
	s_and_saveexec_b64 s[2:3], vcc
	s_cbranch_execz .LBB392_125
; %bb.117:
	v_lshrrev_b32_e32 v3, 9, v1
	v_add_u32_e32 v8, -1, v3
	v_or_b32_e32 v1, 0x200, v0
	v_lshrrev_b32_e32 v7, 1, v8
	v_add_u32_e32 v7, 1, v7
	v_cmp_lt_u32_e32 vcc, 13, v8
	v_mov_b32_e32 v14, 0
	v_mov_b64_e32 v[8:9], v[0:1]
	s_and_saveexec_b64 s[4:5], vcc
	s_cbranch_execz .LBB392_121
; %bb.118:
	v_and_b32_e32 v12, -8, v7
	v_lshlrev_b32_e32 v13, 2, v0
	s_mov_b32 s8, 0
	s_mov_b64 s[6:7], 0
	v_mov_b32_e32 v11, 0
	v_mov_b64_e32 v[8:9], v[0:1]
.LBB392_119:                            ; =>This Inner Loop Header: Depth=1
	ds_read2st64_b32 v[16:17], v13 offset1:8
	v_mov_b32_e32 v10, v8
	ds_read2st64_b32 v[76:77], v13 offset0:48 offset1:56
	v_lshl_add_u64 v[94:95], v[10:11], 2, v[54:55]
	v_mov_b32_e32 v10, v9
	ds_read2st64_b32 v[18:19], v13 offset0:16 offset1:24
	ds_read2st64_b32 v[80:81], v13 offset0:64 offset1:72
	v_lshl_add_u64 v[98:99], v[10:11], 2, v[54:55]
	v_add_u32_e32 v10, 0x400, v8
	ds_read2st64_b32 v[84:85], v13 offset0:80 offset1:88
	v_lshl_add_u64 v[100:101], v[10:11], 2, v[54:55]
	v_add_u32_e32 v10, 0x800, v8
	v_add_u32_e32 v14, 0x400, v9
	v_mov_b32_e32 v15, v11
	v_add_u32_e32 v20, 0x800, v9
	ds_read2st64_b32 v[72:73], v13 offset0:32 offset1:40
	v_mov_b32_e32 v21, v11
	ds_read2st64_b32 v[88:89], v13 offset0:96 offset1:104
	v_lshl_add_u64 v[102:103], v[10:11], 2, v[54:55]
	v_add_u32_e32 v10, 0xc00, v8
	v_add_u32_e32 v74, 0xc00, v9
	v_mov_b32_e32 v75, v11
	ds_read2st64_b32 v[92:93], v13 offset0:112 offset1:120
	v_lshl_add_u64 v[96:97], v[14:15], 2, v[54:55]
	v_lshl_add_u64 v[20:21], v[20:21], 2, v[54:55]
	s_waitcnt lgkmcnt(7)
	global_store_dword v[94:95], v16, off
	global_store_dword v[98:99], v17, off
	s_waitcnt lgkmcnt(5)
	global_store_dword v[100:101], v18, off
	global_store_dword v[96:97], v19, off
	;; [unrolled: 3-line block ×3, first 2 shown]
	v_lshl_add_u64 v[16:17], v[10:11], 2, v[54:55]
	v_add_u32_e32 v10, 0x1000, v8
	v_add_u32_e32 v78, 0x1000, v9
	v_mov_b32_e32 v79, v11
	v_lshl_add_u64 v[74:75], v[74:75], 2, v[54:55]
	global_store_dword v[16:17], v76, off
	global_store_dword v[74:75], v77, off
	v_lshl_add_u64 v[16:17], v[10:11], 2, v[54:55]
	v_add_u32_e32 v10, 0x1400, v8
	v_add_u32_e32 v82, 0x1400, v9
	v_mov_b32_e32 v83, v11
	v_add_u32_e32 v12, -8, v12
	v_lshl_add_u64 v[78:79], v[78:79], 2, v[54:55]
	global_store_dword v[16:17], v80, off
	global_store_dword v[78:79], v81, off
	v_lshl_add_u64 v[16:17], v[10:11], 2, v[54:55]
	v_add_u32_e32 v10, 0x1800, v8
	v_add_u32_e32 v86, 0x1800, v9
	v_mov_b32_e32 v87, v11
	s_add_i32 s8, s8, 16
	v_lshl_add_u64 v[82:83], v[82:83], 2, v[54:55]
	v_cmp_eq_u32_e32 vcc, 0, v12
	global_store_dword v[16:17], v84, off
	global_store_dword v[82:83], v85, off
	v_lshl_add_u64 v[16:17], v[10:11], 2, v[54:55]
	v_add_u32_e32 v10, 0x1c00, v8
	v_add_u32_e32 v90, 0x1c00, v9
	v_mov_b32_e32 v91, v11
	v_add_u32_e32 v13, 0x8000, v13
	v_lshl_add_u64 v[86:87], v[86:87], 2, v[54:55]
	v_add_u32_e32 v9, 0x2000, v9
	v_mov_b32_e32 v14, s8
	s_or_b64 s[6:7], vcc, s[6:7]
	v_add_u32_e32 v8, 0x2000, v8
	s_waitcnt lgkmcnt(1)
	global_store_dword v[16:17], v88, off
	global_store_dword v[86:87], v89, off
	v_lshl_add_u64 v[16:17], v[10:11], 2, v[54:55]
	v_lshl_add_u64 v[90:91], v[90:91], 2, v[54:55]
	s_waitcnt lgkmcnt(0)
	global_store_dword v[16:17], v92, off
	global_store_dword v[90:91], v93, off
	s_andn2_b64 exec, exec, s[6:7]
	s_cbranch_execnz .LBB392_119
; %bb.120:
	s_or_b64 exec, exec, s[6:7]
.LBB392_121:
	s_or_b64 exec, exec, s[4:5]
	v_and_b32_e32 v1, 7, v7
	v_cmp_ne_u32_e32 vcc, 0, v1
	s_and_saveexec_b64 s[4:5], vcc
	s_cbranch_execz .LBB392_124
; %bb.122:
	v_lshlrev_b32_e32 v7, 2, v0
	v_lshl_or_b32 v7, v14, 11, v7
	s_mov_b64 s[6:7], 0
	v_mov_b32_e32 v11, 0
.LBB392_123:                            ; =>This Inner Loop Header: Depth=1
	ds_read2st64_b32 v[12:13], v7 offset1:8
	v_add_u32_e32 v1, -1, v1
	v_mov_b32_e32 v10, v8
	v_cmp_eq_u32_e32 vcc, 0, v1
	v_add_u32_e32 v8, 0x400, v8
	v_add_u32_e32 v7, 0x1000, v7
	v_lshl_add_u64 v[14:15], v[10:11], 2, v[54:55]
	v_mov_b32_e32 v10, v9
	v_add_u32_e32 v9, 0x400, v9
	s_or_b64 s[6:7], vcc, s[6:7]
	v_lshl_add_u64 v[16:17], v[10:11], 2, v[54:55]
	s_waitcnt lgkmcnt(0)
	global_store_dword v[14:15], v12, off
	global_store_dword v[16:17], v13, off
	s_andn2_b64 exec, exec, s[6:7]
	s_cbranch_execnz .LBB392_123
.LBB392_124:
	s_or_b64 exec, exec, s[4:5]
	v_add_u32_e32 v1, 1, v3
	v_and_b32_e32 v3, 0xfffffe, v1
	v_cmp_ne_u32_e32 vcc, v1, v3
	v_lshl_or_b32 v8, v3, 9, v0
	s_orn2_b64 s[4:5], vcc, exec
.LBB392_125:
	s_or_b64 exec, exec, s[2:3]
	s_and_b64 exec, exec, s[4:5]
	s_cbranch_execz .LBB392_128
; %bb.126:
	v_lshlrev_b32_e32 v1, 2, v8
	s_mov_b64 s[2:3], 0
	v_mov_b32_e32 v9, 0
.LBB392_127:                            ; =>This Inner Loop Header: Depth=1
	ds_read_b32 v3, v1
	v_lshl_add_u64 v[10:11], v[8:9], 2, v[54:55]
	v_add_u32_e32 v8, 0x200, v8
	v_cmp_ge_u32_e32 vcc, v8, v2
	v_add_u32_e32 v1, 0x800, v1
	s_or_b64 s[2:3], vcc, s[2:3]
	s_waitcnt lgkmcnt(0)
	global_store_dword v[10:11], v3, off
	s_andn2_b64 exec, exec, s[2:3]
	s_cbranch_execnz .LBB392_127
.LBB392_128:
	s_or_b64 exec, exec, s[0:1]
.LBB392_129:
	s_cmpk_lg_i32 s33, 0x1e00
	s_cselect_b64 s[0:1], -1, 0
	v_cndmask_b32_e64 v16, 0, 1, s[48:49]
	s_and_b64 s[0:1], s[34:35], s[0:1]
	v_cmp_eq_u32_e32 vcc, 0, v0
	v_sub_u32_e32 v1, v2, v16
	v_cndmask_b32_e64 v3, 0, 1, s[0:1]
	s_and_b64 s[0:1], vcc, s[48:49]
	v_add_u32_e32 v1, v1, v3
	v_cndmask_b32_e64 v3, v70, 0, s[0:1]
	s_mul_hi_u32 s0, s33, 0x88888889
	s_lshr_b32 s0, s0, 3
	v_mad_i32_i24 v7, v0, -15, s33
	v_cmp_eq_u32_e32 vcc, s0, v0
	v_cmp_ne_u32_e64 s[0:1], 0, v7
	s_and_b64 vcc, s[34:35], vcc
	s_mov_b32 s2, 0
	v_cndmask_b32_e64 v8, 1, v3, s[0:1]
	v_cmp_ne_u32_e64 s[0:1], 1, v7
	s_movk_i32 s30, 0x200
	s_mov_b64 s[36:37], -1
	v_cndmask_b32_e64 v9, 1, v69, s[0:1]
	v_cmp_ne_u32_e64 s[0:1], 2, v7
	s_barrier
	s_nop 0
	v_cndmask_b32_e64 v10, 1, v68, s[0:1]
	v_cmp_ne_u32_e64 s[0:1], 3, v7
	s_nop 1
	v_cndmask_b32_e64 v11, 1, v67, s[0:1]
	v_cmp_ne_u32_e64 s[0:1], 4, v7
	;; [unrolled: 3-line block ×7, first 2 shown]
	v_cndmask_b32_e32 v55, v62, v17, vcc
	v_cndmask_b32_e32 v62, v69, v9, vcc
	v_cndmask_b32_e64 v18, 1, v61, s[0:1]
	v_cmp_ne_u32_e64 s[0:1], 10, v7
	v_cndmask_b32_e32 v18, v61, v18, vcc
	v_cndmask_b32_e32 v61, v68, v10, vcc
	v_cndmask_b32_e64 v19, 1, v60, s[0:1]
	v_cmp_ne_u32_e64 s[0:1], 11, v7
	;; [unrolled: 4-line block ×5, first 2 shown]
	v_cndmask_b32_e32 v54, v57, v54, vcc
	v_cndmask_b32_e32 v57, v64, v14, vcc
	v_cndmask_b32_e64 v7, 1, v56, s[0:1]
	v_cndmask_b32_e32 v7, v56, v7, vcc
	v_cndmask_b32_e32 v56, v63, v15, vcc
	;; [unrolled: 1-line block ×3, first 2 shown]
	v_mov_b32_e32 v17, s2
	v_cmp_eq_u32_e32 vcc, 0, v63
	v_lshl_add_u64 v[14:15], v[16:17], 0, -1
	v_add_u32_e32 v3, v4, v16
	v_cndmask_b32_e64 v16, 1, 2, vcc
	v_cmp_eq_u32_e32 vcc, 0, v62
	v_lshlrev_b64 v[10:11], 3, v[52:53]
	v_cmp_ne_u32_e64 s[0:1], 0, v7
	v_cndmask_b32_e64 v17, 1, 2, vcc
	v_cmp_eq_u32_e32 vcc, 0, v61
	v_and_b32_e32 v16, v17, v16
	v_lshl_add_u64 v[8:9], s[42:43], 0, v[10:11]
	v_cndmask_b32_e64 v17, 1, 2, vcc
	v_cmp_eq_u32_e32 vcc, 0, v60
	v_and_b32_e32 v16, v16, v17
	v_lshlrev_b64 v[12:13], 3, v[4:5]
	v_cndmask_b32_e64 v17, 1, 2, vcc
	v_cmp_eq_u32_e32 vcc, 0, v59
	v_and_b32_e32 v16, v16, v17
	v_lshl_add_u64 v[8:9], v[8:9], 0, v[12:13]
	v_cndmask_b32_e64 v17, 1, 2, vcc
	v_cmp_eq_u32_e32 vcc, 0, v58
	v_and_b32_e32 v16, v16, v17
	v_cmp_ne_u32_e64 s[28:29], 0, v63
	v_cndmask_b32_e64 v17, 1, 2, vcc
	v_cmp_eq_u32_e32 vcc, 0, v57
	v_and_b32_e32 v16, v16, v17
	v_cmp_ne_u32_e64 s[26:27], 0, v62
	;; [unrolled: 4-line block ×10, first 2 shown]
	v_cndmask_b32_e64 v7, 1, 2, vcc
	v_and_b32_e32 v7, v16, v7
	v_cmp_gt_u32_e32 vcc, s30, v1
	v_cmp_ne_u32_e64 s[8:9], 0, v19
	v_cmp_ne_u32_e64 s[6:7], 0, v20
	v_cmp_ne_u32_e64 s[4:5], 0, v21
	v_cmp_ne_u32_e64 s[2:3], 0, v54
	v_cmp_gt_i16_e64 s[30:31], 2, v7
	s_cbranch_vccz .LBB392_136
; %bb.130:
	s_and_saveexec_b64 s[36:37], s[30:31]
	s_cbranch_execz .LBB392_135
; %bb.131:
	v_lshlrev_b64 v[16:17], 3, v[14:15]
	v_lshl_add_u64 v[16:17], v[8:9], 0, v[16:17]
	v_cmp_ne_u16_e32 vcc, 1, v7
	s_mov_b64 s[38:39], 0
	s_and_saveexec_b64 s[30:31], vcc
	s_xor_b64 s[30:31], exec, s[30:31]
	s_cbranch_execnz .LBB392_185
; %bb.132:
	s_andn2_saveexec_b64 s[30:31], s[30:31]
	s_cbranch_execnz .LBB392_201
.LBB392_133:
	s_or_b64 exec, exec, s[30:31]
	s_and_b64 exec, exec, s[38:39]
	s_cbranch_execz .LBB392_135
.LBB392_134:
	v_mov_b32_e32 v19, 0
	v_sub_u32_e32 v20, v24, v3
	v_mov_b32_e32 v21, v19
	v_mov_b32_e32 v18, v25
	v_lshl_add_u64 v[16:17], v[20:21], 3, v[16:17]
	global_store_dwordx2 v[16:17], v[18:19], off
.LBB392_135:
	s_or_b64 exec, exec, s[36:37]
	s_mov_b64 s[36:37], 0
.LBB392_136:
	s_and_b64 vcc, exec, s[36:37]
	s_cbranch_vccz .LBB392_146
; %bb.137:
	v_cmp_gt_i16_e32 vcc, 2, v7
	s_and_saveexec_b64 s[30:31], vcc
	s_cbranch_execz .LBB392_142
; %bb.138:
	v_cmp_ne_u16_e32 vcc, 1, v7
	s_mov_b64 s[38:39], 0
	s_and_saveexec_b64 s[36:37], vcc
	s_xor_b64 s[36:37], exec, s[36:37]
	s_cbranch_execnz .LBB392_202
; %bb.139:
	s_andn2_saveexec_b64 s[0:1], s[36:37]
	s_cbranch_execnz .LBB392_218
.LBB392_140:
	s_or_b64 exec, exec, s[0:1]
	s_and_b64 exec, exec, s[38:39]
	s_cbranch_execz .LBB392_142
.LBB392_141:
	v_sub_u32_e32 v3, v24, v3
	v_lshlrev_b32_e32 v3, 2, v3
	ds_write_b32 v3, v25
.LBB392_142:
	s_or_b64 exec, exec, s[30:31]
	v_cmp_lt_u32_e32 vcc, v0, v1
	s_waitcnt lgkmcnt(0)
	s_barrier
	s_and_saveexec_b64 s[0:1], vcc
	s_cbranch_execz .LBB392_145
; %bb.143:
	v_lshlrev_b64 v[14:15], 3, v[14:15]
	v_lshl_add_u64 v[10:11], v[10:11], 0, v[14:15]
	v_lshl_add_u64 v[12:13], v[10:11], 0, v[12:13]
	v_lshlrev_b32_e32 v10, 3, v0
	v_mov_b32_e32 v11, 0
	v_lshl_add_u64 v[12:13], s[42:43], 0, v[12:13]
	v_lshlrev_b32_e32 v3, 2, v0
	v_lshl_add_u64 v[12:13], v[12:13], 0, v[10:11]
	s_mov_b64 s[2:3], 0
	s_mov_b64 s[4:5], 0x1000
	v_mov_b32_e32 v7, v0
.LBB392_144:                            ; =>This Inner Loop Header: Depth=1
	ds_read_b32 v10, v3
	v_add_u32_e32 v7, 0x200, v7
	v_cmp_ge_u32_e32 vcc, v7, v1
	v_add_u32_e32 v3, 0x800, v3
	s_or_b64 s[2:3], vcc, s[2:3]
	s_waitcnt lgkmcnt(0)
	global_store_dwordx2 v[12:13], v[10:11], off
	v_lshl_add_u64 v[12:13], v[12:13], 0, s[4:5]
	s_andn2_b64 exec, exec, s[2:3]
	s_cbranch_execnz .LBB392_144
.LBB392_145:
	s_or_b64 exec, exec, s[0:1]
.LBB392_146:
	s_movk_i32 s0, 0x1ff
	v_cmp_eq_u32_e32 vcc, s0, v0
	s_and_b64 s[0:1], vcc, s[34:35]
	s_and_saveexec_b64 s[2:3], s[0:1]
	s_cbranch_execz .LBB392_149
; %bb.147:
	v_mov_b32_e32 v3, 0
	v_lshl_add_u64 v[0:1], v[2:3], 0, v[4:5]
	v_lshl_add_u64 v[0:1], v[0:1], 0, v[52:53]
	s_cmpk_lg_i32 s33, 0x1e00
	global_store_dwordx2 v3, v[0:1], s[44:45]
	s_cbranch_scc1 .LBB392_149
; %bb.148:
	v_lshlrev_b64 v[0:1], 3, v[2:3]
	v_mov_b32_e32 v7, v3
	v_lshl_add_u64 v[0:1], v[8:9], 0, v[0:1]
	global_store_dwordx2 v[0:1], v[6:7], off offset:-8
.LBB392_149:
	s_endpgm
.LBB392_150:
	s_or_b64 exec, exec, s[12:13]
	v_mov_b32_e32 v70, s3
	s_and_saveexec_b64 s[4:5], s[8:9]
	s_cbranch_execnz .LBB392_56
	s_branch .LBB392_57
.LBB392_151:
	s_and_saveexec_b64 s[38:39], s[28:29]
	s_cbranch_execnz .LBB392_219
; %bb.152:
	s_or_b64 exec, exec, s[38:39]
	s_and_saveexec_b64 s[38:39], s[26:27]
	s_cbranch_execnz .LBB392_220
.LBB392_153:
	s_or_b64 exec, exec, s[38:39]
	s_and_saveexec_b64 s[38:39], s[24:25]
	s_cbranch_execnz .LBB392_221
.LBB392_154:
	s_or_b64 exec, exec, s[38:39]
	s_and_saveexec_b64 s[38:39], s[22:23]
	s_cbranch_execnz .LBB392_222
.LBB392_155:
	s_or_b64 exec, exec, s[38:39]
	s_and_saveexec_b64 s[38:39], s[20:21]
	s_cbranch_execnz .LBB392_223
.LBB392_156:
	s_or_b64 exec, exec, s[38:39]
	s_and_saveexec_b64 s[38:39], s[18:19]
	s_cbranch_execnz .LBB392_224
.LBB392_157:
	s_or_b64 exec, exec, s[38:39]
	s_and_saveexec_b64 s[38:39], s[16:17]
	s_cbranch_execnz .LBB392_225
.LBB392_158:
	s_or_b64 exec, exec, s[38:39]
	s_and_saveexec_b64 s[38:39], s[14:15]
	s_cbranch_execnz .LBB392_226
.LBB392_159:
	s_or_b64 exec, exec, s[38:39]
	s_and_saveexec_b64 s[38:39], s[12:13]
	s_cbranch_execnz .LBB392_227
.LBB392_160:
	s_or_b64 exec, exec, s[38:39]
	s_and_saveexec_b64 s[38:39], s[10:11]
	s_cbranch_execnz .LBB392_228
.LBB392_161:
	s_or_b64 exec, exec, s[38:39]
	s_and_saveexec_b64 s[38:39], s[8:9]
	s_cbranch_execnz .LBB392_229
.LBB392_162:
	s_or_b64 exec, exec, s[38:39]
	s_and_saveexec_b64 s[38:39], s[6:7]
	s_cbranch_execnz .LBB392_230
.LBB392_163:
	s_or_b64 exec, exec, s[38:39]
	s_and_saveexec_b64 s[38:39], s[4:5]
	s_cbranch_execnz .LBB392_231
.LBB392_164:
	s_or_b64 exec, exec, s[38:39]
	s_and_saveexec_b64 s[38:39], s[2:3]
	s_cbranch_execz .LBB392_166
.LBB392_165:
	v_sub_u32_e32 v72, v22, v4
	v_mov_b32_e32 v73, 0
	v_lshl_add_u64 v[72:73], v[72:73], 2, v[54:55]
	global_store_dword v[72:73], v9, off
.LBB392_166:
	s_or_b64 exec, exec, s[38:39]
	s_and_b64 s[38:39], s[0:1], exec
	s_andn2_saveexec_b64 s[30:31], s[30:31]
	s_cbranch_execz .LBB392_106
.LBB392_167:
	v_sub_u32_e32 v72, v50, v4
	v_mov_b32_e32 v73, 0
	v_lshl_add_u64 v[74:75], v[72:73], 2, v[54:55]
	v_sub_u32_e32 v72, v48, v4
	global_store_dword v[74:75], v20, off
	v_lshl_add_u64 v[74:75], v[72:73], 2, v[54:55]
	v_sub_u32_e32 v72, v46, v4
	global_store_dword v[74:75], v21, off
	;; [unrolled: 3-line block ×12, first 2 shown]
	v_lshl_add_u64 v[74:75], v[72:73], 2, v[54:55]
	v_sub_u32_e32 v72, v22, v4
	v_lshl_add_u64 v[72:73], v[72:73], 2, v[54:55]
	s_or_b64 s[38:39], s[38:39], exec
	global_store_dword v[74:75], v8, off
	global_store_dword v[72:73], v9, off
	s_or_b64 exec, exec, s[30:31]
	s_and_b64 exec, exec, s[38:39]
	s_cbranch_execnz .LBB392_107
	s_branch .LBB392_108
.LBB392_168:
	s_and_saveexec_b64 s[38:39], s[28:29]
	s_cbranch_execnz .LBB392_232
; %bb.169:
	s_or_b64 exec, exec, s[38:39]
	s_and_saveexec_b64 s[28:29], s[26:27]
	s_cbranch_execnz .LBB392_233
.LBB392_170:
	s_or_b64 exec, exec, s[28:29]
	s_and_saveexec_b64 s[26:27], s[24:25]
	s_cbranch_execnz .LBB392_234
.LBB392_171:
	s_or_b64 exec, exec, s[26:27]
	s_and_saveexec_b64 s[24:25], s[22:23]
	s_cbranch_execnz .LBB392_235
.LBB392_172:
	s_or_b64 exec, exec, s[24:25]
	s_and_saveexec_b64 s[22:23], s[20:21]
	s_cbranch_execnz .LBB392_236
.LBB392_173:
	s_or_b64 exec, exec, s[22:23]
	s_and_saveexec_b64 s[20:21], s[18:19]
	s_cbranch_execnz .LBB392_237
.LBB392_174:
	s_or_b64 exec, exec, s[20:21]
	s_and_saveexec_b64 s[18:19], s[16:17]
	s_cbranch_execnz .LBB392_238
.LBB392_175:
	s_or_b64 exec, exec, s[18:19]
	s_and_saveexec_b64 s[16:17], s[14:15]
	s_cbranch_execnz .LBB392_239
.LBB392_176:
	s_or_b64 exec, exec, s[16:17]
	s_and_saveexec_b64 s[14:15], s[12:13]
	s_cbranch_execnz .LBB392_240
.LBB392_177:
	s_or_b64 exec, exec, s[14:15]
	s_and_saveexec_b64 s[12:13], s[10:11]
	s_cbranch_execnz .LBB392_241
.LBB392_178:
	s_or_b64 exec, exec, s[12:13]
	s_and_saveexec_b64 s[10:11], s[8:9]
	s_cbranch_execnz .LBB392_242
.LBB392_179:
	s_or_b64 exec, exec, s[10:11]
	s_and_saveexec_b64 s[8:9], s[6:7]
	s_cbranch_execnz .LBB392_243
.LBB392_180:
	s_or_b64 exec, exec, s[8:9]
	s_and_saveexec_b64 s[6:7], s[4:5]
	s_cbranch_execnz .LBB392_244
.LBB392_181:
	s_or_b64 exec, exec, s[6:7]
	s_and_saveexec_b64 s[4:5], s[2:3]
	s_cbranch_execz .LBB392_183
.LBB392_182:
	v_sub_u32_e32 v3, v22, v4
	v_lshlrev_b32_e32 v3, 2, v3
	ds_write_b32 v3, v9
.LBB392_183:
	s_or_b64 exec, exec, s[4:5]
	s_and_b64 s[38:39], s[0:1], exec
                                        ; implicit-def: $vgpr9
                                        ; implicit-def: $vgpr11
                                        ; implicit-def: $vgpr13
                                        ; implicit-def: $vgpr15
                                        ; implicit-def: $vgpr17
                                        ; implicit-def: $vgpr19
                                        ; implicit-def: $vgpr21
	s_andn2_saveexec_b64 s[0:1], s[36:37]
	s_cbranch_execz .LBB392_113
.LBB392_184:
	v_sub_u32_e32 v3, v50, v4
	v_lshlrev_b32_e32 v3, 2, v3
	ds_write_b32 v3, v20
	v_sub_u32_e32 v3, v48, v4
	v_lshlrev_b32_e32 v3, 2, v3
	ds_write_b32 v3, v21
	;; [unrolled: 3-line block ×13, first 2 shown]
	v_sub_u32_e32 v3, v22, v4
	v_lshlrev_b32_e32 v3, 2, v3
	s_or_b64 s[38:39], s[38:39], exec
	ds_write_b32 v3, v9
	s_or_b64 exec, exec, s[0:1]
	s_and_b64 exec, exec, s[38:39]
	s_cbranch_execnz .LBB392_114
	s_branch .LBB392_115
.LBB392_185:
	s_and_saveexec_b64 s[38:39], s[28:29]
	s_cbranch_execnz .LBB392_245
; %bb.186:
	s_or_b64 exec, exec, s[38:39]
	s_and_saveexec_b64 s[38:39], s[26:27]
	s_cbranch_execnz .LBB392_246
.LBB392_187:
	s_or_b64 exec, exec, s[38:39]
	s_and_saveexec_b64 s[38:39], s[24:25]
	s_cbranch_execnz .LBB392_247
.LBB392_188:
	s_or_b64 exec, exec, s[38:39]
	s_and_saveexec_b64 s[38:39], s[22:23]
	s_cbranch_execnz .LBB392_248
.LBB392_189:
	s_or_b64 exec, exec, s[38:39]
	s_and_saveexec_b64 s[38:39], s[20:21]
	s_cbranch_execnz .LBB392_249
.LBB392_190:
	s_or_b64 exec, exec, s[38:39]
	s_and_saveexec_b64 s[38:39], s[18:19]
	s_cbranch_execnz .LBB392_250
.LBB392_191:
	s_or_b64 exec, exec, s[38:39]
	s_and_saveexec_b64 s[38:39], s[16:17]
	s_cbranch_execnz .LBB392_251
.LBB392_192:
	s_or_b64 exec, exec, s[38:39]
	s_and_saveexec_b64 s[38:39], s[14:15]
	s_cbranch_execnz .LBB392_252
.LBB392_193:
	s_or_b64 exec, exec, s[38:39]
	s_and_saveexec_b64 s[38:39], s[12:13]
	s_cbranch_execnz .LBB392_253
.LBB392_194:
	s_or_b64 exec, exec, s[38:39]
	s_and_saveexec_b64 s[38:39], s[10:11]
	s_cbranch_execnz .LBB392_254
.LBB392_195:
	s_or_b64 exec, exec, s[38:39]
	s_and_saveexec_b64 s[38:39], s[8:9]
	s_cbranch_execnz .LBB392_255
.LBB392_196:
	s_or_b64 exec, exec, s[38:39]
	s_and_saveexec_b64 s[38:39], s[6:7]
	s_cbranch_execnz .LBB392_256
.LBB392_197:
	s_or_b64 exec, exec, s[38:39]
	s_and_saveexec_b64 s[38:39], s[4:5]
	s_cbranch_execnz .LBB392_257
.LBB392_198:
	s_or_b64 exec, exec, s[38:39]
	s_and_saveexec_b64 s[38:39], s[2:3]
	s_cbranch_execz .LBB392_200
.LBB392_199:
	v_sub_u32_e32 v18, v22, v3
	v_mov_b32_e32 v19, 0
	v_lshl_add_u64 v[20:21], v[18:19], 3, v[16:17]
	v_mov_b32_e32 v18, v23
	global_store_dwordx2 v[20:21], v[18:19], off
.LBB392_200:
	s_or_b64 exec, exec, s[38:39]
	s_and_b64 s[38:39], s[0:1], exec
	s_andn2_saveexec_b64 s[30:31], s[30:31]
	s_cbranch_execz .LBB392_133
.LBB392_201:
	v_mov_b32_e32 v19, 0
	v_sub_u32_e32 v20, v50, v3
	v_mov_b32_e32 v21, v19
	v_mov_b32_e32 v18, v51
	v_lshl_add_u64 v[20:21], v[20:21], 3, v[16:17]
	global_store_dwordx2 v[20:21], v[18:19], off
	v_sub_u32_e32 v20, v48, v3
	v_mov_b32_e32 v21, v19
	v_mov_b32_e32 v18, v49
	v_lshl_add_u64 v[20:21], v[20:21], 3, v[16:17]
	global_store_dwordx2 v[20:21], v[18:19], off
	;; [unrolled: 5-line block ×13, first 2 shown]
	v_sub_u32_e32 v20, v22, v3
	v_mov_b32_e32 v21, v19
	v_mov_b32_e32 v18, v23
	v_lshl_add_u64 v[20:21], v[20:21], 3, v[16:17]
	s_or_b64 s[38:39], s[38:39], exec
	global_store_dwordx2 v[20:21], v[18:19], off
	s_or_b64 exec, exec, s[30:31]
	s_and_b64 exec, exec, s[38:39]
	s_cbranch_execnz .LBB392_134
	s_branch .LBB392_135
.LBB392_202:
	s_and_saveexec_b64 s[38:39], s[28:29]
	s_cbranch_execnz .LBB392_258
; %bb.203:
	s_or_b64 exec, exec, s[38:39]
	s_and_saveexec_b64 s[28:29], s[26:27]
	s_cbranch_execnz .LBB392_259
.LBB392_204:
	s_or_b64 exec, exec, s[28:29]
	s_and_saveexec_b64 s[26:27], s[24:25]
	s_cbranch_execnz .LBB392_260
.LBB392_205:
	s_or_b64 exec, exec, s[26:27]
	s_and_saveexec_b64 s[24:25], s[22:23]
	s_cbranch_execnz .LBB392_261
.LBB392_206:
	s_or_b64 exec, exec, s[24:25]
	s_and_saveexec_b64 s[22:23], s[20:21]
	s_cbranch_execnz .LBB392_262
.LBB392_207:
	s_or_b64 exec, exec, s[22:23]
	s_and_saveexec_b64 s[20:21], s[18:19]
	s_cbranch_execnz .LBB392_263
.LBB392_208:
	s_or_b64 exec, exec, s[20:21]
	s_and_saveexec_b64 s[18:19], s[16:17]
	s_cbranch_execnz .LBB392_264
.LBB392_209:
	s_or_b64 exec, exec, s[18:19]
	s_and_saveexec_b64 s[16:17], s[14:15]
	s_cbranch_execnz .LBB392_265
.LBB392_210:
	s_or_b64 exec, exec, s[16:17]
	s_and_saveexec_b64 s[14:15], s[12:13]
	s_cbranch_execnz .LBB392_266
.LBB392_211:
	s_or_b64 exec, exec, s[14:15]
	s_and_saveexec_b64 s[12:13], s[10:11]
	s_cbranch_execnz .LBB392_267
.LBB392_212:
	s_or_b64 exec, exec, s[12:13]
	s_and_saveexec_b64 s[10:11], s[8:9]
	s_cbranch_execnz .LBB392_268
.LBB392_213:
	s_or_b64 exec, exec, s[10:11]
	s_and_saveexec_b64 s[8:9], s[6:7]
	s_cbranch_execnz .LBB392_269
.LBB392_214:
	s_or_b64 exec, exec, s[8:9]
	s_and_saveexec_b64 s[6:7], s[4:5]
	s_cbranch_execnz .LBB392_270
.LBB392_215:
	s_or_b64 exec, exec, s[6:7]
	s_and_saveexec_b64 s[4:5], s[2:3]
	s_cbranch_execz .LBB392_217
.LBB392_216:
	v_sub_u32_e32 v7, v22, v3
	v_lshlrev_b32_e32 v7, 2, v7
	ds_write_b32 v7, v23
.LBB392_217:
	s_or_b64 exec, exec, s[4:5]
	s_and_b64 s[38:39], s[0:1], exec
                                        ; implicit-def: $vgpr22_vgpr23
                                        ; implicit-def: $vgpr26_vgpr27
                                        ; implicit-def: $vgpr28_vgpr29
                                        ; implicit-def: $vgpr50_vgpr51
                                        ; implicit-def: $vgpr48_vgpr49
                                        ; implicit-def: $vgpr46_vgpr47
                                        ; implicit-def: $vgpr44_vgpr45
                                        ; implicit-def: $vgpr42_vgpr43
                                        ; implicit-def: $vgpr40_vgpr41
                                        ; implicit-def: $vgpr38_vgpr39
                                        ; implicit-def: $vgpr36_vgpr37
                                        ; implicit-def: $vgpr34_vgpr35
                                        ; implicit-def: $vgpr32_vgpr33
                                        ; implicit-def: $vgpr30_vgpr31
	s_andn2_saveexec_b64 s[0:1], s[36:37]
	s_cbranch_execz .LBB392_140
.LBB392_218:
	v_sub_u32_e32 v7, v50, v3
	v_lshlrev_b32_e32 v7, 2, v7
	ds_write_b32 v7, v51
	v_sub_u32_e32 v7, v48, v3
	v_lshlrev_b32_e32 v7, 2, v7
	ds_write_b32 v7, v49
	;; [unrolled: 3-line block ×13, first 2 shown]
	v_sub_u32_e32 v7, v22, v3
	v_lshlrev_b32_e32 v7, 2, v7
	s_or_b64 s[38:39], s[38:39], exec
	ds_write_b32 v7, v23
	s_or_b64 exec, exec, s[0:1]
	s_and_b64 exec, exec, s[38:39]
	s_cbranch_execnz .LBB392_141
	s_branch .LBB392_142
.LBB392_219:
	v_sub_u32_e32 v72, v50, v4
	v_mov_b32_e32 v73, 0
	v_lshl_add_u64 v[72:73], v[72:73], 2, v[54:55]
	global_store_dword v[72:73], v20, off
	s_or_b64 exec, exec, s[38:39]
	s_and_saveexec_b64 s[38:39], s[26:27]
	s_cbranch_execz .LBB392_153
.LBB392_220:
	v_sub_u32_e32 v72, v48, v4
	v_mov_b32_e32 v73, 0
	v_lshl_add_u64 v[72:73], v[72:73], 2, v[54:55]
	global_store_dword v[72:73], v21, off
	s_or_b64 exec, exec, s[38:39]
	s_and_saveexec_b64 s[38:39], s[24:25]
	s_cbranch_execz .LBB392_154
.LBB392_221:
	v_sub_u32_e32 v72, v46, v4
	v_mov_b32_e32 v73, 0
	v_lshl_add_u64 v[72:73], v[72:73], 2, v[54:55]
	global_store_dword v[72:73], v18, off
	s_or_b64 exec, exec, s[38:39]
	s_and_saveexec_b64 s[38:39], s[22:23]
	s_cbranch_execz .LBB392_155
.LBB392_222:
	v_sub_u32_e32 v72, v44, v4
	v_mov_b32_e32 v73, 0
	v_lshl_add_u64 v[72:73], v[72:73], 2, v[54:55]
	global_store_dword v[72:73], v19, off
	s_or_b64 exec, exec, s[38:39]
	s_and_saveexec_b64 s[38:39], s[20:21]
	s_cbranch_execz .LBB392_156
.LBB392_223:
	v_sub_u32_e32 v72, v42, v4
	v_mov_b32_e32 v73, 0
	v_lshl_add_u64 v[72:73], v[72:73], 2, v[54:55]
	global_store_dword v[72:73], v16, off
	s_or_b64 exec, exec, s[38:39]
	s_and_saveexec_b64 s[38:39], s[18:19]
	s_cbranch_execz .LBB392_157
.LBB392_224:
	v_sub_u32_e32 v72, v40, v4
	v_mov_b32_e32 v73, 0
	v_lshl_add_u64 v[72:73], v[72:73], 2, v[54:55]
	global_store_dword v[72:73], v17, off
	s_or_b64 exec, exec, s[38:39]
	s_and_saveexec_b64 s[38:39], s[16:17]
	s_cbranch_execz .LBB392_158
.LBB392_225:
	v_sub_u32_e32 v72, v38, v4
	v_mov_b32_e32 v73, 0
	v_lshl_add_u64 v[72:73], v[72:73], 2, v[54:55]
	global_store_dword v[72:73], v14, off
	s_or_b64 exec, exec, s[38:39]
	s_and_saveexec_b64 s[38:39], s[14:15]
	s_cbranch_execz .LBB392_159
.LBB392_226:
	v_sub_u32_e32 v72, v36, v4
	v_mov_b32_e32 v73, 0
	v_lshl_add_u64 v[72:73], v[72:73], 2, v[54:55]
	global_store_dword v[72:73], v15, off
	s_or_b64 exec, exec, s[38:39]
	s_and_saveexec_b64 s[38:39], s[12:13]
	s_cbranch_execz .LBB392_160
.LBB392_227:
	v_sub_u32_e32 v72, v34, v4
	v_mov_b32_e32 v73, 0
	v_lshl_add_u64 v[72:73], v[72:73], 2, v[54:55]
	global_store_dword v[72:73], v12, off
	s_or_b64 exec, exec, s[38:39]
	s_and_saveexec_b64 s[38:39], s[10:11]
	s_cbranch_execz .LBB392_161
.LBB392_228:
	v_sub_u32_e32 v72, v32, v4
	v_mov_b32_e32 v73, 0
	v_lshl_add_u64 v[72:73], v[72:73], 2, v[54:55]
	global_store_dword v[72:73], v13, off
	s_or_b64 exec, exec, s[38:39]
	s_and_saveexec_b64 s[38:39], s[8:9]
	s_cbranch_execz .LBB392_162
.LBB392_229:
	v_sub_u32_e32 v72, v30, v4
	v_mov_b32_e32 v73, 0
	v_lshl_add_u64 v[72:73], v[72:73], 2, v[54:55]
	global_store_dword v[72:73], v10, off
	s_or_b64 exec, exec, s[38:39]
	s_and_saveexec_b64 s[38:39], s[6:7]
	s_cbranch_execz .LBB392_163
.LBB392_230:
	v_sub_u32_e32 v72, v28, v4
	v_mov_b32_e32 v73, 0
	v_lshl_add_u64 v[72:73], v[72:73], 2, v[54:55]
	global_store_dword v[72:73], v11, off
	s_or_b64 exec, exec, s[38:39]
	s_and_saveexec_b64 s[38:39], s[4:5]
	s_cbranch_execz .LBB392_164
.LBB392_231:
	v_sub_u32_e32 v72, v26, v4
	v_mov_b32_e32 v73, 0
	v_lshl_add_u64 v[72:73], v[72:73], 2, v[54:55]
	global_store_dword v[72:73], v8, off
	s_or_b64 exec, exec, s[38:39]
	s_and_saveexec_b64 s[38:39], s[2:3]
	s_cbranch_execnz .LBB392_165
	s_branch .LBB392_166
.LBB392_232:
	v_sub_u32_e32 v3, v50, v4
	v_lshlrev_b32_e32 v3, 2, v3
	ds_write_b32 v3, v20
	s_or_b64 exec, exec, s[38:39]
	s_and_saveexec_b64 s[28:29], s[26:27]
	s_cbranch_execz .LBB392_170
.LBB392_233:
	v_sub_u32_e32 v3, v48, v4
	v_lshlrev_b32_e32 v3, 2, v3
	ds_write_b32 v3, v21
	s_or_b64 exec, exec, s[28:29]
	s_and_saveexec_b64 s[26:27], s[24:25]
	s_cbranch_execz .LBB392_171
.LBB392_234:
	v_sub_u32_e32 v3, v46, v4
	v_lshlrev_b32_e32 v3, 2, v3
	ds_write_b32 v3, v18
	s_or_b64 exec, exec, s[26:27]
	s_and_saveexec_b64 s[24:25], s[22:23]
	s_cbranch_execz .LBB392_172
.LBB392_235:
	v_sub_u32_e32 v3, v44, v4
	v_lshlrev_b32_e32 v3, 2, v3
	ds_write_b32 v3, v19
	s_or_b64 exec, exec, s[24:25]
	s_and_saveexec_b64 s[22:23], s[20:21]
	s_cbranch_execz .LBB392_173
.LBB392_236:
	v_sub_u32_e32 v3, v42, v4
	v_lshlrev_b32_e32 v3, 2, v3
	ds_write_b32 v3, v16
	s_or_b64 exec, exec, s[22:23]
	s_and_saveexec_b64 s[20:21], s[18:19]
	s_cbranch_execz .LBB392_174
.LBB392_237:
	v_sub_u32_e32 v3, v40, v4
	v_lshlrev_b32_e32 v3, 2, v3
	ds_write_b32 v3, v17
	s_or_b64 exec, exec, s[20:21]
	s_and_saveexec_b64 s[18:19], s[16:17]
	s_cbranch_execz .LBB392_175
.LBB392_238:
	v_sub_u32_e32 v3, v38, v4
	v_lshlrev_b32_e32 v3, 2, v3
	ds_write_b32 v3, v14
	s_or_b64 exec, exec, s[18:19]
	s_and_saveexec_b64 s[16:17], s[14:15]
	s_cbranch_execz .LBB392_176
.LBB392_239:
	v_sub_u32_e32 v3, v36, v4
	v_lshlrev_b32_e32 v3, 2, v3
	ds_write_b32 v3, v15
	s_or_b64 exec, exec, s[16:17]
	s_and_saveexec_b64 s[14:15], s[12:13]
	s_cbranch_execz .LBB392_177
.LBB392_240:
	v_sub_u32_e32 v3, v34, v4
	v_lshlrev_b32_e32 v3, 2, v3
	ds_write_b32 v3, v12
	s_or_b64 exec, exec, s[14:15]
	s_and_saveexec_b64 s[12:13], s[10:11]
	s_cbranch_execz .LBB392_178
.LBB392_241:
	v_sub_u32_e32 v3, v32, v4
	v_lshlrev_b32_e32 v3, 2, v3
	ds_write_b32 v3, v13
	s_or_b64 exec, exec, s[12:13]
	s_and_saveexec_b64 s[10:11], s[8:9]
	s_cbranch_execz .LBB392_179
.LBB392_242:
	v_sub_u32_e32 v3, v30, v4
	v_lshlrev_b32_e32 v3, 2, v3
	ds_write_b32 v3, v10
	s_or_b64 exec, exec, s[10:11]
	s_and_saveexec_b64 s[8:9], s[6:7]
	s_cbranch_execz .LBB392_180
.LBB392_243:
	v_sub_u32_e32 v3, v28, v4
	v_lshlrev_b32_e32 v3, 2, v3
	ds_write_b32 v3, v11
	s_or_b64 exec, exec, s[8:9]
	s_and_saveexec_b64 s[6:7], s[4:5]
	s_cbranch_execz .LBB392_181
.LBB392_244:
	v_sub_u32_e32 v3, v26, v4
	v_lshlrev_b32_e32 v3, 2, v3
	ds_write_b32 v3, v8
	s_or_b64 exec, exec, s[6:7]
	s_and_saveexec_b64 s[4:5], s[2:3]
	s_cbranch_execnz .LBB392_182
	s_branch .LBB392_183
.LBB392_245:
	v_sub_u32_e32 v18, v50, v3
	v_mov_b32_e32 v19, 0
	v_lshl_add_u64 v[20:21], v[18:19], 3, v[16:17]
	v_mov_b32_e32 v18, v51
	global_store_dwordx2 v[20:21], v[18:19], off
	s_or_b64 exec, exec, s[38:39]
	s_and_saveexec_b64 s[38:39], s[26:27]
	s_cbranch_execz .LBB392_187
.LBB392_246:
	v_sub_u32_e32 v18, v48, v3
	v_mov_b32_e32 v19, 0
	v_lshl_add_u64 v[20:21], v[18:19], 3, v[16:17]
	v_mov_b32_e32 v18, v49
	global_store_dwordx2 v[20:21], v[18:19], off
	s_or_b64 exec, exec, s[38:39]
	s_and_saveexec_b64 s[38:39], s[24:25]
	s_cbranch_execz .LBB392_188
.LBB392_247:
	v_sub_u32_e32 v18, v46, v3
	v_mov_b32_e32 v19, 0
	v_lshl_add_u64 v[20:21], v[18:19], 3, v[16:17]
	v_mov_b32_e32 v18, v47
	global_store_dwordx2 v[20:21], v[18:19], off
	s_or_b64 exec, exec, s[38:39]
	s_and_saveexec_b64 s[38:39], s[22:23]
	s_cbranch_execz .LBB392_189
.LBB392_248:
	v_sub_u32_e32 v18, v44, v3
	v_mov_b32_e32 v19, 0
	v_lshl_add_u64 v[20:21], v[18:19], 3, v[16:17]
	v_mov_b32_e32 v18, v45
	global_store_dwordx2 v[20:21], v[18:19], off
	s_or_b64 exec, exec, s[38:39]
	s_and_saveexec_b64 s[38:39], s[20:21]
	s_cbranch_execz .LBB392_190
.LBB392_249:
	v_sub_u32_e32 v18, v42, v3
	v_mov_b32_e32 v19, 0
	v_lshl_add_u64 v[20:21], v[18:19], 3, v[16:17]
	v_mov_b32_e32 v18, v43
	global_store_dwordx2 v[20:21], v[18:19], off
	s_or_b64 exec, exec, s[38:39]
	s_and_saveexec_b64 s[38:39], s[18:19]
	s_cbranch_execz .LBB392_191
.LBB392_250:
	v_sub_u32_e32 v18, v40, v3
	v_mov_b32_e32 v19, 0
	v_lshl_add_u64 v[20:21], v[18:19], 3, v[16:17]
	v_mov_b32_e32 v18, v41
	global_store_dwordx2 v[20:21], v[18:19], off
	s_or_b64 exec, exec, s[38:39]
	s_and_saveexec_b64 s[38:39], s[16:17]
	s_cbranch_execz .LBB392_192
.LBB392_251:
	v_sub_u32_e32 v18, v38, v3
	v_mov_b32_e32 v19, 0
	v_lshl_add_u64 v[20:21], v[18:19], 3, v[16:17]
	v_mov_b32_e32 v18, v39
	global_store_dwordx2 v[20:21], v[18:19], off
	s_or_b64 exec, exec, s[38:39]
	s_and_saveexec_b64 s[38:39], s[14:15]
	s_cbranch_execz .LBB392_193
.LBB392_252:
	v_sub_u32_e32 v18, v36, v3
	v_mov_b32_e32 v19, 0
	v_lshl_add_u64 v[20:21], v[18:19], 3, v[16:17]
	v_mov_b32_e32 v18, v37
	global_store_dwordx2 v[20:21], v[18:19], off
	s_or_b64 exec, exec, s[38:39]
	s_and_saveexec_b64 s[38:39], s[12:13]
	s_cbranch_execz .LBB392_194
.LBB392_253:
	v_sub_u32_e32 v18, v34, v3
	v_mov_b32_e32 v19, 0
	v_lshl_add_u64 v[20:21], v[18:19], 3, v[16:17]
	v_mov_b32_e32 v18, v35
	global_store_dwordx2 v[20:21], v[18:19], off
	s_or_b64 exec, exec, s[38:39]
	s_and_saveexec_b64 s[38:39], s[10:11]
	s_cbranch_execz .LBB392_195
.LBB392_254:
	v_sub_u32_e32 v18, v32, v3
	v_mov_b32_e32 v19, 0
	v_lshl_add_u64 v[20:21], v[18:19], 3, v[16:17]
	v_mov_b32_e32 v18, v33
	global_store_dwordx2 v[20:21], v[18:19], off
	s_or_b64 exec, exec, s[38:39]
	s_and_saveexec_b64 s[38:39], s[8:9]
	s_cbranch_execz .LBB392_196
.LBB392_255:
	v_sub_u32_e32 v18, v30, v3
	v_mov_b32_e32 v19, 0
	v_lshl_add_u64 v[20:21], v[18:19], 3, v[16:17]
	v_mov_b32_e32 v18, v31
	global_store_dwordx2 v[20:21], v[18:19], off
	s_or_b64 exec, exec, s[38:39]
	s_and_saveexec_b64 s[38:39], s[6:7]
	s_cbranch_execz .LBB392_197
.LBB392_256:
	v_sub_u32_e32 v18, v28, v3
	v_mov_b32_e32 v19, 0
	v_lshl_add_u64 v[20:21], v[18:19], 3, v[16:17]
	v_mov_b32_e32 v18, v29
	global_store_dwordx2 v[20:21], v[18:19], off
	s_or_b64 exec, exec, s[38:39]
	s_and_saveexec_b64 s[38:39], s[4:5]
	s_cbranch_execz .LBB392_198
.LBB392_257:
	v_sub_u32_e32 v18, v26, v3
	v_mov_b32_e32 v19, 0
	v_lshl_add_u64 v[20:21], v[18:19], 3, v[16:17]
	v_mov_b32_e32 v18, v27
	global_store_dwordx2 v[20:21], v[18:19], off
	s_or_b64 exec, exec, s[38:39]
	s_and_saveexec_b64 s[38:39], s[2:3]
	s_cbranch_execnz .LBB392_199
	s_branch .LBB392_200
.LBB392_258:
	v_sub_u32_e32 v7, v50, v3
	v_lshlrev_b32_e32 v7, 2, v7
	ds_write_b32 v7, v51
	s_or_b64 exec, exec, s[38:39]
	s_and_saveexec_b64 s[28:29], s[26:27]
	s_cbranch_execz .LBB392_204
.LBB392_259:
	v_sub_u32_e32 v7, v48, v3
	v_lshlrev_b32_e32 v7, 2, v7
	ds_write_b32 v7, v49
	s_or_b64 exec, exec, s[28:29]
	s_and_saveexec_b64 s[26:27], s[24:25]
	s_cbranch_execz .LBB392_205
.LBB392_260:
	v_sub_u32_e32 v7, v46, v3
	v_lshlrev_b32_e32 v7, 2, v7
	ds_write_b32 v7, v47
	s_or_b64 exec, exec, s[26:27]
	s_and_saveexec_b64 s[24:25], s[22:23]
	s_cbranch_execz .LBB392_206
.LBB392_261:
	v_sub_u32_e32 v7, v44, v3
	v_lshlrev_b32_e32 v7, 2, v7
	ds_write_b32 v7, v45
	s_or_b64 exec, exec, s[24:25]
	s_and_saveexec_b64 s[22:23], s[20:21]
	s_cbranch_execz .LBB392_207
.LBB392_262:
	v_sub_u32_e32 v7, v42, v3
	v_lshlrev_b32_e32 v7, 2, v7
	ds_write_b32 v7, v43
	s_or_b64 exec, exec, s[22:23]
	s_and_saveexec_b64 s[20:21], s[18:19]
	s_cbranch_execz .LBB392_208
.LBB392_263:
	v_sub_u32_e32 v7, v40, v3
	v_lshlrev_b32_e32 v7, 2, v7
	ds_write_b32 v7, v41
	s_or_b64 exec, exec, s[20:21]
	s_and_saveexec_b64 s[18:19], s[16:17]
	s_cbranch_execz .LBB392_209
.LBB392_264:
	v_sub_u32_e32 v7, v38, v3
	v_lshlrev_b32_e32 v7, 2, v7
	ds_write_b32 v7, v39
	s_or_b64 exec, exec, s[18:19]
	s_and_saveexec_b64 s[16:17], s[14:15]
	s_cbranch_execz .LBB392_210
.LBB392_265:
	v_sub_u32_e32 v7, v36, v3
	v_lshlrev_b32_e32 v7, 2, v7
	ds_write_b32 v7, v37
	s_or_b64 exec, exec, s[16:17]
	s_and_saveexec_b64 s[14:15], s[12:13]
	s_cbranch_execz .LBB392_211
.LBB392_266:
	v_sub_u32_e32 v7, v34, v3
	v_lshlrev_b32_e32 v7, 2, v7
	ds_write_b32 v7, v35
	s_or_b64 exec, exec, s[14:15]
	s_and_saveexec_b64 s[12:13], s[10:11]
	s_cbranch_execz .LBB392_212
.LBB392_267:
	v_sub_u32_e32 v7, v32, v3
	v_lshlrev_b32_e32 v7, 2, v7
	ds_write_b32 v7, v33
	s_or_b64 exec, exec, s[12:13]
	s_and_saveexec_b64 s[10:11], s[8:9]
	s_cbranch_execz .LBB392_213
.LBB392_268:
	v_sub_u32_e32 v7, v30, v3
	v_lshlrev_b32_e32 v7, 2, v7
	ds_write_b32 v7, v31
	s_or_b64 exec, exec, s[10:11]
	s_and_saveexec_b64 s[8:9], s[6:7]
	s_cbranch_execz .LBB392_214
.LBB392_269:
	v_sub_u32_e32 v7, v28, v3
	v_lshlrev_b32_e32 v7, 2, v7
	ds_write_b32 v7, v29
	s_or_b64 exec, exec, s[8:9]
	s_and_saveexec_b64 s[6:7], s[4:5]
	s_cbranch_execz .LBB392_215
.LBB392_270:
	v_sub_u32_e32 v7, v26, v3
	v_lshlrev_b32_e32 v7, 2, v7
	ds_write_b32 v7, v27
	s_or_b64 exec, exec, s[6:7]
	s_and_saveexec_b64 s[4:5], s[2:3]
	s_cbranch_execnz .LBB392_216
	s_branch .LBB392_217
	.section	.rodata,"a",@progbits
	.p2align	6, 0x0
	.amdhsa_kernel _ZN7rocprim17ROCPRIM_400000_NS6detail17trampoline_kernelINS0_14default_configENS1_33run_length_encode_config_selectorIfjNS0_4plusIjEEEEZZNS1_33reduce_by_key_impl_wrapped_configILNS1_25lookback_scan_determinismE0ES3_S7_PKfNS0_17constant_iteratorIjlEEPfPlSF_S6_NS0_8equal_toIfEEEE10hipError_tPvRmT2_T3_mT4_T5_T6_T7_T8_P12ihipStream_tbENKUlT_T0_E_clISt17integral_constantIbLb1EESY_IbLb0EEEEDaSU_SV_EUlSU_E_NS1_11comp_targetILNS1_3genE5ELNS1_11target_archE942ELNS1_3gpuE9ELNS1_3repE0EEENS1_30default_config_static_selectorELNS0_4arch9wavefront6targetE1EEEvT1_
		.amdhsa_group_segment_fixed_size 30720
		.amdhsa_private_segment_fixed_size 0
		.amdhsa_kernarg_size 128
		.amdhsa_user_sgpr_count 2
		.amdhsa_user_sgpr_dispatch_ptr 0
		.amdhsa_user_sgpr_queue_ptr 0
		.amdhsa_user_sgpr_kernarg_segment_ptr 1
		.amdhsa_user_sgpr_dispatch_id 0
		.amdhsa_user_sgpr_kernarg_preload_length 0
		.amdhsa_user_sgpr_kernarg_preload_offset 0
		.amdhsa_user_sgpr_private_segment_size 0
		.amdhsa_uses_dynamic_stack 0
		.amdhsa_enable_private_segment 0
		.amdhsa_system_sgpr_workgroup_id_x 1
		.amdhsa_system_sgpr_workgroup_id_y 0
		.amdhsa_system_sgpr_workgroup_id_z 0
		.amdhsa_system_sgpr_workgroup_info 0
		.amdhsa_system_vgpr_workitem_id 0
		.amdhsa_next_free_vgpr 104
		.amdhsa_next_free_sgpr 64
		.amdhsa_accum_offset 104
		.amdhsa_reserve_vcc 1
		.amdhsa_float_round_mode_32 0
		.amdhsa_float_round_mode_16_64 0
		.amdhsa_float_denorm_mode_32 3
		.amdhsa_float_denorm_mode_16_64 3
		.amdhsa_dx10_clamp 1
		.amdhsa_ieee_mode 1
		.amdhsa_fp16_overflow 0
		.amdhsa_tg_split 0
		.amdhsa_exception_fp_ieee_invalid_op 0
		.amdhsa_exception_fp_denorm_src 0
		.amdhsa_exception_fp_ieee_div_zero 0
		.amdhsa_exception_fp_ieee_overflow 0
		.amdhsa_exception_fp_ieee_underflow 0
		.amdhsa_exception_fp_ieee_inexact 0
		.amdhsa_exception_int_div_zero 0
	.end_amdhsa_kernel
	.section	.text._ZN7rocprim17ROCPRIM_400000_NS6detail17trampoline_kernelINS0_14default_configENS1_33run_length_encode_config_selectorIfjNS0_4plusIjEEEEZZNS1_33reduce_by_key_impl_wrapped_configILNS1_25lookback_scan_determinismE0ES3_S7_PKfNS0_17constant_iteratorIjlEEPfPlSF_S6_NS0_8equal_toIfEEEE10hipError_tPvRmT2_T3_mT4_T5_T6_T7_T8_P12ihipStream_tbENKUlT_T0_E_clISt17integral_constantIbLb1EESY_IbLb0EEEEDaSU_SV_EUlSU_E_NS1_11comp_targetILNS1_3genE5ELNS1_11target_archE942ELNS1_3gpuE9ELNS1_3repE0EEENS1_30default_config_static_selectorELNS0_4arch9wavefront6targetE1EEEvT1_,"axG",@progbits,_ZN7rocprim17ROCPRIM_400000_NS6detail17trampoline_kernelINS0_14default_configENS1_33run_length_encode_config_selectorIfjNS0_4plusIjEEEEZZNS1_33reduce_by_key_impl_wrapped_configILNS1_25lookback_scan_determinismE0ES3_S7_PKfNS0_17constant_iteratorIjlEEPfPlSF_S6_NS0_8equal_toIfEEEE10hipError_tPvRmT2_T3_mT4_T5_T6_T7_T8_P12ihipStream_tbENKUlT_T0_E_clISt17integral_constantIbLb1EESY_IbLb0EEEEDaSU_SV_EUlSU_E_NS1_11comp_targetILNS1_3genE5ELNS1_11target_archE942ELNS1_3gpuE9ELNS1_3repE0EEENS1_30default_config_static_selectorELNS0_4arch9wavefront6targetE1EEEvT1_,comdat
.Lfunc_end392:
	.size	_ZN7rocprim17ROCPRIM_400000_NS6detail17trampoline_kernelINS0_14default_configENS1_33run_length_encode_config_selectorIfjNS0_4plusIjEEEEZZNS1_33reduce_by_key_impl_wrapped_configILNS1_25lookback_scan_determinismE0ES3_S7_PKfNS0_17constant_iteratorIjlEEPfPlSF_S6_NS0_8equal_toIfEEEE10hipError_tPvRmT2_T3_mT4_T5_T6_T7_T8_P12ihipStream_tbENKUlT_T0_E_clISt17integral_constantIbLb1EESY_IbLb0EEEEDaSU_SV_EUlSU_E_NS1_11comp_targetILNS1_3genE5ELNS1_11target_archE942ELNS1_3gpuE9ELNS1_3repE0EEENS1_30default_config_static_selectorELNS0_4arch9wavefront6targetE1EEEvT1_, .Lfunc_end392-_ZN7rocprim17ROCPRIM_400000_NS6detail17trampoline_kernelINS0_14default_configENS1_33run_length_encode_config_selectorIfjNS0_4plusIjEEEEZZNS1_33reduce_by_key_impl_wrapped_configILNS1_25lookback_scan_determinismE0ES3_S7_PKfNS0_17constant_iteratorIjlEEPfPlSF_S6_NS0_8equal_toIfEEEE10hipError_tPvRmT2_T3_mT4_T5_T6_T7_T8_P12ihipStream_tbENKUlT_T0_E_clISt17integral_constantIbLb1EESY_IbLb0EEEEDaSU_SV_EUlSU_E_NS1_11comp_targetILNS1_3genE5ELNS1_11target_archE942ELNS1_3gpuE9ELNS1_3repE0EEENS1_30default_config_static_selectorELNS0_4arch9wavefront6targetE1EEEvT1_
                                        ; -- End function
	.section	.AMDGPU.csdata,"",@progbits
; Kernel info:
; codeLenInByte = 14696
; NumSgprs: 70
; NumVgprs: 104
; NumAgprs: 0
; TotalNumVgprs: 104
; ScratchSize: 0
; MemoryBound: 0
; FloatMode: 240
; IeeeMode: 1
; LDSByteSize: 30720 bytes/workgroup (compile time only)
; SGPRBlocks: 8
; VGPRBlocks: 12
; NumSGPRsForWavesPerEU: 70
; NumVGPRsForWavesPerEU: 104
; AccumOffset: 104
; Occupancy: 4
; WaveLimiterHint : 1
; COMPUTE_PGM_RSRC2:SCRATCH_EN: 0
; COMPUTE_PGM_RSRC2:USER_SGPR: 2
; COMPUTE_PGM_RSRC2:TRAP_HANDLER: 0
; COMPUTE_PGM_RSRC2:TGID_X_EN: 1
; COMPUTE_PGM_RSRC2:TGID_Y_EN: 0
; COMPUTE_PGM_RSRC2:TGID_Z_EN: 0
; COMPUTE_PGM_RSRC2:TIDIG_COMP_CNT: 0
; COMPUTE_PGM_RSRC3_GFX90A:ACCUM_OFFSET: 25
; COMPUTE_PGM_RSRC3_GFX90A:TG_SPLIT: 0
	.section	.text._ZN7rocprim17ROCPRIM_400000_NS6detail17trampoline_kernelINS0_14default_configENS1_33run_length_encode_config_selectorIfjNS0_4plusIjEEEEZZNS1_33reduce_by_key_impl_wrapped_configILNS1_25lookback_scan_determinismE0ES3_S7_PKfNS0_17constant_iteratorIjlEEPfPlSF_S6_NS0_8equal_toIfEEEE10hipError_tPvRmT2_T3_mT4_T5_T6_T7_T8_P12ihipStream_tbENKUlT_T0_E_clISt17integral_constantIbLb1EESY_IbLb0EEEEDaSU_SV_EUlSU_E_NS1_11comp_targetILNS1_3genE4ELNS1_11target_archE910ELNS1_3gpuE8ELNS1_3repE0EEENS1_30default_config_static_selectorELNS0_4arch9wavefront6targetE1EEEvT1_,"axG",@progbits,_ZN7rocprim17ROCPRIM_400000_NS6detail17trampoline_kernelINS0_14default_configENS1_33run_length_encode_config_selectorIfjNS0_4plusIjEEEEZZNS1_33reduce_by_key_impl_wrapped_configILNS1_25lookback_scan_determinismE0ES3_S7_PKfNS0_17constant_iteratorIjlEEPfPlSF_S6_NS0_8equal_toIfEEEE10hipError_tPvRmT2_T3_mT4_T5_T6_T7_T8_P12ihipStream_tbENKUlT_T0_E_clISt17integral_constantIbLb1EESY_IbLb0EEEEDaSU_SV_EUlSU_E_NS1_11comp_targetILNS1_3genE4ELNS1_11target_archE910ELNS1_3gpuE8ELNS1_3repE0EEENS1_30default_config_static_selectorELNS0_4arch9wavefront6targetE1EEEvT1_,comdat
	.protected	_ZN7rocprim17ROCPRIM_400000_NS6detail17trampoline_kernelINS0_14default_configENS1_33run_length_encode_config_selectorIfjNS0_4plusIjEEEEZZNS1_33reduce_by_key_impl_wrapped_configILNS1_25lookback_scan_determinismE0ES3_S7_PKfNS0_17constant_iteratorIjlEEPfPlSF_S6_NS0_8equal_toIfEEEE10hipError_tPvRmT2_T3_mT4_T5_T6_T7_T8_P12ihipStream_tbENKUlT_T0_E_clISt17integral_constantIbLb1EESY_IbLb0EEEEDaSU_SV_EUlSU_E_NS1_11comp_targetILNS1_3genE4ELNS1_11target_archE910ELNS1_3gpuE8ELNS1_3repE0EEENS1_30default_config_static_selectorELNS0_4arch9wavefront6targetE1EEEvT1_ ; -- Begin function _ZN7rocprim17ROCPRIM_400000_NS6detail17trampoline_kernelINS0_14default_configENS1_33run_length_encode_config_selectorIfjNS0_4plusIjEEEEZZNS1_33reduce_by_key_impl_wrapped_configILNS1_25lookback_scan_determinismE0ES3_S7_PKfNS0_17constant_iteratorIjlEEPfPlSF_S6_NS0_8equal_toIfEEEE10hipError_tPvRmT2_T3_mT4_T5_T6_T7_T8_P12ihipStream_tbENKUlT_T0_E_clISt17integral_constantIbLb1EESY_IbLb0EEEEDaSU_SV_EUlSU_E_NS1_11comp_targetILNS1_3genE4ELNS1_11target_archE910ELNS1_3gpuE8ELNS1_3repE0EEENS1_30default_config_static_selectorELNS0_4arch9wavefront6targetE1EEEvT1_
	.globl	_ZN7rocprim17ROCPRIM_400000_NS6detail17trampoline_kernelINS0_14default_configENS1_33run_length_encode_config_selectorIfjNS0_4plusIjEEEEZZNS1_33reduce_by_key_impl_wrapped_configILNS1_25lookback_scan_determinismE0ES3_S7_PKfNS0_17constant_iteratorIjlEEPfPlSF_S6_NS0_8equal_toIfEEEE10hipError_tPvRmT2_T3_mT4_T5_T6_T7_T8_P12ihipStream_tbENKUlT_T0_E_clISt17integral_constantIbLb1EESY_IbLb0EEEEDaSU_SV_EUlSU_E_NS1_11comp_targetILNS1_3genE4ELNS1_11target_archE910ELNS1_3gpuE8ELNS1_3repE0EEENS1_30default_config_static_selectorELNS0_4arch9wavefront6targetE1EEEvT1_
	.p2align	8
	.type	_ZN7rocprim17ROCPRIM_400000_NS6detail17trampoline_kernelINS0_14default_configENS1_33run_length_encode_config_selectorIfjNS0_4plusIjEEEEZZNS1_33reduce_by_key_impl_wrapped_configILNS1_25lookback_scan_determinismE0ES3_S7_PKfNS0_17constant_iteratorIjlEEPfPlSF_S6_NS0_8equal_toIfEEEE10hipError_tPvRmT2_T3_mT4_T5_T6_T7_T8_P12ihipStream_tbENKUlT_T0_E_clISt17integral_constantIbLb1EESY_IbLb0EEEEDaSU_SV_EUlSU_E_NS1_11comp_targetILNS1_3genE4ELNS1_11target_archE910ELNS1_3gpuE8ELNS1_3repE0EEENS1_30default_config_static_selectorELNS0_4arch9wavefront6targetE1EEEvT1_,@function
_ZN7rocprim17ROCPRIM_400000_NS6detail17trampoline_kernelINS0_14default_configENS1_33run_length_encode_config_selectorIfjNS0_4plusIjEEEEZZNS1_33reduce_by_key_impl_wrapped_configILNS1_25lookback_scan_determinismE0ES3_S7_PKfNS0_17constant_iteratorIjlEEPfPlSF_S6_NS0_8equal_toIfEEEE10hipError_tPvRmT2_T3_mT4_T5_T6_T7_T8_P12ihipStream_tbENKUlT_T0_E_clISt17integral_constantIbLb1EESY_IbLb0EEEEDaSU_SV_EUlSU_E_NS1_11comp_targetILNS1_3genE4ELNS1_11target_archE910ELNS1_3gpuE8ELNS1_3repE0EEENS1_30default_config_static_selectorELNS0_4arch9wavefront6targetE1EEEvT1_: ; @_ZN7rocprim17ROCPRIM_400000_NS6detail17trampoline_kernelINS0_14default_configENS1_33run_length_encode_config_selectorIfjNS0_4plusIjEEEEZZNS1_33reduce_by_key_impl_wrapped_configILNS1_25lookback_scan_determinismE0ES3_S7_PKfNS0_17constant_iteratorIjlEEPfPlSF_S6_NS0_8equal_toIfEEEE10hipError_tPvRmT2_T3_mT4_T5_T6_T7_T8_P12ihipStream_tbENKUlT_T0_E_clISt17integral_constantIbLb1EESY_IbLb0EEEEDaSU_SV_EUlSU_E_NS1_11comp_targetILNS1_3genE4ELNS1_11target_archE910ELNS1_3gpuE8ELNS1_3repE0EEENS1_30default_config_static_selectorELNS0_4arch9wavefront6targetE1EEEvT1_
; %bb.0:
	.section	.rodata,"a",@progbits
	.p2align	6, 0x0
	.amdhsa_kernel _ZN7rocprim17ROCPRIM_400000_NS6detail17trampoline_kernelINS0_14default_configENS1_33run_length_encode_config_selectorIfjNS0_4plusIjEEEEZZNS1_33reduce_by_key_impl_wrapped_configILNS1_25lookback_scan_determinismE0ES3_S7_PKfNS0_17constant_iteratorIjlEEPfPlSF_S6_NS0_8equal_toIfEEEE10hipError_tPvRmT2_T3_mT4_T5_T6_T7_T8_P12ihipStream_tbENKUlT_T0_E_clISt17integral_constantIbLb1EESY_IbLb0EEEEDaSU_SV_EUlSU_E_NS1_11comp_targetILNS1_3genE4ELNS1_11target_archE910ELNS1_3gpuE8ELNS1_3repE0EEENS1_30default_config_static_selectorELNS0_4arch9wavefront6targetE1EEEvT1_
		.amdhsa_group_segment_fixed_size 0
		.amdhsa_private_segment_fixed_size 0
		.amdhsa_kernarg_size 128
		.amdhsa_user_sgpr_count 2
		.amdhsa_user_sgpr_dispatch_ptr 0
		.amdhsa_user_sgpr_queue_ptr 0
		.amdhsa_user_sgpr_kernarg_segment_ptr 1
		.amdhsa_user_sgpr_dispatch_id 0
		.amdhsa_user_sgpr_kernarg_preload_length 0
		.amdhsa_user_sgpr_kernarg_preload_offset 0
		.amdhsa_user_sgpr_private_segment_size 0
		.amdhsa_uses_dynamic_stack 0
		.amdhsa_enable_private_segment 0
		.amdhsa_system_sgpr_workgroup_id_x 1
		.amdhsa_system_sgpr_workgroup_id_y 0
		.amdhsa_system_sgpr_workgroup_id_z 0
		.amdhsa_system_sgpr_workgroup_info 0
		.amdhsa_system_vgpr_workitem_id 0
		.amdhsa_next_free_vgpr 1
		.amdhsa_next_free_sgpr 0
		.amdhsa_accum_offset 4
		.amdhsa_reserve_vcc 0
		.amdhsa_float_round_mode_32 0
		.amdhsa_float_round_mode_16_64 0
		.amdhsa_float_denorm_mode_32 3
		.amdhsa_float_denorm_mode_16_64 3
		.amdhsa_dx10_clamp 1
		.amdhsa_ieee_mode 1
		.amdhsa_fp16_overflow 0
		.amdhsa_tg_split 0
		.amdhsa_exception_fp_ieee_invalid_op 0
		.amdhsa_exception_fp_denorm_src 0
		.amdhsa_exception_fp_ieee_div_zero 0
		.amdhsa_exception_fp_ieee_overflow 0
		.amdhsa_exception_fp_ieee_underflow 0
		.amdhsa_exception_fp_ieee_inexact 0
		.amdhsa_exception_int_div_zero 0
	.end_amdhsa_kernel
	.section	.text._ZN7rocprim17ROCPRIM_400000_NS6detail17trampoline_kernelINS0_14default_configENS1_33run_length_encode_config_selectorIfjNS0_4plusIjEEEEZZNS1_33reduce_by_key_impl_wrapped_configILNS1_25lookback_scan_determinismE0ES3_S7_PKfNS0_17constant_iteratorIjlEEPfPlSF_S6_NS0_8equal_toIfEEEE10hipError_tPvRmT2_T3_mT4_T5_T6_T7_T8_P12ihipStream_tbENKUlT_T0_E_clISt17integral_constantIbLb1EESY_IbLb0EEEEDaSU_SV_EUlSU_E_NS1_11comp_targetILNS1_3genE4ELNS1_11target_archE910ELNS1_3gpuE8ELNS1_3repE0EEENS1_30default_config_static_selectorELNS0_4arch9wavefront6targetE1EEEvT1_,"axG",@progbits,_ZN7rocprim17ROCPRIM_400000_NS6detail17trampoline_kernelINS0_14default_configENS1_33run_length_encode_config_selectorIfjNS0_4plusIjEEEEZZNS1_33reduce_by_key_impl_wrapped_configILNS1_25lookback_scan_determinismE0ES3_S7_PKfNS0_17constant_iteratorIjlEEPfPlSF_S6_NS0_8equal_toIfEEEE10hipError_tPvRmT2_T3_mT4_T5_T6_T7_T8_P12ihipStream_tbENKUlT_T0_E_clISt17integral_constantIbLb1EESY_IbLb0EEEEDaSU_SV_EUlSU_E_NS1_11comp_targetILNS1_3genE4ELNS1_11target_archE910ELNS1_3gpuE8ELNS1_3repE0EEENS1_30default_config_static_selectorELNS0_4arch9wavefront6targetE1EEEvT1_,comdat
.Lfunc_end393:
	.size	_ZN7rocprim17ROCPRIM_400000_NS6detail17trampoline_kernelINS0_14default_configENS1_33run_length_encode_config_selectorIfjNS0_4plusIjEEEEZZNS1_33reduce_by_key_impl_wrapped_configILNS1_25lookback_scan_determinismE0ES3_S7_PKfNS0_17constant_iteratorIjlEEPfPlSF_S6_NS0_8equal_toIfEEEE10hipError_tPvRmT2_T3_mT4_T5_T6_T7_T8_P12ihipStream_tbENKUlT_T0_E_clISt17integral_constantIbLb1EESY_IbLb0EEEEDaSU_SV_EUlSU_E_NS1_11comp_targetILNS1_3genE4ELNS1_11target_archE910ELNS1_3gpuE8ELNS1_3repE0EEENS1_30default_config_static_selectorELNS0_4arch9wavefront6targetE1EEEvT1_, .Lfunc_end393-_ZN7rocprim17ROCPRIM_400000_NS6detail17trampoline_kernelINS0_14default_configENS1_33run_length_encode_config_selectorIfjNS0_4plusIjEEEEZZNS1_33reduce_by_key_impl_wrapped_configILNS1_25lookback_scan_determinismE0ES3_S7_PKfNS0_17constant_iteratorIjlEEPfPlSF_S6_NS0_8equal_toIfEEEE10hipError_tPvRmT2_T3_mT4_T5_T6_T7_T8_P12ihipStream_tbENKUlT_T0_E_clISt17integral_constantIbLb1EESY_IbLb0EEEEDaSU_SV_EUlSU_E_NS1_11comp_targetILNS1_3genE4ELNS1_11target_archE910ELNS1_3gpuE8ELNS1_3repE0EEENS1_30default_config_static_selectorELNS0_4arch9wavefront6targetE1EEEvT1_
                                        ; -- End function
	.section	.AMDGPU.csdata,"",@progbits
; Kernel info:
; codeLenInByte = 0
; NumSgprs: 6
; NumVgprs: 0
; NumAgprs: 0
; TotalNumVgprs: 0
; ScratchSize: 0
; MemoryBound: 0
; FloatMode: 240
; IeeeMode: 1
; LDSByteSize: 0 bytes/workgroup (compile time only)
; SGPRBlocks: 0
; VGPRBlocks: 0
; NumSGPRsForWavesPerEU: 6
; NumVGPRsForWavesPerEU: 1
; AccumOffset: 4
; Occupancy: 8
; WaveLimiterHint : 0
; COMPUTE_PGM_RSRC2:SCRATCH_EN: 0
; COMPUTE_PGM_RSRC2:USER_SGPR: 2
; COMPUTE_PGM_RSRC2:TRAP_HANDLER: 0
; COMPUTE_PGM_RSRC2:TGID_X_EN: 1
; COMPUTE_PGM_RSRC2:TGID_Y_EN: 0
; COMPUTE_PGM_RSRC2:TGID_Z_EN: 0
; COMPUTE_PGM_RSRC2:TIDIG_COMP_CNT: 0
; COMPUTE_PGM_RSRC3_GFX90A:ACCUM_OFFSET: 0
; COMPUTE_PGM_RSRC3_GFX90A:TG_SPLIT: 0
	.section	.text._ZN7rocprim17ROCPRIM_400000_NS6detail17trampoline_kernelINS0_14default_configENS1_33run_length_encode_config_selectorIfjNS0_4plusIjEEEEZZNS1_33reduce_by_key_impl_wrapped_configILNS1_25lookback_scan_determinismE0ES3_S7_PKfNS0_17constant_iteratorIjlEEPfPlSF_S6_NS0_8equal_toIfEEEE10hipError_tPvRmT2_T3_mT4_T5_T6_T7_T8_P12ihipStream_tbENKUlT_T0_E_clISt17integral_constantIbLb1EESY_IbLb0EEEEDaSU_SV_EUlSU_E_NS1_11comp_targetILNS1_3genE3ELNS1_11target_archE908ELNS1_3gpuE7ELNS1_3repE0EEENS1_30default_config_static_selectorELNS0_4arch9wavefront6targetE1EEEvT1_,"axG",@progbits,_ZN7rocprim17ROCPRIM_400000_NS6detail17trampoline_kernelINS0_14default_configENS1_33run_length_encode_config_selectorIfjNS0_4plusIjEEEEZZNS1_33reduce_by_key_impl_wrapped_configILNS1_25lookback_scan_determinismE0ES3_S7_PKfNS0_17constant_iteratorIjlEEPfPlSF_S6_NS0_8equal_toIfEEEE10hipError_tPvRmT2_T3_mT4_T5_T6_T7_T8_P12ihipStream_tbENKUlT_T0_E_clISt17integral_constantIbLb1EESY_IbLb0EEEEDaSU_SV_EUlSU_E_NS1_11comp_targetILNS1_3genE3ELNS1_11target_archE908ELNS1_3gpuE7ELNS1_3repE0EEENS1_30default_config_static_selectorELNS0_4arch9wavefront6targetE1EEEvT1_,comdat
	.protected	_ZN7rocprim17ROCPRIM_400000_NS6detail17trampoline_kernelINS0_14default_configENS1_33run_length_encode_config_selectorIfjNS0_4plusIjEEEEZZNS1_33reduce_by_key_impl_wrapped_configILNS1_25lookback_scan_determinismE0ES3_S7_PKfNS0_17constant_iteratorIjlEEPfPlSF_S6_NS0_8equal_toIfEEEE10hipError_tPvRmT2_T3_mT4_T5_T6_T7_T8_P12ihipStream_tbENKUlT_T0_E_clISt17integral_constantIbLb1EESY_IbLb0EEEEDaSU_SV_EUlSU_E_NS1_11comp_targetILNS1_3genE3ELNS1_11target_archE908ELNS1_3gpuE7ELNS1_3repE0EEENS1_30default_config_static_selectorELNS0_4arch9wavefront6targetE1EEEvT1_ ; -- Begin function _ZN7rocprim17ROCPRIM_400000_NS6detail17trampoline_kernelINS0_14default_configENS1_33run_length_encode_config_selectorIfjNS0_4plusIjEEEEZZNS1_33reduce_by_key_impl_wrapped_configILNS1_25lookback_scan_determinismE0ES3_S7_PKfNS0_17constant_iteratorIjlEEPfPlSF_S6_NS0_8equal_toIfEEEE10hipError_tPvRmT2_T3_mT4_T5_T6_T7_T8_P12ihipStream_tbENKUlT_T0_E_clISt17integral_constantIbLb1EESY_IbLb0EEEEDaSU_SV_EUlSU_E_NS1_11comp_targetILNS1_3genE3ELNS1_11target_archE908ELNS1_3gpuE7ELNS1_3repE0EEENS1_30default_config_static_selectorELNS0_4arch9wavefront6targetE1EEEvT1_
	.globl	_ZN7rocprim17ROCPRIM_400000_NS6detail17trampoline_kernelINS0_14default_configENS1_33run_length_encode_config_selectorIfjNS0_4plusIjEEEEZZNS1_33reduce_by_key_impl_wrapped_configILNS1_25lookback_scan_determinismE0ES3_S7_PKfNS0_17constant_iteratorIjlEEPfPlSF_S6_NS0_8equal_toIfEEEE10hipError_tPvRmT2_T3_mT4_T5_T6_T7_T8_P12ihipStream_tbENKUlT_T0_E_clISt17integral_constantIbLb1EESY_IbLb0EEEEDaSU_SV_EUlSU_E_NS1_11comp_targetILNS1_3genE3ELNS1_11target_archE908ELNS1_3gpuE7ELNS1_3repE0EEENS1_30default_config_static_selectorELNS0_4arch9wavefront6targetE1EEEvT1_
	.p2align	8
	.type	_ZN7rocprim17ROCPRIM_400000_NS6detail17trampoline_kernelINS0_14default_configENS1_33run_length_encode_config_selectorIfjNS0_4plusIjEEEEZZNS1_33reduce_by_key_impl_wrapped_configILNS1_25lookback_scan_determinismE0ES3_S7_PKfNS0_17constant_iteratorIjlEEPfPlSF_S6_NS0_8equal_toIfEEEE10hipError_tPvRmT2_T3_mT4_T5_T6_T7_T8_P12ihipStream_tbENKUlT_T0_E_clISt17integral_constantIbLb1EESY_IbLb0EEEEDaSU_SV_EUlSU_E_NS1_11comp_targetILNS1_3genE3ELNS1_11target_archE908ELNS1_3gpuE7ELNS1_3repE0EEENS1_30default_config_static_selectorELNS0_4arch9wavefront6targetE1EEEvT1_,@function
_ZN7rocprim17ROCPRIM_400000_NS6detail17trampoline_kernelINS0_14default_configENS1_33run_length_encode_config_selectorIfjNS0_4plusIjEEEEZZNS1_33reduce_by_key_impl_wrapped_configILNS1_25lookback_scan_determinismE0ES3_S7_PKfNS0_17constant_iteratorIjlEEPfPlSF_S6_NS0_8equal_toIfEEEE10hipError_tPvRmT2_T3_mT4_T5_T6_T7_T8_P12ihipStream_tbENKUlT_T0_E_clISt17integral_constantIbLb1EESY_IbLb0EEEEDaSU_SV_EUlSU_E_NS1_11comp_targetILNS1_3genE3ELNS1_11target_archE908ELNS1_3gpuE7ELNS1_3repE0EEENS1_30default_config_static_selectorELNS0_4arch9wavefront6targetE1EEEvT1_: ; @_ZN7rocprim17ROCPRIM_400000_NS6detail17trampoline_kernelINS0_14default_configENS1_33run_length_encode_config_selectorIfjNS0_4plusIjEEEEZZNS1_33reduce_by_key_impl_wrapped_configILNS1_25lookback_scan_determinismE0ES3_S7_PKfNS0_17constant_iteratorIjlEEPfPlSF_S6_NS0_8equal_toIfEEEE10hipError_tPvRmT2_T3_mT4_T5_T6_T7_T8_P12ihipStream_tbENKUlT_T0_E_clISt17integral_constantIbLb1EESY_IbLb0EEEEDaSU_SV_EUlSU_E_NS1_11comp_targetILNS1_3genE3ELNS1_11target_archE908ELNS1_3gpuE7ELNS1_3repE0EEENS1_30default_config_static_selectorELNS0_4arch9wavefront6targetE1EEEvT1_
; %bb.0:
	.section	.rodata,"a",@progbits
	.p2align	6, 0x0
	.amdhsa_kernel _ZN7rocprim17ROCPRIM_400000_NS6detail17trampoline_kernelINS0_14default_configENS1_33run_length_encode_config_selectorIfjNS0_4plusIjEEEEZZNS1_33reduce_by_key_impl_wrapped_configILNS1_25lookback_scan_determinismE0ES3_S7_PKfNS0_17constant_iteratorIjlEEPfPlSF_S6_NS0_8equal_toIfEEEE10hipError_tPvRmT2_T3_mT4_T5_T6_T7_T8_P12ihipStream_tbENKUlT_T0_E_clISt17integral_constantIbLb1EESY_IbLb0EEEEDaSU_SV_EUlSU_E_NS1_11comp_targetILNS1_3genE3ELNS1_11target_archE908ELNS1_3gpuE7ELNS1_3repE0EEENS1_30default_config_static_selectorELNS0_4arch9wavefront6targetE1EEEvT1_
		.amdhsa_group_segment_fixed_size 0
		.amdhsa_private_segment_fixed_size 0
		.amdhsa_kernarg_size 128
		.amdhsa_user_sgpr_count 2
		.amdhsa_user_sgpr_dispatch_ptr 0
		.amdhsa_user_sgpr_queue_ptr 0
		.amdhsa_user_sgpr_kernarg_segment_ptr 1
		.amdhsa_user_sgpr_dispatch_id 0
		.amdhsa_user_sgpr_kernarg_preload_length 0
		.amdhsa_user_sgpr_kernarg_preload_offset 0
		.amdhsa_user_sgpr_private_segment_size 0
		.amdhsa_uses_dynamic_stack 0
		.amdhsa_enable_private_segment 0
		.amdhsa_system_sgpr_workgroup_id_x 1
		.amdhsa_system_sgpr_workgroup_id_y 0
		.amdhsa_system_sgpr_workgroup_id_z 0
		.amdhsa_system_sgpr_workgroup_info 0
		.amdhsa_system_vgpr_workitem_id 0
		.amdhsa_next_free_vgpr 1
		.amdhsa_next_free_sgpr 0
		.amdhsa_accum_offset 4
		.amdhsa_reserve_vcc 0
		.amdhsa_float_round_mode_32 0
		.amdhsa_float_round_mode_16_64 0
		.amdhsa_float_denorm_mode_32 3
		.amdhsa_float_denorm_mode_16_64 3
		.amdhsa_dx10_clamp 1
		.amdhsa_ieee_mode 1
		.amdhsa_fp16_overflow 0
		.amdhsa_tg_split 0
		.amdhsa_exception_fp_ieee_invalid_op 0
		.amdhsa_exception_fp_denorm_src 0
		.amdhsa_exception_fp_ieee_div_zero 0
		.amdhsa_exception_fp_ieee_overflow 0
		.amdhsa_exception_fp_ieee_underflow 0
		.amdhsa_exception_fp_ieee_inexact 0
		.amdhsa_exception_int_div_zero 0
	.end_amdhsa_kernel
	.section	.text._ZN7rocprim17ROCPRIM_400000_NS6detail17trampoline_kernelINS0_14default_configENS1_33run_length_encode_config_selectorIfjNS0_4plusIjEEEEZZNS1_33reduce_by_key_impl_wrapped_configILNS1_25lookback_scan_determinismE0ES3_S7_PKfNS0_17constant_iteratorIjlEEPfPlSF_S6_NS0_8equal_toIfEEEE10hipError_tPvRmT2_T3_mT4_T5_T6_T7_T8_P12ihipStream_tbENKUlT_T0_E_clISt17integral_constantIbLb1EESY_IbLb0EEEEDaSU_SV_EUlSU_E_NS1_11comp_targetILNS1_3genE3ELNS1_11target_archE908ELNS1_3gpuE7ELNS1_3repE0EEENS1_30default_config_static_selectorELNS0_4arch9wavefront6targetE1EEEvT1_,"axG",@progbits,_ZN7rocprim17ROCPRIM_400000_NS6detail17trampoline_kernelINS0_14default_configENS1_33run_length_encode_config_selectorIfjNS0_4plusIjEEEEZZNS1_33reduce_by_key_impl_wrapped_configILNS1_25lookback_scan_determinismE0ES3_S7_PKfNS0_17constant_iteratorIjlEEPfPlSF_S6_NS0_8equal_toIfEEEE10hipError_tPvRmT2_T3_mT4_T5_T6_T7_T8_P12ihipStream_tbENKUlT_T0_E_clISt17integral_constantIbLb1EESY_IbLb0EEEEDaSU_SV_EUlSU_E_NS1_11comp_targetILNS1_3genE3ELNS1_11target_archE908ELNS1_3gpuE7ELNS1_3repE0EEENS1_30default_config_static_selectorELNS0_4arch9wavefront6targetE1EEEvT1_,comdat
.Lfunc_end394:
	.size	_ZN7rocprim17ROCPRIM_400000_NS6detail17trampoline_kernelINS0_14default_configENS1_33run_length_encode_config_selectorIfjNS0_4plusIjEEEEZZNS1_33reduce_by_key_impl_wrapped_configILNS1_25lookback_scan_determinismE0ES3_S7_PKfNS0_17constant_iteratorIjlEEPfPlSF_S6_NS0_8equal_toIfEEEE10hipError_tPvRmT2_T3_mT4_T5_T6_T7_T8_P12ihipStream_tbENKUlT_T0_E_clISt17integral_constantIbLb1EESY_IbLb0EEEEDaSU_SV_EUlSU_E_NS1_11comp_targetILNS1_3genE3ELNS1_11target_archE908ELNS1_3gpuE7ELNS1_3repE0EEENS1_30default_config_static_selectorELNS0_4arch9wavefront6targetE1EEEvT1_, .Lfunc_end394-_ZN7rocprim17ROCPRIM_400000_NS6detail17trampoline_kernelINS0_14default_configENS1_33run_length_encode_config_selectorIfjNS0_4plusIjEEEEZZNS1_33reduce_by_key_impl_wrapped_configILNS1_25lookback_scan_determinismE0ES3_S7_PKfNS0_17constant_iteratorIjlEEPfPlSF_S6_NS0_8equal_toIfEEEE10hipError_tPvRmT2_T3_mT4_T5_T6_T7_T8_P12ihipStream_tbENKUlT_T0_E_clISt17integral_constantIbLb1EESY_IbLb0EEEEDaSU_SV_EUlSU_E_NS1_11comp_targetILNS1_3genE3ELNS1_11target_archE908ELNS1_3gpuE7ELNS1_3repE0EEENS1_30default_config_static_selectorELNS0_4arch9wavefront6targetE1EEEvT1_
                                        ; -- End function
	.section	.AMDGPU.csdata,"",@progbits
; Kernel info:
; codeLenInByte = 0
; NumSgprs: 6
; NumVgprs: 0
; NumAgprs: 0
; TotalNumVgprs: 0
; ScratchSize: 0
; MemoryBound: 0
; FloatMode: 240
; IeeeMode: 1
; LDSByteSize: 0 bytes/workgroup (compile time only)
; SGPRBlocks: 0
; VGPRBlocks: 0
; NumSGPRsForWavesPerEU: 6
; NumVGPRsForWavesPerEU: 1
; AccumOffset: 4
; Occupancy: 8
; WaveLimiterHint : 0
; COMPUTE_PGM_RSRC2:SCRATCH_EN: 0
; COMPUTE_PGM_RSRC2:USER_SGPR: 2
; COMPUTE_PGM_RSRC2:TRAP_HANDLER: 0
; COMPUTE_PGM_RSRC2:TGID_X_EN: 1
; COMPUTE_PGM_RSRC2:TGID_Y_EN: 0
; COMPUTE_PGM_RSRC2:TGID_Z_EN: 0
; COMPUTE_PGM_RSRC2:TIDIG_COMP_CNT: 0
; COMPUTE_PGM_RSRC3_GFX90A:ACCUM_OFFSET: 0
; COMPUTE_PGM_RSRC3_GFX90A:TG_SPLIT: 0
	.section	.text._ZN7rocprim17ROCPRIM_400000_NS6detail17trampoline_kernelINS0_14default_configENS1_33run_length_encode_config_selectorIfjNS0_4plusIjEEEEZZNS1_33reduce_by_key_impl_wrapped_configILNS1_25lookback_scan_determinismE0ES3_S7_PKfNS0_17constant_iteratorIjlEEPfPlSF_S6_NS0_8equal_toIfEEEE10hipError_tPvRmT2_T3_mT4_T5_T6_T7_T8_P12ihipStream_tbENKUlT_T0_E_clISt17integral_constantIbLb1EESY_IbLb0EEEEDaSU_SV_EUlSU_E_NS1_11comp_targetILNS1_3genE2ELNS1_11target_archE906ELNS1_3gpuE6ELNS1_3repE0EEENS1_30default_config_static_selectorELNS0_4arch9wavefront6targetE1EEEvT1_,"axG",@progbits,_ZN7rocprim17ROCPRIM_400000_NS6detail17trampoline_kernelINS0_14default_configENS1_33run_length_encode_config_selectorIfjNS0_4plusIjEEEEZZNS1_33reduce_by_key_impl_wrapped_configILNS1_25lookback_scan_determinismE0ES3_S7_PKfNS0_17constant_iteratorIjlEEPfPlSF_S6_NS0_8equal_toIfEEEE10hipError_tPvRmT2_T3_mT4_T5_T6_T7_T8_P12ihipStream_tbENKUlT_T0_E_clISt17integral_constantIbLb1EESY_IbLb0EEEEDaSU_SV_EUlSU_E_NS1_11comp_targetILNS1_3genE2ELNS1_11target_archE906ELNS1_3gpuE6ELNS1_3repE0EEENS1_30default_config_static_selectorELNS0_4arch9wavefront6targetE1EEEvT1_,comdat
	.protected	_ZN7rocprim17ROCPRIM_400000_NS6detail17trampoline_kernelINS0_14default_configENS1_33run_length_encode_config_selectorIfjNS0_4plusIjEEEEZZNS1_33reduce_by_key_impl_wrapped_configILNS1_25lookback_scan_determinismE0ES3_S7_PKfNS0_17constant_iteratorIjlEEPfPlSF_S6_NS0_8equal_toIfEEEE10hipError_tPvRmT2_T3_mT4_T5_T6_T7_T8_P12ihipStream_tbENKUlT_T0_E_clISt17integral_constantIbLb1EESY_IbLb0EEEEDaSU_SV_EUlSU_E_NS1_11comp_targetILNS1_3genE2ELNS1_11target_archE906ELNS1_3gpuE6ELNS1_3repE0EEENS1_30default_config_static_selectorELNS0_4arch9wavefront6targetE1EEEvT1_ ; -- Begin function _ZN7rocprim17ROCPRIM_400000_NS6detail17trampoline_kernelINS0_14default_configENS1_33run_length_encode_config_selectorIfjNS0_4plusIjEEEEZZNS1_33reduce_by_key_impl_wrapped_configILNS1_25lookback_scan_determinismE0ES3_S7_PKfNS0_17constant_iteratorIjlEEPfPlSF_S6_NS0_8equal_toIfEEEE10hipError_tPvRmT2_T3_mT4_T5_T6_T7_T8_P12ihipStream_tbENKUlT_T0_E_clISt17integral_constantIbLb1EESY_IbLb0EEEEDaSU_SV_EUlSU_E_NS1_11comp_targetILNS1_3genE2ELNS1_11target_archE906ELNS1_3gpuE6ELNS1_3repE0EEENS1_30default_config_static_selectorELNS0_4arch9wavefront6targetE1EEEvT1_
	.globl	_ZN7rocprim17ROCPRIM_400000_NS6detail17trampoline_kernelINS0_14default_configENS1_33run_length_encode_config_selectorIfjNS0_4plusIjEEEEZZNS1_33reduce_by_key_impl_wrapped_configILNS1_25lookback_scan_determinismE0ES3_S7_PKfNS0_17constant_iteratorIjlEEPfPlSF_S6_NS0_8equal_toIfEEEE10hipError_tPvRmT2_T3_mT4_T5_T6_T7_T8_P12ihipStream_tbENKUlT_T0_E_clISt17integral_constantIbLb1EESY_IbLb0EEEEDaSU_SV_EUlSU_E_NS1_11comp_targetILNS1_3genE2ELNS1_11target_archE906ELNS1_3gpuE6ELNS1_3repE0EEENS1_30default_config_static_selectorELNS0_4arch9wavefront6targetE1EEEvT1_
	.p2align	8
	.type	_ZN7rocprim17ROCPRIM_400000_NS6detail17trampoline_kernelINS0_14default_configENS1_33run_length_encode_config_selectorIfjNS0_4plusIjEEEEZZNS1_33reduce_by_key_impl_wrapped_configILNS1_25lookback_scan_determinismE0ES3_S7_PKfNS0_17constant_iteratorIjlEEPfPlSF_S6_NS0_8equal_toIfEEEE10hipError_tPvRmT2_T3_mT4_T5_T6_T7_T8_P12ihipStream_tbENKUlT_T0_E_clISt17integral_constantIbLb1EESY_IbLb0EEEEDaSU_SV_EUlSU_E_NS1_11comp_targetILNS1_3genE2ELNS1_11target_archE906ELNS1_3gpuE6ELNS1_3repE0EEENS1_30default_config_static_selectorELNS0_4arch9wavefront6targetE1EEEvT1_,@function
_ZN7rocprim17ROCPRIM_400000_NS6detail17trampoline_kernelINS0_14default_configENS1_33run_length_encode_config_selectorIfjNS0_4plusIjEEEEZZNS1_33reduce_by_key_impl_wrapped_configILNS1_25lookback_scan_determinismE0ES3_S7_PKfNS0_17constant_iteratorIjlEEPfPlSF_S6_NS0_8equal_toIfEEEE10hipError_tPvRmT2_T3_mT4_T5_T6_T7_T8_P12ihipStream_tbENKUlT_T0_E_clISt17integral_constantIbLb1EESY_IbLb0EEEEDaSU_SV_EUlSU_E_NS1_11comp_targetILNS1_3genE2ELNS1_11target_archE906ELNS1_3gpuE6ELNS1_3repE0EEENS1_30default_config_static_selectorELNS0_4arch9wavefront6targetE1EEEvT1_: ; @_ZN7rocprim17ROCPRIM_400000_NS6detail17trampoline_kernelINS0_14default_configENS1_33run_length_encode_config_selectorIfjNS0_4plusIjEEEEZZNS1_33reduce_by_key_impl_wrapped_configILNS1_25lookback_scan_determinismE0ES3_S7_PKfNS0_17constant_iteratorIjlEEPfPlSF_S6_NS0_8equal_toIfEEEE10hipError_tPvRmT2_T3_mT4_T5_T6_T7_T8_P12ihipStream_tbENKUlT_T0_E_clISt17integral_constantIbLb1EESY_IbLb0EEEEDaSU_SV_EUlSU_E_NS1_11comp_targetILNS1_3genE2ELNS1_11target_archE906ELNS1_3gpuE6ELNS1_3repE0EEENS1_30default_config_static_selectorELNS0_4arch9wavefront6targetE1EEEvT1_
; %bb.0:
	.section	.rodata,"a",@progbits
	.p2align	6, 0x0
	.amdhsa_kernel _ZN7rocprim17ROCPRIM_400000_NS6detail17trampoline_kernelINS0_14default_configENS1_33run_length_encode_config_selectorIfjNS0_4plusIjEEEEZZNS1_33reduce_by_key_impl_wrapped_configILNS1_25lookback_scan_determinismE0ES3_S7_PKfNS0_17constant_iteratorIjlEEPfPlSF_S6_NS0_8equal_toIfEEEE10hipError_tPvRmT2_T3_mT4_T5_T6_T7_T8_P12ihipStream_tbENKUlT_T0_E_clISt17integral_constantIbLb1EESY_IbLb0EEEEDaSU_SV_EUlSU_E_NS1_11comp_targetILNS1_3genE2ELNS1_11target_archE906ELNS1_3gpuE6ELNS1_3repE0EEENS1_30default_config_static_selectorELNS0_4arch9wavefront6targetE1EEEvT1_
		.amdhsa_group_segment_fixed_size 0
		.amdhsa_private_segment_fixed_size 0
		.amdhsa_kernarg_size 128
		.amdhsa_user_sgpr_count 2
		.amdhsa_user_sgpr_dispatch_ptr 0
		.amdhsa_user_sgpr_queue_ptr 0
		.amdhsa_user_sgpr_kernarg_segment_ptr 1
		.amdhsa_user_sgpr_dispatch_id 0
		.amdhsa_user_sgpr_kernarg_preload_length 0
		.amdhsa_user_sgpr_kernarg_preload_offset 0
		.amdhsa_user_sgpr_private_segment_size 0
		.amdhsa_uses_dynamic_stack 0
		.amdhsa_enable_private_segment 0
		.amdhsa_system_sgpr_workgroup_id_x 1
		.amdhsa_system_sgpr_workgroup_id_y 0
		.amdhsa_system_sgpr_workgroup_id_z 0
		.amdhsa_system_sgpr_workgroup_info 0
		.amdhsa_system_vgpr_workitem_id 0
		.amdhsa_next_free_vgpr 1
		.amdhsa_next_free_sgpr 0
		.amdhsa_accum_offset 4
		.amdhsa_reserve_vcc 0
		.amdhsa_float_round_mode_32 0
		.amdhsa_float_round_mode_16_64 0
		.amdhsa_float_denorm_mode_32 3
		.amdhsa_float_denorm_mode_16_64 3
		.amdhsa_dx10_clamp 1
		.amdhsa_ieee_mode 1
		.amdhsa_fp16_overflow 0
		.amdhsa_tg_split 0
		.amdhsa_exception_fp_ieee_invalid_op 0
		.amdhsa_exception_fp_denorm_src 0
		.amdhsa_exception_fp_ieee_div_zero 0
		.amdhsa_exception_fp_ieee_overflow 0
		.amdhsa_exception_fp_ieee_underflow 0
		.amdhsa_exception_fp_ieee_inexact 0
		.amdhsa_exception_int_div_zero 0
	.end_amdhsa_kernel
	.section	.text._ZN7rocprim17ROCPRIM_400000_NS6detail17trampoline_kernelINS0_14default_configENS1_33run_length_encode_config_selectorIfjNS0_4plusIjEEEEZZNS1_33reduce_by_key_impl_wrapped_configILNS1_25lookback_scan_determinismE0ES3_S7_PKfNS0_17constant_iteratorIjlEEPfPlSF_S6_NS0_8equal_toIfEEEE10hipError_tPvRmT2_T3_mT4_T5_T6_T7_T8_P12ihipStream_tbENKUlT_T0_E_clISt17integral_constantIbLb1EESY_IbLb0EEEEDaSU_SV_EUlSU_E_NS1_11comp_targetILNS1_3genE2ELNS1_11target_archE906ELNS1_3gpuE6ELNS1_3repE0EEENS1_30default_config_static_selectorELNS0_4arch9wavefront6targetE1EEEvT1_,"axG",@progbits,_ZN7rocprim17ROCPRIM_400000_NS6detail17trampoline_kernelINS0_14default_configENS1_33run_length_encode_config_selectorIfjNS0_4plusIjEEEEZZNS1_33reduce_by_key_impl_wrapped_configILNS1_25lookback_scan_determinismE0ES3_S7_PKfNS0_17constant_iteratorIjlEEPfPlSF_S6_NS0_8equal_toIfEEEE10hipError_tPvRmT2_T3_mT4_T5_T6_T7_T8_P12ihipStream_tbENKUlT_T0_E_clISt17integral_constantIbLb1EESY_IbLb0EEEEDaSU_SV_EUlSU_E_NS1_11comp_targetILNS1_3genE2ELNS1_11target_archE906ELNS1_3gpuE6ELNS1_3repE0EEENS1_30default_config_static_selectorELNS0_4arch9wavefront6targetE1EEEvT1_,comdat
.Lfunc_end395:
	.size	_ZN7rocprim17ROCPRIM_400000_NS6detail17trampoline_kernelINS0_14default_configENS1_33run_length_encode_config_selectorIfjNS0_4plusIjEEEEZZNS1_33reduce_by_key_impl_wrapped_configILNS1_25lookback_scan_determinismE0ES3_S7_PKfNS0_17constant_iteratorIjlEEPfPlSF_S6_NS0_8equal_toIfEEEE10hipError_tPvRmT2_T3_mT4_T5_T6_T7_T8_P12ihipStream_tbENKUlT_T0_E_clISt17integral_constantIbLb1EESY_IbLb0EEEEDaSU_SV_EUlSU_E_NS1_11comp_targetILNS1_3genE2ELNS1_11target_archE906ELNS1_3gpuE6ELNS1_3repE0EEENS1_30default_config_static_selectorELNS0_4arch9wavefront6targetE1EEEvT1_, .Lfunc_end395-_ZN7rocprim17ROCPRIM_400000_NS6detail17trampoline_kernelINS0_14default_configENS1_33run_length_encode_config_selectorIfjNS0_4plusIjEEEEZZNS1_33reduce_by_key_impl_wrapped_configILNS1_25lookback_scan_determinismE0ES3_S7_PKfNS0_17constant_iteratorIjlEEPfPlSF_S6_NS0_8equal_toIfEEEE10hipError_tPvRmT2_T3_mT4_T5_T6_T7_T8_P12ihipStream_tbENKUlT_T0_E_clISt17integral_constantIbLb1EESY_IbLb0EEEEDaSU_SV_EUlSU_E_NS1_11comp_targetILNS1_3genE2ELNS1_11target_archE906ELNS1_3gpuE6ELNS1_3repE0EEENS1_30default_config_static_selectorELNS0_4arch9wavefront6targetE1EEEvT1_
                                        ; -- End function
	.section	.AMDGPU.csdata,"",@progbits
; Kernel info:
; codeLenInByte = 0
; NumSgprs: 6
; NumVgprs: 0
; NumAgprs: 0
; TotalNumVgprs: 0
; ScratchSize: 0
; MemoryBound: 0
; FloatMode: 240
; IeeeMode: 1
; LDSByteSize: 0 bytes/workgroup (compile time only)
; SGPRBlocks: 0
; VGPRBlocks: 0
; NumSGPRsForWavesPerEU: 6
; NumVGPRsForWavesPerEU: 1
; AccumOffset: 4
; Occupancy: 8
; WaveLimiterHint : 0
; COMPUTE_PGM_RSRC2:SCRATCH_EN: 0
; COMPUTE_PGM_RSRC2:USER_SGPR: 2
; COMPUTE_PGM_RSRC2:TRAP_HANDLER: 0
; COMPUTE_PGM_RSRC2:TGID_X_EN: 1
; COMPUTE_PGM_RSRC2:TGID_Y_EN: 0
; COMPUTE_PGM_RSRC2:TGID_Z_EN: 0
; COMPUTE_PGM_RSRC2:TIDIG_COMP_CNT: 0
; COMPUTE_PGM_RSRC3_GFX90A:ACCUM_OFFSET: 0
; COMPUTE_PGM_RSRC3_GFX90A:TG_SPLIT: 0
	.section	.text._ZN7rocprim17ROCPRIM_400000_NS6detail17trampoline_kernelINS0_14default_configENS1_33run_length_encode_config_selectorIfjNS0_4plusIjEEEEZZNS1_33reduce_by_key_impl_wrapped_configILNS1_25lookback_scan_determinismE0ES3_S7_PKfNS0_17constant_iteratorIjlEEPfPlSF_S6_NS0_8equal_toIfEEEE10hipError_tPvRmT2_T3_mT4_T5_T6_T7_T8_P12ihipStream_tbENKUlT_T0_E_clISt17integral_constantIbLb1EESY_IbLb0EEEEDaSU_SV_EUlSU_E_NS1_11comp_targetILNS1_3genE10ELNS1_11target_archE1201ELNS1_3gpuE5ELNS1_3repE0EEENS1_30default_config_static_selectorELNS0_4arch9wavefront6targetE1EEEvT1_,"axG",@progbits,_ZN7rocprim17ROCPRIM_400000_NS6detail17trampoline_kernelINS0_14default_configENS1_33run_length_encode_config_selectorIfjNS0_4plusIjEEEEZZNS1_33reduce_by_key_impl_wrapped_configILNS1_25lookback_scan_determinismE0ES3_S7_PKfNS0_17constant_iteratorIjlEEPfPlSF_S6_NS0_8equal_toIfEEEE10hipError_tPvRmT2_T3_mT4_T5_T6_T7_T8_P12ihipStream_tbENKUlT_T0_E_clISt17integral_constantIbLb1EESY_IbLb0EEEEDaSU_SV_EUlSU_E_NS1_11comp_targetILNS1_3genE10ELNS1_11target_archE1201ELNS1_3gpuE5ELNS1_3repE0EEENS1_30default_config_static_selectorELNS0_4arch9wavefront6targetE1EEEvT1_,comdat
	.protected	_ZN7rocprim17ROCPRIM_400000_NS6detail17trampoline_kernelINS0_14default_configENS1_33run_length_encode_config_selectorIfjNS0_4plusIjEEEEZZNS1_33reduce_by_key_impl_wrapped_configILNS1_25lookback_scan_determinismE0ES3_S7_PKfNS0_17constant_iteratorIjlEEPfPlSF_S6_NS0_8equal_toIfEEEE10hipError_tPvRmT2_T3_mT4_T5_T6_T7_T8_P12ihipStream_tbENKUlT_T0_E_clISt17integral_constantIbLb1EESY_IbLb0EEEEDaSU_SV_EUlSU_E_NS1_11comp_targetILNS1_3genE10ELNS1_11target_archE1201ELNS1_3gpuE5ELNS1_3repE0EEENS1_30default_config_static_selectorELNS0_4arch9wavefront6targetE1EEEvT1_ ; -- Begin function _ZN7rocprim17ROCPRIM_400000_NS6detail17trampoline_kernelINS0_14default_configENS1_33run_length_encode_config_selectorIfjNS0_4plusIjEEEEZZNS1_33reduce_by_key_impl_wrapped_configILNS1_25lookback_scan_determinismE0ES3_S7_PKfNS0_17constant_iteratorIjlEEPfPlSF_S6_NS0_8equal_toIfEEEE10hipError_tPvRmT2_T3_mT4_T5_T6_T7_T8_P12ihipStream_tbENKUlT_T0_E_clISt17integral_constantIbLb1EESY_IbLb0EEEEDaSU_SV_EUlSU_E_NS1_11comp_targetILNS1_3genE10ELNS1_11target_archE1201ELNS1_3gpuE5ELNS1_3repE0EEENS1_30default_config_static_selectorELNS0_4arch9wavefront6targetE1EEEvT1_
	.globl	_ZN7rocprim17ROCPRIM_400000_NS6detail17trampoline_kernelINS0_14default_configENS1_33run_length_encode_config_selectorIfjNS0_4plusIjEEEEZZNS1_33reduce_by_key_impl_wrapped_configILNS1_25lookback_scan_determinismE0ES3_S7_PKfNS0_17constant_iteratorIjlEEPfPlSF_S6_NS0_8equal_toIfEEEE10hipError_tPvRmT2_T3_mT4_T5_T6_T7_T8_P12ihipStream_tbENKUlT_T0_E_clISt17integral_constantIbLb1EESY_IbLb0EEEEDaSU_SV_EUlSU_E_NS1_11comp_targetILNS1_3genE10ELNS1_11target_archE1201ELNS1_3gpuE5ELNS1_3repE0EEENS1_30default_config_static_selectorELNS0_4arch9wavefront6targetE1EEEvT1_
	.p2align	8
	.type	_ZN7rocprim17ROCPRIM_400000_NS6detail17trampoline_kernelINS0_14default_configENS1_33run_length_encode_config_selectorIfjNS0_4plusIjEEEEZZNS1_33reduce_by_key_impl_wrapped_configILNS1_25lookback_scan_determinismE0ES3_S7_PKfNS0_17constant_iteratorIjlEEPfPlSF_S6_NS0_8equal_toIfEEEE10hipError_tPvRmT2_T3_mT4_T5_T6_T7_T8_P12ihipStream_tbENKUlT_T0_E_clISt17integral_constantIbLb1EESY_IbLb0EEEEDaSU_SV_EUlSU_E_NS1_11comp_targetILNS1_3genE10ELNS1_11target_archE1201ELNS1_3gpuE5ELNS1_3repE0EEENS1_30default_config_static_selectorELNS0_4arch9wavefront6targetE1EEEvT1_,@function
_ZN7rocprim17ROCPRIM_400000_NS6detail17trampoline_kernelINS0_14default_configENS1_33run_length_encode_config_selectorIfjNS0_4plusIjEEEEZZNS1_33reduce_by_key_impl_wrapped_configILNS1_25lookback_scan_determinismE0ES3_S7_PKfNS0_17constant_iteratorIjlEEPfPlSF_S6_NS0_8equal_toIfEEEE10hipError_tPvRmT2_T3_mT4_T5_T6_T7_T8_P12ihipStream_tbENKUlT_T0_E_clISt17integral_constantIbLb1EESY_IbLb0EEEEDaSU_SV_EUlSU_E_NS1_11comp_targetILNS1_3genE10ELNS1_11target_archE1201ELNS1_3gpuE5ELNS1_3repE0EEENS1_30default_config_static_selectorELNS0_4arch9wavefront6targetE1EEEvT1_: ; @_ZN7rocprim17ROCPRIM_400000_NS6detail17trampoline_kernelINS0_14default_configENS1_33run_length_encode_config_selectorIfjNS0_4plusIjEEEEZZNS1_33reduce_by_key_impl_wrapped_configILNS1_25lookback_scan_determinismE0ES3_S7_PKfNS0_17constant_iteratorIjlEEPfPlSF_S6_NS0_8equal_toIfEEEE10hipError_tPvRmT2_T3_mT4_T5_T6_T7_T8_P12ihipStream_tbENKUlT_T0_E_clISt17integral_constantIbLb1EESY_IbLb0EEEEDaSU_SV_EUlSU_E_NS1_11comp_targetILNS1_3genE10ELNS1_11target_archE1201ELNS1_3gpuE5ELNS1_3repE0EEENS1_30default_config_static_selectorELNS0_4arch9wavefront6targetE1EEEvT1_
; %bb.0:
	.section	.rodata,"a",@progbits
	.p2align	6, 0x0
	.amdhsa_kernel _ZN7rocprim17ROCPRIM_400000_NS6detail17trampoline_kernelINS0_14default_configENS1_33run_length_encode_config_selectorIfjNS0_4plusIjEEEEZZNS1_33reduce_by_key_impl_wrapped_configILNS1_25lookback_scan_determinismE0ES3_S7_PKfNS0_17constant_iteratorIjlEEPfPlSF_S6_NS0_8equal_toIfEEEE10hipError_tPvRmT2_T3_mT4_T5_T6_T7_T8_P12ihipStream_tbENKUlT_T0_E_clISt17integral_constantIbLb1EESY_IbLb0EEEEDaSU_SV_EUlSU_E_NS1_11comp_targetILNS1_3genE10ELNS1_11target_archE1201ELNS1_3gpuE5ELNS1_3repE0EEENS1_30default_config_static_selectorELNS0_4arch9wavefront6targetE1EEEvT1_
		.amdhsa_group_segment_fixed_size 0
		.amdhsa_private_segment_fixed_size 0
		.amdhsa_kernarg_size 128
		.amdhsa_user_sgpr_count 2
		.amdhsa_user_sgpr_dispatch_ptr 0
		.amdhsa_user_sgpr_queue_ptr 0
		.amdhsa_user_sgpr_kernarg_segment_ptr 1
		.amdhsa_user_sgpr_dispatch_id 0
		.amdhsa_user_sgpr_kernarg_preload_length 0
		.amdhsa_user_sgpr_kernarg_preload_offset 0
		.amdhsa_user_sgpr_private_segment_size 0
		.amdhsa_uses_dynamic_stack 0
		.amdhsa_enable_private_segment 0
		.amdhsa_system_sgpr_workgroup_id_x 1
		.amdhsa_system_sgpr_workgroup_id_y 0
		.amdhsa_system_sgpr_workgroup_id_z 0
		.amdhsa_system_sgpr_workgroup_info 0
		.amdhsa_system_vgpr_workitem_id 0
		.amdhsa_next_free_vgpr 1
		.amdhsa_next_free_sgpr 0
		.amdhsa_accum_offset 4
		.amdhsa_reserve_vcc 0
		.amdhsa_float_round_mode_32 0
		.amdhsa_float_round_mode_16_64 0
		.amdhsa_float_denorm_mode_32 3
		.amdhsa_float_denorm_mode_16_64 3
		.amdhsa_dx10_clamp 1
		.amdhsa_ieee_mode 1
		.amdhsa_fp16_overflow 0
		.amdhsa_tg_split 0
		.amdhsa_exception_fp_ieee_invalid_op 0
		.amdhsa_exception_fp_denorm_src 0
		.amdhsa_exception_fp_ieee_div_zero 0
		.amdhsa_exception_fp_ieee_overflow 0
		.amdhsa_exception_fp_ieee_underflow 0
		.amdhsa_exception_fp_ieee_inexact 0
		.amdhsa_exception_int_div_zero 0
	.end_amdhsa_kernel
	.section	.text._ZN7rocprim17ROCPRIM_400000_NS6detail17trampoline_kernelINS0_14default_configENS1_33run_length_encode_config_selectorIfjNS0_4plusIjEEEEZZNS1_33reduce_by_key_impl_wrapped_configILNS1_25lookback_scan_determinismE0ES3_S7_PKfNS0_17constant_iteratorIjlEEPfPlSF_S6_NS0_8equal_toIfEEEE10hipError_tPvRmT2_T3_mT4_T5_T6_T7_T8_P12ihipStream_tbENKUlT_T0_E_clISt17integral_constantIbLb1EESY_IbLb0EEEEDaSU_SV_EUlSU_E_NS1_11comp_targetILNS1_3genE10ELNS1_11target_archE1201ELNS1_3gpuE5ELNS1_3repE0EEENS1_30default_config_static_selectorELNS0_4arch9wavefront6targetE1EEEvT1_,"axG",@progbits,_ZN7rocprim17ROCPRIM_400000_NS6detail17trampoline_kernelINS0_14default_configENS1_33run_length_encode_config_selectorIfjNS0_4plusIjEEEEZZNS1_33reduce_by_key_impl_wrapped_configILNS1_25lookback_scan_determinismE0ES3_S7_PKfNS0_17constant_iteratorIjlEEPfPlSF_S6_NS0_8equal_toIfEEEE10hipError_tPvRmT2_T3_mT4_T5_T6_T7_T8_P12ihipStream_tbENKUlT_T0_E_clISt17integral_constantIbLb1EESY_IbLb0EEEEDaSU_SV_EUlSU_E_NS1_11comp_targetILNS1_3genE10ELNS1_11target_archE1201ELNS1_3gpuE5ELNS1_3repE0EEENS1_30default_config_static_selectorELNS0_4arch9wavefront6targetE1EEEvT1_,comdat
.Lfunc_end396:
	.size	_ZN7rocprim17ROCPRIM_400000_NS6detail17trampoline_kernelINS0_14default_configENS1_33run_length_encode_config_selectorIfjNS0_4plusIjEEEEZZNS1_33reduce_by_key_impl_wrapped_configILNS1_25lookback_scan_determinismE0ES3_S7_PKfNS0_17constant_iteratorIjlEEPfPlSF_S6_NS0_8equal_toIfEEEE10hipError_tPvRmT2_T3_mT4_T5_T6_T7_T8_P12ihipStream_tbENKUlT_T0_E_clISt17integral_constantIbLb1EESY_IbLb0EEEEDaSU_SV_EUlSU_E_NS1_11comp_targetILNS1_3genE10ELNS1_11target_archE1201ELNS1_3gpuE5ELNS1_3repE0EEENS1_30default_config_static_selectorELNS0_4arch9wavefront6targetE1EEEvT1_, .Lfunc_end396-_ZN7rocprim17ROCPRIM_400000_NS6detail17trampoline_kernelINS0_14default_configENS1_33run_length_encode_config_selectorIfjNS0_4plusIjEEEEZZNS1_33reduce_by_key_impl_wrapped_configILNS1_25lookback_scan_determinismE0ES3_S7_PKfNS0_17constant_iteratorIjlEEPfPlSF_S6_NS0_8equal_toIfEEEE10hipError_tPvRmT2_T3_mT4_T5_T6_T7_T8_P12ihipStream_tbENKUlT_T0_E_clISt17integral_constantIbLb1EESY_IbLb0EEEEDaSU_SV_EUlSU_E_NS1_11comp_targetILNS1_3genE10ELNS1_11target_archE1201ELNS1_3gpuE5ELNS1_3repE0EEENS1_30default_config_static_selectorELNS0_4arch9wavefront6targetE1EEEvT1_
                                        ; -- End function
	.section	.AMDGPU.csdata,"",@progbits
; Kernel info:
; codeLenInByte = 0
; NumSgprs: 6
; NumVgprs: 0
; NumAgprs: 0
; TotalNumVgprs: 0
; ScratchSize: 0
; MemoryBound: 0
; FloatMode: 240
; IeeeMode: 1
; LDSByteSize: 0 bytes/workgroup (compile time only)
; SGPRBlocks: 0
; VGPRBlocks: 0
; NumSGPRsForWavesPerEU: 6
; NumVGPRsForWavesPerEU: 1
; AccumOffset: 4
; Occupancy: 8
; WaveLimiterHint : 0
; COMPUTE_PGM_RSRC2:SCRATCH_EN: 0
; COMPUTE_PGM_RSRC2:USER_SGPR: 2
; COMPUTE_PGM_RSRC2:TRAP_HANDLER: 0
; COMPUTE_PGM_RSRC2:TGID_X_EN: 1
; COMPUTE_PGM_RSRC2:TGID_Y_EN: 0
; COMPUTE_PGM_RSRC2:TGID_Z_EN: 0
; COMPUTE_PGM_RSRC2:TIDIG_COMP_CNT: 0
; COMPUTE_PGM_RSRC3_GFX90A:ACCUM_OFFSET: 0
; COMPUTE_PGM_RSRC3_GFX90A:TG_SPLIT: 0
	.section	.text._ZN7rocprim17ROCPRIM_400000_NS6detail17trampoline_kernelINS0_14default_configENS1_33run_length_encode_config_selectorIfjNS0_4plusIjEEEEZZNS1_33reduce_by_key_impl_wrapped_configILNS1_25lookback_scan_determinismE0ES3_S7_PKfNS0_17constant_iteratorIjlEEPfPlSF_S6_NS0_8equal_toIfEEEE10hipError_tPvRmT2_T3_mT4_T5_T6_T7_T8_P12ihipStream_tbENKUlT_T0_E_clISt17integral_constantIbLb1EESY_IbLb0EEEEDaSU_SV_EUlSU_E_NS1_11comp_targetILNS1_3genE10ELNS1_11target_archE1200ELNS1_3gpuE4ELNS1_3repE0EEENS1_30default_config_static_selectorELNS0_4arch9wavefront6targetE1EEEvT1_,"axG",@progbits,_ZN7rocprim17ROCPRIM_400000_NS6detail17trampoline_kernelINS0_14default_configENS1_33run_length_encode_config_selectorIfjNS0_4plusIjEEEEZZNS1_33reduce_by_key_impl_wrapped_configILNS1_25lookback_scan_determinismE0ES3_S7_PKfNS0_17constant_iteratorIjlEEPfPlSF_S6_NS0_8equal_toIfEEEE10hipError_tPvRmT2_T3_mT4_T5_T6_T7_T8_P12ihipStream_tbENKUlT_T0_E_clISt17integral_constantIbLb1EESY_IbLb0EEEEDaSU_SV_EUlSU_E_NS1_11comp_targetILNS1_3genE10ELNS1_11target_archE1200ELNS1_3gpuE4ELNS1_3repE0EEENS1_30default_config_static_selectorELNS0_4arch9wavefront6targetE1EEEvT1_,comdat
	.protected	_ZN7rocprim17ROCPRIM_400000_NS6detail17trampoline_kernelINS0_14default_configENS1_33run_length_encode_config_selectorIfjNS0_4plusIjEEEEZZNS1_33reduce_by_key_impl_wrapped_configILNS1_25lookback_scan_determinismE0ES3_S7_PKfNS0_17constant_iteratorIjlEEPfPlSF_S6_NS0_8equal_toIfEEEE10hipError_tPvRmT2_T3_mT4_T5_T6_T7_T8_P12ihipStream_tbENKUlT_T0_E_clISt17integral_constantIbLb1EESY_IbLb0EEEEDaSU_SV_EUlSU_E_NS1_11comp_targetILNS1_3genE10ELNS1_11target_archE1200ELNS1_3gpuE4ELNS1_3repE0EEENS1_30default_config_static_selectorELNS0_4arch9wavefront6targetE1EEEvT1_ ; -- Begin function _ZN7rocprim17ROCPRIM_400000_NS6detail17trampoline_kernelINS0_14default_configENS1_33run_length_encode_config_selectorIfjNS0_4plusIjEEEEZZNS1_33reduce_by_key_impl_wrapped_configILNS1_25lookback_scan_determinismE0ES3_S7_PKfNS0_17constant_iteratorIjlEEPfPlSF_S6_NS0_8equal_toIfEEEE10hipError_tPvRmT2_T3_mT4_T5_T6_T7_T8_P12ihipStream_tbENKUlT_T0_E_clISt17integral_constantIbLb1EESY_IbLb0EEEEDaSU_SV_EUlSU_E_NS1_11comp_targetILNS1_3genE10ELNS1_11target_archE1200ELNS1_3gpuE4ELNS1_3repE0EEENS1_30default_config_static_selectorELNS0_4arch9wavefront6targetE1EEEvT1_
	.globl	_ZN7rocprim17ROCPRIM_400000_NS6detail17trampoline_kernelINS0_14default_configENS1_33run_length_encode_config_selectorIfjNS0_4plusIjEEEEZZNS1_33reduce_by_key_impl_wrapped_configILNS1_25lookback_scan_determinismE0ES3_S7_PKfNS0_17constant_iteratorIjlEEPfPlSF_S6_NS0_8equal_toIfEEEE10hipError_tPvRmT2_T3_mT4_T5_T6_T7_T8_P12ihipStream_tbENKUlT_T0_E_clISt17integral_constantIbLb1EESY_IbLb0EEEEDaSU_SV_EUlSU_E_NS1_11comp_targetILNS1_3genE10ELNS1_11target_archE1200ELNS1_3gpuE4ELNS1_3repE0EEENS1_30default_config_static_selectorELNS0_4arch9wavefront6targetE1EEEvT1_
	.p2align	8
	.type	_ZN7rocprim17ROCPRIM_400000_NS6detail17trampoline_kernelINS0_14default_configENS1_33run_length_encode_config_selectorIfjNS0_4plusIjEEEEZZNS1_33reduce_by_key_impl_wrapped_configILNS1_25lookback_scan_determinismE0ES3_S7_PKfNS0_17constant_iteratorIjlEEPfPlSF_S6_NS0_8equal_toIfEEEE10hipError_tPvRmT2_T3_mT4_T5_T6_T7_T8_P12ihipStream_tbENKUlT_T0_E_clISt17integral_constantIbLb1EESY_IbLb0EEEEDaSU_SV_EUlSU_E_NS1_11comp_targetILNS1_3genE10ELNS1_11target_archE1200ELNS1_3gpuE4ELNS1_3repE0EEENS1_30default_config_static_selectorELNS0_4arch9wavefront6targetE1EEEvT1_,@function
_ZN7rocprim17ROCPRIM_400000_NS6detail17trampoline_kernelINS0_14default_configENS1_33run_length_encode_config_selectorIfjNS0_4plusIjEEEEZZNS1_33reduce_by_key_impl_wrapped_configILNS1_25lookback_scan_determinismE0ES3_S7_PKfNS0_17constant_iteratorIjlEEPfPlSF_S6_NS0_8equal_toIfEEEE10hipError_tPvRmT2_T3_mT4_T5_T6_T7_T8_P12ihipStream_tbENKUlT_T0_E_clISt17integral_constantIbLb1EESY_IbLb0EEEEDaSU_SV_EUlSU_E_NS1_11comp_targetILNS1_3genE10ELNS1_11target_archE1200ELNS1_3gpuE4ELNS1_3repE0EEENS1_30default_config_static_selectorELNS0_4arch9wavefront6targetE1EEEvT1_: ; @_ZN7rocprim17ROCPRIM_400000_NS6detail17trampoline_kernelINS0_14default_configENS1_33run_length_encode_config_selectorIfjNS0_4plusIjEEEEZZNS1_33reduce_by_key_impl_wrapped_configILNS1_25lookback_scan_determinismE0ES3_S7_PKfNS0_17constant_iteratorIjlEEPfPlSF_S6_NS0_8equal_toIfEEEE10hipError_tPvRmT2_T3_mT4_T5_T6_T7_T8_P12ihipStream_tbENKUlT_T0_E_clISt17integral_constantIbLb1EESY_IbLb0EEEEDaSU_SV_EUlSU_E_NS1_11comp_targetILNS1_3genE10ELNS1_11target_archE1200ELNS1_3gpuE4ELNS1_3repE0EEENS1_30default_config_static_selectorELNS0_4arch9wavefront6targetE1EEEvT1_
; %bb.0:
	.section	.rodata,"a",@progbits
	.p2align	6, 0x0
	.amdhsa_kernel _ZN7rocprim17ROCPRIM_400000_NS6detail17trampoline_kernelINS0_14default_configENS1_33run_length_encode_config_selectorIfjNS0_4plusIjEEEEZZNS1_33reduce_by_key_impl_wrapped_configILNS1_25lookback_scan_determinismE0ES3_S7_PKfNS0_17constant_iteratorIjlEEPfPlSF_S6_NS0_8equal_toIfEEEE10hipError_tPvRmT2_T3_mT4_T5_T6_T7_T8_P12ihipStream_tbENKUlT_T0_E_clISt17integral_constantIbLb1EESY_IbLb0EEEEDaSU_SV_EUlSU_E_NS1_11comp_targetILNS1_3genE10ELNS1_11target_archE1200ELNS1_3gpuE4ELNS1_3repE0EEENS1_30default_config_static_selectorELNS0_4arch9wavefront6targetE1EEEvT1_
		.amdhsa_group_segment_fixed_size 0
		.amdhsa_private_segment_fixed_size 0
		.amdhsa_kernarg_size 128
		.amdhsa_user_sgpr_count 2
		.amdhsa_user_sgpr_dispatch_ptr 0
		.amdhsa_user_sgpr_queue_ptr 0
		.amdhsa_user_sgpr_kernarg_segment_ptr 1
		.amdhsa_user_sgpr_dispatch_id 0
		.amdhsa_user_sgpr_kernarg_preload_length 0
		.amdhsa_user_sgpr_kernarg_preload_offset 0
		.amdhsa_user_sgpr_private_segment_size 0
		.amdhsa_uses_dynamic_stack 0
		.amdhsa_enable_private_segment 0
		.amdhsa_system_sgpr_workgroup_id_x 1
		.amdhsa_system_sgpr_workgroup_id_y 0
		.amdhsa_system_sgpr_workgroup_id_z 0
		.amdhsa_system_sgpr_workgroup_info 0
		.amdhsa_system_vgpr_workitem_id 0
		.amdhsa_next_free_vgpr 1
		.amdhsa_next_free_sgpr 0
		.amdhsa_accum_offset 4
		.amdhsa_reserve_vcc 0
		.amdhsa_float_round_mode_32 0
		.amdhsa_float_round_mode_16_64 0
		.amdhsa_float_denorm_mode_32 3
		.amdhsa_float_denorm_mode_16_64 3
		.amdhsa_dx10_clamp 1
		.amdhsa_ieee_mode 1
		.amdhsa_fp16_overflow 0
		.amdhsa_tg_split 0
		.amdhsa_exception_fp_ieee_invalid_op 0
		.amdhsa_exception_fp_denorm_src 0
		.amdhsa_exception_fp_ieee_div_zero 0
		.amdhsa_exception_fp_ieee_overflow 0
		.amdhsa_exception_fp_ieee_underflow 0
		.amdhsa_exception_fp_ieee_inexact 0
		.amdhsa_exception_int_div_zero 0
	.end_amdhsa_kernel
	.section	.text._ZN7rocprim17ROCPRIM_400000_NS6detail17trampoline_kernelINS0_14default_configENS1_33run_length_encode_config_selectorIfjNS0_4plusIjEEEEZZNS1_33reduce_by_key_impl_wrapped_configILNS1_25lookback_scan_determinismE0ES3_S7_PKfNS0_17constant_iteratorIjlEEPfPlSF_S6_NS0_8equal_toIfEEEE10hipError_tPvRmT2_T3_mT4_T5_T6_T7_T8_P12ihipStream_tbENKUlT_T0_E_clISt17integral_constantIbLb1EESY_IbLb0EEEEDaSU_SV_EUlSU_E_NS1_11comp_targetILNS1_3genE10ELNS1_11target_archE1200ELNS1_3gpuE4ELNS1_3repE0EEENS1_30default_config_static_selectorELNS0_4arch9wavefront6targetE1EEEvT1_,"axG",@progbits,_ZN7rocprim17ROCPRIM_400000_NS6detail17trampoline_kernelINS0_14default_configENS1_33run_length_encode_config_selectorIfjNS0_4plusIjEEEEZZNS1_33reduce_by_key_impl_wrapped_configILNS1_25lookback_scan_determinismE0ES3_S7_PKfNS0_17constant_iteratorIjlEEPfPlSF_S6_NS0_8equal_toIfEEEE10hipError_tPvRmT2_T3_mT4_T5_T6_T7_T8_P12ihipStream_tbENKUlT_T0_E_clISt17integral_constantIbLb1EESY_IbLb0EEEEDaSU_SV_EUlSU_E_NS1_11comp_targetILNS1_3genE10ELNS1_11target_archE1200ELNS1_3gpuE4ELNS1_3repE0EEENS1_30default_config_static_selectorELNS0_4arch9wavefront6targetE1EEEvT1_,comdat
.Lfunc_end397:
	.size	_ZN7rocprim17ROCPRIM_400000_NS6detail17trampoline_kernelINS0_14default_configENS1_33run_length_encode_config_selectorIfjNS0_4plusIjEEEEZZNS1_33reduce_by_key_impl_wrapped_configILNS1_25lookback_scan_determinismE0ES3_S7_PKfNS0_17constant_iteratorIjlEEPfPlSF_S6_NS0_8equal_toIfEEEE10hipError_tPvRmT2_T3_mT4_T5_T6_T7_T8_P12ihipStream_tbENKUlT_T0_E_clISt17integral_constantIbLb1EESY_IbLb0EEEEDaSU_SV_EUlSU_E_NS1_11comp_targetILNS1_3genE10ELNS1_11target_archE1200ELNS1_3gpuE4ELNS1_3repE0EEENS1_30default_config_static_selectorELNS0_4arch9wavefront6targetE1EEEvT1_, .Lfunc_end397-_ZN7rocprim17ROCPRIM_400000_NS6detail17trampoline_kernelINS0_14default_configENS1_33run_length_encode_config_selectorIfjNS0_4plusIjEEEEZZNS1_33reduce_by_key_impl_wrapped_configILNS1_25lookback_scan_determinismE0ES3_S7_PKfNS0_17constant_iteratorIjlEEPfPlSF_S6_NS0_8equal_toIfEEEE10hipError_tPvRmT2_T3_mT4_T5_T6_T7_T8_P12ihipStream_tbENKUlT_T0_E_clISt17integral_constantIbLb1EESY_IbLb0EEEEDaSU_SV_EUlSU_E_NS1_11comp_targetILNS1_3genE10ELNS1_11target_archE1200ELNS1_3gpuE4ELNS1_3repE0EEENS1_30default_config_static_selectorELNS0_4arch9wavefront6targetE1EEEvT1_
                                        ; -- End function
	.section	.AMDGPU.csdata,"",@progbits
; Kernel info:
; codeLenInByte = 0
; NumSgprs: 6
; NumVgprs: 0
; NumAgprs: 0
; TotalNumVgprs: 0
; ScratchSize: 0
; MemoryBound: 0
; FloatMode: 240
; IeeeMode: 1
; LDSByteSize: 0 bytes/workgroup (compile time only)
; SGPRBlocks: 0
; VGPRBlocks: 0
; NumSGPRsForWavesPerEU: 6
; NumVGPRsForWavesPerEU: 1
; AccumOffset: 4
; Occupancy: 8
; WaveLimiterHint : 0
; COMPUTE_PGM_RSRC2:SCRATCH_EN: 0
; COMPUTE_PGM_RSRC2:USER_SGPR: 2
; COMPUTE_PGM_RSRC2:TRAP_HANDLER: 0
; COMPUTE_PGM_RSRC2:TGID_X_EN: 1
; COMPUTE_PGM_RSRC2:TGID_Y_EN: 0
; COMPUTE_PGM_RSRC2:TGID_Z_EN: 0
; COMPUTE_PGM_RSRC2:TIDIG_COMP_CNT: 0
; COMPUTE_PGM_RSRC3_GFX90A:ACCUM_OFFSET: 0
; COMPUTE_PGM_RSRC3_GFX90A:TG_SPLIT: 0
	.section	.text._ZN7rocprim17ROCPRIM_400000_NS6detail17trampoline_kernelINS0_14default_configENS1_33run_length_encode_config_selectorIfjNS0_4plusIjEEEEZZNS1_33reduce_by_key_impl_wrapped_configILNS1_25lookback_scan_determinismE0ES3_S7_PKfNS0_17constant_iteratorIjlEEPfPlSF_S6_NS0_8equal_toIfEEEE10hipError_tPvRmT2_T3_mT4_T5_T6_T7_T8_P12ihipStream_tbENKUlT_T0_E_clISt17integral_constantIbLb1EESY_IbLb0EEEEDaSU_SV_EUlSU_E_NS1_11comp_targetILNS1_3genE9ELNS1_11target_archE1100ELNS1_3gpuE3ELNS1_3repE0EEENS1_30default_config_static_selectorELNS0_4arch9wavefront6targetE1EEEvT1_,"axG",@progbits,_ZN7rocprim17ROCPRIM_400000_NS6detail17trampoline_kernelINS0_14default_configENS1_33run_length_encode_config_selectorIfjNS0_4plusIjEEEEZZNS1_33reduce_by_key_impl_wrapped_configILNS1_25lookback_scan_determinismE0ES3_S7_PKfNS0_17constant_iteratorIjlEEPfPlSF_S6_NS0_8equal_toIfEEEE10hipError_tPvRmT2_T3_mT4_T5_T6_T7_T8_P12ihipStream_tbENKUlT_T0_E_clISt17integral_constantIbLb1EESY_IbLb0EEEEDaSU_SV_EUlSU_E_NS1_11comp_targetILNS1_3genE9ELNS1_11target_archE1100ELNS1_3gpuE3ELNS1_3repE0EEENS1_30default_config_static_selectorELNS0_4arch9wavefront6targetE1EEEvT1_,comdat
	.protected	_ZN7rocprim17ROCPRIM_400000_NS6detail17trampoline_kernelINS0_14default_configENS1_33run_length_encode_config_selectorIfjNS0_4plusIjEEEEZZNS1_33reduce_by_key_impl_wrapped_configILNS1_25lookback_scan_determinismE0ES3_S7_PKfNS0_17constant_iteratorIjlEEPfPlSF_S6_NS0_8equal_toIfEEEE10hipError_tPvRmT2_T3_mT4_T5_T6_T7_T8_P12ihipStream_tbENKUlT_T0_E_clISt17integral_constantIbLb1EESY_IbLb0EEEEDaSU_SV_EUlSU_E_NS1_11comp_targetILNS1_3genE9ELNS1_11target_archE1100ELNS1_3gpuE3ELNS1_3repE0EEENS1_30default_config_static_selectorELNS0_4arch9wavefront6targetE1EEEvT1_ ; -- Begin function _ZN7rocprim17ROCPRIM_400000_NS6detail17trampoline_kernelINS0_14default_configENS1_33run_length_encode_config_selectorIfjNS0_4plusIjEEEEZZNS1_33reduce_by_key_impl_wrapped_configILNS1_25lookback_scan_determinismE0ES3_S7_PKfNS0_17constant_iteratorIjlEEPfPlSF_S6_NS0_8equal_toIfEEEE10hipError_tPvRmT2_T3_mT4_T5_T6_T7_T8_P12ihipStream_tbENKUlT_T0_E_clISt17integral_constantIbLb1EESY_IbLb0EEEEDaSU_SV_EUlSU_E_NS1_11comp_targetILNS1_3genE9ELNS1_11target_archE1100ELNS1_3gpuE3ELNS1_3repE0EEENS1_30default_config_static_selectorELNS0_4arch9wavefront6targetE1EEEvT1_
	.globl	_ZN7rocprim17ROCPRIM_400000_NS6detail17trampoline_kernelINS0_14default_configENS1_33run_length_encode_config_selectorIfjNS0_4plusIjEEEEZZNS1_33reduce_by_key_impl_wrapped_configILNS1_25lookback_scan_determinismE0ES3_S7_PKfNS0_17constant_iteratorIjlEEPfPlSF_S6_NS0_8equal_toIfEEEE10hipError_tPvRmT2_T3_mT4_T5_T6_T7_T8_P12ihipStream_tbENKUlT_T0_E_clISt17integral_constantIbLb1EESY_IbLb0EEEEDaSU_SV_EUlSU_E_NS1_11comp_targetILNS1_3genE9ELNS1_11target_archE1100ELNS1_3gpuE3ELNS1_3repE0EEENS1_30default_config_static_selectorELNS0_4arch9wavefront6targetE1EEEvT1_
	.p2align	8
	.type	_ZN7rocprim17ROCPRIM_400000_NS6detail17trampoline_kernelINS0_14default_configENS1_33run_length_encode_config_selectorIfjNS0_4plusIjEEEEZZNS1_33reduce_by_key_impl_wrapped_configILNS1_25lookback_scan_determinismE0ES3_S7_PKfNS0_17constant_iteratorIjlEEPfPlSF_S6_NS0_8equal_toIfEEEE10hipError_tPvRmT2_T3_mT4_T5_T6_T7_T8_P12ihipStream_tbENKUlT_T0_E_clISt17integral_constantIbLb1EESY_IbLb0EEEEDaSU_SV_EUlSU_E_NS1_11comp_targetILNS1_3genE9ELNS1_11target_archE1100ELNS1_3gpuE3ELNS1_3repE0EEENS1_30default_config_static_selectorELNS0_4arch9wavefront6targetE1EEEvT1_,@function
_ZN7rocprim17ROCPRIM_400000_NS6detail17trampoline_kernelINS0_14default_configENS1_33run_length_encode_config_selectorIfjNS0_4plusIjEEEEZZNS1_33reduce_by_key_impl_wrapped_configILNS1_25lookback_scan_determinismE0ES3_S7_PKfNS0_17constant_iteratorIjlEEPfPlSF_S6_NS0_8equal_toIfEEEE10hipError_tPvRmT2_T3_mT4_T5_T6_T7_T8_P12ihipStream_tbENKUlT_T0_E_clISt17integral_constantIbLb1EESY_IbLb0EEEEDaSU_SV_EUlSU_E_NS1_11comp_targetILNS1_3genE9ELNS1_11target_archE1100ELNS1_3gpuE3ELNS1_3repE0EEENS1_30default_config_static_selectorELNS0_4arch9wavefront6targetE1EEEvT1_: ; @_ZN7rocprim17ROCPRIM_400000_NS6detail17trampoline_kernelINS0_14default_configENS1_33run_length_encode_config_selectorIfjNS0_4plusIjEEEEZZNS1_33reduce_by_key_impl_wrapped_configILNS1_25lookback_scan_determinismE0ES3_S7_PKfNS0_17constant_iteratorIjlEEPfPlSF_S6_NS0_8equal_toIfEEEE10hipError_tPvRmT2_T3_mT4_T5_T6_T7_T8_P12ihipStream_tbENKUlT_T0_E_clISt17integral_constantIbLb1EESY_IbLb0EEEEDaSU_SV_EUlSU_E_NS1_11comp_targetILNS1_3genE9ELNS1_11target_archE1100ELNS1_3gpuE3ELNS1_3repE0EEENS1_30default_config_static_selectorELNS0_4arch9wavefront6targetE1EEEvT1_
; %bb.0:
	.section	.rodata,"a",@progbits
	.p2align	6, 0x0
	.amdhsa_kernel _ZN7rocprim17ROCPRIM_400000_NS6detail17trampoline_kernelINS0_14default_configENS1_33run_length_encode_config_selectorIfjNS0_4plusIjEEEEZZNS1_33reduce_by_key_impl_wrapped_configILNS1_25lookback_scan_determinismE0ES3_S7_PKfNS0_17constant_iteratorIjlEEPfPlSF_S6_NS0_8equal_toIfEEEE10hipError_tPvRmT2_T3_mT4_T5_T6_T7_T8_P12ihipStream_tbENKUlT_T0_E_clISt17integral_constantIbLb1EESY_IbLb0EEEEDaSU_SV_EUlSU_E_NS1_11comp_targetILNS1_3genE9ELNS1_11target_archE1100ELNS1_3gpuE3ELNS1_3repE0EEENS1_30default_config_static_selectorELNS0_4arch9wavefront6targetE1EEEvT1_
		.amdhsa_group_segment_fixed_size 0
		.amdhsa_private_segment_fixed_size 0
		.amdhsa_kernarg_size 128
		.amdhsa_user_sgpr_count 2
		.amdhsa_user_sgpr_dispatch_ptr 0
		.amdhsa_user_sgpr_queue_ptr 0
		.amdhsa_user_sgpr_kernarg_segment_ptr 1
		.amdhsa_user_sgpr_dispatch_id 0
		.amdhsa_user_sgpr_kernarg_preload_length 0
		.amdhsa_user_sgpr_kernarg_preload_offset 0
		.amdhsa_user_sgpr_private_segment_size 0
		.amdhsa_uses_dynamic_stack 0
		.amdhsa_enable_private_segment 0
		.amdhsa_system_sgpr_workgroup_id_x 1
		.amdhsa_system_sgpr_workgroup_id_y 0
		.amdhsa_system_sgpr_workgroup_id_z 0
		.amdhsa_system_sgpr_workgroup_info 0
		.amdhsa_system_vgpr_workitem_id 0
		.amdhsa_next_free_vgpr 1
		.amdhsa_next_free_sgpr 0
		.amdhsa_accum_offset 4
		.amdhsa_reserve_vcc 0
		.amdhsa_float_round_mode_32 0
		.amdhsa_float_round_mode_16_64 0
		.amdhsa_float_denorm_mode_32 3
		.amdhsa_float_denorm_mode_16_64 3
		.amdhsa_dx10_clamp 1
		.amdhsa_ieee_mode 1
		.amdhsa_fp16_overflow 0
		.amdhsa_tg_split 0
		.amdhsa_exception_fp_ieee_invalid_op 0
		.amdhsa_exception_fp_denorm_src 0
		.amdhsa_exception_fp_ieee_div_zero 0
		.amdhsa_exception_fp_ieee_overflow 0
		.amdhsa_exception_fp_ieee_underflow 0
		.amdhsa_exception_fp_ieee_inexact 0
		.amdhsa_exception_int_div_zero 0
	.end_amdhsa_kernel
	.section	.text._ZN7rocprim17ROCPRIM_400000_NS6detail17trampoline_kernelINS0_14default_configENS1_33run_length_encode_config_selectorIfjNS0_4plusIjEEEEZZNS1_33reduce_by_key_impl_wrapped_configILNS1_25lookback_scan_determinismE0ES3_S7_PKfNS0_17constant_iteratorIjlEEPfPlSF_S6_NS0_8equal_toIfEEEE10hipError_tPvRmT2_T3_mT4_T5_T6_T7_T8_P12ihipStream_tbENKUlT_T0_E_clISt17integral_constantIbLb1EESY_IbLb0EEEEDaSU_SV_EUlSU_E_NS1_11comp_targetILNS1_3genE9ELNS1_11target_archE1100ELNS1_3gpuE3ELNS1_3repE0EEENS1_30default_config_static_selectorELNS0_4arch9wavefront6targetE1EEEvT1_,"axG",@progbits,_ZN7rocprim17ROCPRIM_400000_NS6detail17trampoline_kernelINS0_14default_configENS1_33run_length_encode_config_selectorIfjNS0_4plusIjEEEEZZNS1_33reduce_by_key_impl_wrapped_configILNS1_25lookback_scan_determinismE0ES3_S7_PKfNS0_17constant_iteratorIjlEEPfPlSF_S6_NS0_8equal_toIfEEEE10hipError_tPvRmT2_T3_mT4_T5_T6_T7_T8_P12ihipStream_tbENKUlT_T0_E_clISt17integral_constantIbLb1EESY_IbLb0EEEEDaSU_SV_EUlSU_E_NS1_11comp_targetILNS1_3genE9ELNS1_11target_archE1100ELNS1_3gpuE3ELNS1_3repE0EEENS1_30default_config_static_selectorELNS0_4arch9wavefront6targetE1EEEvT1_,comdat
.Lfunc_end398:
	.size	_ZN7rocprim17ROCPRIM_400000_NS6detail17trampoline_kernelINS0_14default_configENS1_33run_length_encode_config_selectorIfjNS0_4plusIjEEEEZZNS1_33reduce_by_key_impl_wrapped_configILNS1_25lookback_scan_determinismE0ES3_S7_PKfNS0_17constant_iteratorIjlEEPfPlSF_S6_NS0_8equal_toIfEEEE10hipError_tPvRmT2_T3_mT4_T5_T6_T7_T8_P12ihipStream_tbENKUlT_T0_E_clISt17integral_constantIbLb1EESY_IbLb0EEEEDaSU_SV_EUlSU_E_NS1_11comp_targetILNS1_3genE9ELNS1_11target_archE1100ELNS1_3gpuE3ELNS1_3repE0EEENS1_30default_config_static_selectorELNS0_4arch9wavefront6targetE1EEEvT1_, .Lfunc_end398-_ZN7rocprim17ROCPRIM_400000_NS6detail17trampoline_kernelINS0_14default_configENS1_33run_length_encode_config_selectorIfjNS0_4plusIjEEEEZZNS1_33reduce_by_key_impl_wrapped_configILNS1_25lookback_scan_determinismE0ES3_S7_PKfNS0_17constant_iteratorIjlEEPfPlSF_S6_NS0_8equal_toIfEEEE10hipError_tPvRmT2_T3_mT4_T5_T6_T7_T8_P12ihipStream_tbENKUlT_T0_E_clISt17integral_constantIbLb1EESY_IbLb0EEEEDaSU_SV_EUlSU_E_NS1_11comp_targetILNS1_3genE9ELNS1_11target_archE1100ELNS1_3gpuE3ELNS1_3repE0EEENS1_30default_config_static_selectorELNS0_4arch9wavefront6targetE1EEEvT1_
                                        ; -- End function
	.section	.AMDGPU.csdata,"",@progbits
; Kernel info:
; codeLenInByte = 0
; NumSgprs: 6
; NumVgprs: 0
; NumAgprs: 0
; TotalNumVgprs: 0
; ScratchSize: 0
; MemoryBound: 0
; FloatMode: 240
; IeeeMode: 1
; LDSByteSize: 0 bytes/workgroup (compile time only)
; SGPRBlocks: 0
; VGPRBlocks: 0
; NumSGPRsForWavesPerEU: 6
; NumVGPRsForWavesPerEU: 1
; AccumOffset: 4
; Occupancy: 8
; WaveLimiterHint : 0
; COMPUTE_PGM_RSRC2:SCRATCH_EN: 0
; COMPUTE_PGM_RSRC2:USER_SGPR: 2
; COMPUTE_PGM_RSRC2:TRAP_HANDLER: 0
; COMPUTE_PGM_RSRC2:TGID_X_EN: 1
; COMPUTE_PGM_RSRC2:TGID_Y_EN: 0
; COMPUTE_PGM_RSRC2:TGID_Z_EN: 0
; COMPUTE_PGM_RSRC2:TIDIG_COMP_CNT: 0
; COMPUTE_PGM_RSRC3_GFX90A:ACCUM_OFFSET: 0
; COMPUTE_PGM_RSRC3_GFX90A:TG_SPLIT: 0
	.section	.text._ZN7rocprim17ROCPRIM_400000_NS6detail17trampoline_kernelINS0_14default_configENS1_33run_length_encode_config_selectorIfjNS0_4plusIjEEEEZZNS1_33reduce_by_key_impl_wrapped_configILNS1_25lookback_scan_determinismE0ES3_S7_PKfNS0_17constant_iteratorIjlEEPfPlSF_S6_NS0_8equal_toIfEEEE10hipError_tPvRmT2_T3_mT4_T5_T6_T7_T8_P12ihipStream_tbENKUlT_T0_E_clISt17integral_constantIbLb1EESY_IbLb0EEEEDaSU_SV_EUlSU_E_NS1_11comp_targetILNS1_3genE8ELNS1_11target_archE1030ELNS1_3gpuE2ELNS1_3repE0EEENS1_30default_config_static_selectorELNS0_4arch9wavefront6targetE1EEEvT1_,"axG",@progbits,_ZN7rocprim17ROCPRIM_400000_NS6detail17trampoline_kernelINS0_14default_configENS1_33run_length_encode_config_selectorIfjNS0_4plusIjEEEEZZNS1_33reduce_by_key_impl_wrapped_configILNS1_25lookback_scan_determinismE0ES3_S7_PKfNS0_17constant_iteratorIjlEEPfPlSF_S6_NS0_8equal_toIfEEEE10hipError_tPvRmT2_T3_mT4_T5_T6_T7_T8_P12ihipStream_tbENKUlT_T0_E_clISt17integral_constantIbLb1EESY_IbLb0EEEEDaSU_SV_EUlSU_E_NS1_11comp_targetILNS1_3genE8ELNS1_11target_archE1030ELNS1_3gpuE2ELNS1_3repE0EEENS1_30default_config_static_selectorELNS0_4arch9wavefront6targetE1EEEvT1_,comdat
	.protected	_ZN7rocprim17ROCPRIM_400000_NS6detail17trampoline_kernelINS0_14default_configENS1_33run_length_encode_config_selectorIfjNS0_4plusIjEEEEZZNS1_33reduce_by_key_impl_wrapped_configILNS1_25lookback_scan_determinismE0ES3_S7_PKfNS0_17constant_iteratorIjlEEPfPlSF_S6_NS0_8equal_toIfEEEE10hipError_tPvRmT2_T3_mT4_T5_T6_T7_T8_P12ihipStream_tbENKUlT_T0_E_clISt17integral_constantIbLb1EESY_IbLb0EEEEDaSU_SV_EUlSU_E_NS1_11comp_targetILNS1_3genE8ELNS1_11target_archE1030ELNS1_3gpuE2ELNS1_3repE0EEENS1_30default_config_static_selectorELNS0_4arch9wavefront6targetE1EEEvT1_ ; -- Begin function _ZN7rocprim17ROCPRIM_400000_NS6detail17trampoline_kernelINS0_14default_configENS1_33run_length_encode_config_selectorIfjNS0_4plusIjEEEEZZNS1_33reduce_by_key_impl_wrapped_configILNS1_25lookback_scan_determinismE0ES3_S7_PKfNS0_17constant_iteratorIjlEEPfPlSF_S6_NS0_8equal_toIfEEEE10hipError_tPvRmT2_T3_mT4_T5_T6_T7_T8_P12ihipStream_tbENKUlT_T0_E_clISt17integral_constantIbLb1EESY_IbLb0EEEEDaSU_SV_EUlSU_E_NS1_11comp_targetILNS1_3genE8ELNS1_11target_archE1030ELNS1_3gpuE2ELNS1_3repE0EEENS1_30default_config_static_selectorELNS0_4arch9wavefront6targetE1EEEvT1_
	.globl	_ZN7rocprim17ROCPRIM_400000_NS6detail17trampoline_kernelINS0_14default_configENS1_33run_length_encode_config_selectorIfjNS0_4plusIjEEEEZZNS1_33reduce_by_key_impl_wrapped_configILNS1_25lookback_scan_determinismE0ES3_S7_PKfNS0_17constant_iteratorIjlEEPfPlSF_S6_NS0_8equal_toIfEEEE10hipError_tPvRmT2_T3_mT4_T5_T6_T7_T8_P12ihipStream_tbENKUlT_T0_E_clISt17integral_constantIbLb1EESY_IbLb0EEEEDaSU_SV_EUlSU_E_NS1_11comp_targetILNS1_3genE8ELNS1_11target_archE1030ELNS1_3gpuE2ELNS1_3repE0EEENS1_30default_config_static_selectorELNS0_4arch9wavefront6targetE1EEEvT1_
	.p2align	8
	.type	_ZN7rocprim17ROCPRIM_400000_NS6detail17trampoline_kernelINS0_14default_configENS1_33run_length_encode_config_selectorIfjNS0_4plusIjEEEEZZNS1_33reduce_by_key_impl_wrapped_configILNS1_25lookback_scan_determinismE0ES3_S7_PKfNS0_17constant_iteratorIjlEEPfPlSF_S6_NS0_8equal_toIfEEEE10hipError_tPvRmT2_T3_mT4_T5_T6_T7_T8_P12ihipStream_tbENKUlT_T0_E_clISt17integral_constantIbLb1EESY_IbLb0EEEEDaSU_SV_EUlSU_E_NS1_11comp_targetILNS1_3genE8ELNS1_11target_archE1030ELNS1_3gpuE2ELNS1_3repE0EEENS1_30default_config_static_selectorELNS0_4arch9wavefront6targetE1EEEvT1_,@function
_ZN7rocprim17ROCPRIM_400000_NS6detail17trampoline_kernelINS0_14default_configENS1_33run_length_encode_config_selectorIfjNS0_4plusIjEEEEZZNS1_33reduce_by_key_impl_wrapped_configILNS1_25lookback_scan_determinismE0ES3_S7_PKfNS0_17constant_iteratorIjlEEPfPlSF_S6_NS0_8equal_toIfEEEE10hipError_tPvRmT2_T3_mT4_T5_T6_T7_T8_P12ihipStream_tbENKUlT_T0_E_clISt17integral_constantIbLb1EESY_IbLb0EEEEDaSU_SV_EUlSU_E_NS1_11comp_targetILNS1_3genE8ELNS1_11target_archE1030ELNS1_3gpuE2ELNS1_3repE0EEENS1_30default_config_static_selectorELNS0_4arch9wavefront6targetE1EEEvT1_: ; @_ZN7rocprim17ROCPRIM_400000_NS6detail17trampoline_kernelINS0_14default_configENS1_33run_length_encode_config_selectorIfjNS0_4plusIjEEEEZZNS1_33reduce_by_key_impl_wrapped_configILNS1_25lookback_scan_determinismE0ES3_S7_PKfNS0_17constant_iteratorIjlEEPfPlSF_S6_NS0_8equal_toIfEEEE10hipError_tPvRmT2_T3_mT4_T5_T6_T7_T8_P12ihipStream_tbENKUlT_T0_E_clISt17integral_constantIbLb1EESY_IbLb0EEEEDaSU_SV_EUlSU_E_NS1_11comp_targetILNS1_3genE8ELNS1_11target_archE1030ELNS1_3gpuE2ELNS1_3repE0EEENS1_30default_config_static_selectorELNS0_4arch9wavefront6targetE1EEEvT1_
; %bb.0:
	.section	.rodata,"a",@progbits
	.p2align	6, 0x0
	.amdhsa_kernel _ZN7rocprim17ROCPRIM_400000_NS6detail17trampoline_kernelINS0_14default_configENS1_33run_length_encode_config_selectorIfjNS0_4plusIjEEEEZZNS1_33reduce_by_key_impl_wrapped_configILNS1_25lookback_scan_determinismE0ES3_S7_PKfNS0_17constant_iteratorIjlEEPfPlSF_S6_NS0_8equal_toIfEEEE10hipError_tPvRmT2_T3_mT4_T5_T6_T7_T8_P12ihipStream_tbENKUlT_T0_E_clISt17integral_constantIbLb1EESY_IbLb0EEEEDaSU_SV_EUlSU_E_NS1_11comp_targetILNS1_3genE8ELNS1_11target_archE1030ELNS1_3gpuE2ELNS1_3repE0EEENS1_30default_config_static_selectorELNS0_4arch9wavefront6targetE1EEEvT1_
		.amdhsa_group_segment_fixed_size 0
		.amdhsa_private_segment_fixed_size 0
		.amdhsa_kernarg_size 128
		.amdhsa_user_sgpr_count 2
		.amdhsa_user_sgpr_dispatch_ptr 0
		.amdhsa_user_sgpr_queue_ptr 0
		.amdhsa_user_sgpr_kernarg_segment_ptr 1
		.amdhsa_user_sgpr_dispatch_id 0
		.amdhsa_user_sgpr_kernarg_preload_length 0
		.amdhsa_user_sgpr_kernarg_preload_offset 0
		.amdhsa_user_sgpr_private_segment_size 0
		.amdhsa_uses_dynamic_stack 0
		.amdhsa_enable_private_segment 0
		.amdhsa_system_sgpr_workgroup_id_x 1
		.amdhsa_system_sgpr_workgroup_id_y 0
		.amdhsa_system_sgpr_workgroup_id_z 0
		.amdhsa_system_sgpr_workgroup_info 0
		.amdhsa_system_vgpr_workitem_id 0
		.amdhsa_next_free_vgpr 1
		.amdhsa_next_free_sgpr 0
		.amdhsa_accum_offset 4
		.amdhsa_reserve_vcc 0
		.amdhsa_float_round_mode_32 0
		.amdhsa_float_round_mode_16_64 0
		.amdhsa_float_denorm_mode_32 3
		.amdhsa_float_denorm_mode_16_64 3
		.amdhsa_dx10_clamp 1
		.amdhsa_ieee_mode 1
		.amdhsa_fp16_overflow 0
		.amdhsa_tg_split 0
		.amdhsa_exception_fp_ieee_invalid_op 0
		.amdhsa_exception_fp_denorm_src 0
		.amdhsa_exception_fp_ieee_div_zero 0
		.amdhsa_exception_fp_ieee_overflow 0
		.amdhsa_exception_fp_ieee_underflow 0
		.amdhsa_exception_fp_ieee_inexact 0
		.amdhsa_exception_int_div_zero 0
	.end_amdhsa_kernel
	.section	.text._ZN7rocprim17ROCPRIM_400000_NS6detail17trampoline_kernelINS0_14default_configENS1_33run_length_encode_config_selectorIfjNS0_4plusIjEEEEZZNS1_33reduce_by_key_impl_wrapped_configILNS1_25lookback_scan_determinismE0ES3_S7_PKfNS0_17constant_iteratorIjlEEPfPlSF_S6_NS0_8equal_toIfEEEE10hipError_tPvRmT2_T3_mT4_T5_T6_T7_T8_P12ihipStream_tbENKUlT_T0_E_clISt17integral_constantIbLb1EESY_IbLb0EEEEDaSU_SV_EUlSU_E_NS1_11comp_targetILNS1_3genE8ELNS1_11target_archE1030ELNS1_3gpuE2ELNS1_3repE0EEENS1_30default_config_static_selectorELNS0_4arch9wavefront6targetE1EEEvT1_,"axG",@progbits,_ZN7rocprim17ROCPRIM_400000_NS6detail17trampoline_kernelINS0_14default_configENS1_33run_length_encode_config_selectorIfjNS0_4plusIjEEEEZZNS1_33reduce_by_key_impl_wrapped_configILNS1_25lookback_scan_determinismE0ES3_S7_PKfNS0_17constant_iteratorIjlEEPfPlSF_S6_NS0_8equal_toIfEEEE10hipError_tPvRmT2_T3_mT4_T5_T6_T7_T8_P12ihipStream_tbENKUlT_T0_E_clISt17integral_constantIbLb1EESY_IbLb0EEEEDaSU_SV_EUlSU_E_NS1_11comp_targetILNS1_3genE8ELNS1_11target_archE1030ELNS1_3gpuE2ELNS1_3repE0EEENS1_30default_config_static_selectorELNS0_4arch9wavefront6targetE1EEEvT1_,comdat
.Lfunc_end399:
	.size	_ZN7rocprim17ROCPRIM_400000_NS6detail17trampoline_kernelINS0_14default_configENS1_33run_length_encode_config_selectorIfjNS0_4plusIjEEEEZZNS1_33reduce_by_key_impl_wrapped_configILNS1_25lookback_scan_determinismE0ES3_S7_PKfNS0_17constant_iteratorIjlEEPfPlSF_S6_NS0_8equal_toIfEEEE10hipError_tPvRmT2_T3_mT4_T5_T6_T7_T8_P12ihipStream_tbENKUlT_T0_E_clISt17integral_constantIbLb1EESY_IbLb0EEEEDaSU_SV_EUlSU_E_NS1_11comp_targetILNS1_3genE8ELNS1_11target_archE1030ELNS1_3gpuE2ELNS1_3repE0EEENS1_30default_config_static_selectorELNS0_4arch9wavefront6targetE1EEEvT1_, .Lfunc_end399-_ZN7rocprim17ROCPRIM_400000_NS6detail17trampoline_kernelINS0_14default_configENS1_33run_length_encode_config_selectorIfjNS0_4plusIjEEEEZZNS1_33reduce_by_key_impl_wrapped_configILNS1_25lookback_scan_determinismE0ES3_S7_PKfNS0_17constant_iteratorIjlEEPfPlSF_S6_NS0_8equal_toIfEEEE10hipError_tPvRmT2_T3_mT4_T5_T6_T7_T8_P12ihipStream_tbENKUlT_T0_E_clISt17integral_constantIbLb1EESY_IbLb0EEEEDaSU_SV_EUlSU_E_NS1_11comp_targetILNS1_3genE8ELNS1_11target_archE1030ELNS1_3gpuE2ELNS1_3repE0EEENS1_30default_config_static_selectorELNS0_4arch9wavefront6targetE1EEEvT1_
                                        ; -- End function
	.section	.AMDGPU.csdata,"",@progbits
; Kernel info:
; codeLenInByte = 0
; NumSgprs: 6
; NumVgprs: 0
; NumAgprs: 0
; TotalNumVgprs: 0
; ScratchSize: 0
; MemoryBound: 0
; FloatMode: 240
; IeeeMode: 1
; LDSByteSize: 0 bytes/workgroup (compile time only)
; SGPRBlocks: 0
; VGPRBlocks: 0
; NumSGPRsForWavesPerEU: 6
; NumVGPRsForWavesPerEU: 1
; AccumOffset: 4
; Occupancy: 8
; WaveLimiterHint : 0
; COMPUTE_PGM_RSRC2:SCRATCH_EN: 0
; COMPUTE_PGM_RSRC2:USER_SGPR: 2
; COMPUTE_PGM_RSRC2:TRAP_HANDLER: 0
; COMPUTE_PGM_RSRC2:TGID_X_EN: 1
; COMPUTE_PGM_RSRC2:TGID_Y_EN: 0
; COMPUTE_PGM_RSRC2:TGID_Z_EN: 0
; COMPUTE_PGM_RSRC2:TIDIG_COMP_CNT: 0
; COMPUTE_PGM_RSRC3_GFX90A:ACCUM_OFFSET: 0
; COMPUTE_PGM_RSRC3_GFX90A:TG_SPLIT: 0
	.section	.text._ZN7rocprim17ROCPRIM_400000_NS6detail17trampoline_kernelINS0_14default_configENS1_33run_length_encode_config_selectorIfjNS0_4plusIjEEEEZZNS1_33reduce_by_key_impl_wrapped_configILNS1_25lookback_scan_determinismE0ES3_S7_PKfNS0_17constant_iteratorIjlEEPfPlSF_S6_NS0_8equal_toIfEEEE10hipError_tPvRmT2_T3_mT4_T5_T6_T7_T8_P12ihipStream_tbENKUlT_T0_E_clISt17integral_constantIbLb0EESY_IbLb1EEEEDaSU_SV_EUlSU_E_NS1_11comp_targetILNS1_3genE0ELNS1_11target_archE4294967295ELNS1_3gpuE0ELNS1_3repE0EEENS1_30default_config_static_selectorELNS0_4arch9wavefront6targetE1EEEvT1_,"axG",@progbits,_ZN7rocprim17ROCPRIM_400000_NS6detail17trampoline_kernelINS0_14default_configENS1_33run_length_encode_config_selectorIfjNS0_4plusIjEEEEZZNS1_33reduce_by_key_impl_wrapped_configILNS1_25lookback_scan_determinismE0ES3_S7_PKfNS0_17constant_iteratorIjlEEPfPlSF_S6_NS0_8equal_toIfEEEE10hipError_tPvRmT2_T3_mT4_T5_T6_T7_T8_P12ihipStream_tbENKUlT_T0_E_clISt17integral_constantIbLb0EESY_IbLb1EEEEDaSU_SV_EUlSU_E_NS1_11comp_targetILNS1_3genE0ELNS1_11target_archE4294967295ELNS1_3gpuE0ELNS1_3repE0EEENS1_30default_config_static_selectorELNS0_4arch9wavefront6targetE1EEEvT1_,comdat
	.protected	_ZN7rocprim17ROCPRIM_400000_NS6detail17trampoline_kernelINS0_14default_configENS1_33run_length_encode_config_selectorIfjNS0_4plusIjEEEEZZNS1_33reduce_by_key_impl_wrapped_configILNS1_25lookback_scan_determinismE0ES3_S7_PKfNS0_17constant_iteratorIjlEEPfPlSF_S6_NS0_8equal_toIfEEEE10hipError_tPvRmT2_T3_mT4_T5_T6_T7_T8_P12ihipStream_tbENKUlT_T0_E_clISt17integral_constantIbLb0EESY_IbLb1EEEEDaSU_SV_EUlSU_E_NS1_11comp_targetILNS1_3genE0ELNS1_11target_archE4294967295ELNS1_3gpuE0ELNS1_3repE0EEENS1_30default_config_static_selectorELNS0_4arch9wavefront6targetE1EEEvT1_ ; -- Begin function _ZN7rocprim17ROCPRIM_400000_NS6detail17trampoline_kernelINS0_14default_configENS1_33run_length_encode_config_selectorIfjNS0_4plusIjEEEEZZNS1_33reduce_by_key_impl_wrapped_configILNS1_25lookback_scan_determinismE0ES3_S7_PKfNS0_17constant_iteratorIjlEEPfPlSF_S6_NS0_8equal_toIfEEEE10hipError_tPvRmT2_T3_mT4_T5_T6_T7_T8_P12ihipStream_tbENKUlT_T0_E_clISt17integral_constantIbLb0EESY_IbLb1EEEEDaSU_SV_EUlSU_E_NS1_11comp_targetILNS1_3genE0ELNS1_11target_archE4294967295ELNS1_3gpuE0ELNS1_3repE0EEENS1_30default_config_static_selectorELNS0_4arch9wavefront6targetE1EEEvT1_
	.globl	_ZN7rocprim17ROCPRIM_400000_NS6detail17trampoline_kernelINS0_14default_configENS1_33run_length_encode_config_selectorIfjNS0_4plusIjEEEEZZNS1_33reduce_by_key_impl_wrapped_configILNS1_25lookback_scan_determinismE0ES3_S7_PKfNS0_17constant_iteratorIjlEEPfPlSF_S6_NS0_8equal_toIfEEEE10hipError_tPvRmT2_T3_mT4_T5_T6_T7_T8_P12ihipStream_tbENKUlT_T0_E_clISt17integral_constantIbLb0EESY_IbLb1EEEEDaSU_SV_EUlSU_E_NS1_11comp_targetILNS1_3genE0ELNS1_11target_archE4294967295ELNS1_3gpuE0ELNS1_3repE0EEENS1_30default_config_static_selectorELNS0_4arch9wavefront6targetE1EEEvT1_
	.p2align	8
	.type	_ZN7rocprim17ROCPRIM_400000_NS6detail17trampoline_kernelINS0_14default_configENS1_33run_length_encode_config_selectorIfjNS0_4plusIjEEEEZZNS1_33reduce_by_key_impl_wrapped_configILNS1_25lookback_scan_determinismE0ES3_S7_PKfNS0_17constant_iteratorIjlEEPfPlSF_S6_NS0_8equal_toIfEEEE10hipError_tPvRmT2_T3_mT4_T5_T6_T7_T8_P12ihipStream_tbENKUlT_T0_E_clISt17integral_constantIbLb0EESY_IbLb1EEEEDaSU_SV_EUlSU_E_NS1_11comp_targetILNS1_3genE0ELNS1_11target_archE4294967295ELNS1_3gpuE0ELNS1_3repE0EEENS1_30default_config_static_selectorELNS0_4arch9wavefront6targetE1EEEvT1_,@function
_ZN7rocprim17ROCPRIM_400000_NS6detail17trampoline_kernelINS0_14default_configENS1_33run_length_encode_config_selectorIfjNS0_4plusIjEEEEZZNS1_33reduce_by_key_impl_wrapped_configILNS1_25lookback_scan_determinismE0ES3_S7_PKfNS0_17constant_iteratorIjlEEPfPlSF_S6_NS0_8equal_toIfEEEE10hipError_tPvRmT2_T3_mT4_T5_T6_T7_T8_P12ihipStream_tbENKUlT_T0_E_clISt17integral_constantIbLb0EESY_IbLb1EEEEDaSU_SV_EUlSU_E_NS1_11comp_targetILNS1_3genE0ELNS1_11target_archE4294967295ELNS1_3gpuE0ELNS1_3repE0EEENS1_30default_config_static_selectorELNS0_4arch9wavefront6targetE1EEEvT1_: ; @_ZN7rocprim17ROCPRIM_400000_NS6detail17trampoline_kernelINS0_14default_configENS1_33run_length_encode_config_selectorIfjNS0_4plusIjEEEEZZNS1_33reduce_by_key_impl_wrapped_configILNS1_25lookback_scan_determinismE0ES3_S7_PKfNS0_17constant_iteratorIjlEEPfPlSF_S6_NS0_8equal_toIfEEEE10hipError_tPvRmT2_T3_mT4_T5_T6_T7_T8_P12ihipStream_tbENKUlT_T0_E_clISt17integral_constantIbLb0EESY_IbLb1EEEEDaSU_SV_EUlSU_E_NS1_11comp_targetILNS1_3genE0ELNS1_11target_archE4294967295ELNS1_3gpuE0ELNS1_3repE0EEENS1_30default_config_static_selectorELNS0_4arch9wavefront6targetE1EEEvT1_
; %bb.0:
	.section	.rodata,"a",@progbits
	.p2align	6, 0x0
	.amdhsa_kernel _ZN7rocprim17ROCPRIM_400000_NS6detail17trampoline_kernelINS0_14default_configENS1_33run_length_encode_config_selectorIfjNS0_4plusIjEEEEZZNS1_33reduce_by_key_impl_wrapped_configILNS1_25lookback_scan_determinismE0ES3_S7_PKfNS0_17constant_iteratorIjlEEPfPlSF_S6_NS0_8equal_toIfEEEE10hipError_tPvRmT2_T3_mT4_T5_T6_T7_T8_P12ihipStream_tbENKUlT_T0_E_clISt17integral_constantIbLb0EESY_IbLb1EEEEDaSU_SV_EUlSU_E_NS1_11comp_targetILNS1_3genE0ELNS1_11target_archE4294967295ELNS1_3gpuE0ELNS1_3repE0EEENS1_30default_config_static_selectorELNS0_4arch9wavefront6targetE1EEEvT1_
		.amdhsa_group_segment_fixed_size 0
		.amdhsa_private_segment_fixed_size 0
		.amdhsa_kernarg_size 128
		.amdhsa_user_sgpr_count 2
		.amdhsa_user_sgpr_dispatch_ptr 0
		.amdhsa_user_sgpr_queue_ptr 0
		.amdhsa_user_sgpr_kernarg_segment_ptr 1
		.amdhsa_user_sgpr_dispatch_id 0
		.amdhsa_user_sgpr_kernarg_preload_length 0
		.amdhsa_user_sgpr_kernarg_preload_offset 0
		.amdhsa_user_sgpr_private_segment_size 0
		.amdhsa_uses_dynamic_stack 0
		.amdhsa_enable_private_segment 0
		.amdhsa_system_sgpr_workgroup_id_x 1
		.amdhsa_system_sgpr_workgroup_id_y 0
		.amdhsa_system_sgpr_workgroup_id_z 0
		.amdhsa_system_sgpr_workgroup_info 0
		.amdhsa_system_vgpr_workitem_id 0
		.amdhsa_next_free_vgpr 1
		.amdhsa_next_free_sgpr 0
		.amdhsa_accum_offset 4
		.amdhsa_reserve_vcc 0
		.amdhsa_float_round_mode_32 0
		.amdhsa_float_round_mode_16_64 0
		.amdhsa_float_denorm_mode_32 3
		.amdhsa_float_denorm_mode_16_64 3
		.amdhsa_dx10_clamp 1
		.amdhsa_ieee_mode 1
		.amdhsa_fp16_overflow 0
		.amdhsa_tg_split 0
		.amdhsa_exception_fp_ieee_invalid_op 0
		.amdhsa_exception_fp_denorm_src 0
		.amdhsa_exception_fp_ieee_div_zero 0
		.amdhsa_exception_fp_ieee_overflow 0
		.amdhsa_exception_fp_ieee_underflow 0
		.amdhsa_exception_fp_ieee_inexact 0
		.amdhsa_exception_int_div_zero 0
	.end_amdhsa_kernel
	.section	.text._ZN7rocprim17ROCPRIM_400000_NS6detail17trampoline_kernelINS0_14default_configENS1_33run_length_encode_config_selectorIfjNS0_4plusIjEEEEZZNS1_33reduce_by_key_impl_wrapped_configILNS1_25lookback_scan_determinismE0ES3_S7_PKfNS0_17constant_iteratorIjlEEPfPlSF_S6_NS0_8equal_toIfEEEE10hipError_tPvRmT2_T3_mT4_T5_T6_T7_T8_P12ihipStream_tbENKUlT_T0_E_clISt17integral_constantIbLb0EESY_IbLb1EEEEDaSU_SV_EUlSU_E_NS1_11comp_targetILNS1_3genE0ELNS1_11target_archE4294967295ELNS1_3gpuE0ELNS1_3repE0EEENS1_30default_config_static_selectorELNS0_4arch9wavefront6targetE1EEEvT1_,"axG",@progbits,_ZN7rocprim17ROCPRIM_400000_NS6detail17trampoline_kernelINS0_14default_configENS1_33run_length_encode_config_selectorIfjNS0_4plusIjEEEEZZNS1_33reduce_by_key_impl_wrapped_configILNS1_25lookback_scan_determinismE0ES3_S7_PKfNS0_17constant_iteratorIjlEEPfPlSF_S6_NS0_8equal_toIfEEEE10hipError_tPvRmT2_T3_mT4_T5_T6_T7_T8_P12ihipStream_tbENKUlT_T0_E_clISt17integral_constantIbLb0EESY_IbLb1EEEEDaSU_SV_EUlSU_E_NS1_11comp_targetILNS1_3genE0ELNS1_11target_archE4294967295ELNS1_3gpuE0ELNS1_3repE0EEENS1_30default_config_static_selectorELNS0_4arch9wavefront6targetE1EEEvT1_,comdat
.Lfunc_end400:
	.size	_ZN7rocprim17ROCPRIM_400000_NS6detail17trampoline_kernelINS0_14default_configENS1_33run_length_encode_config_selectorIfjNS0_4plusIjEEEEZZNS1_33reduce_by_key_impl_wrapped_configILNS1_25lookback_scan_determinismE0ES3_S7_PKfNS0_17constant_iteratorIjlEEPfPlSF_S6_NS0_8equal_toIfEEEE10hipError_tPvRmT2_T3_mT4_T5_T6_T7_T8_P12ihipStream_tbENKUlT_T0_E_clISt17integral_constantIbLb0EESY_IbLb1EEEEDaSU_SV_EUlSU_E_NS1_11comp_targetILNS1_3genE0ELNS1_11target_archE4294967295ELNS1_3gpuE0ELNS1_3repE0EEENS1_30default_config_static_selectorELNS0_4arch9wavefront6targetE1EEEvT1_, .Lfunc_end400-_ZN7rocprim17ROCPRIM_400000_NS6detail17trampoline_kernelINS0_14default_configENS1_33run_length_encode_config_selectorIfjNS0_4plusIjEEEEZZNS1_33reduce_by_key_impl_wrapped_configILNS1_25lookback_scan_determinismE0ES3_S7_PKfNS0_17constant_iteratorIjlEEPfPlSF_S6_NS0_8equal_toIfEEEE10hipError_tPvRmT2_T3_mT4_T5_T6_T7_T8_P12ihipStream_tbENKUlT_T0_E_clISt17integral_constantIbLb0EESY_IbLb1EEEEDaSU_SV_EUlSU_E_NS1_11comp_targetILNS1_3genE0ELNS1_11target_archE4294967295ELNS1_3gpuE0ELNS1_3repE0EEENS1_30default_config_static_selectorELNS0_4arch9wavefront6targetE1EEEvT1_
                                        ; -- End function
	.section	.AMDGPU.csdata,"",@progbits
; Kernel info:
; codeLenInByte = 0
; NumSgprs: 6
; NumVgprs: 0
; NumAgprs: 0
; TotalNumVgprs: 0
; ScratchSize: 0
; MemoryBound: 0
; FloatMode: 240
; IeeeMode: 1
; LDSByteSize: 0 bytes/workgroup (compile time only)
; SGPRBlocks: 0
; VGPRBlocks: 0
; NumSGPRsForWavesPerEU: 6
; NumVGPRsForWavesPerEU: 1
; AccumOffset: 4
; Occupancy: 8
; WaveLimiterHint : 0
; COMPUTE_PGM_RSRC2:SCRATCH_EN: 0
; COMPUTE_PGM_RSRC2:USER_SGPR: 2
; COMPUTE_PGM_RSRC2:TRAP_HANDLER: 0
; COMPUTE_PGM_RSRC2:TGID_X_EN: 1
; COMPUTE_PGM_RSRC2:TGID_Y_EN: 0
; COMPUTE_PGM_RSRC2:TGID_Z_EN: 0
; COMPUTE_PGM_RSRC2:TIDIG_COMP_CNT: 0
; COMPUTE_PGM_RSRC3_GFX90A:ACCUM_OFFSET: 0
; COMPUTE_PGM_RSRC3_GFX90A:TG_SPLIT: 0
	.section	.text._ZN7rocprim17ROCPRIM_400000_NS6detail17trampoline_kernelINS0_14default_configENS1_33run_length_encode_config_selectorIfjNS0_4plusIjEEEEZZNS1_33reduce_by_key_impl_wrapped_configILNS1_25lookback_scan_determinismE0ES3_S7_PKfNS0_17constant_iteratorIjlEEPfPlSF_S6_NS0_8equal_toIfEEEE10hipError_tPvRmT2_T3_mT4_T5_T6_T7_T8_P12ihipStream_tbENKUlT_T0_E_clISt17integral_constantIbLb0EESY_IbLb1EEEEDaSU_SV_EUlSU_E_NS1_11comp_targetILNS1_3genE5ELNS1_11target_archE942ELNS1_3gpuE9ELNS1_3repE0EEENS1_30default_config_static_selectorELNS0_4arch9wavefront6targetE1EEEvT1_,"axG",@progbits,_ZN7rocprim17ROCPRIM_400000_NS6detail17trampoline_kernelINS0_14default_configENS1_33run_length_encode_config_selectorIfjNS0_4plusIjEEEEZZNS1_33reduce_by_key_impl_wrapped_configILNS1_25lookback_scan_determinismE0ES3_S7_PKfNS0_17constant_iteratorIjlEEPfPlSF_S6_NS0_8equal_toIfEEEE10hipError_tPvRmT2_T3_mT4_T5_T6_T7_T8_P12ihipStream_tbENKUlT_T0_E_clISt17integral_constantIbLb0EESY_IbLb1EEEEDaSU_SV_EUlSU_E_NS1_11comp_targetILNS1_3genE5ELNS1_11target_archE942ELNS1_3gpuE9ELNS1_3repE0EEENS1_30default_config_static_selectorELNS0_4arch9wavefront6targetE1EEEvT1_,comdat
	.protected	_ZN7rocprim17ROCPRIM_400000_NS6detail17trampoline_kernelINS0_14default_configENS1_33run_length_encode_config_selectorIfjNS0_4plusIjEEEEZZNS1_33reduce_by_key_impl_wrapped_configILNS1_25lookback_scan_determinismE0ES3_S7_PKfNS0_17constant_iteratorIjlEEPfPlSF_S6_NS0_8equal_toIfEEEE10hipError_tPvRmT2_T3_mT4_T5_T6_T7_T8_P12ihipStream_tbENKUlT_T0_E_clISt17integral_constantIbLb0EESY_IbLb1EEEEDaSU_SV_EUlSU_E_NS1_11comp_targetILNS1_3genE5ELNS1_11target_archE942ELNS1_3gpuE9ELNS1_3repE0EEENS1_30default_config_static_selectorELNS0_4arch9wavefront6targetE1EEEvT1_ ; -- Begin function _ZN7rocprim17ROCPRIM_400000_NS6detail17trampoline_kernelINS0_14default_configENS1_33run_length_encode_config_selectorIfjNS0_4plusIjEEEEZZNS1_33reduce_by_key_impl_wrapped_configILNS1_25lookback_scan_determinismE0ES3_S7_PKfNS0_17constant_iteratorIjlEEPfPlSF_S6_NS0_8equal_toIfEEEE10hipError_tPvRmT2_T3_mT4_T5_T6_T7_T8_P12ihipStream_tbENKUlT_T0_E_clISt17integral_constantIbLb0EESY_IbLb1EEEEDaSU_SV_EUlSU_E_NS1_11comp_targetILNS1_3genE5ELNS1_11target_archE942ELNS1_3gpuE9ELNS1_3repE0EEENS1_30default_config_static_selectorELNS0_4arch9wavefront6targetE1EEEvT1_
	.globl	_ZN7rocprim17ROCPRIM_400000_NS6detail17trampoline_kernelINS0_14default_configENS1_33run_length_encode_config_selectorIfjNS0_4plusIjEEEEZZNS1_33reduce_by_key_impl_wrapped_configILNS1_25lookback_scan_determinismE0ES3_S7_PKfNS0_17constant_iteratorIjlEEPfPlSF_S6_NS0_8equal_toIfEEEE10hipError_tPvRmT2_T3_mT4_T5_T6_T7_T8_P12ihipStream_tbENKUlT_T0_E_clISt17integral_constantIbLb0EESY_IbLb1EEEEDaSU_SV_EUlSU_E_NS1_11comp_targetILNS1_3genE5ELNS1_11target_archE942ELNS1_3gpuE9ELNS1_3repE0EEENS1_30default_config_static_selectorELNS0_4arch9wavefront6targetE1EEEvT1_
	.p2align	8
	.type	_ZN7rocprim17ROCPRIM_400000_NS6detail17trampoline_kernelINS0_14default_configENS1_33run_length_encode_config_selectorIfjNS0_4plusIjEEEEZZNS1_33reduce_by_key_impl_wrapped_configILNS1_25lookback_scan_determinismE0ES3_S7_PKfNS0_17constant_iteratorIjlEEPfPlSF_S6_NS0_8equal_toIfEEEE10hipError_tPvRmT2_T3_mT4_T5_T6_T7_T8_P12ihipStream_tbENKUlT_T0_E_clISt17integral_constantIbLb0EESY_IbLb1EEEEDaSU_SV_EUlSU_E_NS1_11comp_targetILNS1_3genE5ELNS1_11target_archE942ELNS1_3gpuE9ELNS1_3repE0EEENS1_30default_config_static_selectorELNS0_4arch9wavefront6targetE1EEEvT1_,@function
_ZN7rocprim17ROCPRIM_400000_NS6detail17trampoline_kernelINS0_14default_configENS1_33run_length_encode_config_selectorIfjNS0_4plusIjEEEEZZNS1_33reduce_by_key_impl_wrapped_configILNS1_25lookback_scan_determinismE0ES3_S7_PKfNS0_17constant_iteratorIjlEEPfPlSF_S6_NS0_8equal_toIfEEEE10hipError_tPvRmT2_T3_mT4_T5_T6_T7_T8_P12ihipStream_tbENKUlT_T0_E_clISt17integral_constantIbLb0EESY_IbLb1EEEEDaSU_SV_EUlSU_E_NS1_11comp_targetILNS1_3genE5ELNS1_11target_archE942ELNS1_3gpuE9ELNS1_3repE0EEENS1_30default_config_static_selectorELNS0_4arch9wavefront6targetE1EEEvT1_: ; @_ZN7rocprim17ROCPRIM_400000_NS6detail17trampoline_kernelINS0_14default_configENS1_33run_length_encode_config_selectorIfjNS0_4plusIjEEEEZZNS1_33reduce_by_key_impl_wrapped_configILNS1_25lookback_scan_determinismE0ES3_S7_PKfNS0_17constant_iteratorIjlEEPfPlSF_S6_NS0_8equal_toIfEEEE10hipError_tPvRmT2_T3_mT4_T5_T6_T7_T8_P12ihipStream_tbENKUlT_T0_E_clISt17integral_constantIbLb0EESY_IbLb1EEEEDaSU_SV_EUlSU_E_NS1_11comp_targetILNS1_3genE5ELNS1_11target_archE942ELNS1_3gpuE9ELNS1_3repE0EEENS1_30default_config_static_selectorELNS0_4arch9wavefront6targetE1EEEvT1_
; %bb.0:
	s_load_dword s10, s[0:1], 0x10
	s_load_dwordx4 s[44:47], s[0:1], 0x20
	s_load_dwordx2 s[48:49], s[0:1], 0x30
	s_load_dwordx2 s[50:51], s[0:1], 0x70
	s_load_dwordx4 s[28:31], s[0:1], 0x60
	s_load_dwordx8 s[36:43], s[0:1], 0x40
	v_cmp_ne_u32_e64 s[2:3], 0, v0
	v_cmp_eq_u32_e64 s[34:35], 0, v0
	s_and_saveexec_b64 s[4:5], s[34:35]
	s_cbranch_execz .LBB401_4
; %bb.1:
	s_mov_b64 s[8:9], exec
	v_mbcnt_lo_u32_b32 v1, s8, 0
	v_mbcnt_hi_u32_b32 v1, s9, v1
	v_cmp_eq_u32_e32 vcc, 0, v1
                                        ; implicit-def: $vgpr2
	s_and_saveexec_b64 s[6:7], vcc
	s_cbranch_execz .LBB401_3
; %bb.2:
	s_load_dwordx2 s[12:13], s[0:1], 0x78
	s_bcnt1_i32_b64 s8, s[8:9]
	v_mov_b32_e32 v2, 0
	v_mov_b32_e32 v3, s8
	s_waitcnt lgkmcnt(0)
	global_atomic_add v2, v2, v3, s[12:13] sc0
.LBB401_3:
	s_or_b64 exec, exec, s[6:7]
	s_waitcnt vmcnt(0)
	v_readfirstlane_b32 s6, v2
	v_mov_b32_e32 v2, 0
	s_nop 0
	v_add_u32_e32 v1, s6, v1
	ds_write_b32 v2, v1
.LBB401_4:
	s_or_b64 exec, exec, s[4:5]
	s_load_dwordx4 s[4:7], s[0:1], 0x0
	v_mov_b32_e32 v5, 0
	s_waitcnt lgkmcnt(0)
	s_barrier
	ds_read_b32 v1, v5
	s_mul_i32 s0, s40, s39
	s_mul_hi_u32 s1, s40, s38
	s_add_i32 s0, s1, s0
	s_mul_i32 s1, s41, s38
	s_add_i32 s8, s0, s1
	s_lshl_b64 s[0:1], s[6:7], 2
	s_add_u32 s0, s4, s0
	s_movk_i32 s4, 0x1e00
	s_waitcnt lgkmcnt(0)
	v_mul_lo_u32 v4, v1, s4
	s_mul_i32 s9, s40, s38
	s_addc_u32 s1, s5, s1
	v_readfirstlane_b32 s56, v1
	v_lshlrev_b64 v[2:3], 2, v[4:5]
	v_lshl_add_u64 v[2:3], s[0:1], 0, v[2:3]
	s_add_u32 s0, s9, s56
	s_addc_u32 s1, s8, 0
	s_add_u32 s6, s42, -1
	s_addc_u32 s7, s43, -1
	s_cmp_eq_u64 s[0:1], s[6:7]
	s_cselect_b64 s[40:41], -1, 0
	s_cmp_lg_u64 s[0:1], s[6:7]
	s_mov_b64 s[8:9], -1
	s_cselect_b64 s[4:5], -1, 0
	s_mul_i32 s33, s6, 0xffffe200
	s_and_b64 vcc, exec, s[40:41]
	s_barrier
	s_cbranch_vccnz .LBB401_6
; %bb.5:
	v_lshlrev_b32_e32 v4, 2, v0
	v_lshl_add_u64 v[6:7], v[2:3], 0, v[4:5]
	v_add_co_u32_e32 v8, vcc, 0x1000, v6
	v_readfirstlane_b32 s6, v2
	s_nop 0
	v_addc_co_u32_e32 v9, vcc, 0, v7, vcc
	v_add_co_u32_e32 v10, vcc, 0x2000, v6
	v_readfirstlane_b32 s7, v3
	s_nop 0
	v_addc_co_u32_e32 v11, vcc, 0, v7, vcc
	v_add_co_u32_e32 v12, vcc, 0x3000, v6
	s_nop 1
	global_load_dword v1, v4, s[6:7]
	global_load_dword v5, v4, s[6:7] offset:2048
	v_addc_co_u32_e32 v13, vcc, 0, v7, vcc
	v_add_co_u32_e32 v14, vcc, 0x4000, v6
	s_nop 1
	v_addc_co_u32_e32 v15, vcc, 0, v7, vcc
	global_load_dword v16, v[8:9], off
	global_load_dword v17, v[8:9], off offset:2048
	global_load_dword v18, v[10:11], off
	global_load_dword v19, v[10:11], off offset:2048
	;; [unrolled: 2-line block ×4, first 2 shown]
	v_add_co_u32_e32 v8, vcc, 0x5000, v6
	s_mov_b64 s[6:7], -1
	s_nop 0
	v_addc_co_u32_e32 v9, vcc, 0, v7, vcc
	v_add_co_u32_e32 v10, vcc, 0x6000, v6
	s_nop 1
	v_addc_co_u32_e32 v11, vcc, 0, v7, vcc
	global_load_dword v12, v[8:9], off
	global_load_dword v13, v[8:9], off offset:2048
	global_load_dword v14, v[10:11], off
	global_load_dword v15, v[10:11], off offset:2048
	v_add_co_u32_e32 v6, vcc, 0x7000, v6
	s_nop 1
	v_addc_co_u32_e32 v7, vcc, 0, v7, vcc
	global_load_dword v6, v[6:7], off
	v_mad_u32_u24 v7, v0, 56, v4
	s_waitcnt vmcnt(13)
	ds_write2st64_b32 v4, v1, v5 offset1:8
	s_waitcnt vmcnt(11)
	ds_write2st64_b32 v4, v16, v17 offset0:16 offset1:24
	s_waitcnt vmcnt(9)
	ds_write2st64_b32 v4, v18, v19 offset0:32 offset1:40
	;; [unrolled: 2-line block ×6, first 2 shown]
	s_waitcnt vmcnt(0)
	ds_write_b32 v4, v6 offset:28672
	s_waitcnt lgkmcnt(0)
	s_barrier
	ds_read2_b32 v[20:21], v7 offset1:1
	ds_read2_b32 v[18:19], v7 offset0:2 offset1:3
	ds_read2_b32 v[16:17], v7 offset0:4 offset1:5
	;; [unrolled: 1-line block ×6, first 2 shown]
	ds_read_b32 v1, v7 offset:56
	s_waitcnt lgkmcnt(7)
	v_mov_b32_e32 v24, v20
	s_waitcnt lgkmcnt(6)
	v_mov_b32_e32 v25, v18
	;; [unrolled: 2-line block ×7, first 2 shown]
	s_add_i32 s33, s33, s28
	s_cbranch_execz .LBB401_7
	s_branch .LBB401_38
.LBB401_6:
	s_mov_b64 s[6:7], 0
                                        ; implicit-def: $vgpr1
                                        ; implicit-def: $vgpr8
                                        ; implicit-def: $vgpr10
                                        ; implicit-def: $vgpr12
                                        ; implicit-def: $vgpr14
                                        ; implicit-def: $vgpr16
                                        ; implicit-def: $vgpr18
                                        ; implicit-def: $vgpr20
                                        ; implicit-def: $vgpr4_vgpr5
                                        ; implicit-def: $vgpr6_vgpr7
                                        ; implicit-def: $vgpr24_vgpr25
                                        ; implicit-def: $vgpr22_vgpr23
	s_add_i32 s33, s33, s28
	s_andn2_b64 vcc, exec, s[8:9]
	s_cbranch_vccnz .LBB401_38
.LBB401_7:
	v_cmp_gt_u32_e32 vcc, s33, v0
                                        ; implicit-def: $vgpr1
	s_and_saveexec_b64 s[6:7], vcc
	s_cbranch_execz .LBB401_9
; %bb.8:
	s_waitcnt lgkmcnt(0)
	v_lshlrev_b32_e32 v1, 2, v0
	v_readfirstlane_b32 s8, v2
	v_readfirstlane_b32 s9, v3
	s_nop 4
	global_load_dword v1, v1, s[8:9]
.LBB401_9:
	s_or_b64 exec, exec, s[6:7]
	v_or_b32_e32 v4, 0x200, v0
	v_cmp_gt_u32_e32 vcc, s33, v4
                                        ; implicit-def: $vgpr4
	s_and_saveexec_b64 s[6:7], vcc
	s_cbranch_execz .LBB401_11
; %bb.10:
	v_lshlrev_b32_e32 v4, 2, v0
	v_readfirstlane_b32 s8, v2
	v_readfirstlane_b32 s9, v3
	s_nop 4
	global_load_dword v4, v4, s[8:9] offset:2048
.LBB401_11:
	s_or_b64 exec, exec, s[6:7]
	v_or_b32_e32 v6, 0x400, v0
	v_cmp_gt_u32_e32 vcc, s33, v6
                                        ; implicit-def: $vgpr5
	s_and_saveexec_b64 s[6:7], vcc
	s_cbranch_execz .LBB401_13
; %bb.12:
	v_lshlrev_b32_e32 v5, 2, v6
	v_readfirstlane_b32 s8, v2
	v_readfirstlane_b32 s9, v3
	s_nop 4
	global_load_dword v5, v5, s[8:9]
.LBB401_13:
	s_or_b64 exec, exec, s[6:7]
	v_or_b32_e32 v7, 0x600, v0
	v_cmp_gt_u32_e32 vcc, s33, v7
                                        ; implicit-def: $vgpr6
	s_and_saveexec_b64 s[6:7], vcc
	s_cbranch_execz .LBB401_15
; %bb.14:
	v_lshlrev_b32_e32 v6, 2, v7
	v_readfirstlane_b32 s8, v2
	v_readfirstlane_b32 s9, v3
	s_nop 4
	global_load_dword v6, v6, s[8:9]
.LBB401_15:
	s_or_b64 exec, exec, s[6:7]
	v_or_b32_e32 v8, 0x800, v0
	v_cmp_gt_u32_e32 vcc, s33, v8
                                        ; implicit-def: $vgpr7
	s_and_saveexec_b64 s[6:7], vcc
	s_cbranch_execz .LBB401_17
; %bb.16:
	v_lshlrev_b32_e32 v7, 2, v8
	v_readfirstlane_b32 s8, v2
	v_readfirstlane_b32 s9, v3
	s_nop 4
	global_load_dword v7, v7, s[8:9]
.LBB401_17:
	s_or_b64 exec, exec, s[6:7]
	v_or_b32_e32 v9, 0xa00, v0
	v_cmp_gt_u32_e32 vcc, s33, v9
                                        ; implicit-def: $vgpr8
	s_and_saveexec_b64 s[6:7], vcc
	s_cbranch_execz .LBB401_19
; %bb.18:
	v_lshlrev_b32_e32 v8, 2, v9
	v_readfirstlane_b32 s8, v2
	v_readfirstlane_b32 s9, v3
	s_nop 4
	global_load_dword v8, v8, s[8:9]
.LBB401_19:
	s_or_b64 exec, exec, s[6:7]
	v_or_b32_e32 v10, 0xc00, v0
	v_cmp_gt_u32_e32 vcc, s33, v10
                                        ; implicit-def: $vgpr9
	s_and_saveexec_b64 s[6:7], vcc
	s_cbranch_execz .LBB401_21
; %bb.20:
	v_lshlrev_b32_e32 v9, 2, v10
	v_readfirstlane_b32 s8, v2
	v_readfirstlane_b32 s9, v3
	s_nop 4
	global_load_dword v9, v9, s[8:9]
.LBB401_21:
	s_or_b64 exec, exec, s[6:7]
	v_or_b32_e32 v11, 0xe00, v0
	v_cmp_gt_u32_e32 vcc, s33, v11
                                        ; implicit-def: $vgpr10
	s_and_saveexec_b64 s[6:7], vcc
	s_cbranch_execz .LBB401_23
; %bb.22:
	v_lshlrev_b32_e32 v10, 2, v11
	v_readfirstlane_b32 s8, v2
	v_readfirstlane_b32 s9, v3
	s_nop 4
	global_load_dword v10, v10, s[8:9]
.LBB401_23:
	s_or_b64 exec, exec, s[6:7]
	v_or_b32_e32 v12, 0x1000, v0
	v_cmp_gt_u32_e32 vcc, s33, v12
                                        ; implicit-def: $vgpr11
	s_and_saveexec_b64 s[6:7], vcc
	s_cbranch_execz .LBB401_25
; %bb.24:
	v_lshlrev_b32_e32 v11, 2, v12
	v_readfirstlane_b32 s8, v2
	v_readfirstlane_b32 s9, v3
	s_nop 4
	global_load_dword v11, v11, s[8:9]
.LBB401_25:
	s_or_b64 exec, exec, s[6:7]
	v_or_b32_e32 v13, 0x1200, v0
	v_cmp_gt_u32_e32 vcc, s33, v13
                                        ; implicit-def: $vgpr12
	s_and_saveexec_b64 s[6:7], vcc
	s_cbranch_execz .LBB401_27
; %bb.26:
	v_lshlrev_b32_e32 v12, 2, v13
	v_readfirstlane_b32 s8, v2
	v_readfirstlane_b32 s9, v3
	s_nop 4
	global_load_dword v12, v12, s[8:9]
.LBB401_27:
	s_or_b64 exec, exec, s[6:7]
	v_or_b32_e32 v14, 0x1400, v0
	v_cmp_gt_u32_e32 vcc, s33, v14
                                        ; implicit-def: $vgpr13
	s_and_saveexec_b64 s[6:7], vcc
	s_cbranch_execz .LBB401_29
; %bb.28:
	v_lshlrev_b32_e32 v13, 2, v14
	v_readfirstlane_b32 s8, v2
	v_readfirstlane_b32 s9, v3
	s_nop 4
	global_load_dword v13, v13, s[8:9]
.LBB401_29:
	s_or_b64 exec, exec, s[6:7]
	v_or_b32_e32 v15, 0x1600, v0
	v_cmp_gt_u32_e32 vcc, s33, v15
                                        ; implicit-def: $vgpr14
	s_and_saveexec_b64 s[6:7], vcc
	s_cbranch_execz .LBB401_31
; %bb.30:
	v_lshlrev_b32_e32 v14, 2, v15
	v_readfirstlane_b32 s8, v2
	v_readfirstlane_b32 s9, v3
	s_nop 4
	global_load_dword v14, v14, s[8:9]
.LBB401_31:
	s_or_b64 exec, exec, s[6:7]
	v_or_b32_e32 v16, 0x1800, v0
	v_cmp_gt_u32_e32 vcc, s33, v16
                                        ; implicit-def: $vgpr15
	s_and_saveexec_b64 s[6:7], vcc
	s_cbranch_execz .LBB401_33
; %bb.32:
	v_lshlrev_b32_e32 v15, 2, v16
	v_readfirstlane_b32 s8, v2
	v_readfirstlane_b32 s9, v3
	s_nop 4
	global_load_dword v15, v15, s[8:9]
.LBB401_33:
	s_or_b64 exec, exec, s[6:7]
	v_or_b32_e32 v17, 0x1a00, v0
	v_cmp_gt_u32_e32 vcc, s33, v17
                                        ; implicit-def: $vgpr16
	s_and_saveexec_b64 s[6:7], vcc
	s_cbranch_execz .LBB401_35
; %bb.34:
	v_lshlrev_b32_e32 v16, 2, v17
	v_readfirstlane_b32 s8, v2
	v_readfirstlane_b32 s9, v3
	s_nop 4
	global_load_dword v16, v16, s[8:9]
.LBB401_35:
	s_or_b64 exec, exec, s[6:7]
	v_or_b32_e32 v18, 0x1c00, v0
	v_cmp_gt_u32_e32 vcc, s33, v18
                                        ; implicit-def: $vgpr17
	s_and_saveexec_b64 s[6:7], vcc
	s_cbranch_execz .LBB401_37
; %bb.36:
	v_lshlrev_b32_e32 v17, 2, v18
	v_readfirstlane_b32 s8, v2
	v_readfirstlane_b32 s9, v3
	s_nop 4
	global_load_dword v17, v17, s[8:9]
.LBB401_37:
	s_or_b64 exec, exec, s[6:7]
	v_lshlrev_b32_e32 v18, 2, v0
	s_waitcnt vmcnt(0) lgkmcnt(0)
	ds_write2st64_b32 v18, v1, v4 offset1:8
	ds_write2st64_b32 v18, v5, v6 offset0:16 offset1:24
	ds_write2st64_b32 v18, v7, v8 offset0:32 offset1:40
	;; [unrolled: 1-line block ×6, first 2 shown]
	ds_write_b32 v18, v17 offset:28672
	v_mad_u32_u24 v1, v0, 56, v18
	s_waitcnt lgkmcnt(0)
	s_barrier
	ds_read2_b32 v[20:21], v1 offset1:1
	ds_read2_b32 v[18:19], v1 offset0:2 offset1:3
	ds_read2_b32 v[16:17], v1 offset0:4 offset1:5
	;; [unrolled: 1-line block ×6, first 2 shown]
	ds_read_b32 v1, v1 offset:56
	v_mad_u32_u24 v4, v0, 15, 14
	v_cmp_gt_u32_e64 s[6:7], s33, v4
	s_waitcnt lgkmcnt(7)
	v_mov_b32_e32 v24, v20
	s_waitcnt lgkmcnt(6)
	v_mov_b32_e32 v25, v18
	;; [unrolled: 2-line block ×7, first 2 shown]
.LBB401_38:
	v_mov_b32_e32 v52, s10
                                        ; implicit-def: $vgpr53
	s_and_saveexec_b64 s[8:9], s[6:7]
; %bb.39:
	v_mov_b32_e32 v53, s10
; %bb.40:
	s_or_b64 exec, exec, s[8:9]
	s_cmp_eq_u64 s[0:1], 0
	s_cselect_b64 s[42:43], -1, 0
	s_cmp_lg_u64 s[0:1], 0
	s_mov_b64 s[52:53], 0
	s_cselect_b64 s[6:7], -1, 0
	s_and_b64 vcc, exec, s[4:5]
	s_waitcnt lgkmcnt(0)
	s_barrier
	s_cbranch_vccz .LBB401_46
; %bb.41:
	s_and_b64 vcc, exec, s[6:7]
	s_cbranch_vccz .LBB401_47
; %bb.42:
	global_load_dword v23, v[2:3], off offset:-4
	v_lshlrev_b32_e32 v26, 2, v0
	ds_write_b32 v26, v1
	s_waitcnt lgkmcnt(0)
	s_barrier
	s_and_saveexec_b64 s[4:5], s[2:3]
	s_cbranch_execz .LBB401_44
; %bb.43:
	s_waitcnt vmcnt(0)
	v_add_u32_e32 v23, -4, v26
	ds_read_b32 v23, v23
.LBB401_44:
	s_or_b64 exec, exec, s[4:5]
	v_cmp_neq_f32_e32 vcc, v24, v21
	s_waitcnt vmcnt(0) lgkmcnt(0)
	v_cmp_neq_f32_e64 s[4:5], v23, v20
	v_cndmask_b32_e64 v69, 0, 1, vcc
	v_cmp_neq_f32_e32 vcc, v25, v21
	s_mov_b64 s[52:53], -1
	s_nop 0
	v_cndmask_b32_e64 v68, 0, 1, vcc
	v_cmp_neq_f32_e32 vcc, v25, v19
	s_nop 1
	v_cndmask_b32_e64 v67, 0, 1, vcc
	v_cmp_neq_f32_e32 vcc, v6, v19
	;; [unrolled: 3-line block ×12, first 2 shown]
	s_nop 1
	v_cndmask_b32_e64 v56, 0, 1, vcc
.LBB401_45:
                                        ; implicit-def: $sgpr10
	s_branch .LBB401_59
.LBB401_46:
                                        ; implicit-def: $sgpr4_sgpr5
                                        ; implicit-def: $vgpr56
                                        ; implicit-def: $vgpr57
                                        ; implicit-def: $vgpr58
                                        ; implicit-def: $vgpr59
                                        ; implicit-def: $vgpr60
                                        ; implicit-def: $vgpr61
                                        ; implicit-def: $vgpr62
                                        ; implicit-def: $vgpr63
                                        ; implicit-def: $vgpr64
                                        ; implicit-def: $vgpr65
                                        ; implicit-def: $vgpr66
                                        ; implicit-def: $vgpr67
                                        ; implicit-def: $vgpr68
                                        ; implicit-def: $vgpr69
                                        ; implicit-def: $sgpr10
	s_cbranch_execnz .LBB401_51
	s_branch .LBB401_59
.LBB401_47:
                                        ; implicit-def: $sgpr4_sgpr5
                                        ; implicit-def: $vgpr56
                                        ; implicit-def: $vgpr57
                                        ; implicit-def: $vgpr58
                                        ; implicit-def: $vgpr59
                                        ; implicit-def: $vgpr60
                                        ; implicit-def: $vgpr61
                                        ; implicit-def: $vgpr62
                                        ; implicit-def: $vgpr63
                                        ; implicit-def: $vgpr64
                                        ; implicit-def: $vgpr65
                                        ; implicit-def: $vgpr66
                                        ; implicit-def: $vgpr67
                                        ; implicit-def: $vgpr68
                                        ; implicit-def: $vgpr69
	s_cbranch_execz .LBB401_45
; %bb.48:
	v_cmp_neq_f32_e32 vcc, v21, v24
	v_lshlrev_b32_e32 v23, 2, v0
	ds_write_b32 v23, v1
	v_cndmask_b32_e64 v69, 0, 1, vcc
	v_cmp_neq_f32_e32 vcc, v21, v25
	s_waitcnt lgkmcnt(0)
	s_barrier
	v_cndmask_b32_e64 v68, 0, 1, vcc
	v_cmp_neq_f32_e32 vcc, v25, v19
	s_waitcnt lgkmcnt(0)
                                        ; implicit-def: $sgpr4_sgpr5
	s_nop 0
	v_cndmask_b32_e64 v67, 0, 1, vcc
	v_cmp_neq_f32_e32 vcc, v6, v19
	s_nop 1
	v_cndmask_b32_e64 v66, 0, 1, vcc
	v_cmp_neq_f32_e32 vcc, v17, v6
	s_nop 1
	v_cndmask_b32_e64 v65, 0, 1, vcc
	v_cmp_neq_f32_e32 vcc, v17, v7
	s_nop 1
	v_cndmask_b32_e64 v64, 0, 1, vcc
	v_cmp_neq_f32_e32 vcc, v7, v15
	s_nop 1
	v_cndmask_b32_e64 v63, 0, 1, vcc
	v_cmp_neq_f32_e32 vcc, v4, v15
	s_nop 1
	v_cndmask_b32_e64 v62, 0, 1, vcc
	v_cmp_neq_f32_e32 vcc, v13, v4
	s_nop 1
	v_cndmask_b32_e64 v61, 0, 1, vcc
	v_cmp_neq_f32_e32 vcc, v13, v5
	s_nop 1
	v_cndmask_b32_e64 v60, 0, 1, vcc
	v_cmp_neq_f32_e32 vcc, v5, v11
	s_nop 1
	v_cndmask_b32_e64 v59, 0, 1, vcc
	v_cmp_neq_f32_e32 vcc, v22, v11
	s_nop 1
	v_cndmask_b32_e64 v58, 0, 1, vcc
	v_cmp_neq_f32_e32 vcc, v9, v22
	s_nop 1
	v_cndmask_b32_e64 v57, 0, 1, vcc
	v_cmp_neq_f32_e32 vcc, v9, v1
	s_nop 1
	v_cndmask_b32_e64 v56, 0, 1, vcc
	s_and_saveexec_b64 s[8:9], s[2:3]
	s_xor_b64 s[8:9], exec, s[8:9]
	s_cbranch_execz .LBB401_50
; %bb.49:
	v_add_u32_e32 v4, -4, v23
	ds_read_b32 v4, v4
	s_or_b64 s[52:53], s[52:53], exec
	s_waitcnt lgkmcnt(0)
	v_cmp_neq_f32_e32 vcc, v4, v20
	s_and_b64 s[4:5], vcc, exec
.LBB401_50:
	s_or_b64 exec, exec, s[8:9]
	s_mov_b32 s10, 1
	s_branch .LBB401_59
.LBB401_51:
	s_mul_hi_u32 s4, s0, 0xffffe200
	s_mulk_i32 s1, 0xe200
	s_sub_i32 s4, s4, s0
	s_add_i32 s4, s4, s1
	s_mulk_i32 s0, 0xe200
	s_add_u32 s54, s0, s28
	s_addc_u32 s55, s4, s29
	s_and_b64 vcc, exec, s[6:7]
	v_cmp_neq_f32_e64 s[28:29], v9, v1
	v_cmp_neq_f32_e64 s[0:1], v8, v9
	;; [unrolled: 1-line block ×14, first 2 shown]
	v_mad_u32_u24 v4, v0, 15, 14
	v_mad_u32_u24 v44, v0, 15, 13
	;; [unrolled: 1-line block ×14, first 2 shown]
	s_cbranch_vccz .LBB401_56
; %bb.52:
	global_load_dword v46, v[2:3], off offset:-4
	v_mov_b32_e32 v5, 0
	v_cmp_gt_u64_e32 vcc, s[54:55], v[4:5]
	v_mov_b32_e32 v45, v5
	s_and_b64 s[28:29], vcc, s[28:29]
	v_cmp_gt_u64_e32 vcc, s[54:55], v[44:45]
	v_mov_b32_e32 v43, v5
	s_and_b64 s[0:1], vcc, s[0:1]
	;; [unrolled: 3-line block ×13, first 2 shown]
	v_cmp_gt_u64_e32 vcc, s[54:55], v[6:7]
	v_lshlrev_b32_e32 v3, 2, v0
	v_mul_u32_u24_e32 v2, 15, v0
	s_and_b64 s[4:5], vcc, s[4:5]
	ds_write_b32 v3, v1
	s_waitcnt lgkmcnt(0)
	s_barrier
	s_and_saveexec_b64 s[52:53], s[2:3]
	s_cbranch_execz .LBB401_54
; %bb.53:
	v_add_u32_e32 v3, -4, v3
	s_waitcnt vmcnt(0)
	ds_read_b32 v46, v3
.LBB401_54:
	s_or_b64 exec, exec, s[52:53]
	v_mov_b32_e32 v3, v5
	v_cndmask_b32_e64 v57, 0, 1, s[0:1]
	v_cmp_gt_u64_e32 vcc, s[54:55], v[2:3]
	s_waitcnt vmcnt(0) lgkmcnt(0)
	v_cmp_neq_f32_e64 s[0:1], v46, v20
	v_cndmask_b32_e64 v56, 0, 1, s[28:29]
	v_cndmask_b32_e64 v58, 0, 1, s[26:27]
	;; [unrolled: 1-line block ×13, first 2 shown]
	s_and_b64 s[4:5], vcc, s[0:1]
	s_mov_b64 s[52:53], -1
.LBB401_55:
                                        ; implicit-def: $sgpr10
	v_mov_b32_e32 v70, s10
	s_and_saveexec_b64 s[0:1], s[52:53]
	s_cbranch_execnz .LBB401_60
	s_branch .LBB401_61
.LBB401_56:
                                        ; implicit-def: $sgpr4_sgpr5
                                        ; implicit-def: $vgpr56
                                        ; implicit-def: $vgpr57
                                        ; implicit-def: $vgpr58
                                        ; implicit-def: $vgpr59
                                        ; implicit-def: $vgpr60
                                        ; implicit-def: $vgpr61
                                        ; implicit-def: $vgpr62
                                        ; implicit-def: $vgpr63
                                        ; implicit-def: $vgpr64
                                        ; implicit-def: $vgpr65
                                        ; implicit-def: $vgpr66
                                        ; implicit-def: $vgpr67
                                        ; implicit-def: $vgpr68
                                        ; implicit-def: $vgpr69
	s_cbranch_execz .LBB401_55
; %bb.57:
	v_mov_b32_e32 v5, 0
	v_cmp_gt_u64_e32 vcc, s[54:55], v[4:5]
	v_cmp_neq_f32_e64 s[0:1], v9, v1
	s_and_b64 s[0:1], vcc, s[0:1]
	v_mov_b32_e32 v45, v5
	v_cndmask_b32_e64 v56, 0, 1, s[0:1]
	v_cmp_gt_u64_e32 vcc, s[54:55], v[44:45]
	v_cmp_neq_f32_e64 s[0:1], v8, v9
	s_and_b64 s[0:1], vcc, s[0:1]
	v_mov_b32_e32 v43, v5
	v_cndmask_b32_e64 v57, 0, 1, s[0:1]
	;; [unrolled: 5-line block ×13, first 2 shown]
	v_cmp_gt_u64_e32 vcc, s[54:55], v[6:7]
	v_cmp_neq_f32_e64 s[0:1], v20, v21
	s_and_b64 s[0:1], vcc, s[0:1]
	v_lshlrev_b32_e32 v2, 2, v0
	s_mov_b32 s10, 1
	v_cndmask_b32_e64 v69, 0, 1, s[0:1]
	ds_write_b32 v2, v1
	s_waitcnt lgkmcnt(0)
	s_barrier
	s_waitcnt lgkmcnt(0)
                                        ; implicit-def: $sgpr4_sgpr5
	s_and_saveexec_b64 s[6:7], s[2:3]
	s_cbranch_execz .LBB401_150
; %bb.58:
	v_add_u32_e32 v2, -4, v2
	ds_read_b32 v2, v2
	v_mul_u32_u24_e32 v4, 15, v0
	v_cmp_gt_u64_e32 vcc, s[54:55], v[4:5]
	s_or_b64 s[52:53], s[52:53], exec
	s_waitcnt lgkmcnt(0)
	v_cmp_neq_f32_e64 s[0:1], v2, v20
	s_and_b64 s[0:1], vcc, s[0:1]
	s_and_b64 s[4:5], s[0:1], exec
	s_or_b64 exec, exec, s[6:7]
.LBB401_59:
	v_mov_b32_e32 v70, s10
	s_and_saveexec_b64 s[0:1], s[52:53]
.LBB401_60:
	v_cndmask_b32_e64 v70, 0, 1, s[4:5]
.LBB401_61:
	s_or_b64 exec, exec, s[0:1]
	s_cmp_eq_u64 s[38:39], 0
	v_add3_u32 v2, v69, v70, v68
	s_cselect_b64 s[38:39], -1, 0
	s_cmp_lg_u32 s56, 0
	v_cmp_eq_u32_e64 s[26:27], 0, v69
	v_cmp_eq_u32_e64 s[24:25], 0, v68
	;; [unrolled: 1-line block ×3, first 2 shown]
	v_add3_u32 v72, v2, v67, v66
	v_cmp_eq_u32_e64 s[20:21], 0, v66
	v_cmp_eq_u32_e64 s[18:19], 0, v65
	v_cmp_eq_u32_e64 s[16:17], 0, v64
	v_cmp_eq_u32_e64 s[14:15], 0, v63
	v_cmp_eq_u32_e64 s[12:13], 0, v62
	v_cmp_eq_u32_e64 s[10:11], 0, v61
	v_cmp_eq_u32_e64 s[8:9], 0, v60
	v_cmp_eq_u32_e64 s[6:7], 0, v59
	v_cmp_eq_u32_e64 s[4:5], 0, v58
	v_cmp_eq_u32_e64 s[2:3], 0, v57
	v_cmp_eq_u32_e32 vcc, 0, v56
	v_mbcnt_lo_u32_b32 v71, -1, 0
	v_lshrrev_b32_e32 v54, 6, v0
	v_or_b32_e32 v55, 63, v0
	s_cbranch_scc0 .LBB401_88
; %bb.62:
	v_cndmask_b32_e64 v2, 0, v52, s[26:27]
	v_add_u32_e32 v2, v2, v52
	v_cndmask_b32_e64 v2, 0, v2, s[24:25]
	v_add_u32_e32 v2, v2, v52
	;; [unrolled: 2-line block ×11, first 2 shown]
	v_cndmask_b32_e64 v2, 0, v2, s[4:5]
	v_add3_u32 v3, v72, v65, v64
	v_add_u32_e32 v2, v2, v52
	v_add3_u32 v3, v3, v63, v62
	v_cndmask_b32_e64 v2, 0, v2, s[2:3]
	v_add3_u32 v3, v3, v61, v60
	v_add_u32_e32 v2, v2, v52
	v_add3_u32 v3, v3, v59, v58
	v_cndmask_b32_e32 v2, 0, v2, vcc
	v_add3_u32 v3, v3, v57, v56
	v_add_u32_e32 v2, v2, v53
	v_mbcnt_hi_u32_b32 v25, -1, v71
	v_and_b32_e32 v4, 15, v25
	v_mov_b32_dpp v6, v2 row_shr:1 row_mask:0xf bank_mask:0xf
	v_cmp_eq_u32_e32 vcc, 0, v3
	v_mov_b32_dpp v5, v3 row_shr:1 row_mask:0xf bank_mask:0xf
	v_cmp_lt_u32_e64 s[0:1], 1, v4
	v_cndmask_b32_e32 v6, 0, v6, vcc
	v_cmp_eq_u32_e32 vcc, 0, v4
	s_nop 1
	v_cndmask_b32_e64 v5, v5, 0, vcc
	v_add_u32_e32 v3, v5, v3
	v_cndmask_b32_e64 v5, v6, 0, vcc
	v_add_u32_e32 v2, v5, v2
	v_cmp_eq_u32_e32 vcc, 0, v3
	v_mov_b32_dpp v5, v3 row_shr:2 row_mask:0xf bank_mask:0xf
	v_mov_b32_dpp v6, v2 row_shr:2 row_mask:0xf bank_mask:0xf
	v_cndmask_b32_e64 v5, 0, v5, s[0:1]
	s_and_b64 vcc, s[0:1], vcc
	v_cndmask_b32_e32 v6, 0, v6, vcc
	v_add_u32_e32 v3, v3, v5
	v_add_u32_e32 v2, v6, v2
	v_cmp_eq_u32_e32 vcc, 0, v3
	v_mov_b32_dpp v5, v3 row_shr:4 row_mask:0xf bank_mask:0xf
	v_cmp_lt_u32_e64 s[0:1], 3, v4
	v_mov_b32_dpp v6, v2 row_shr:4 row_mask:0xf bank_mask:0xf
	s_and_b64 vcc, s[0:1], vcc
	v_cndmask_b32_e64 v5, 0, v5, s[0:1]
	v_cndmask_b32_e32 v6, 0, v6, vcc
	v_add_u32_e32 v3, v5, v3
	v_add_u32_e32 v2, v2, v6
	v_cmp_eq_u32_e32 vcc, 0, v3
	v_cmp_lt_u32_e64 s[0:1], 7, v4
	v_mov_b32_dpp v5, v3 row_shr:8 row_mask:0xf bank_mask:0xf
	v_mov_b32_dpp v6, v2 row_shr:8 row_mask:0xf bank_mask:0xf
	s_and_b64 vcc, s[0:1], vcc
	v_cndmask_b32_e64 v4, 0, v5, s[0:1]
	v_cndmask_b32_e32 v5, 0, v6, vcc
	v_add_u32_e32 v2, v5, v2
	v_add_u32_e32 v3, v4, v3
	v_bfe_i32 v6, v25, 4, 1
	v_mov_b32_dpp v5, v2 row_bcast:15 row_mask:0xf bank_mask:0xf
	v_mov_b32_dpp v4, v3 row_bcast:15 row_mask:0xf bank_mask:0xf
	v_cmp_eq_u32_e32 vcc, 0, v3
	v_and_b32_e32 v4, v6, v4
	v_add_u32_e32 v3, v4, v3
	v_cndmask_b32_e32 v5, 0, v5, vcc
	v_and_b32_e32 v4, v6, v5
	v_add_u32_e32 v4, v4, v2
	v_mov_b32_dpp v2, v3 row_bcast:31 row_mask:0xf bank_mask:0xf
	v_cmp_eq_u32_e32 vcc, 0, v3
	v_cmp_lt_u32_e64 s[0:1], 31, v25
	v_mov_b32_dpp v5, v4 row_bcast:31 row_mask:0xf bank_mask:0xf
	s_and_b64 vcc, s[0:1], vcc
	v_cndmask_b32_e64 v2, 0, v2, s[0:1]
	v_add_u32_e32 v2, v2, v3
	v_cndmask_b32_e32 v3, 0, v5, vcc
	v_add_u32_e32 v3, v3, v4
	v_cmp_eq_u32_e32 vcc, v55, v0
	v_lshlrev_b32_e32 v4, 3, v54
	s_and_saveexec_b64 s[0:1], vcc
	s_cbranch_execz .LBB401_64
; %bb.63:
	ds_write_b64 v4, v[2:3] offset:4112
.LBB401_64:
	s_or_b64 exec, exec, s[0:1]
	v_cmp_gt_u32_e32 vcc, 8, v0
	s_waitcnt lgkmcnt(0)
	s_barrier
	s_and_saveexec_b64 s[28:29], vcc
	s_cbranch_execz .LBB401_66
; %bb.65:
	v_lshlrev_b32_e32 v5, 3, v0
	ds_read_b64 v[6:7], v5 offset:4112
	v_and_b32_e32 v22, 7, v25
	v_cmp_lt_u32_e64 s[0:1], 1, v22
	s_waitcnt lgkmcnt(0)
	v_mov_b32_dpp v24, v7 row_shr:1 row_mask:0xf bank_mask:0xf
	v_cmp_eq_u32_e32 vcc, 0, v6
	v_mov_b32_dpp v23, v6 row_shr:1 row_mask:0xf bank_mask:0xf
	s_nop 0
	v_cndmask_b32_e32 v24, 0, v24, vcc
	v_cmp_eq_u32_e32 vcc, 0, v22
	s_nop 1
	v_cndmask_b32_e64 v23, v23, 0, vcc
	v_add_u32_e32 v6, v23, v6
	v_cndmask_b32_e64 v23, v24, 0, vcc
	v_add_u32_e32 v7, v23, v7
	v_cmp_eq_u32_e32 vcc, 0, v6
	v_mov_b32_dpp v23, v6 row_shr:2 row_mask:0xf bank_mask:0xf
	v_mov_b32_dpp v24, v7 row_shr:2 row_mask:0xf bank_mask:0xf
	v_cndmask_b32_e64 v23, 0, v23, s[0:1]
	s_and_b64 vcc, s[0:1], vcc
	v_cndmask_b32_e32 v24, 0, v24, vcc
	v_add_u32_e32 v6, v23, v6
	v_add_u32_e32 v7, v24, v7
	v_cmp_eq_u32_e32 vcc, 0, v6
	v_mov_b32_dpp v23, v6 row_shr:4 row_mask:0xf bank_mask:0xf
	v_cmp_lt_u32_e64 s[0:1], 3, v22
	v_mov_b32_dpp v24, v7 row_shr:4 row_mask:0xf bank_mask:0xf
	s_and_b64 vcc, s[0:1], vcc
	v_cndmask_b32_e64 v22, 0, v23, s[0:1]
	v_add_u32_e32 v6, v22, v6
	v_cndmask_b32_e32 v22, 0, v24, vcc
	v_add_u32_e32 v7, v22, v7
	ds_write_b64 v5, v[6:7] offset:4112
.LBB401_66:
	s_or_b64 exec, exec, s[28:29]
	v_cmp_gt_u32_e32 vcc, 64, v0
	v_cmp_lt_u32_e64 s[0:1], 63, v0
	v_mov_b32_e32 v22, 0
	v_mov_b32_e32 v23, 0
	s_waitcnt lgkmcnt(0)
	s_barrier
	s_and_saveexec_b64 s[28:29], s[0:1]
	s_cbranch_execz .LBB401_68
; %bb.67:
	ds_read_b64 v[22:23], v4 offset:4104
	v_cmp_eq_u32_e64 s[0:1], 0, v2
	s_waitcnt lgkmcnt(0)
	v_add_u32_e32 v4, v22, v2
	v_cndmask_b32_e64 v2, 0, v23, s[0:1]
	v_add_u32_e32 v3, v2, v3
	v_mov_b32_e32 v2, v4
.LBB401_68:
	s_or_b64 exec, exec, s[28:29]
	v_add_u32_e32 v4, -1, v25
	v_and_b32_e32 v5, 64, v25
	v_cmp_lt_i32_e64 s[0:1], v4, v5
	v_cmp_eq_u32_e64 s[28:29], 0, v25
	s_nop 0
	v_cndmask_b32_e64 v4, v4, v25, s[0:1]
	v_lshlrev_b32_e32 v4, 2, v4
	ds_bpermute_b32 v30, v4, v2
	ds_bpermute_b32 v31, v4, v3
	s_and_saveexec_b64 s[52:53], vcc
	s_cbranch_execz .LBB401_87
; %bb.69:
	v_mov_b32_e32 v7, 0
	ds_read_b64 v[2:3], v7 offset:4168
	s_waitcnt lgkmcnt(0)
	v_readfirstlane_b32 s57, v2
	v_readfirstlane_b32 s58, v3
	s_and_saveexec_b64 s[0:1], s[28:29]
	s_cbranch_execz .LBB401_71
; %bb.70:
	s_add_i32 s54, s56, 64
	s_mov_b32 s55, 0
	s_lshl_b64 s[60:61], s[54:55], 4
	s_add_u32 s60, s36, s60
	s_addc_u32 s61, s37, s61
	s_and_b32 s63, s58, 0xff000000
	s_mov_b32 s62, s55
	s_and_b32 s65, s58, 0xff0000
	s_mov_b32 s64, s55
	s_or_b64 s[62:63], s[64:65], s[62:63]
	s_and_b32 s65, s58, 0xff00
	s_or_b64 s[62:63], s[62:63], s[64:65]
	s_and_b32 s65, s58, 0xff
	s_or_b64 s[54:55], s[62:63], s[64:65]
	v_mov_b32_e32 v4, s57
	v_mov_b32_e32 v5, s55
	v_mov_b32_e32 v6, 1
	v_mov_b64_e32 v[2:3], s[60:61]
	;;#ASMSTART
	global_store_dwordx4 v[2:3], v[4:7] off sc1	
s_waitcnt vmcnt(0)
	;;#ASMEND
.LBB401_71:
	s_or_b64 exec, exec, s[0:1]
	v_xad_u32 v24, v25, -1, s56
	v_add_u32_e32 v6, 64, v24
	v_lshl_add_u64 v[26:27], v[6:7], 4, s[36:37]
	;;#ASMSTART
	global_load_dwordx4 v[2:5], v[26:27] off sc1	
s_waitcnt vmcnt(0)
	;;#ASMEND
	s_nop 0
	v_and_b32_e32 v5, 0xff, v3
	v_and_b32_e32 v6, 0xff00, v3
	v_or3_b32 v2, v2, 0, 0
	v_and_b32_e32 v28, 0xff000000, v3
	v_or3_b32 v5, 0, v5, v6
	;; [unrolled: 2-line block ×3, first 2 shown]
	v_or3_b32 v2, v2, 0, 0
	v_cmp_eq_u16_sdwa s[54:55], v4, v7 src0_sel:BYTE_0 src1_sel:DWORD
	s_and_saveexec_b64 s[0:1], s[54:55]
	s_cbranch_execz .LBB401_75
; %bb.72:
	s_mov_b64 s[54:55], 0
	v_mov_b32_e32 v6, 0
.LBB401_73:                             ; =>This Inner Loop Header: Depth=1
	;;#ASMSTART
	global_load_dwordx4 v[2:5], v[26:27] off sc1	
s_waitcnt vmcnt(0)
	;;#ASMEND
	s_nop 0
	v_cmp_ne_u16_sdwa s[60:61], v4, v6 src0_sel:BYTE_0 src1_sel:DWORD
	s_or_b64 s[54:55], s[60:61], s[54:55]
	s_andn2_b64 exec, exec, s[54:55]
	s_cbranch_execnz .LBB401_73
; %bb.74:
	s_or_b64 exec, exec, s[54:55]
.LBB401_75:
	s_or_b64 exec, exec, s[0:1]
	v_mov_b32_e32 v32, 2
	v_cmp_eq_u16_sdwa s[0:1], v4, v32 src0_sel:BYTE_0 src1_sel:DWORD
	v_lshlrev_b64 v[26:27], v25, -1
	v_and_b32_e32 v33, 63, v25
	v_and_b32_e32 v5, s1, v27
	v_or_b32_e32 v5, 0x80000000, v5
	v_cmp_ne_u32_e32 vcc, 63, v33
	v_and_b32_e32 v6, s0, v26
	v_ffbl_b32_e32 v5, v5
	v_addc_co_u32_e32 v7, vcc, 0, v25, vcc
	v_add_u32_e32 v5, 32, v5
	v_ffbl_b32_e32 v6, v6
	v_lshlrev_b32_e32 v34, 2, v7
	v_min_u32_e32 v5, v6, v5
	ds_bpermute_b32 v6, v34, v3
	v_cmp_eq_u32_e32 vcc, 0, v2
	v_cmp_lt_u32_e64 s[0:1], v33, v5
	ds_bpermute_b32 v7, v34, v2
	s_and_b64 vcc, s[0:1], vcc
	s_waitcnt lgkmcnt(1)
	v_cndmask_b32_e32 v6, 0, v6, vcc
	v_cmp_gt_u32_e32 vcc, 62, v33
	v_add_u32_e32 v3, v6, v3
	s_waitcnt lgkmcnt(0)
	v_cndmask_b32_e64 v7, 0, v7, s[0:1]
	v_cndmask_b32_e64 v6, 0, 1, vcc
	v_lshlrev_b32_e32 v6, 1, v6
	v_add_lshl_u32 v35, v6, v25, 2
	ds_bpermute_b32 v6, v35, v3
	v_add_u32_e32 v2, v7, v2
	ds_bpermute_b32 v7, v35, v2
	v_add_u32_e32 v36, 2, v33
	v_cmp_eq_u32_e32 vcc, 0, v2
	v_add_u32_e32 v38, 4, v33
	v_add_u32_e32 v40, 8, v33
	s_waitcnt lgkmcnt(1)
	v_cndmask_b32_e32 v6, 0, v6, vcc
	v_cmp_gt_u32_e32 vcc, v36, v5
	v_add_u32_e32 v42, 16, v33
	v_add_u32_e32 v44, 32, v33
	v_cndmask_b32_e64 v6, v6, 0, vcc
	v_add_u32_e32 v3, v6, v3
	s_waitcnt lgkmcnt(0)
	v_cndmask_b32_e64 v6, v7, 0, vcc
	v_cmp_gt_u32_e32 vcc, 60, v33
	v_add_u32_e32 v2, v2, v6
	s_nop 0
	v_cndmask_b32_e64 v7, 0, 1, vcc
	v_lshlrev_b32_e32 v7, 2, v7
	v_add_lshl_u32 v37, v7, v25, 2
	ds_bpermute_b32 v7, v37, v3
	ds_bpermute_b32 v6, v37, v2
	v_cmp_eq_u32_e32 vcc, 0, v2
	s_waitcnt lgkmcnt(1)
	s_nop 0
	v_cndmask_b32_e32 v7, 0, v7, vcc
	v_cmp_gt_u32_e32 vcc, v38, v5
	s_nop 1
	v_cndmask_b32_e64 v7, v7, 0, vcc
	s_waitcnt lgkmcnt(0)
	v_cndmask_b32_e64 v6, v6, 0, vcc
	v_cmp_gt_u32_e32 vcc, 56, v33
	v_add_u32_e32 v3, v3, v7
	v_add_u32_e32 v2, v2, v6
	v_cndmask_b32_e64 v7, 0, 1, vcc
	v_lshlrev_b32_e32 v7, 3, v7
	v_add_lshl_u32 v39, v7, v25, 2
	ds_bpermute_b32 v7, v39, v3
	ds_bpermute_b32 v6, v39, v2
	v_cmp_eq_u32_e32 vcc, 0, v2
	s_waitcnt lgkmcnt(1)
	s_nop 0
	v_cndmask_b32_e32 v7, 0, v7, vcc
	v_cmp_gt_u32_e32 vcc, v40, v5
	s_nop 1
	v_cndmask_b32_e64 v7, v7, 0, vcc
	s_waitcnt lgkmcnt(0)
	v_cndmask_b32_e64 v6, v6, 0, vcc
	v_cmp_gt_u32_e32 vcc, 48, v33
	v_add_u32_e32 v3, v3, v7
	v_add_u32_e32 v2, v2, v6
	;; [unrolled: 17-line block ×3, first 2 shown]
	v_cndmask_b32_e64 v7, 0, 1, vcc
	v_lshlrev_b32_e32 v7, 5, v7
	v_add_lshl_u32 v43, v7, v25, 2
	ds_bpermute_b32 v7, v43, v3
	ds_bpermute_b32 v6, v43, v2
	v_cmp_eq_u32_e32 vcc, 0, v2
	v_mov_b32_e32 v25, 0
	s_waitcnt lgkmcnt(1)
	v_cndmask_b32_e32 v7, 0, v7, vcc
	v_cmp_gt_u32_e32 vcc, v44, v5
	s_nop 1
	v_cndmask_b32_e64 v5, v7, 0, vcc
	v_add_u32_e32 v3, v5, v3
	s_waitcnt lgkmcnt(0)
	v_cndmask_b32_e64 v5, v6, 0, vcc
	v_add_u32_e32 v2, v5, v2
	s_branch .LBB401_77
.LBB401_76:                             ;   in Loop: Header=BB401_77 Depth=1
	s_or_b64 exec, exec, s[0:1]
	v_cmp_eq_u16_sdwa s[0:1], v4, v32 src0_sel:BYTE_0 src1_sel:DWORD
	v_cmp_eq_u32_e32 vcc, 0, v2
	ds_bpermute_b32 v29, v34, v2
	v_and_b32_e32 v5, s1, v27
	v_or_b32_e32 v5, 0x80000000, v5
	v_and_b32_e32 v28, s0, v26
	v_ffbl_b32_e32 v5, v5
	v_add_u32_e32 v5, 32, v5
	v_ffbl_b32_e32 v28, v28
	v_min_u32_e32 v5, v28, v5
	ds_bpermute_b32 v28, v34, v3
	v_cmp_lt_u32_e64 s[0:1], v33, v5
	s_and_b64 vcc, s[0:1], vcc
	v_subrev_u32_e32 v24, 64, v24
	s_waitcnt lgkmcnt(1)
	v_cndmask_b32_e64 v29, 0, v29, s[0:1]
	s_waitcnt lgkmcnt(0)
	v_cndmask_b32_e32 v28, 0, v28, vcc
	v_add_u32_e32 v3, v28, v3
	ds_bpermute_b32 v28, v35, v3
	v_add_u32_e32 v2, v29, v2
	v_cmp_eq_u32_e32 vcc, 0, v2
	ds_bpermute_b32 v29, v35, v2
	s_waitcnt lgkmcnt(1)
	v_cndmask_b32_e32 v28, 0, v28, vcc
	v_cmp_gt_u32_e32 vcc, v36, v5
	s_nop 1
	v_cndmask_b32_e64 v28, v28, 0, vcc
	v_add_u32_e32 v3, v28, v3
	ds_bpermute_b32 v28, v37, v3
	s_waitcnt lgkmcnt(1)
	v_cndmask_b32_e64 v29, v29, 0, vcc
	v_add_u32_e32 v2, v2, v29
	v_cmp_eq_u32_e32 vcc, 0, v2
	ds_bpermute_b32 v29, v37, v2
	s_waitcnt lgkmcnt(1)
	v_cndmask_b32_e32 v28, 0, v28, vcc
	v_cmp_gt_u32_e32 vcc, v38, v5
	s_nop 1
	v_cndmask_b32_e64 v28, v28, 0, vcc
	v_add_u32_e32 v3, v3, v28
	ds_bpermute_b32 v28, v39, v3
	s_waitcnt lgkmcnt(1)
	v_cndmask_b32_e64 v29, v29, 0, vcc
	v_add_u32_e32 v2, v2, v29
	ds_bpermute_b32 v29, v39, v2
	v_cmp_eq_u32_e32 vcc, 0, v2
	s_waitcnt lgkmcnt(1)
	s_nop 0
	v_cndmask_b32_e32 v28, 0, v28, vcc
	v_cmp_gt_u32_e32 vcc, v40, v5
	s_nop 1
	v_cndmask_b32_e64 v28, v28, 0, vcc
	v_add_u32_e32 v3, v3, v28
	ds_bpermute_b32 v28, v41, v3
	s_waitcnt lgkmcnt(1)
	v_cndmask_b32_e64 v29, v29, 0, vcc
	v_add_u32_e32 v2, v2, v29
	ds_bpermute_b32 v29, v41, v2
	v_cmp_eq_u32_e32 vcc, 0, v2
	s_waitcnt lgkmcnt(1)
	s_nop 0
	;; [unrolled: 13-line block ×3, first 2 shown]
	v_cndmask_b32_e32 v28, 0, v28, vcc
	v_cmp_gt_u32_e32 vcc, v44, v5
	s_nop 1
	v_cndmask_b32_e64 v5, v28, 0, vcc
	v_add_u32_e32 v3, v5, v3
	s_waitcnt lgkmcnt(0)
	v_cndmask_b32_e64 v5, v29, 0, vcc
	v_cmp_eq_u32_e32 vcc, 0, v6
	v_add3_u32 v2, v2, v6, v5
	s_nop 0
	v_cndmask_b32_e32 v3, 0, v3, vcc
	v_add_u32_e32 v3, v3, v7
.LBB401_77:                             ; =>This Loop Header: Depth=1
                                        ;     Child Loop BB401_80 Depth 2
	v_cmp_ne_u16_sdwa s[0:1], v4, v32 src0_sel:BYTE_0 src1_sel:DWORD
	v_mov_b32_e32 v7, v3
	v_mov_b32_e32 v6, v2
	v_cndmask_b32_e64 v3, 0, 1, s[0:1]
	;;#ASMSTART
	;;#ASMEND
	s_nop 0
	v_cmp_ne_u32_e32 vcc, 0, v3
	s_cmp_lg_u64 vcc, exec
	s_cbranch_scc1 .LBB401_82
; %bb.78:                               ;   in Loop: Header=BB401_77 Depth=1
	v_lshl_add_u64 v[28:29], v[24:25], 4, s[36:37]
	;;#ASMSTART
	global_load_dwordx4 v[2:5], v[28:29] off sc1	
s_waitcnt vmcnt(0)
	;;#ASMEND
	s_nop 0
	v_and_b32_e32 v5, 0xff, v3
	v_and_b32_e32 v45, 0xff00, v3
	v_or3_b32 v2, v2, 0, 0
	v_and_b32_e32 v46, 0xff000000, v3
	v_or3_b32 v5, 0, v5, v45
	;; [unrolled: 2-line block ×3, first 2 shown]
	v_or3_b32 v2, v2, 0, 0
	v_cmp_eq_u16_sdwa s[54:55], v4, v25 src0_sel:BYTE_0 src1_sel:DWORD
	s_and_saveexec_b64 s[0:1], s[54:55]
	s_cbranch_execz .LBB401_76
; %bb.79:                               ;   in Loop: Header=BB401_77 Depth=1
	s_mov_b64 s[54:55], 0
.LBB401_80:                             ;   Parent Loop BB401_77 Depth=1
                                        ; =>  This Inner Loop Header: Depth=2
	;;#ASMSTART
	global_load_dwordx4 v[2:5], v[28:29] off sc1	
s_waitcnt vmcnt(0)
	;;#ASMEND
	s_nop 0
	v_cmp_ne_u16_sdwa s[60:61], v4, v25 src0_sel:BYTE_0 src1_sel:DWORD
	s_or_b64 s[54:55], s[60:61], s[54:55]
	s_andn2_b64 exec, exec, s[54:55]
	s_cbranch_execnz .LBB401_80
; %bb.81:                               ;   in Loop: Header=BB401_77 Depth=1
	s_or_b64 exec, exec, s[54:55]
	s_branch .LBB401_76
.LBB401_82:                             ;   in Loop: Header=BB401_77 Depth=1
                                        ; implicit-def: $vgpr3
                                        ; implicit-def: $vgpr2
                                        ; implicit-def: $vgpr4
	s_cbranch_execz .LBB401_77
; %bb.83:
	s_and_saveexec_b64 s[0:1], s[28:29]
	s_cbranch_execz .LBB401_85
; %bb.84:
	s_cmp_eq_u32 s57, 0
	s_cselect_b64 vcc, -1, 0
	s_mov_b32 s55, 0
	v_cndmask_b32_e32 v2, 0, v7, vcc
	s_add_i32 s54, s56, 64
	v_add_u32_e32 v2, s58, v2
	s_lshl_b64 s[54:55], s[54:55], 4
	s_add_u32 s54, s36, s54
	v_and_b32_e32 v3, 0xff000000, v2
	v_and_b32_e32 v4, 0xff0000, v2
	s_addc_u32 s55, s37, s55
	v_or_b32_e32 v3, v4, v3
	v_and_b32_e32 v4, 0xff00, v2
	v_and_b32_e32 v2, 0xff, v2
	v_add_u32_e32 v24, s57, v6
	v_mov_b32_e32 v27, 0
	v_or3_b32 v25, v3, v4, v2
	v_mov_b32_e32 v26, 2
	v_mov_b64_e32 v[2:3], s[54:55]
	;;#ASMSTART
	global_store_dwordx4 v[2:3], v[24:27] off sc1	
s_waitcnt vmcnt(0)
	;;#ASMEND
	v_mov_b32_e32 v4, s57
	v_mov_b32_e32 v5, s58
	ds_write_b128 v27, v[4:7] offset:4096
.LBB401_85:
	s_or_b64 exec, exec, s[0:1]
	s_and_b64 exec, exec, s[34:35]
	s_cbranch_execz .LBB401_87
; %bb.86:
	v_mov_b32_e32 v2, 0
	ds_write_b64 v2, v[6:7] offset:4168
.LBB401_87:
	s_or_b64 exec, exec, s[52:53]
	v_mov_b32_e32 v4, 0
	s_waitcnt lgkmcnt(0)
	s_barrier
	ds_read_b64 v[2:3], v4 offset:4168
	v_cndmask_b32_e64 v6, v30, v22, s[28:29]
	v_cmp_eq_u32_e32 vcc, 0, v6
	v_cndmask_b32_e64 v5, v31, v23, s[28:29]
	s_waitcnt lgkmcnt(0)
	v_cndmask_b32_e32 v7, 0, v3, vcc
	v_add_u32_e32 v5, v7, v5
	v_cndmask_b32_e64 v51, v5, v3, s[34:35]
	v_cndmask_b32_e64 v3, v6, 0, s[34:35]
	v_cmp_eq_u32_e32 vcc, 0, v70
	v_add_u32_e32 v50, v2, v3
	v_add_u32_e32 v48, v50, v70
	v_cndmask_b32_e32 v2, 0, v51, vcc
	v_add_u32_e32 v49, v2, v52
	v_cndmask_b32_e64 v2, 0, v49, s[26:27]
	v_add_u32_e32 v47, v2, v52
	v_cndmask_b32_e64 v2, 0, v47, s[24:25]
	;; [unrolled: 2-line block ×8, first 2 shown]
	v_add_u32_e32 v33, v2, v52
	v_add_u32_e32 v46, v48, v69
	v_cndmask_b32_e64 v2, 0, v33, s[10:11]
	v_add_u32_e32 v44, v46, v68
	v_add_u32_e32 v31, v2, v52
	v_add_u32_e32 v42, v44, v67
	v_cndmask_b32_e64 v2, 0, v31, s[8:9]
	v_add_u32_e32 v40, v42, v66
	;; [unrolled: 4-line block ×3, first 2 shown]
	v_add_u32_e32 v27, v2, v52
	s_barrier
	ds_read_b128 v[2:5], v4 offset:4096
	v_add_u32_e32 v34, v36, v63
	v_add_u32_e32 v32, v34, v62
	;; [unrolled: 1-line block ×4, first 2 shown]
	v_cndmask_b32_e64 v6, 0, v27, s[4:5]
	v_add_u32_e32 v26, v28, v59
	v_add_u32_e32 v23, v6, v52
	s_waitcnt lgkmcnt(0)
	v_cmp_eq_u32_e32 vcc, 0, v2
	v_add_u32_e32 v22, v26, v58
	v_cndmask_b32_e64 v6, 0, v23, s[2:3]
	v_cndmask_b32_e32 v5, 0, v5, vcc
	v_add_u32_e32 v24, v22, v57
	v_add_u32_e32 v25, v6, v52
	;; [unrolled: 1-line block ×3, first 2 shown]
	s_branch .LBB401_100
.LBB401_88:
                                        ; implicit-def: $vgpr2
                                        ; implicit-def: $vgpr6
                                        ; implicit-def: $vgpr24_vgpr25
                                        ; implicit-def: $vgpr22_vgpr23
                                        ; implicit-def: $vgpr26_vgpr27
                                        ; implicit-def: $vgpr28_vgpr29
                                        ; implicit-def: $vgpr50_vgpr51
                                        ; implicit-def: $vgpr48_vgpr49
                                        ; implicit-def: $vgpr46_vgpr47
                                        ; implicit-def: $vgpr44_vgpr45
                                        ; implicit-def: $vgpr42_vgpr43
                                        ; implicit-def: $vgpr40_vgpr41
                                        ; implicit-def: $vgpr38_vgpr39
                                        ; implicit-def: $vgpr36_vgpr37
                                        ; implicit-def: $vgpr34_vgpr35
                                        ; implicit-def: $vgpr32_vgpr33
                                        ; implicit-def: $vgpr30_vgpr31
	s_cbranch_execz .LBB401_100
; %bb.89:
	s_and_b64 s[0:1], s[38:39], exec
	s_cselect_b32 s1, 0, s51
	s_cselect_b32 s0, 0, s50
	s_cmp_eq_u64 s[0:1], 0
	v_mov_b32_e32 v6, v52
	s_cbranch_scc1 .LBB401_91
; %bb.90:
	v_mov_b32_e32 v2, 0
	global_load_dword v6, v2, s[0:1]
.LBB401_91:
	v_cmp_eq_u32_e64 s[2:3], 0, v69
	v_cmp_eq_u32_e64 s[4:5], 0, v68
	v_cmp_eq_u32_e64 s[6:7], 0, v67
	v_cndmask_b32_e64 v2, 0, v52, s[2:3]
	v_add_u32_e32 v2, v2, v52
	v_cndmask_b32_e64 v2, 0, v2, s[4:5]
	v_add_u32_e32 v2, v2, v52
	v_cndmask_b32_e64 v2, 0, v2, s[6:7]
	v_add_u32_e32 v2, v2, v52
	v_cmp_eq_u32_e64 s[8:9], 0, v66
	v_cmp_eq_u32_e64 s[10:11], 0, v65
	v_cmp_eq_u32_e64 s[12:13], 0, v64
	v_cndmask_b32_e64 v2, 0, v2, s[8:9]
	v_add_u32_e32 v2, v2, v52
	v_cndmask_b32_e64 v2, 0, v2, s[10:11]
	v_add_u32_e32 v2, v2, v52
	v_cndmask_b32_e64 v2, 0, v2, s[12:13]
	v_add_u32_e32 v2, v2, v52
	;; [unrolled: 9-line block ×3, first 2 shown]
	v_cmp_eq_u32_e64 s[20:21], 0, v60
	v_cmp_eq_u32_e64 s[22:23], 0, v59
	;; [unrolled: 1-line block ×3, first 2 shown]
	v_cndmask_b32_e64 v2, 0, v2, s[20:21]
	v_add_u32_e32 v2, v2, v52
	v_cndmask_b32_e64 v2, 0, v2, s[22:23]
	v_add_u32_e32 v2, v2, v52
	v_cndmask_b32_e64 v2, 0, v2, s[24:25]
	v_add3_u32 v3, v72, v65, v64
	v_add_u32_e32 v2, v2, v52
	v_cmp_eq_u32_e32 vcc, 0, v57
	v_add3_u32 v3, v3, v63, v62
	v_add3_u32 v3, v3, v61, v60
	v_cndmask_b32_e32 v2, 0, v2, vcc
	v_add_u32_e32 v2, v2, v52
	v_cmp_eq_u32_e64 s[0:1], 0, v56
	v_add3_u32 v3, v3, v59, v58
	v_add3_u32 v3, v3, v57, v56
	v_cndmask_b32_e64 v2, 0, v2, s[0:1]
	v_add_u32_e32 v2, v2, v53
	v_mbcnt_hi_u32_b32 v7, -1, v71
	v_and_b32_e32 v4, 15, v7
	v_mov_b32_dpp v22, v2 row_shr:1 row_mask:0xf bank_mask:0xf
	v_cmp_eq_u32_e64 s[0:1], 0, v3
	v_mov_b32_dpp v5, v3 row_shr:1 row_mask:0xf bank_mask:0xf
	v_cmp_lt_u32_e64 s[26:27], 1, v4
	v_cndmask_b32_e64 v22, 0, v22, s[0:1]
	v_cmp_eq_u32_e64 s[0:1], 0, v4
	s_nop 1
	v_cndmask_b32_e64 v5, v5, 0, s[0:1]
	v_add_u32_e32 v3, v5, v3
	v_cndmask_b32_e64 v5, v22, 0, s[0:1]
	v_add_u32_e32 v2, v5, v2
	v_cmp_eq_u32_e64 s[0:1], 0, v3
	v_mov_b32_dpp v5, v3 row_shr:2 row_mask:0xf bank_mask:0xf
	v_mov_b32_dpp v22, v2 row_shr:2 row_mask:0xf bank_mask:0xf
	v_cndmask_b32_e64 v5, 0, v5, s[26:27]
	s_and_b64 s[0:1], s[26:27], s[0:1]
	v_cndmask_b32_e64 v22, 0, v22, s[0:1]
	v_add_u32_e32 v3, v3, v5
	v_add_u32_e32 v2, v22, v2
	v_cmp_eq_u32_e64 s[0:1], 0, v3
	v_mov_b32_dpp v5, v3 row_shr:4 row_mask:0xf bank_mask:0xf
	v_cmp_lt_u32_e64 s[26:27], 3, v4
	v_mov_b32_dpp v22, v2 row_shr:4 row_mask:0xf bank_mask:0xf
	s_and_b64 s[0:1], s[26:27], s[0:1]
	v_cndmask_b32_e64 v5, 0, v5, s[26:27]
	v_cndmask_b32_e64 v22, 0, v22, s[0:1]
	v_add_u32_e32 v3, v5, v3
	v_add_u32_e32 v2, v2, v22
	v_cmp_eq_u32_e64 s[0:1], 0, v3
	v_cmp_lt_u32_e64 s[26:27], 7, v4
	v_mov_b32_dpp v5, v3 row_shr:8 row_mask:0xf bank_mask:0xf
	v_mov_b32_dpp v22, v2 row_shr:8 row_mask:0xf bank_mask:0xf
	s_and_b64 s[0:1], s[26:27], s[0:1]
	v_cndmask_b32_e64 v4, 0, v5, s[26:27]
	v_cndmask_b32_e64 v5, 0, v22, s[0:1]
	v_add_u32_e32 v2, v5, v2
	v_add_u32_e32 v3, v4, v3
	v_bfe_i32 v22, v7, 4, 1
	v_mov_b32_dpp v5, v2 row_bcast:15 row_mask:0xf bank_mask:0xf
	v_mov_b32_dpp v4, v3 row_bcast:15 row_mask:0xf bank_mask:0xf
	v_cmp_eq_u32_e64 s[0:1], 0, v3
	v_and_b32_e32 v4, v22, v4
	v_add_u32_e32 v3, v4, v3
	v_cndmask_b32_e64 v5, 0, v5, s[0:1]
	v_and_b32_e32 v4, v22, v5
	v_add_u32_e32 v4, v4, v2
	v_mov_b32_dpp v2, v3 row_bcast:31 row_mask:0xf bank_mask:0xf
	v_cmp_eq_u32_e64 s[0:1], 0, v3
	v_cmp_lt_u32_e64 s[26:27], 31, v7
	v_mov_b32_dpp v5, v4 row_bcast:31 row_mask:0xf bank_mask:0xf
	s_and_b64 s[0:1], s[26:27], s[0:1]
	v_cndmask_b32_e64 v2, 0, v2, s[26:27]
	v_add_u32_e32 v2, v2, v3
	v_cndmask_b32_e64 v3, 0, v5, s[0:1]
	v_add_u32_e32 v3, v3, v4
	v_cmp_eq_u32_e64 s[0:1], v55, v0
	v_lshlrev_b32_e32 v5, 3, v54
	s_and_saveexec_b64 s[26:27], s[0:1]
	s_cbranch_execz .LBB401_93
; %bb.92:
	ds_write_b64 v5, v[2:3] offset:4112
.LBB401_93:
	s_or_b64 exec, exec, s[26:27]
	v_cmp_gt_u32_e64 s[0:1], 8, v0
	s_waitcnt lgkmcnt(0)
	s_barrier
	s_and_saveexec_b64 s[28:29], s[0:1]
	s_cbranch_execz .LBB401_95
; %bb.94:
	v_lshlrev_b32_e32 v4, 3, v0
	ds_read_b64 v[22:23], v4 offset:4112
	v_and_b32_e32 v24, 7, v7
	v_cmp_lt_u32_e64 s[26:27], 1, v24
	s_waitcnt lgkmcnt(0)
	v_mov_b32_dpp v26, v23 row_shr:1 row_mask:0xf bank_mask:0xf
	v_cmp_eq_u32_e64 s[0:1], 0, v22
	v_mov_b32_dpp v25, v22 row_shr:1 row_mask:0xf bank_mask:0xf
	s_nop 0
	v_cndmask_b32_e64 v26, 0, v26, s[0:1]
	v_cmp_eq_u32_e64 s[0:1], 0, v24
	s_nop 1
	v_cndmask_b32_e64 v25, v25, 0, s[0:1]
	v_add_u32_e32 v22, v25, v22
	v_cndmask_b32_e64 v25, v26, 0, s[0:1]
	v_add_u32_e32 v23, v25, v23
	v_cmp_eq_u32_e64 s[0:1], 0, v22
	v_mov_b32_dpp v25, v22 row_shr:2 row_mask:0xf bank_mask:0xf
	v_mov_b32_dpp v26, v23 row_shr:2 row_mask:0xf bank_mask:0xf
	v_cndmask_b32_e64 v25, 0, v25, s[26:27]
	s_and_b64 s[0:1], s[26:27], s[0:1]
	v_cndmask_b32_e64 v26, 0, v26, s[0:1]
	v_add_u32_e32 v22, v25, v22
	v_add_u32_e32 v23, v26, v23
	v_cmp_eq_u32_e64 s[0:1], 0, v22
	v_mov_b32_dpp v25, v22 row_shr:4 row_mask:0xf bank_mask:0xf
	v_cmp_lt_u32_e64 s[26:27], 3, v24
	v_mov_b32_dpp v26, v23 row_shr:4 row_mask:0xf bank_mask:0xf
	s_and_b64 s[0:1], s[26:27], s[0:1]
	v_cndmask_b32_e64 v24, 0, v25, s[26:27]
	v_add_u32_e32 v22, v24, v22
	v_cndmask_b32_e64 v24, 0, v26, s[0:1]
	v_add_u32_e32 v23, v24, v23
	ds_write_b64 v4, v[22:23] offset:4112
.LBB401_95:
	s_or_b64 exec, exec, s[28:29]
	v_cmp_lt_u32_e64 s[0:1], 63, v0
	v_mov_b32_e32 v23, 0
	v_mov_b32_e32 v4, 0
	s_waitcnt vmcnt(0)
	v_mov_b32_e32 v22, v6
	s_waitcnt lgkmcnt(0)
	s_barrier
	s_and_saveexec_b64 s[26:27], s[0:1]
	s_cbranch_execz .LBB401_97
; %bb.96:
	ds_read_b64 v[4:5], v5 offset:4104
	s_waitcnt lgkmcnt(0)
	v_cmp_eq_u32_e64 s[0:1], 0, v4
	s_nop 1
	v_cndmask_b32_e64 v22, 0, v6, s[0:1]
	v_add_u32_e32 v22, v22, v5
.LBB401_97:
	s_or_b64 exec, exec, s[26:27]
	v_cmp_eq_u32_e64 s[0:1], 0, v2
	v_add_u32_e32 v5, v4, v2
	v_and_b32_e32 v24, 64, v7
	v_cndmask_b32_e64 v2, 0, v22, s[0:1]
	v_add_u32_e32 v2, v2, v3
	v_add_u32_e32 v3, -1, v7
	v_cmp_lt_i32_e64 s[0:1], v3, v24
	s_nop 1
	v_cndmask_b32_e64 v3, v3, v7, s[0:1]
	v_lshlrev_b32_e32 v3, 2, v3
	ds_bpermute_b32 v2, v3, v2
	ds_bpermute_b32 v5, v3, v5
	v_cmp_eq_u32_e64 s[0:1], 0, v7
	s_waitcnt lgkmcnt(1)
	s_nop 0
	v_cndmask_b32_e64 v2, v2, v22, s[0:1]
	s_waitcnt lgkmcnt(0)
	v_cndmask_b32_e64 v3, v5, v4, s[0:1]
	v_cndmask_b32_e64 v51, v2, v6, s[34:35]
	v_cmp_eq_u32_e64 s[0:1], 0, v70
	v_cndmask_b32_e64 v50, v3, 0, s[34:35]
	v_add_u32_e32 v48, v50, v70
	v_cndmask_b32_e64 v2, 0, v51, s[0:1]
	v_add_u32_e32 v49, v2, v52
	;; [unrolled: 2-line block ×10, first 2 shown]
	v_add_u32_e32 v46, v48, v69
	v_cndmask_b32_e64 v2, 0, v33, s[18:19]
	v_add_u32_e32 v44, v46, v68
	v_add_u32_e32 v31, v2, v52
	v_add_u32_e32 v42, v44, v67
	v_cndmask_b32_e64 v2, 0, v31, s[20:21]
	v_add_u32_e32 v40, v42, v66
	v_add_u32_e32 v29, v2, v52
	v_add_u32_e32 v38, v40, v65
	v_cndmask_b32_e64 v2, 0, v29, s[22:23]
	v_add_u32_e32 v36, v38, v64
	v_add_u32_e32 v27, v2, v52
	ds_read_b64 v[2:3], v23 offset:4168
	v_add_u32_e32 v34, v36, v63
	v_add_u32_e32 v32, v34, v62
	;; [unrolled: 1-line block ×3, first 2 shown]
	v_cndmask_b32_e64 v4, 0, v27, s[24:25]
	v_add_u32_e32 v28, v30, v60
	v_add_u32_e32 v23, v4, v52
	;; [unrolled: 1-line block ×3, first 2 shown]
	v_cndmask_b32_e32 v4, 0, v23, vcc
	s_waitcnt lgkmcnt(0)
	v_cmp_eq_u32_e32 vcc, 0, v2
	v_add_u32_e32 v22, v26, v58
	v_add_u32_e32 v25, v4, v52
	v_cndmask_b32_e32 v4, 0, v6, vcc
	v_add_u32_e32 v24, v22, v57
	v_add_u32_e32 v6, v4, v3
	s_and_saveexec_b64 s[0:1], s[34:35]
	s_cbranch_execz .LBB401_99
; %bb.98:
	s_add_u32 s2, s36, 0x400
	v_and_b32_e32 v3, 0xff000000, v6
	v_and_b32_e32 v4, 0xff0000, v6
	s_addc_u32 s3, s37, 0
	v_or_b32_e32 v3, v4, v3
	v_and_b32_e32 v4, 0xff00, v6
	v_and_b32_e32 v7, 0xff, v6
	v_mov_b32_e32 v5, 0
	v_or3_b32 v3, v3, v4, v7
	v_mov_b32_e32 v4, 2
	v_mov_b64_e32 v[52:53], s[2:3]
	;;#ASMSTART
	global_store_dwordx4 v[52:53], v[2:5] off sc1	
s_waitcnt vmcnt(0)
	;;#ASMEND
.LBB401_99:
	s_or_b64 exec, exec, s[0:1]
	v_mov_b32_e32 v4, 0
.LBB401_100:
	s_and_b64 s[0:1], s[38:39], exec
	s_cselect_b32 s1, 0, s31
	s_cselect_b32 s0, 0, s30
	s_cmp_eq_u64 s[0:1], 0
	v_mov_b64_e32 v[52:53], 0
	s_barrier
	s_cbranch_scc1 .LBB401_102
; %bb.101:
	v_mov_b32_e32 v3, 0
	global_load_dwordx2 v[52:53], v3, s[0:1]
.LBB401_102:
	v_cmp_eq_u32_e32 vcc, 0, v70
	s_waitcnt vmcnt(0)
	v_lshlrev_b64 v[54:55], 2, v[52:53]
	v_mov_b32_e32 v5, 0
	v_cndmask_b32_e64 v3, 1, 2, vcc
	v_cmp_eq_u32_e32 vcc, 0, v69
	s_movk_i32 s0, 0x200
	v_lshl_add_u64 v[54:55], s[44:45], 0, v[54:55]
	v_cndmask_b32_e64 v7, 1, 2, vcc
	v_cmp_eq_u32_e32 vcc, 0, v68
	v_and_b32_e32 v3, v7, v3
	v_lshlrev_b64 v[72:73], 2, v[4:5]
	v_cndmask_b32_e64 v7, 1, 2, vcc
	v_cmp_eq_u32_e32 vcc, 0, v67
	v_and_b32_e32 v3, v3, v7
	v_lshl_add_u64 v[54:55], v[54:55], 0, v[72:73]
	v_cndmask_b32_e64 v7, 1, 2, vcc
	v_cmp_eq_u32_e32 vcc, 0, v66
	v_and_b32_e32 v3, v3, v7
	v_cmp_ne_u32_e64 s[30:31], 0, v70
	v_cndmask_b32_e64 v7, 1, 2, vcc
	v_cmp_eq_u32_e32 vcc, 0, v65
	v_and_b32_e32 v3, v3, v7
	v_cmp_ne_u32_e64 s[28:29], 0, v69
	;; [unrolled: 4-line block ×11, first 2 shown]
	v_cndmask_b32_e64 v7, 1, 2, vcc
	v_and_b32_e32 v3, v3, v7
	v_cmp_gt_u32_e32 vcc, s0, v2
	v_cmp_ne_u32_e64 s[8:9], 0, v59
	v_cmp_ne_u32_e64 s[6:7], 0, v58
	;; [unrolled: 1-line block ×4, first 2 shown]
	s_mov_b64 s[36:37], -1
	v_cmp_gt_i16_e64 s[0:1], 2, v3
	s_cbranch_vccz .LBB401_109
; %bb.103:
	s_and_saveexec_b64 s[36:37], s[0:1]
	s_cbranch_execz .LBB401_108
; %bb.104:
	v_cmp_ne_u16_e32 vcc, 1, v3
	s_mov_b64 s[38:39], 0
	s_and_saveexec_b64 s[0:1], vcc
	s_xor_b64 s[0:1], exec, s[0:1]
	s_cbranch_execnz .LBB401_151
; %bb.105:
	s_andn2_saveexec_b64 s[0:1], s[0:1]
	s_cbranch_execnz .LBB401_167
.LBB401_106:
	s_or_b64 exec, exec, s[0:1]
	s_and_b64 exec, exec, s[38:39]
	s_cbranch_execz .LBB401_108
.LBB401_107:
	v_sub_u32_e32 v72, v24, v4
	v_mov_b32_e32 v73, 0
	v_lshl_add_u64 v[72:73], v[72:73], 2, v[54:55]
	global_store_dword v[72:73], v1, off
.LBB401_108:
	s_or_b64 exec, exec, s[36:37]
	s_mov_b64 s[36:37], 0
.LBB401_109:
	s_and_b64 vcc, exec, s[36:37]
	s_cbranch_vccz .LBB401_129
; %bb.110:
	v_cmp_gt_i16_e32 vcc, 2, v3
	s_and_saveexec_b64 s[0:1], vcc
	s_cbranch_execz .LBB401_115
; %bb.111:
	v_cmp_ne_u16_e32 vcc, 1, v3
	s_mov_b64 s[38:39], 0
	s_and_saveexec_b64 s[36:37], vcc
	s_xor_b64 s[36:37], exec, s[36:37]
	s_cbranch_execnz .LBB401_168
; %bb.112:
	s_andn2_saveexec_b64 s[2:3], s[36:37]
	s_cbranch_execnz .LBB401_184
.LBB401_113:
	s_or_b64 exec, exec, s[2:3]
	s_and_b64 exec, exec, s[38:39]
	s_cbranch_execz .LBB401_115
.LBB401_114:
	v_sub_u32_e32 v3, v24, v4
	v_lshlrev_b32_e32 v3, 2, v3
	ds_write_b32 v3, v1
.LBB401_115:
	s_or_b64 exec, exec, s[0:1]
	v_cmp_lt_u32_e32 vcc, v0, v2
	s_waitcnt lgkmcnt(0)
	s_barrier
	s_and_saveexec_b64 s[0:1], vcc
	s_cbranch_execz .LBB401_128
; %bb.116:
	v_xad_u32 v1, v0, -1, v2
	s_movk_i32 s2, 0x1ff
	v_cmp_lt_u32_e32 vcc, s2, v1
	s_mov_b64 s[4:5], -1
	v_mov_b32_e32 v8, v0
	s_and_saveexec_b64 s[2:3], vcc
	s_cbranch_execz .LBB401_125
; %bb.117:
	v_lshrrev_b32_e32 v3, 9, v1
	v_add_u32_e32 v8, -1, v3
	v_or_b32_e32 v1, 0x200, v0
	v_lshrrev_b32_e32 v7, 1, v8
	v_add_u32_e32 v7, 1, v7
	v_cmp_lt_u32_e32 vcc, 13, v8
	v_mov_b32_e32 v14, 0
	v_mov_b64_e32 v[8:9], v[0:1]
	s_and_saveexec_b64 s[4:5], vcc
	s_cbranch_execz .LBB401_121
; %bb.118:
	v_and_b32_e32 v12, -8, v7
	v_lshlrev_b32_e32 v13, 2, v0
	s_mov_b32 s8, 0
	s_mov_b64 s[6:7], 0
	v_mov_b32_e32 v11, 0
	v_mov_b64_e32 v[8:9], v[0:1]
.LBB401_119:                            ; =>This Inner Loop Header: Depth=1
	ds_read2st64_b32 v[16:17], v13 offset1:8
	v_mov_b32_e32 v10, v8
	ds_read2st64_b32 v[76:77], v13 offset0:48 offset1:56
	v_lshl_add_u64 v[94:95], v[10:11], 2, v[54:55]
	v_mov_b32_e32 v10, v9
	ds_read2st64_b32 v[18:19], v13 offset0:16 offset1:24
	ds_read2st64_b32 v[80:81], v13 offset0:64 offset1:72
	v_lshl_add_u64 v[98:99], v[10:11], 2, v[54:55]
	v_add_u32_e32 v10, 0x400, v8
	ds_read2st64_b32 v[84:85], v13 offset0:80 offset1:88
	v_lshl_add_u64 v[100:101], v[10:11], 2, v[54:55]
	v_add_u32_e32 v10, 0x800, v8
	v_add_u32_e32 v14, 0x400, v9
	v_mov_b32_e32 v15, v11
	v_add_u32_e32 v20, 0x800, v9
	ds_read2st64_b32 v[72:73], v13 offset0:32 offset1:40
	v_mov_b32_e32 v21, v11
	ds_read2st64_b32 v[88:89], v13 offset0:96 offset1:104
	v_lshl_add_u64 v[102:103], v[10:11], 2, v[54:55]
	v_add_u32_e32 v10, 0xc00, v8
	v_add_u32_e32 v74, 0xc00, v9
	v_mov_b32_e32 v75, v11
	ds_read2st64_b32 v[92:93], v13 offset0:112 offset1:120
	v_lshl_add_u64 v[96:97], v[14:15], 2, v[54:55]
	v_lshl_add_u64 v[20:21], v[20:21], 2, v[54:55]
	s_waitcnt lgkmcnt(7)
	global_store_dword v[94:95], v16, off
	global_store_dword v[98:99], v17, off
	s_waitcnt lgkmcnt(5)
	global_store_dword v[100:101], v18, off
	global_store_dword v[96:97], v19, off
	;; [unrolled: 3-line block ×3, first 2 shown]
	v_lshl_add_u64 v[16:17], v[10:11], 2, v[54:55]
	v_add_u32_e32 v10, 0x1000, v8
	v_add_u32_e32 v78, 0x1000, v9
	v_mov_b32_e32 v79, v11
	v_lshl_add_u64 v[74:75], v[74:75], 2, v[54:55]
	global_store_dword v[16:17], v76, off
	global_store_dword v[74:75], v77, off
	v_lshl_add_u64 v[16:17], v[10:11], 2, v[54:55]
	v_add_u32_e32 v10, 0x1400, v8
	v_add_u32_e32 v82, 0x1400, v9
	v_mov_b32_e32 v83, v11
	v_add_u32_e32 v12, -8, v12
	v_lshl_add_u64 v[78:79], v[78:79], 2, v[54:55]
	global_store_dword v[16:17], v80, off
	global_store_dword v[78:79], v81, off
	v_lshl_add_u64 v[16:17], v[10:11], 2, v[54:55]
	v_add_u32_e32 v10, 0x1800, v8
	v_add_u32_e32 v86, 0x1800, v9
	v_mov_b32_e32 v87, v11
	s_add_i32 s8, s8, 16
	v_lshl_add_u64 v[82:83], v[82:83], 2, v[54:55]
	v_cmp_eq_u32_e32 vcc, 0, v12
	global_store_dword v[16:17], v84, off
	global_store_dword v[82:83], v85, off
	v_lshl_add_u64 v[16:17], v[10:11], 2, v[54:55]
	v_add_u32_e32 v10, 0x1c00, v8
	v_add_u32_e32 v90, 0x1c00, v9
	v_mov_b32_e32 v91, v11
	v_add_u32_e32 v13, 0x8000, v13
	v_lshl_add_u64 v[86:87], v[86:87], 2, v[54:55]
	v_add_u32_e32 v9, 0x2000, v9
	v_mov_b32_e32 v14, s8
	s_or_b64 s[6:7], vcc, s[6:7]
	v_add_u32_e32 v8, 0x2000, v8
	s_waitcnt lgkmcnt(1)
	global_store_dword v[16:17], v88, off
	global_store_dword v[86:87], v89, off
	v_lshl_add_u64 v[16:17], v[10:11], 2, v[54:55]
	v_lshl_add_u64 v[90:91], v[90:91], 2, v[54:55]
	s_waitcnt lgkmcnt(0)
	global_store_dword v[16:17], v92, off
	global_store_dword v[90:91], v93, off
	s_andn2_b64 exec, exec, s[6:7]
	s_cbranch_execnz .LBB401_119
; %bb.120:
	s_or_b64 exec, exec, s[6:7]
.LBB401_121:
	s_or_b64 exec, exec, s[4:5]
	v_and_b32_e32 v1, 7, v7
	v_cmp_ne_u32_e32 vcc, 0, v1
	s_and_saveexec_b64 s[4:5], vcc
	s_cbranch_execz .LBB401_124
; %bb.122:
	v_lshlrev_b32_e32 v7, 2, v0
	v_lshl_or_b32 v7, v14, 11, v7
	s_mov_b64 s[6:7], 0
	v_mov_b32_e32 v11, 0
.LBB401_123:                            ; =>This Inner Loop Header: Depth=1
	ds_read2st64_b32 v[12:13], v7 offset1:8
	v_add_u32_e32 v1, -1, v1
	v_mov_b32_e32 v10, v8
	v_cmp_eq_u32_e32 vcc, 0, v1
	v_add_u32_e32 v8, 0x400, v8
	v_add_u32_e32 v7, 0x1000, v7
	v_lshl_add_u64 v[14:15], v[10:11], 2, v[54:55]
	v_mov_b32_e32 v10, v9
	v_add_u32_e32 v9, 0x400, v9
	s_or_b64 s[6:7], vcc, s[6:7]
	v_lshl_add_u64 v[16:17], v[10:11], 2, v[54:55]
	s_waitcnt lgkmcnt(0)
	global_store_dword v[14:15], v12, off
	global_store_dword v[16:17], v13, off
	s_andn2_b64 exec, exec, s[6:7]
	s_cbranch_execnz .LBB401_123
.LBB401_124:
	s_or_b64 exec, exec, s[4:5]
	v_add_u32_e32 v1, 1, v3
	v_and_b32_e32 v3, 0xfffffe, v1
	v_cmp_ne_u32_e32 vcc, v1, v3
	v_lshl_or_b32 v8, v3, 9, v0
	s_orn2_b64 s[4:5], vcc, exec
.LBB401_125:
	s_or_b64 exec, exec, s[2:3]
	s_and_b64 exec, exec, s[4:5]
	s_cbranch_execz .LBB401_128
; %bb.126:
	v_lshlrev_b32_e32 v1, 2, v8
	s_mov_b64 s[2:3], 0
	v_mov_b32_e32 v9, 0
.LBB401_127:                            ; =>This Inner Loop Header: Depth=1
	ds_read_b32 v3, v1
	v_lshl_add_u64 v[10:11], v[8:9], 2, v[54:55]
	v_add_u32_e32 v8, 0x200, v8
	v_cmp_ge_u32_e32 vcc, v8, v2
	v_add_u32_e32 v1, 0x800, v1
	s_or_b64 s[2:3], vcc, s[2:3]
	s_waitcnt lgkmcnt(0)
	global_store_dword v[10:11], v3, off
	s_andn2_b64 exec, exec, s[2:3]
	s_cbranch_execnz .LBB401_127
.LBB401_128:
	s_or_b64 exec, exec, s[0:1]
.LBB401_129:
	s_cmpk_lg_i32 s33, 0x1e00
	s_cselect_b64 s[0:1], -1, 0
	v_cndmask_b32_e64 v16, 0, 1, s[42:43]
	s_and_b64 s[0:1], s[0:1], s[40:41]
	v_sub_u32_e32 v1, v2, v16
	v_cndmask_b32_e64 v3, 0, 1, s[0:1]
	s_and_b64 s[0:1], s[34:35], s[42:43]
	v_add_u32_e32 v1, v1, v3
	v_cndmask_b32_e64 v3, v70, 0, s[0:1]
	s_mul_hi_u32 s0, s33, 0x88888889
	s_lshr_b32 s0, s0, 3
	v_mad_i32_i24 v7, v0, -15, s33
	v_cmp_eq_u32_e32 vcc, s0, v0
	v_cmp_ne_u32_e64 s[0:1], 0, v7
	s_and_b64 vcc, vcc, s[40:41]
	s_mov_b32 s2, 0
	v_cndmask_b32_e64 v8, 1, v3, s[0:1]
	v_cmp_ne_u32_e64 s[0:1], 1, v7
	s_movk_i32 s30, 0x200
	s_mov_b64 s[34:35], -1
	v_cndmask_b32_e64 v9, 1, v69, s[0:1]
	v_cmp_ne_u32_e64 s[0:1], 2, v7
	s_barrier
	s_nop 0
	v_cndmask_b32_e64 v10, 1, v68, s[0:1]
	v_cmp_ne_u32_e64 s[0:1], 3, v7
	s_nop 1
	v_cndmask_b32_e64 v11, 1, v67, s[0:1]
	v_cmp_ne_u32_e64 s[0:1], 4, v7
	;; [unrolled: 3-line block ×7, first 2 shown]
	v_cndmask_b32_e32 v55, v62, v17, vcc
	v_cndmask_b32_e32 v62, v69, v9, vcc
	v_cndmask_b32_e64 v18, 1, v61, s[0:1]
	v_cmp_ne_u32_e64 s[0:1], 10, v7
	v_cndmask_b32_e32 v18, v61, v18, vcc
	v_cndmask_b32_e32 v61, v68, v10, vcc
	v_cndmask_b32_e64 v19, 1, v60, s[0:1]
	v_cmp_ne_u32_e64 s[0:1], 11, v7
	;; [unrolled: 4-line block ×5, first 2 shown]
	v_cndmask_b32_e32 v54, v57, v54, vcc
	v_cndmask_b32_e32 v57, v64, v14, vcc
	v_cndmask_b32_e64 v7, 1, v56, s[0:1]
	v_cndmask_b32_e32 v7, v56, v7, vcc
	v_cndmask_b32_e32 v56, v63, v15, vcc
	;; [unrolled: 1-line block ×3, first 2 shown]
	v_mov_b32_e32 v17, s2
	v_cmp_eq_u32_e32 vcc, 0, v63
	v_lshl_add_u64 v[14:15], v[16:17], 0, -1
	v_add_u32_e32 v3, v4, v16
	v_cndmask_b32_e64 v16, 1, 2, vcc
	v_cmp_eq_u32_e32 vcc, 0, v62
	v_lshlrev_b64 v[10:11], 3, v[52:53]
	v_cmp_ne_u32_e64 s[0:1], 0, v7
	v_cndmask_b32_e64 v17, 1, 2, vcc
	v_cmp_eq_u32_e32 vcc, 0, v61
	v_and_b32_e32 v16, v17, v16
	v_lshl_add_u64 v[8:9], s[46:47], 0, v[10:11]
	v_cndmask_b32_e64 v17, 1, 2, vcc
	v_cmp_eq_u32_e32 vcc, 0, v60
	v_and_b32_e32 v16, v16, v17
	v_lshlrev_b64 v[12:13], 3, v[4:5]
	v_cndmask_b32_e64 v17, 1, 2, vcc
	v_cmp_eq_u32_e32 vcc, 0, v59
	v_and_b32_e32 v16, v16, v17
	v_lshl_add_u64 v[8:9], v[8:9], 0, v[12:13]
	v_cndmask_b32_e64 v17, 1, 2, vcc
	v_cmp_eq_u32_e32 vcc, 0, v58
	v_and_b32_e32 v16, v16, v17
	v_cmp_ne_u32_e64 s[28:29], 0, v63
	v_cndmask_b32_e64 v17, 1, 2, vcc
	v_cmp_eq_u32_e32 vcc, 0, v57
	v_and_b32_e32 v16, v16, v17
	v_cmp_ne_u32_e64 s[26:27], 0, v62
	;; [unrolled: 4-line block ×10, first 2 shown]
	v_cndmask_b32_e64 v7, 1, 2, vcc
	v_and_b32_e32 v7, v16, v7
	v_cmp_gt_u32_e32 vcc, s30, v1
	v_cmp_ne_u32_e64 s[8:9], 0, v19
	v_cmp_ne_u32_e64 s[6:7], 0, v20
	;; [unrolled: 1-line block ×4, first 2 shown]
	v_cmp_gt_i16_e64 s[30:31], 2, v7
	s_cbranch_vccz .LBB401_136
; %bb.130:
	s_and_saveexec_b64 s[34:35], s[30:31]
	s_cbranch_execz .LBB401_135
; %bb.131:
	v_lshlrev_b64 v[16:17], 3, v[14:15]
	v_lshl_add_u64 v[16:17], v[8:9], 0, v[16:17]
	v_cmp_ne_u16_e32 vcc, 1, v7
	s_mov_b64 s[36:37], 0
	s_and_saveexec_b64 s[30:31], vcc
	s_xor_b64 s[30:31], exec, s[30:31]
	s_cbranch_execnz .LBB401_185
; %bb.132:
	s_andn2_saveexec_b64 s[30:31], s[30:31]
	s_cbranch_execnz .LBB401_201
.LBB401_133:
	s_or_b64 exec, exec, s[30:31]
	s_and_b64 exec, exec, s[36:37]
	s_cbranch_execz .LBB401_135
.LBB401_134:
	v_mov_b32_e32 v19, 0
	v_sub_u32_e32 v20, v24, v3
	v_mov_b32_e32 v21, v19
	v_mov_b32_e32 v18, v25
	v_lshl_add_u64 v[16:17], v[20:21], 3, v[16:17]
	global_store_dwordx2 v[16:17], v[18:19], off
.LBB401_135:
	s_or_b64 exec, exec, s[34:35]
	s_mov_b64 s[34:35], 0
.LBB401_136:
	s_and_b64 vcc, exec, s[34:35]
	s_cbranch_vccz .LBB401_146
; %bb.137:
	v_cmp_gt_i16_e32 vcc, 2, v7
	s_and_saveexec_b64 s[30:31], vcc
	s_cbranch_execz .LBB401_142
; %bb.138:
	v_cmp_ne_u16_e32 vcc, 1, v7
	s_mov_b64 s[36:37], 0
	s_and_saveexec_b64 s[34:35], vcc
	s_xor_b64 s[34:35], exec, s[34:35]
	s_cbranch_execnz .LBB401_202
; %bb.139:
	s_andn2_saveexec_b64 s[0:1], s[34:35]
	s_cbranch_execnz .LBB401_218
.LBB401_140:
	s_or_b64 exec, exec, s[0:1]
	s_and_b64 exec, exec, s[36:37]
	s_cbranch_execz .LBB401_142
.LBB401_141:
	v_sub_u32_e32 v3, v24, v3
	v_lshlrev_b32_e32 v3, 2, v3
	ds_write_b32 v3, v25
.LBB401_142:
	s_or_b64 exec, exec, s[30:31]
	v_cmp_lt_u32_e32 vcc, v0, v1
	s_waitcnt lgkmcnt(0)
	s_barrier
	s_and_saveexec_b64 s[0:1], vcc
	s_cbranch_execz .LBB401_145
; %bb.143:
	v_lshlrev_b64 v[14:15], 3, v[14:15]
	v_lshl_add_u64 v[10:11], v[10:11], 0, v[14:15]
	v_lshl_add_u64 v[12:13], v[10:11], 0, v[12:13]
	v_lshlrev_b32_e32 v10, 3, v0
	v_mov_b32_e32 v11, 0
	v_lshl_add_u64 v[12:13], s[46:47], 0, v[12:13]
	v_lshlrev_b32_e32 v3, 2, v0
	v_lshl_add_u64 v[12:13], v[12:13], 0, v[10:11]
	s_mov_b64 s[2:3], 0
	s_mov_b64 s[4:5], 0x1000
	v_mov_b32_e32 v7, v0
.LBB401_144:                            ; =>This Inner Loop Header: Depth=1
	ds_read_b32 v10, v3
	v_add_u32_e32 v7, 0x200, v7
	v_cmp_ge_u32_e32 vcc, v7, v1
	v_add_u32_e32 v3, 0x800, v3
	s_or_b64 s[2:3], vcc, s[2:3]
	s_waitcnt lgkmcnt(0)
	global_store_dwordx2 v[12:13], v[10:11], off
	v_lshl_add_u64 v[12:13], v[12:13], 0, s[4:5]
	s_andn2_b64 exec, exec, s[2:3]
	s_cbranch_execnz .LBB401_144
.LBB401_145:
	s_or_b64 exec, exec, s[0:1]
.LBB401_146:
	s_movk_i32 s0, 0x1ff
	v_cmp_eq_u32_e32 vcc, s0, v0
	s_and_b64 s[0:1], vcc, s[40:41]
	s_and_saveexec_b64 s[2:3], s[0:1]
	s_cbranch_execz .LBB401_149
; %bb.147:
	v_mov_b32_e32 v3, 0
	v_lshl_add_u64 v[0:1], v[2:3], 0, v[4:5]
	v_lshl_add_u64 v[0:1], v[0:1], 0, v[52:53]
	s_cmpk_lg_i32 s33, 0x1e00
	global_store_dwordx2 v3, v[0:1], s[48:49]
	s_cbranch_scc1 .LBB401_149
; %bb.148:
	v_lshlrev_b64 v[0:1], 3, v[2:3]
	v_mov_b32_e32 v7, v3
	v_lshl_add_u64 v[0:1], v[8:9], 0, v[0:1]
	global_store_dwordx2 v[0:1], v[6:7], off offset:-8
.LBB401_149:
	s_endpgm
.LBB401_150:
	s_or_b64 exec, exec, s[6:7]
	v_mov_b32_e32 v70, s10
	s_and_saveexec_b64 s[0:1], s[52:53]
	s_cbranch_execnz .LBB401_60
	s_branch .LBB401_61
.LBB401_151:
	s_and_saveexec_b64 s[38:39], s[30:31]
	s_cbranch_execnz .LBB401_219
; %bb.152:
	s_or_b64 exec, exec, s[38:39]
	s_and_saveexec_b64 s[38:39], s[28:29]
	s_cbranch_execnz .LBB401_220
.LBB401_153:
	s_or_b64 exec, exec, s[38:39]
	s_and_saveexec_b64 s[38:39], s[26:27]
	s_cbranch_execnz .LBB401_221
.LBB401_154:
	s_or_b64 exec, exec, s[38:39]
	s_and_saveexec_b64 s[38:39], s[24:25]
	s_cbranch_execnz .LBB401_222
.LBB401_155:
	s_or_b64 exec, exec, s[38:39]
	s_and_saveexec_b64 s[38:39], s[22:23]
	s_cbranch_execnz .LBB401_223
.LBB401_156:
	s_or_b64 exec, exec, s[38:39]
	s_and_saveexec_b64 s[38:39], s[20:21]
	s_cbranch_execnz .LBB401_224
.LBB401_157:
	s_or_b64 exec, exec, s[38:39]
	s_and_saveexec_b64 s[38:39], s[18:19]
	s_cbranch_execnz .LBB401_225
.LBB401_158:
	s_or_b64 exec, exec, s[38:39]
	s_and_saveexec_b64 s[38:39], s[16:17]
	s_cbranch_execnz .LBB401_226
.LBB401_159:
	s_or_b64 exec, exec, s[38:39]
	s_and_saveexec_b64 s[38:39], s[14:15]
	s_cbranch_execnz .LBB401_227
.LBB401_160:
	s_or_b64 exec, exec, s[38:39]
	s_and_saveexec_b64 s[38:39], s[12:13]
	s_cbranch_execnz .LBB401_228
.LBB401_161:
	s_or_b64 exec, exec, s[38:39]
	s_and_saveexec_b64 s[38:39], s[10:11]
	s_cbranch_execnz .LBB401_229
.LBB401_162:
	s_or_b64 exec, exec, s[38:39]
	s_and_saveexec_b64 s[38:39], s[8:9]
	s_cbranch_execnz .LBB401_230
.LBB401_163:
	s_or_b64 exec, exec, s[38:39]
	s_and_saveexec_b64 s[38:39], s[6:7]
	s_cbranch_execnz .LBB401_231
.LBB401_164:
	s_or_b64 exec, exec, s[38:39]
	s_and_saveexec_b64 s[38:39], s[4:5]
	s_cbranch_execz .LBB401_166
.LBB401_165:
	v_sub_u32_e32 v72, v22, v4
	v_mov_b32_e32 v73, 0
	v_lshl_add_u64 v[72:73], v[72:73], 2, v[54:55]
	global_store_dword v[72:73], v9, off
.LBB401_166:
	s_or_b64 exec, exec, s[38:39]
	s_and_b64 s[38:39], s[2:3], exec
	s_andn2_saveexec_b64 s[0:1], s[0:1]
	s_cbranch_execz .LBB401_106
.LBB401_167:
	v_sub_u32_e32 v72, v50, v4
	v_mov_b32_e32 v73, 0
	v_lshl_add_u64 v[74:75], v[72:73], 2, v[54:55]
	v_sub_u32_e32 v72, v48, v4
	global_store_dword v[74:75], v20, off
	v_lshl_add_u64 v[74:75], v[72:73], 2, v[54:55]
	v_sub_u32_e32 v72, v46, v4
	global_store_dword v[74:75], v21, off
	;; [unrolled: 3-line block ×12, first 2 shown]
	v_lshl_add_u64 v[74:75], v[72:73], 2, v[54:55]
	v_sub_u32_e32 v72, v22, v4
	v_lshl_add_u64 v[72:73], v[72:73], 2, v[54:55]
	s_or_b64 s[38:39], s[38:39], exec
	global_store_dword v[74:75], v8, off
	global_store_dword v[72:73], v9, off
	s_or_b64 exec, exec, s[0:1]
	s_and_b64 exec, exec, s[38:39]
	s_cbranch_execnz .LBB401_107
	s_branch .LBB401_108
.LBB401_168:
	s_and_saveexec_b64 s[38:39], s[30:31]
	s_cbranch_execnz .LBB401_232
; %bb.169:
	s_or_b64 exec, exec, s[38:39]
	s_and_saveexec_b64 s[30:31], s[28:29]
	s_cbranch_execnz .LBB401_233
.LBB401_170:
	s_or_b64 exec, exec, s[30:31]
	s_and_saveexec_b64 s[28:29], s[26:27]
	s_cbranch_execnz .LBB401_234
.LBB401_171:
	s_or_b64 exec, exec, s[28:29]
	s_and_saveexec_b64 s[26:27], s[24:25]
	s_cbranch_execnz .LBB401_235
.LBB401_172:
	s_or_b64 exec, exec, s[26:27]
	s_and_saveexec_b64 s[24:25], s[22:23]
	s_cbranch_execnz .LBB401_236
.LBB401_173:
	s_or_b64 exec, exec, s[24:25]
	s_and_saveexec_b64 s[22:23], s[20:21]
	s_cbranch_execnz .LBB401_237
.LBB401_174:
	s_or_b64 exec, exec, s[22:23]
	s_and_saveexec_b64 s[20:21], s[18:19]
	s_cbranch_execnz .LBB401_238
.LBB401_175:
	s_or_b64 exec, exec, s[20:21]
	s_and_saveexec_b64 s[18:19], s[16:17]
	s_cbranch_execnz .LBB401_239
.LBB401_176:
	s_or_b64 exec, exec, s[18:19]
	s_and_saveexec_b64 s[16:17], s[14:15]
	s_cbranch_execnz .LBB401_240
.LBB401_177:
	s_or_b64 exec, exec, s[16:17]
	s_and_saveexec_b64 s[14:15], s[12:13]
	s_cbranch_execnz .LBB401_241
.LBB401_178:
	s_or_b64 exec, exec, s[14:15]
	s_and_saveexec_b64 s[12:13], s[10:11]
	s_cbranch_execnz .LBB401_242
.LBB401_179:
	s_or_b64 exec, exec, s[12:13]
	s_and_saveexec_b64 s[10:11], s[8:9]
	s_cbranch_execnz .LBB401_243
.LBB401_180:
	s_or_b64 exec, exec, s[10:11]
	s_and_saveexec_b64 s[8:9], s[6:7]
	s_cbranch_execnz .LBB401_244
.LBB401_181:
	s_or_b64 exec, exec, s[8:9]
	s_and_saveexec_b64 s[6:7], s[4:5]
	s_cbranch_execz .LBB401_183
.LBB401_182:
	v_sub_u32_e32 v3, v22, v4
	v_lshlrev_b32_e32 v3, 2, v3
	ds_write_b32 v3, v9
.LBB401_183:
	s_or_b64 exec, exec, s[6:7]
	s_and_b64 s[38:39], s[2:3], exec
                                        ; implicit-def: $vgpr9
                                        ; implicit-def: $vgpr11
                                        ; implicit-def: $vgpr13
                                        ; implicit-def: $vgpr15
                                        ; implicit-def: $vgpr17
                                        ; implicit-def: $vgpr19
                                        ; implicit-def: $vgpr21
	s_andn2_saveexec_b64 s[2:3], s[36:37]
	s_cbranch_execz .LBB401_113
.LBB401_184:
	v_sub_u32_e32 v3, v50, v4
	v_lshlrev_b32_e32 v3, 2, v3
	ds_write_b32 v3, v20
	v_sub_u32_e32 v3, v48, v4
	v_lshlrev_b32_e32 v3, 2, v3
	ds_write_b32 v3, v21
	;; [unrolled: 3-line block ×13, first 2 shown]
	v_sub_u32_e32 v3, v22, v4
	v_lshlrev_b32_e32 v3, 2, v3
	s_or_b64 s[38:39], s[38:39], exec
	ds_write_b32 v3, v9
	s_or_b64 exec, exec, s[2:3]
	s_and_b64 exec, exec, s[38:39]
	s_cbranch_execnz .LBB401_114
	s_branch .LBB401_115
.LBB401_185:
	s_and_saveexec_b64 s[36:37], s[28:29]
	s_cbranch_execnz .LBB401_245
; %bb.186:
	s_or_b64 exec, exec, s[36:37]
	s_and_saveexec_b64 s[36:37], s[26:27]
	s_cbranch_execnz .LBB401_246
.LBB401_187:
	s_or_b64 exec, exec, s[36:37]
	s_and_saveexec_b64 s[36:37], s[24:25]
	s_cbranch_execnz .LBB401_247
.LBB401_188:
	s_or_b64 exec, exec, s[36:37]
	s_and_saveexec_b64 s[36:37], s[22:23]
	s_cbranch_execnz .LBB401_248
.LBB401_189:
	s_or_b64 exec, exec, s[36:37]
	s_and_saveexec_b64 s[36:37], s[20:21]
	s_cbranch_execnz .LBB401_249
.LBB401_190:
	s_or_b64 exec, exec, s[36:37]
	s_and_saveexec_b64 s[36:37], s[18:19]
	s_cbranch_execnz .LBB401_250
.LBB401_191:
	s_or_b64 exec, exec, s[36:37]
	s_and_saveexec_b64 s[36:37], s[16:17]
	s_cbranch_execnz .LBB401_251
.LBB401_192:
	s_or_b64 exec, exec, s[36:37]
	s_and_saveexec_b64 s[36:37], s[14:15]
	s_cbranch_execnz .LBB401_252
.LBB401_193:
	s_or_b64 exec, exec, s[36:37]
	s_and_saveexec_b64 s[36:37], s[12:13]
	s_cbranch_execnz .LBB401_253
.LBB401_194:
	s_or_b64 exec, exec, s[36:37]
	s_and_saveexec_b64 s[36:37], s[10:11]
	s_cbranch_execnz .LBB401_254
.LBB401_195:
	s_or_b64 exec, exec, s[36:37]
	s_and_saveexec_b64 s[36:37], s[8:9]
	s_cbranch_execnz .LBB401_255
.LBB401_196:
	s_or_b64 exec, exec, s[36:37]
	s_and_saveexec_b64 s[36:37], s[6:7]
	s_cbranch_execnz .LBB401_256
.LBB401_197:
	s_or_b64 exec, exec, s[36:37]
	s_and_saveexec_b64 s[36:37], s[4:5]
	s_cbranch_execnz .LBB401_257
.LBB401_198:
	s_or_b64 exec, exec, s[36:37]
	s_and_saveexec_b64 s[36:37], s[2:3]
	s_cbranch_execz .LBB401_200
.LBB401_199:
	v_sub_u32_e32 v18, v22, v3
	v_mov_b32_e32 v19, 0
	v_lshl_add_u64 v[20:21], v[18:19], 3, v[16:17]
	v_mov_b32_e32 v18, v23
	global_store_dwordx2 v[20:21], v[18:19], off
.LBB401_200:
	s_or_b64 exec, exec, s[36:37]
	s_and_b64 s[36:37], s[0:1], exec
	s_andn2_saveexec_b64 s[30:31], s[30:31]
	s_cbranch_execz .LBB401_133
.LBB401_201:
	v_mov_b32_e32 v19, 0
	v_sub_u32_e32 v20, v50, v3
	v_mov_b32_e32 v21, v19
	v_mov_b32_e32 v18, v51
	v_lshl_add_u64 v[20:21], v[20:21], 3, v[16:17]
	global_store_dwordx2 v[20:21], v[18:19], off
	v_sub_u32_e32 v20, v48, v3
	v_mov_b32_e32 v21, v19
	v_mov_b32_e32 v18, v49
	v_lshl_add_u64 v[20:21], v[20:21], 3, v[16:17]
	global_store_dwordx2 v[20:21], v[18:19], off
	;; [unrolled: 5-line block ×13, first 2 shown]
	v_sub_u32_e32 v20, v22, v3
	v_mov_b32_e32 v21, v19
	v_mov_b32_e32 v18, v23
	v_lshl_add_u64 v[20:21], v[20:21], 3, v[16:17]
	s_or_b64 s[36:37], s[36:37], exec
	global_store_dwordx2 v[20:21], v[18:19], off
	s_or_b64 exec, exec, s[30:31]
	s_and_b64 exec, exec, s[36:37]
	s_cbranch_execnz .LBB401_134
	s_branch .LBB401_135
.LBB401_202:
	s_and_saveexec_b64 s[36:37], s[28:29]
	s_cbranch_execnz .LBB401_258
; %bb.203:
	s_or_b64 exec, exec, s[36:37]
	s_and_saveexec_b64 s[28:29], s[26:27]
	s_cbranch_execnz .LBB401_259
.LBB401_204:
	s_or_b64 exec, exec, s[28:29]
	s_and_saveexec_b64 s[26:27], s[24:25]
	s_cbranch_execnz .LBB401_260
.LBB401_205:
	s_or_b64 exec, exec, s[26:27]
	s_and_saveexec_b64 s[24:25], s[22:23]
	s_cbranch_execnz .LBB401_261
.LBB401_206:
	s_or_b64 exec, exec, s[24:25]
	s_and_saveexec_b64 s[22:23], s[20:21]
	s_cbranch_execnz .LBB401_262
.LBB401_207:
	s_or_b64 exec, exec, s[22:23]
	s_and_saveexec_b64 s[20:21], s[18:19]
	s_cbranch_execnz .LBB401_263
.LBB401_208:
	s_or_b64 exec, exec, s[20:21]
	s_and_saveexec_b64 s[18:19], s[16:17]
	s_cbranch_execnz .LBB401_264
.LBB401_209:
	s_or_b64 exec, exec, s[18:19]
	s_and_saveexec_b64 s[16:17], s[14:15]
	s_cbranch_execnz .LBB401_265
.LBB401_210:
	s_or_b64 exec, exec, s[16:17]
	s_and_saveexec_b64 s[14:15], s[12:13]
	s_cbranch_execnz .LBB401_266
.LBB401_211:
	s_or_b64 exec, exec, s[14:15]
	s_and_saveexec_b64 s[12:13], s[10:11]
	s_cbranch_execnz .LBB401_267
.LBB401_212:
	s_or_b64 exec, exec, s[12:13]
	s_and_saveexec_b64 s[10:11], s[8:9]
	s_cbranch_execnz .LBB401_268
.LBB401_213:
	s_or_b64 exec, exec, s[10:11]
	s_and_saveexec_b64 s[8:9], s[6:7]
	s_cbranch_execnz .LBB401_269
.LBB401_214:
	s_or_b64 exec, exec, s[8:9]
	s_and_saveexec_b64 s[6:7], s[4:5]
	s_cbranch_execnz .LBB401_270
.LBB401_215:
	s_or_b64 exec, exec, s[6:7]
	s_and_saveexec_b64 s[4:5], s[2:3]
	s_cbranch_execz .LBB401_217
.LBB401_216:
	v_sub_u32_e32 v7, v22, v3
	v_lshlrev_b32_e32 v7, 2, v7
	ds_write_b32 v7, v23
.LBB401_217:
	s_or_b64 exec, exec, s[4:5]
	s_and_b64 s[36:37], s[0:1], exec
                                        ; implicit-def: $vgpr22_vgpr23
                                        ; implicit-def: $vgpr26_vgpr27
                                        ; implicit-def: $vgpr28_vgpr29
                                        ; implicit-def: $vgpr50_vgpr51
                                        ; implicit-def: $vgpr48_vgpr49
                                        ; implicit-def: $vgpr46_vgpr47
                                        ; implicit-def: $vgpr44_vgpr45
                                        ; implicit-def: $vgpr42_vgpr43
                                        ; implicit-def: $vgpr40_vgpr41
                                        ; implicit-def: $vgpr38_vgpr39
                                        ; implicit-def: $vgpr36_vgpr37
                                        ; implicit-def: $vgpr34_vgpr35
                                        ; implicit-def: $vgpr32_vgpr33
                                        ; implicit-def: $vgpr30_vgpr31
	s_andn2_saveexec_b64 s[0:1], s[34:35]
	s_cbranch_execz .LBB401_140
.LBB401_218:
	v_sub_u32_e32 v7, v50, v3
	v_lshlrev_b32_e32 v7, 2, v7
	ds_write_b32 v7, v51
	v_sub_u32_e32 v7, v48, v3
	v_lshlrev_b32_e32 v7, 2, v7
	ds_write_b32 v7, v49
	;; [unrolled: 3-line block ×13, first 2 shown]
	v_sub_u32_e32 v7, v22, v3
	v_lshlrev_b32_e32 v7, 2, v7
	s_or_b64 s[36:37], s[36:37], exec
	ds_write_b32 v7, v23
	s_or_b64 exec, exec, s[0:1]
	s_and_b64 exec, exec, s[36:37]
	s_cbranch_execnz .LBB401_141
	s_branch .LBB401_142
.LBB401_219:
	v_sub_u32_e32 v72, v50, v4
	v_mov_b32_e32 v73, 0
	v_lshl_add_u64 v[72:73], v[72:73], 2, v[54:55]
	global_store_dword v[72:73], v20, off
	s_or_b64 exec, exec, s[38:39]
	s_and_saveexec_b64 s[38:39], s[28:29]
	s_cbranch_execz .LBB401_153
.LBB401_220:
	v_sub_u32_e32 v72, v48, v4
	v_mov_b32_e32 v73, 0
	v_lshl_add_u64 v[72:73], v[72:73], 2, v[54:55]
	global_store_dword v[72:73], v21, off
	s_or_b64 exec, exec, s[38:39]
	s_and_saveexec_b64 s[38:39], s[26:27]
	s_cbranch_execz .LBB401_154
.LBB401_221:
	v_sub_u32_e32 v72, v46, v4
	v_mov_b32_e32 v73, 0
	v_lshl_add_u64 v[72:73], v[72:73], 2, v[54:55]
	global_store_dword v[72:73], v18, off
	s_or_b64 exec, exec, s[38:39]
	s_and_saveexec_b64 s[38:39], s[24:25]
	s_cbranch_execz .LBB401_155
.LBB401_222:
	v_sub_u32_e32 v72, v44, v4
	v_mov_b32_e32 v73, 0
	v_lshl_add_u64 v[72:73], v[72:73], 2, v[54:55]
	global_store_dword v[72:73], v19, off
	s_or_b64 exec, exec, s[38:39]
	s_and_saveexec_b64 s[38:39], s[22:23]
	s_cbranch_execz .LBB401_156
.LBB401_223:
	v_sub_u32_e32 v72, v42, v4
	v_mov_b32_e32 v73, 0
	v_lshl_add_u64 v[72:73], v[72:73], 2, v[54:55]
	global_store_dword v[72:73], v16, off
	s_or_b64 exec, exec, s[38:39]
	s_and_saveexec_b64 s[38:39], s[20:21]
	s_cbranch_execz .LBB401_157
.LBB401_224:
	v_sub_u32_e32 v72, v40, v4
	v_mov_b32_e32 v73, 0
	v_lshl_add_u64 v[72:73], v[72:73], 2, v[54:55]
	global_store_dword v[72:73], v17, off
	s_or_b64 exec, exec, s[38:39]
	s_and_saveexec_b64 s[38:39], s[18:19]
	s_cbranch_execz .LBB401_158
.LBB401_225:
	v_sub_u32_e32 v72, v38, v4
	v_mov_b32_e32 v73, 0
	v_lshl_add_u64 v[72:73], v[72:73], 2, v[54:55]
	global_store_dword v[72:73], v14, off
	s_or_b64 exec, exec, s[38:39]
	s_and_saveexec_b64 s[38:39], s[16:17]
	s_cbranch_execz .LBB401_159
.LBB401_226:
	v_sub_u32_e32 v72, v36, v4
	v_mov_b32_e32 v73, 0
	v_lshl_add_u64 v[72:73], v[72:73], 2, v[54:55]
	global_store_dword v[72:73], v15, off
	s_or_b64 exec, exec, s[38:39]
	s_and_saveexec_b64 s[38:39], s[14:15]
	s_cbranch_execz .LBB401_160
.LBB401_227:
	v_sub_u32_e32 v72, v34, v4
	v_mov_b32_e32 v73, 0
	v_lshl_add_u64 v[72:73], v[72:73], 2, v[54:55]
	global_store_dword v[72:73], v12, off
	s_or_b64 exec, exec, s[38:39]
	s_and_saveexec_b64 s[38:39], s[12:13]
	s_cbranch_execz .LBB401_161
.LBB401_228:
	v_sub_u32_e32 v72, v32, v4
	v_mov_b32_e32 v73, 0
	v_lshl_add_u64 v[72:73], v[72:73], 2, v[54:55]
	global_store_dword v[72:73], v13, off
	s_or_b64 exec, exec, s[38:39]
	s_and_saveexec_b64 s[38:39], s[10:11]
	s_cbranch_execz .LBB401_162
.LBB401_229:
	v_sub_u32_e32 v72, v30, v4
	v_mov_b32_e32 v73, 0
	v_lshl_add_u64 v[72:73], v[72:73], 2, v[54:55]
	global_store_dword v[72:73], v10, off
	s_or_b64 exec, exec, s[38:39]
	s_and_saveexec_b64 s[38:39], s[8:9]
	s_cbranch_execz .LBB401_163
.LBB401_230:
	v_sub_u32_e32 v72, v28, v4
	v_mov_b32_e32 v73, 0
	v_lshl_add_u64 v[72:73], v[72:73], 2, v[54:55]
	global_store_dword v[72:73], v11, off
	s_or_b64 exec, exec, s[38:39]
	s_and_saveexec_b64 s[38:39], s[6:7]
	s_cbranch_execz .LBB401_164
.LBB401_231:
	v_sub_u32_e32 v72, v26, v4
	v_mov_b32_e32 v73, 0
	v_lshl_add_u64 v[72:73], v[72:73], 2, v[54:55]
	global_store_dword v[72:73], v8, off
	s_or_b64 exec, exec, s[38:39]
	s_and_saveexec_b64 s[38:39], s[4:5]
	s_cbranch_execnz .LBB401_165
	s_branch .LBB401_166
.LBB401_232:
	v_sub_u32_e32 v3, v50, v4
	v_lshlrev_b32_e32 v3, 2, v3
	ds_write_b32 v3, v20
	s_or_b64 exec, exec, s[38:39]
	s_and_saveexec_b64 s[30:31], s[28:29]
	s_cbranch_execz .LBB401_170
.LBB401_233:
	v_sub_u32_e32 v3, v48, v4
	v_lshlrev_b32_e32 v3, 2, v3
	ds_write_b32 v3, v21
	s_or_b64 exec, exec, s[30:31]
	s_and_saveexec_b64 s[28:29], s[26:27]
	s_cbranch_execz .LBB401_171
.LBB401_234:
	v_sub_u32_e32 v3, v46, v4
	v_lshlrev_b32_e32 v3, 2, v3
	ds_write_b32 v3, v18
	s_or_b64 exec, exec, s[28:29]
	s_and_saveexec_b64 s[26:27], s[24:25]
	s_cbranch_execz .LBB401_172
.LBB401_235:
	v_sub_u32_e32 v3, v44, v4
	v_lshlrev_b32_e32 v3, 2, v3
	ds_write_b32 v3, v19
	s_or_b64 exec, exec, s[26:27]
	s_and_saveexec_b64 s[24:25], s[22:23]
	s_cbranch_execz .LBB401_173
.LBB401_236:
	v_sub_u32_e32 v3, v42, v4
	v_lshlrev_b32_e32 v3, 2, v3
	ds_write_b32 v3, v16
	s_or_b64 exec, exec, s[24:25]
	s_and_saveexec_b64 s[22:23], s[20:21]
	s_cbranch_execz .LBB401_174
.LBB401_237:
	v_sub_u32_e32 v3, v40, v4
	v_lshlrev_b32_e32 v3, 2, v3
	ds_write_b32 v3, v17
	s_or_b64 exec, exec, s[22:23]
	s_and_saveexec_b64 s[20:21], s[18:19]
	s_cbranch_execz .LBB401_175
.LBB401_238:
	v_sub_u32_e32 v3, v38, v4
	v_lshlrev_b32_e32 v3, 2, v3
	ds_write_b32 v3, v14
	s_or_b64 exec, exec, s[20:21]
	s_and_saveexec_b64 s[18:19], s[16:17]
	s_cbranch_execz .LBB401_176
.LBB401_239:
	v_sub_u32_e32 v3, v36, v4
	v_lshlrev_b32_e32 v3, 2, v3
	ds_write_b32 v3, v15
	s_or_b64 exec, exec, s[18:19]
	s_and_saveexec_b64 s[16:17], s[14:15]
	s_cbranch_execz .LBB401_177
.LBB401_240:
	v_sub_u32_e32 v3, v34, v4
	v_lshlrev_b32_e32 v3, 2, v3
	ds_write_b32 v3, v12
	s_or_b64 exec, exec, s[16:17]
	s_and_saveexec_b64 s[14:15], s[12:13]
	s_cbranch_execz .LBB401_178
.LBB401_241:
	v_sub_u32_e32 v3, v32, v4
	v_lshlrev_b32_e32 v3, 2, v3
	ds_write_b32 v3, v13
	s_or_b64 exec, exec, s[14:15]
	s_and_saveexec_b64 s[12:13], s[10:11]
	s_cbranch_execz .LBB401_179
.LBB401_242:
	v_sub_u32_e32 v3, v30, v4
	v_lshlrev_b32_e32 v3, 2, v3
	ds_write_b32 v3, v10
	s_or_b64 exec, exec, s[12:13]
	s_and_saveexec_b64 s[10:11], s[8:9]
	s_cbranch_execz .LBB401_180
.LBB401_243:
	v_sub_u32_e32 v3, v28, v4
	v_lshlrev_b32_e32 v3, 2, v3
	ds_write_b32 v3, v11
	s_or_b64 exec, exec, s[10:11]
	s_and_saveexec_b64 s[8:9], s[6:7]
	s_cbranch_execz .LBB401_181
.LBB401_244:
	v_sub_u32_e32 v3, v26, v4
	v_lshlrev_b32_e32 v3, 2, v3
	ds_write_b32 v3, v8
	s_or_b64 exec, exec, s[8:9]
	s_and_saveexec_b64 s[6:7], s[4:5]
	s_cbranch_execnz .LBB401_182
	s_branch .LBB401_183
.LBB401_245:
	v_sub_u32_e32 v18, v50, v3
	v_mov_b32_e32 v19, 0
	v_lshl_add_u64 v[20:21], v[18:19], 3, v[16:17]
	v_mov_b32_e32 v18, v51
	global_store_dwordx2 v[20:21], v[18:19], off
	s_or_b64 exec, exec, s[36:37]
	s_and_saveexec_b64 s[36:37], s[26:27]
	s_cbranch_execz .LBB401_187
.LBB401_246:
	v_sub_u32_e32 v18, v48, v3
	v_mov_b32_e32 v19, 0
	v_lshl_add_u64 v[20:21], v[18:19], 3, v[16:17]
	v_mov_b32_e32 v18, v49
	global_store_dwordx2 v[20:21], v[18:19], off
	s_or_b64 exec, exec, s[36:37]
	s_and_saveexec_b64 s[36:37], s[24:25]
	s_cbranch_execz .LBB401_188
.LBB401_247:
	v_sub_u32_e32 v18, v46, v3
	v_mov_b32_e32 v19, 0
	v_lshl_add_u64 v[20:21], v[18:19], 3, v[16:17]
	v_mov_b32_e32 v18, v47
	global_store_dwordx2 v[20:21], v[18:19], off
	s_or_b64 exec, exec, s[36:37]
	s_and_saveexec_b64 s[36:37], s[22:23]
	s_cbranch_execz .LBB401_189
.LBB401_248:
	v_sub_u32_e32 v18, v44, v3
	v_mov_b32_e32 v19, 0
	v_lshl_add_u64 v[20:21], v[18:19], 3, v[16:17]
	v_mov_b32_e32 v18, v45
	global_store_dwordx2 v[20:21], v[18:19], off
	s_or_b64 exec, exec, s[36:37]
	s_and_saveexec_b64 s[36:37], s[20:21]
	s_cbranch_execz .LBB401_190
.LBB401_249:
	v_sub_u32_e32 v18, v42, v3
	v_mov_b32_e32 v19, 0
	v_lshl_add_u64 v[20:21], v[18:19], 3, v[16:17]
	v_mov_b32_e32 v18, v43
	global_store_dwordx2 v[20:21], v[18:19], off
	s_or_b64 exec, exec, s[36:37]
	s_and_saveexec_b64 s[36:37], s[18:19]
	s_cbranch_execz .LBB401_191
.LBB401_250:
	v_sub_u32_e32 v18, v40, v3
	v_mov_b32_e32 v19, 0
	v_lshl_add_u64 v[20:21], v[18:19], 3, v[16:17]
	v_mov_b32_e32 v18, v41
	global_store_dwordx2 v[20:21], v[18:19], off
	s_or_b64 exec, exec, s[36:37]
	s_and_saveexec_b64 s[36:37], s[16:17]
	s_cbranch_execz .LBB401_192
.LBB401_251:
	v_sub_u32_e32 v18, v38, v3
	v_mov_b32_e32 v19, 0
	v_lshl_add_u64 v[20:21], v[18:19], 3, v[16:17]
	v_mov_b32_e32 v18, v39
	global_store_dwordx2 v[20:21], v[18:19], off
	s_or_b64 exec, exec, s[36:37]
	s_and_saveexec_b64 s[36:37], s[14:15]
	s_cbranch_execz .LBB401_193
.LBB401_252:
	v_sub_u32_e32 v18, v36, v3
	v_mov_b32_e32 v19, 0
	v_lshl_add_u64 v[20:21], v[18:19], 3, v[16:17]
	v_mov_b32_e32 v18, v37
	global_store_dwordx2 v[20:21], v[18:19], off
	s_or_b64 exec, exec, s[36:37]
	s_and_saveexec_b64 s[36:37], s[12:13]
	s_cbranch_execz .LBB401_194
.LBB401_253:
	v_sub_u32_e32 v18, v34, v3
	v_mov_b32_e32 v19, 0
	v_lshl_add_u64 v[20:21], v[18:19], 3, v[16:17]
	v_mov_b32_e32 v18, v35
	global_store_dwordx2 v[20:21], v[18:19], off
	s_or_b64 exec, exec, s[36:37]
	s_and_saveexec_b64 s[36:37], s[10:11]
	s_cbranch_execz .LBB401_195
.LBB401_254:
	v_sub_u32_e32 v18, v32, v3
	v_mov_b32_e32 v19, 0
	v_lshl_add_u64 v[20:21], v[18:19], 3, v[16:17]
	v_mov_b32_e32 v18, v33
	global_store_dwordx2 v[20:21], v[18:19], off
	s_or_b64 exec, exec, s[36:37]
	s_and_saveexec_b64 s[36:37], s[8:9]
	s_cbranch_execz .LBB401_196
.LBB401_255:
	v_sub_u32_e32 v18, v30, v3
	v_mov_b32_e32 v19, 0
	v_lshl_add_u64 v[20:21], v[18:19], 3, v[16:17]
	v_mov_b32_e32 v18, v31
	global_store_dwordx2 v[20:21], v[18:19], off
	s_or_b64 exec, exec, s[36:37]
	s_and_saveexec_b64 s[36:37], s[6:7]
	s_cbranch_execz .LBB401_197
.LBB401_256:
	v_sub_u32_e32 v18, v28, v3
	v_mov_b32_e32 v19, 0
	v_lshl_add_u64 v[20:21], v[18:19], 3, v[16:17]
	v_mov_b32_e32 v18, v29
	global_store_dwordx2 v[20:21], v[18:19], off
	s_or_b64 exec, exec, s[36:37]
	s_and_saveexec_b64 s[36:37], s[4:5]
	s_cbranch_execz .LBB401_198
.LBB401_257:
	v_sub_u32_e32 v18, v26, v3
	v_mov_b32_e32 v19, 0
	v_lshl_add_u64 v[20:21], v[18:19], 3, v[16:17]
	v_mov_b32_e32 v18, v27
	global_store_dwordx2 v[20:21], v[18:19], off
	s_or_b64 exec, exec, s[36:37]
	s_and_saveexec_b64 s[36:37], s[2:3]
	s_cbranch_execnz .LBB401_199
	s_branch .LBB401_200
.LBB401_258:
	v_sub_u32_e32 v7, v50, v3
	v_lshlrev_b32_e32 v7, 2, v7
	ds_write_b32 v7, v51
	s_or_b64 exec, exec, s[36:37]
	s_and_saveexec_b64 s[28:29], s[26:27]
	s_cbranch_execz .LBB401_204
.LBB401_259:
	v_sub_u32_e32 v7, v48, v3
	v_lshlrev_b32_e32 v7, 2, v7
	ds_write_b32 v7, v49
	s_or_b64 exec, exec, s[28:29]
	s_and_saveexec_b64 s[26:27], s[24:25]
	s_cbranch_execz .LBB401_205
.LBB401_260:
	v_sub_u32_e32 v7, v46, v3
	v_lshlrev_b32_e32 v7, 2, v7
	ds_write_b32 v7, v47
	s_or_b64 exec, exec, s[26:27]
	s_and_saveexec_b64 s[24:25], s[22:23]
	s_cbranch_execz .LBB401_206
.LBB401_261:
	v_sub_u32_e32 v7, v44, v3
	v_lshlrev_b32_e32 v7, 2, v7
	ds_write_b32 v7, v45
	s_or_b64 exec, exec, s[24:25]
	s_and_saveexec_b64 s[22:23], s[20:21]
	s_cbranch_execz .LBB401_207
.LBB401_262:
	v_sub_u32_e32 v7, v42, v3
	v_lshlrev_b32_e32 v7, 2, v7
	ds_write_b32 v7, v43
	s_or_b64 exec, exec, s[22:23]
	s_and_saveexec_b64 s[20:21], s[18:19]
	s_cbranch_execz .LBB401_208
.LBB401_263:
	v_sub_u32_e32 v7, v40, v3
	v_lshlrev_b32_e32 v7, 2, v7
	ds_write_b32 v7, v41
	s_or_b64 exec, exec, s[20:21]
	s_and_saveexec_b64 s[18:19], s[16:17]
	s_cbranch_execz .LBB401_209
.LBB401_264:
	v_sub_u32_e32 v7, v38, v3
	v_lshlrev_b32_e32 v7, 2, v7
	ds_write_b32 v7, v39
	s_or_b64 exec, exec, s[18:19]
	s_and_saveexec_b64 s[16:17], s[14:15]
	s_cbranch_execz .LBB401_210
.LBB401_265:
	v_sub_u32_e32 v7, v36, v3
	v_lshlrev_b32_e32 v7, 2, v7
	ds_write_b32 v7, v37
	s_or_b64 exec, exec, s[16:17]
	s_and_saveexec_b64 s[14:15], s[12:13]
	s_cbranch_execz .LBB401_211
.LBB401_266:
	v_sub_u32_e32 v7, v34, v3
	v_lshlrev_b32_e32 v7, 2, v7
	ds_write_b32 v7, v35
	s_or_b64 exec, exec, s[14:15]
	s_and_saveexec_b64 s[12:13], s[10:11]
	s_cbranch_execz .LBB401_212
.LBB401_267:
	v_sub_u32_e32 v7, v32, v3
	v_lshlrev_b32_e32 v7, 2, v7
	ds_write_b32 v7, v33
	s_or_b64 exec, exec, s[12:13]
	s_and_saveexec_b64 s[10:11], s[8:9]
	s_cbranch_execz .LBB401_213
.LBB401_268:
	v_sub_u32_e32 v7, v30, v3
	v_lshlrev_b32_e32 v7, 2, v7
	ds_write_b32 v7, v31
	s_or_b64 exec, exec, s[10:11]
	s_and_saveexec_b64 s[8:9], s[6:7]
	s_cbranch_execz .LBB401_214
.LBB401_269:
	v_sub_u32_e32 v7, v28, v3
	v_lshlrev_b32_e32 v7, 2, v7
	ds_write_b32 v7, v29
	s_or_b64 exec, exec, s[8:9]
	s_and_saveexec_b64 s[6:7], s[4:5]
	s_cbranch_execz .LBB401_215
.LBB401_270:
	v_sub_u32_e32 v7, v26, v3
	v_lshlrev_b32_e32 v7, 2, v7
	ds_write_b32 v7, v27
	s_or_b64 exec, exec, s[6:7]
	s_and_saveexec_b64 s[4:5], s[2:3]
	s_cbranch_execnz .LBB401_216
	s_branch .LBB401_217
	.section	.rodata,"a",@progbits
	.p2align	6, 0x0
	.amdhsa_kernel _ZN7rocprim17ROCPRIM_400000_NS6detail17trampoline_kernelINS0_14default_configENS1_33run_length_encode_config_selectorIfjNS0_4plusIjEEEEZZNS1_33reduce_by_key_impl_wrapped_configILNS1_25lookback_scan_determinismE0ES3_S7_PKfNS0_17constant_iteratorIjlEEPfPlSF_S6_NS0_8equal_toIfEEEE10hipError_tPvRmT2_T3_mT4_T5_T6_T7_T8_P12ihipStream_tbENKUlT_T0_E_clISt17integral_constantIbLb0EESY_IbLb1EEEEDaSU_SV_EUlSU_E_NS1_11comp_targetILNS1_3genE5ELNS1_11target_archE942ELNS1_3gpuE9ELNS1_3repE0EEENS1_30default_config_static_selectorELNS0_4arch9wavefront6targetE1EEEvT1_
		.amdhsa_group_segment_fixed_size 30720
		.amdhsa_private_segment_fixed_size 0
		.amdhsa_kernarg_size 128
		.amdhsa_user_sgpr_count 2
		.amdhsa_user_sgpr_dispatch_ptr 0
		.amdhsa_user_sgpr_queue_ptr 0
		.amdhsa_user_sgpr_kernarg_segment_ptr 1
		.amdhsa_user_sgpr_dispatch_id 0
		.amdhsa_user_sgpr_kernarg_preload_length 0
		.amdhsa_user_sgpr_kernarg_preload_offset 0
		.amdhsa_user_sgpr_private_segment_size 0
		.amdhsa_uses_dynamic_stack 0
		.amdhsa_enable_private_segment 0
		.amdhsa_system_sgpr_workgroup_id_x 1
		.amdhsa_system_sgpr_workgroup_id_y 0
		.amdhsa_system_sgpr_workgroup_id_z 0
		.amdhsa_system_sgpr_workgroup_info 0
		.amdhsa_system_vgpr_workitem_id 0
		.amdhsa_next_free_vgpr 104
		.amdhsa_next_free_sgpr 66
		.amdhsa_accum_offset 104
		.amdhsa_reserve_vcc 1
		.amdhsa_float_round_mode_32 0
		.amdhsa_float_round_mode_16_64 0
		.amdhsa_float_denorm_mode_32 3
		.amdhsa_float_denorm_mode_16_64 3
		.amdhsa_dx10_clamp 1
		.amdhsa_ieee_mode 1
		.amdhsa_fp16_overflow 0
		.amdhsa_tg_split 0
		.amdhsa_exception_fp_ieee_invalid_op 0
		.amdhsa_exception_fp_denorm_src 0
		.amdhsa_exception_fp_ieee_div_zero 0
		.amdhsa_exception_fp_ieee_overflow 0
		.amdhsa_exception_fp_ieee_underflow 0
		.amdhsa_exception_fp_ieee_inexact 0
		.amdhsa_exception_int_div_zero 0
	.end_amdhsa_kernel
	.section	.text._ZN7rocprim17ROCPRIM_400000_NS6detail17trampoline_kernelINS0_14default_configENS1_33run_length_encode_config_selectorIfjNS0_4plusIjEEEEZZNS1_33reduce_by_key_impl_wrapped_configILNS1_25lookback_scan_determinismE0ES3_S7_PKfNS0_17constant_iteratorIjlEEPfPlSF_S6_NS0_8equal_toIfEEEE10hipError_tPvRmT2_T3_mT4_T5_T6_T7_T8_P12ihipStream_tbENKUlT_T0_E_clISt17integral_constantIbLb0EESY_IbLb1EEEEDaSU_SV_EUlSU_E_NS1_11comp_targetILNS1_3genE5ELNS1_11target_archE942ELNS1_3gpuE9ELNS1_3repE0EEENS1_30default_config_static_selectorELNS0_4arch9wavefront6targetE1EEEvT1_,"axG",@progbits,_ZN7rocprim17ROCPRIM_400000_NS6detail17trampoline_kernelINS0_14default_configENS1_33run_length_encode_config_selectorIfjNS0_4plusIjEEEEZZNS1_33reduce_by_key_impl_wrapped_configILNS1_25lookback_scan_determinismE0ES3_S7_PKfNS0_17constant_iteratorIjlEEPfPlSF_S6_NS0_8equal_toIfEEEE10hipError_tPvRmT2_T3_mT4_T5_T6_T7_T8_P12ihipStream_tbENKUlT_T0_E_clISt17integral_constantIbLb0EESY_IbLb1EEEEDaSU_SV_EUlSU_E_NS1_11comp_targetILNS1_3genE5ELNS1_11target_archE942ELNS1_3gpuE9ELNS1_3repE0EEENS1_30default_config_static_selectorELNS0_4arch9wavefront6targetE1EEEvT1_,comdat
.Lfunc_end401:
	.size	_ZN7rocprim17ROCPRIM_400000_NS6detail17trampoline_kernelINS0_14default_configENS1_33run_length_encode_config_selectorIfjNS0_4plusIjEEEEZZNS1_33reduce_by_key_impl_wrapped_configILNS1_25lookback_scan_determinismE0ES3_S7_PKfNS0_17constant_iteratorIjlEEPfPlSF_S6_NS0_8equal_toIfEEEE10hipError_tPvRmT2_T3_mT4_T5_T6_T7_T8_P12ihipStream_tbENKUlT_T0_E_clISt17integral_constantIbLb0EESY_IbLb1EEEEDaSU_SV_EUlSU_E_NS1_11comp_targetILNS1_3genE5ELNS1_11target_archE942ELNS1_3gpuE9ELNS1_3repE0EEENS1_30default_config_static_selectorELNS0_4arch9wavefront6targetE1EEEvT1_, .Lfunc_end401-_ZN7rocprim17ROCPRIM_400000_NS6detail17trampoline_kernelINS0_14default_configENS1_33run_length_encode_config_selectorIfjNS0_4plusIjEEEEZZNS1_33reduce_by_key_impl_wrapped_configILNS1_25lookback_scan_determinismE0ES3_S7_PKfNS0_17constant_iteratorIjlEEPfPlSF_S6_NS0_8equal_toIfEEEE10hipError_tPvRmT2_T3_mT4_T5_T6_T7_T8_P12ihipStream_tbENKUlT_T0_E_clISt17integral_constantIbLb0EESY_IbLb1EEEEDaSU_SV_EUlSU_E_NS1_11comp_targetILNS1_3genE5ELNS1_11target_archE942ELNS1_3gpuE9ELNS1_3repE0EEENS1_30default_config_static_selectorELNS0_4arch9wavefront6targetE1EEEvT1_
                                        ; -- End function
	.section	.AMDGPU.csdata,"",@progbits
; Kernel info:
; codeLenInByte = 14876
; NumSgprs: 72
; NumVgprs: 104
; NumAgprs: 0
; TotalNumVgprs: 104
; ScratchSize: 0
; MemoryBound: 0
; FloatMode: 240
; IeeeMode: 1
; LDSByteSize: 30720 bytes/workgroup (compile time only)
; SGPRBlocks: 8
; VGPRBlocks: 12
; NumSGPRsForWavesPerEU: 72
; NumVGPRsForWavesPerEU: 104
; AccumOffset: 104
; Occupancy: 4
; WaveLimiterHint : 1
; COMPUTE_PGM_RSRC2:SCRATCH_EN: 0
; COMPUTE_PGM_RSRC2:USER_SGPR: 2
; COMPUTE_PGM_RSRC2:TRAP_HANDLER: 0
; COMPUTE_PGM_RSRC2:TGID_X_EN: 1
; COMPUTE_PGM_RSRC2:TGID_Y_EN: 0
; COMPUTE_PGM_RSRC2:TGID_Z_EN: 0
; COMPUTE_PGM_RSRC2:TIDIG_COMP_CNT: 0
; COMPUTE_PGM_RSRC3_GFX90A:ACCUM_OFFSET: 25
; COMPUTE_PGM_RSRC3_GFX90A:TG_SPLIT: 0
	.section	.text._ZN7rocprim17ROCPRIM_400000_NS6detail17trampoline_kernelINS0_14default_configENS1_33run_length_encode_config_selectorIfjNS0_4plusIjEEEEZZNS1_33reduce_by_key_impl_wrapped_configILNS1_25lookback_scan_determinismE0ES3_S7_PKfNS0_17constant_iteratorIjlEEPfPlSF_S6_NS0_8equal_toIfEEEE10hipError_tPvRmT2_T3_mT4_T5_T6_T7_T8_P12ihipStream_tbENKUlT_T0_E_clISt17integral_constantIbLb0EESY_IbLb1EEEEDaSU_SV_EUlSU_E_NS1_11comp_targetILNS1_3genE4ELNS1_11target_archE910ELNS1_3gpuE8ELNS1_3repE0EEENS1_30default_config_static_selectorELNS0_4arch9wavefront6targetE1EEEvT1_,"axG",@progbits,_ZN7rocprim17ROCPRIM_400000_NS6detail17trampoline_kernelINS0_14default_configENS1_33run_length_encode_config_selectorIfjNS0_4plusIjEEEEZZNS1_33reduce_by_key_impl_wrapped_configILNS1_25lookback_scan_determinismE0ES3_S7_PKfNS0_17constant_iteratorIjlEEPfPlSF_S6_NS0_8equal_toIfEEEE10hipError_tPvRmT2_T3_mT4_T5_T6_T7_T8_P12ihipStream_tbENKUlT_T0_E_clISt17integral_constantIbLb0EESY_IbLb1EEEEDaSU_SV_EUlSU_E_NS1_11comp_targetILNS1_3genE4ELNS1_11target_archE910ELNS1_3gpuE8ELNS1_3repE0EEENS1_30default_config_static_selectorELNS0_4arch9wavefront6targetE1EEEvT1_,comdat
	.protected	_ZN7rocprim17ROCPRIM_400000_NS6detail17trampoline_kernelINS0_14default_configENS1_33run_length_encode_config_selectorIfjNS0_4plusIjEEEEZZNS1_33reduce_by_key_impl_wrapped_configILNS1_25lookback_scan_determinismE0ES3_S7_PKfNS0_17constant_iteratorIjlEEPfPlSF_S6_NS0_8equal_toIfEEEE10hipError_tPvRmT2_T3_mT4_T5_T6_T7_T8_P12ihipStream_tbENKUlT_T0_E_clISt17integral_constantIbLb0EESY_IbLb1EEEEDaSU_SV_EUlSU_E_NS1_11comp_targetILNS1_3genE4ELNS1_11target_archE910ELNS1_3gpuE8ELNS1_3repE0EEENS1_30default_config_static_selectorELNS0_4arch9wavefront6targetE1EEEvT1_ ; -- Begin function _ZN7rocprim17ROCPRIM_400000_NS6detail17trampoline_kernelINS0_14default_configENS1_33run_length_encode_config_selectorIfjNS0_4plusIjEEEEZZNS1_33reduce_by_key_impl_wrapped_configILNS1_25lookback_scan_determinismE0ES3_S7_PKfNS0_17constant_iteratorIjlEEPfPlSF_S6_NS0_8equal_toIfEEEE10hipError_tPvRmT2_T3_mT4_T5_T6_T7_T8_P12ihipStream_tbENKUlT_T0_E_clISt17integral_constantIbLb0EESY_IbLb1EEEEDaSU_SV_EUlSU_E_NS1_11comp_targetILNS1_3genE4ELNS1_11target_archE910ELNS1_3gpuE8ELNS1_3repE0EEENS1_30default_config_static_selectorELNS0_4arch9wavefront6targetE1EEEvT1_
	.globl	_ZN7rocprim17ROCPRIM_400000_NS6detail17trampoline_kernelINS0_14default_configENS1_33run_length_encode_config_selectorIfjNS0_4plusIjEEEEZZNS1_33reduce_by_key_impl_wrapped_configILNS1_25lookback_scan_determinismE0ES3_S7_PKfNS0_17constant_iteratorIjlEEPfPlSF_S6_NS0_8equal_toIfEEEE10hipError_tPvRmT2_T3_mT4_T5_T6_T7_T8_P12ihipStream_tbENKUlT_T0_E_clISt17integral_constantIbLb0EESY_IbLb1EEEEDaSU_SV_EUlSU_E_NS1_11comp_targetILNS1_3genE4ELNS1_11target_archE910ELNS1_3gpuE8ELNS1_3repE0EEENS1_30default_config_static_selectorELNS0_4arch9wavefront6targetE1EEEvT1_
	.p2align	8
	.type	_ZN7rocprim17ROCPRIM_400000_NS6detail17trampoline_kernelINS0_14default_configENS1_33run_length_encode_config_selectorIfjNS0_4plusIjEEEEZZNS1_33reduce_by_key_impl_wrapped_configILNS1_25lookback_scan_determinismE0ES3_S7_PKfNS0_17constant_iteratorIjlEEPfPlSF_S6_NS0_8equal_toIfEEEE10hipError_tPvRmT2_T3_mT4_T5_T6_T7_T8_P12ihipStream_tbENKUlT_T0_E_clISt17integral_constantIbLb0EESY_IbLb1EEEEDaSU_SV_EUlSU_E_NS1_11comp_targetILNS1_3genE4ELNS1_11target_archE910ELNS1_3gpuE8ELNS1_3repE0EEENS1_30default_config_static_selectorELNS0_4arch9wavefront6targetE1EEEvT1_,@function
_ZN7rocprim17ROCPRIM_400000_NS6detail17trampoline_kernelINS0_14default_configENS1_33run_length_encode_config_selectorIfjNS0_4plusIjEEEEZZNS1_33reduce_by_key_impl_wrapped_configILNS1_25lookback_scan_determinismE0ES3_S7_PKfNS0_17constant_iteratorIjlEEPfPlSF_S6_NS0_8equal_toIfEEEE10hipError_tPvRmT2_T3_mT4_T5_T6_T7_T8_P12ihipStream_tbENKUlT_T0_E_clISt17integral_constantIbLb0EESY_IbLb1EEEEDaSU_SV_EUlSU_E_NS1_11comp_targetILNS1_3genE4ELNS1_11target_archE910ELNS1_3gpuE8ELNS1_3repE0EEENS1_30default_config_static_selectorELNS0_4arch9wavefront6targetE1EEEvT1_: ; @_ZN7rocprim17ROCPRIM_400000_NS6detail17trampoline_kernelINS0_14default_configENS1_33run_length_encode_config_selectorIfjNS0_4plusIjEEEEZZNS1_33reduce_by_key_impl_wrapped_configILNS1_25lookback_scan_determinismE0ES3_S7_PKfNS0_17constant_iteratorIjlEEPfPlSF_S6_NS0_8equal_toIfEEEE10hipError_tPvRmT2_T3_mT4_T5_T6_T7_T8_P12ihipStream_tbENKUlT_T0_E_clISt17integral_constantIbLb0EESY_IbLb1EEEEDaSU_SV_EUlSU_E_NS1_11comp_targetILNS1_3genE4ELNS1_11target_archE910ELNS1_3gpuE8ELNS1_3repE0EEENS1_30default_config_static_selectorELNS0_4arch9wavefront6targetE1EEEvT1_
; %bb.0:
	.section	.rodata,"a",@progbits
	.p2align	6, 0x0
	.amdhsa_kernel _ZN7rocprim17ROCPRIM_400000_NS6detail17trampoline_kernelINS0_14default_configENS1_33run_length_encode_config_selectorIfjNS0_4plusIjEEEEZZNS1_33reduce_by_key_impl_wrapped_configILNS1_25lookback_scan_determinismE0ES3_S7_PKfNS0_17constant_iteratorIjlEEPfPlSF_S6_NS0_8equal_toIfEEEE10hipError_tPvRmT2_T3_mT4_T5_T6_T7_T8_P12ihipStream_tbENKUlT_T0_E_clISt17integral_constantIbLb0EESY_IbLb1EEEEDaSU_SV_EUlSU_E_NS1_11comp_targetILNS1_3genE4ELNS1_11target_archE910ELNS1_3gpuE8ELNS1_3repE0EEENS1_30default_config_static_selectorELNS0_4arch9wavefront6targetE1EEEvT1_
		.amdhsa_group_segment_fixed_size 0
		.amdhsa_private_segment_fixed_size 0
		.amdhsa_kernarg_size 128
		.amdhsa_user_sgpr_count 2
		.amdhsa_user_sgpr_dispatch_ptr 0
		.amdhsa_user_sgpr_queue_ptr 0
		.amdhsa_user_sgpr_kernarg_segment_ptr 1
		.amdhsa_user_sgpr_dispatch_id 0
		.amdhsa_user_sgpr_kernarg_preload_length 0
		.amdhsa_user_sgpr_kernarg_preload_offset 0
		.amdhsa_user_sgpr_private_segment_size 0
		.amdhsa_uses_dynamic_stack 0
		.amdhsa_enable_private_segment 0
		.amdhsa_system_sgpr_workgroup_id_x 1
		.amdhsa_system_sgpr_workgroup_id_y 0
		.amdhsa_system_sgpr_workgroup_id_z 0
		.amdhsa_system_sgpr_workgroup_info 0
		.amdhsa_system_vgpr_workitem_id 0
		.amdhsa_next_free_vgpr 1
		.amdhsa_next_free_sgpr 0
		.amdhsa_accum_offset 4
		.amdhsa_reserve_vcc 0
		.amdhsa_float_round_mode_32 0
		.amdhsa_float_round_mode_16_64 0
		.amdhsa_float_denorm_mode_32 3
		.amdhsa_float_denorm_mode_16_64 3
		.amdhsa_dx10_clamp 1
		.amdhsa_ieee_mode 1
		.amdhsa_fp16_overflow 0
		.amdhsa_tg_split 0
		.amdhsa_exception_fp_ieee_invalid_op 0
		.amdhsa_exception_fp_denorm_src 0
		.amdhsa_exception_fp_ieee_div_zero 0
		.amdhsa_exception_fp_ieee_overflow 0
		.amdhsa_exception_fp_ieee_underflow 0
		.amdhsa_exception_fp_ieee_inexact 0
		.amdhsa_exception_int_div_zero 0
	.end_amdhsa_kernel
	.section	.text._ZN7rocprim17ROCPRIM_400000_NS6detail17trampoline_kernelINS0_14default_configENS1_33run_length_encode_config_selectorIfjNS0_4plusIjEEEEZZNS1_33reduce_by_key_impl_wrapped_configILNS1_25lookback_scan_determinismE0ES3_S7_PKfNS0_17constant_iteratorIjlEEPfPlSF_S6_NS0_8equal_toIfEEEE10hipError_tPvRmT2_T3_mT4_T5_T6_T7_T8_P12ihipStream_tbENKUlT_T0_E_clISt17integral_constantIbLb0EESY_IbLb1EEEEDaSU_SV_EUlSU_E_NS1_11comp_targetILNS1_3genE4ELNS1_11target_archE910ELNS1_3gpuE8ELNS1_3repE0EEENS1_30default_config_static_selectorELNS0_4arch9wavefront6targetE1EEEvT1_,"axG",@progbits,_ZN7rocprim17ROCPRIM_400000_NS6detail17trampoline_kernelINS0_14default_configENS1_33run_length_encode_config_selectorIfjNS0_4plusIjEEEEZZNS1_33reduce_by_key_impl_wrapped_configILNS1_25lookback_scan_determinismE0ES3_S7_PKfNS0_17constant_iteratorIjlEEPfPlSF_S6_NS0_8equal_toIfEEEE10hipError_tPvRmT2_T3_mT4_T5_T6_T7_T8_P12ihipStream_tbENKUlT_T0_E_clISt17integral_constantIbLb0EESY_IbLb1EEEEDaSU_SV_EUlSU_E_NS1_11comp_targetILNS1_3genE4ELNS1_11target_archE910ELNS1_3gpuE8ELNS1_3repE0EEENS1_30default_config_static_selectorELNS0_4arch9wavefront6targetE1EEEvT1_,comdat
.Lfunc_end402:
	.size	_ZN7rocprim17ROCPRIM_400000_NS6detail17trampoline_kernelINS0_14default_configENS1_33run_length_encode_config_selectorIfjNS0_4plusIjEEEEZZNS1_33reduce_by_key_impl_wrapped_configILNS1_25lookback_scan_determinismE0ES3_S7_PKfNS0_17constant_iteratorIjlEEPfPlSF_S6_NS0_8equal_toIfEEEE10hipError_tPvRmT2_T3_mT4_T5_T6_T7_T8_P12ihipStream_tbENKUlT_T0_E_clISt17integral_constantIbLb0EESY_IbLb1EEEEDaSU_SV_EUlSU_E_NS1_11comp_targetILNS1_3genE4ELNS1_11target_archE910ELNS1_3gpuE8ELNS1_3repE0EEENS1_30default_config_static_selectorELNS0_4arch9wavefront6targetE1EEEvT1_, .Lfunc_end402-_ZN7rocprim17ROCPRIM_400000_NS6detail17trampoline_kernelINS0_14default_configENS1_33run_length_encode_config_selectorIfjNS0_4plusIjEEEEZZNS1_33reduce_by_key_impl_wrapped_configILNS1_25lookback_scan_determinismE0ES3_S7_PKfNS0_17constant_iteratorIjlEEPfPlSF_S6_NS0_8equal_toIfEEEE10hipError_tPvRmT2_T3_mT4_T5_T6_T7_T8_P12ihipStream_tbENKUlT_T0_E_clISt17integral_constantIbLb0EESY_IbLb1EEEEDaSU_SV_EUlSU_E_NS1_11comp_targetILNS1_3genE4ELNS1_11target_archE910ELNS1_3gpuE8ELNS1_3repE0EEENS1_30default_config_static_selectorELNS0_4arch9wavefront6targetE1EEEvT1_
                                        ; -- End function
	.section	.AMDGPU.csdata,"",@progbits
; Kernel info:
; codeLenInByte = 0
; NumSgprs: 6
; NumVgprs: 0
; NumAgprs: 0
; TotalNumVgprs: 0
; ScratchSize: 0
; MemoryBound: 0
; FloatMode: 240
; IeeeMode: 1
; LDSByteSize: 0 bytes/workgroup (compile time only)
; SGPRBlocks: 0
; VGPRBlocks: 0
; NumSGPRsForWavesPerEU: 6
; NumVGPRsForWavesPerEU: 1
; AccumOffset: 4
; Occupancy: 8
; WaveLimiterHint : 0
; COMPUTE_PGM_RSRC2:SCRATCH_EN: 0
; COMPUTE_PGM_RSRC2:USER_SGPR: 2
; COMPUTE_PGM_RSRC2:TRAP_HANDLER: 0
; COMPUTE_PGM_RSRC2:TGID_X_EN: 1
; COMPUTE_PGM_RSRC2:TGID_Y_EN: 0
; COMPUTE_PGM_RSRC2:TGID_Z_EN: 0
; COMPUTE_PGM_RSRC2:TIDIG_COMP_CNT: 0
; COMPUTE_PGM_RSRC3_GFX90A:ACCUM_OFFSET: 0
; COMPUTE_PGM_RSRC3_GFX90A:TG_SPLIT: 0
	.section	.text._ZN7rocprim17ROCPRIM_400000_NS6detail17trampoline_kernelINS0_14default_configENS1_33run_length_encode_config_selectorIfjNS0_4plusIjEEEEZZNS1_33reduce_by_key_impl_wrapped_configILNS1_25lookback_scan_determinismE0ES3_S7_PKfNS0_17constant_iteratorIjlEEPfPlSF_S6_NS0_8equal_toIfEEEE10hipError_tPvRmT2_T3_mT4_T5_T6_T7_T8_P12ihipStream_tbENKUlT_T0_E_clISt17integral_constantIbLb0EESY_IbLb1EEEEDaSU_SV_EUlSU_E_NS1_11comp_targetILNS1_3genE3ELNS1_11target_archE908ELNS1_3gpuE7ELNS1_3repE0EEENS1_30default_config_static_selectorELNS0_4arch9wavefront6targetE1EEEvT1_,"axG",@progbits,_ZN7rocprim17ROCPRIM_400000_NS6detail17trampoline_kernelINS0_14default_configENS1_33run_length_encode_config_selectorIfjNS0_4plusIjEEEEZZNS1_33reduce_by_key_impl_wrapped_configILNS1_25lookback_scan_determinismE0ES3_S7_PKfNS0_17constant_iteratorIjlEEPfPlSF_S6_NS0_8equal_toIfEEEE10hipError_tPvRmT2_T3_mT4_T5_T6_T7_T8_P12ihipStream_tbENKUlT_T0_E_clISt17integral_constantIbLb0EESY_IbLb1EEEEDaSU_SV_EUlSU_E_NS1_11comp_targetILNS1_3genE3ELNS1_11target_archE908ELNS1_3gpuE7ELNS1_3repE0EEENS1_30default_config_static_selectorELNS0_4arch9wavefront6targetE1EEEvT1_,comdat
	.protected	_ZN7rocprim17ROCPRIM_400000_NS6detail17trampoline_kernelINS0_14default_configENS1_33run_length_encode_config_selectorIfjNS0_4plusIjEEEEZZNS1_33reduce_by_key_impl_wrapped_configILNS1_25lookback_scan_determinismE0ES3_S7_PKfNS0_17constant_iteratorIjlEEPfPlSF_S6_NS0_8equal_toIfEEEE10hipError_tPvRmT2_T3_mT4_T5_T6_T7_T8_P12ihipStream_tbENKUlT_T0_E_clISt17integral_constantIbLb0EESY_IbLb1EEEEDaSU_SV_EUlSU_E_NS1_11comp_targetILNS1_3genE3ELNS1_11target_archE908ELNS1_3gpuE7ELNS1_3repE0EEENS1_30default_config_static_selectorELNS0_4arch9wavefront6targetE1EEEvT1_ ; -- Begin function _ZN7rocprim17ROCPRIM_400000_NS6detail17trampoline_kernelINS0_14default_configENS1_33run_length_encode_config_selectorIfjNS0_4plusIjEEEEZZNS1_33reduce_by_key_impl_wrapped_configILNS1_25lookback_scan_determinismE0ES3_S7_PKfNS0_17constant_iteratorIjlEEPfPlSF_S6_NS0_8equal_toIfEEEE10hipError_tPvRmT2_T3_mT4_T5_T6_T7_T8_P12ihipStream_tbENKUlT_T0_E_clISt17integral_constantIbLb0EESY_IbLb1EEEEDaSU_SV_EUlSU_E_NS1_11comp_targetILNS1_3genE3ELNS1_11target_archE908ELNS1_3gpuE7ELNS1_3repE0EEENS1_30default_config_static_selectorELNS0_4arch9wavefront6targetE1EEEvT1_
	.globl	_ZN7rocprim17ROCPRIM_400000_NS6detail17trampoline_kernelINS0_14default_configENS1_33run_length_encode_config_selectorIfjNS0_4plusIjEEEEZZNS1_33reduce_by_key_impl_wrapped_configILNS1_25lookback_scan_determinismE0ES3_S7_PKfNS0_17constant_iteratorIjlEEPfPlSF_S6_NS0_8equal_toIfEEEE10hipError_tPvRmT2_T3_mT4_T5_T6_T7_T8_P12ihipStream_tbENKUlT_T0_E_clISt17integral_constantIbLb0EESY_IbLb1EEEEDaSU_SV_EUlSU_E_NS1_11comp_targetILNS1_3genE3ELNS1_11target_archE908ELNS1_3gpuE7ELNS1_3repE0EEENS1_30default_config_static_selectorELNS0_4arch9wavefront6targetE1EEEvT1_
	.p2align	8
	.type	_ZN7rocprim17ROCPRIM_400000_NS6detail17trampoline_kernelINS0_14default_configENS1_33run_length_encode_config_selectorIfjNS0_4plusIjEEEEZZNS1_33reduce_by_key_impl_wrapped_configILNS1_25lookback_scan_determinismE0ES3_S7_PKfNS0_17constant_iteratorIjlEEPfPlSF_S6_NS0_8equal_toIfEEEE10hipError_tPvRmT2_T3_mT4_T5_T6_T7_T8_P12ihipStream_tbENKUlT_T0_E_clISt17integral_constantIbLb0EESY_IbLb1EEEEDaSU_SV_EUlSU_E_NS1_11comp_targetILNS1_3genE3ELNS1_11target_archE908ELNS1_3gpuE7ELNS1_3repE0EEENS1_30default_config_static_selectorELNS0_4arch9wavefront6targetE1EEEvT1_,@function
_ZN7rocprim17ROCPRIM_400000_NS6detail17trampoline_kernelINS0_14default_configENS1_33run_length_encode_config_selectorIfjNS0_4plusIjEEEEZZNS1_33reduce_by_key_impl_wrapped_configILNS1_25lookback_scan_determinismE0ES3_S7_PKfNS0_17constant_iteratorIjlEEPfPlSF_S6_NS0_8equal_toIfEEEE10hipError_tPvRmT2_T3_mT4_T5_T6_T7_T8_P12ihipStream_tbENKUlT_T0_E_clISt17integral_constantIbLb0EESY_IbLb1EEEEDaSU_SV_EUlSU_E_NS1_11comp_targetILNS1_3genE3ELNS1_11target_archE908ELNS1_3gpuE7ELNS1_3repE0EEENS1_30default_config_static_selectorELNS0_4arch9wavefront6targetE1EEEvT1_: ; @_ZN7rocprim17ROCPRIM_400000_NS6detail17trampoline_kernelINS0_14default_configENS1_33run_length_encode_config_selectorIfjNS0_4plusIjEEEEZZNS1_33reduce_by_key_impl_wrapped_configILNS1_25lookback_scan_determinismE0ES3_S7_PKfNS0_17constant_iteratorIjlEEPfPlSF_S6_NS0_8equal_toIfEEEE10hipError_tPvRmT2_T3_mT4_T5_T6_T7_T8_P12ihipStream_tbENKUlT_T0_E_clISt17integral_constantIbLb0EESY_IbLb1EEEEDaSU_SV_EUlSU_E_NS1_11comp_targetILNS1_3genE3ELNS1_11target_archE908ELNS1_3gpuE7ELNS1_3repE0EEENS1_30default_config_static_selectorELNS0_4arch9wavefront6targetE1EEEvT1_
; %bb.0:
	.section	.rodata,"a",@progbits
	.p2align	6, 0x0
	.amdhsa_kernel _ZN7rocprim17ROCPRIM_400000_NS6detail17trampoline_kernelINS0_14default_configENS1_33run_length_encode_config_selectorIfjNS0_4plusIjEEEEZZNS1_33reduce_by_key_impl_wrapped_configILNS1_25lookback_scan_determinismE0ES3_S7_PKfNS0_17constant_iteratorIjlEEPfPlSF_S6_NS0_8equal_toIfEEEE10hipError_tPvRmT2_T3_mT4_T5_T6_T7_T8_P12ihipStream_tbENKUlT_T0_E_clISt17integral_constantIbLb0EESY_IbLb1EEEEDaSU_SV_EUlSU_E_NS1_11comp_targetILNS1_3genE3ELNS1_11target_archE908ELNS1_3gpuE7ELNS1_3repE0EEENS1_30default_config_static_selectorELNS0_4arch9wavefront6targetE1EEEvT1_
		.amdhsa_group_segment_fixed_size 0
		.amdhsa_private_segment_fixed_size 0
		.amdhsa_kernarg_size 128
		.amdhsa_user_sgpr_count 2
		.amdhsa_user_sgpr_dispatch_ptr 0
		.amdhsa_user_sgpr_queue_ptr 0
		.amdhsa_user_sgpr_kernarg_segment_ptr 1
		.amdhsa_user_sgpr_dispatch_id 0
		.amdhsa_user_sgpr_kernarg_preload_length 0
		.amdhsa_user_sgpr_kernarg_preload_offset 0
		.amdhsa_user_sgpr_private_segment_size 0
		.amdhsa_uses_dynamic_stack 0
		.amdhsa_enable_private_segment 0
		.amdhsa_system_sgpr_workgroup_id_x 1
		.amdhsa_system_sgpr_workgroup_id_y 0
		.amdhsa_system_sgpr_workgroup_id_z 0
		.amdhsa_system_sgpr_workgroup_info 0
		.amdhsa_system_vgpr_workitem_id 0
		.amdhsa_next_free_vgpr 1
		.amdhsa_next_free_sgpr 0
		.amdhsa_accum_offset 4
		.amdhsa_reserve_vcc 0
		.amdhsa_float_round_mode_32 0
		.amdhsa_float_round_mode_16_64 0
		.amdhsa_float_denorm_mode_32 3
		.amdhsa_float_denorm_mode_16_64 3
		.amdhsa_dx10_clamp 1
		.amdhsa_ieee_mode 1
		.amdhsa_fp16_overflow 0
		.amdhsa_tg_split 0
		.amdhsa_exception_fp_ieee_invalid_op 0
		.amdhsa_exception_fp_denorm_src 0
		.amdhsa_exception_fp_ieee_div_zero 0
		.amdhsa_exception_fp_ieee_overflow 0
		.amdhsa_exception_fp_ieee_underflow 0
		.amdhsa_exception_fp_ieee_inexact 0
		.amdhsa_exception_int_div_zero 0
	.end_amdhsa_kernel
	.section	.text._ZN7rocprim17ROCPRIM_400000_NS6detail17trampoline_kernelINS0_14default_configENS1_33run_length_encode_config_selectorIfjNS0_4plusIjEEEEZZNS1_33reduce_by_key_impl_wrapped_configILNS1_25lookback_scan_determinismE0ES3_S7_PKfNS0_17constant_iteratorIjlEEPfPlSF_S6_NS0_8equal_toIfEEEE10hipError_tPvRmT2_T3_mT4_T5_T6_T7_T8_P12ihipStream_tbENKUlT_T0_E_clISt17integral_constantIbLb0EESY_IbLb1EEEEDaSU_SV_EUlSU_E_NS1_11comp_targetILNS1_3genE3ELNS1_11target_archE908ELNS1_3gpuE7ELNS1_3repE0EEENS1_30default_config_static_selectorELNS0_4arch9wavefront6targetE1EEEvT1_,"axG",@progbits,_ZN7rocprim17ROCPRIM_400000_NS6detail17trampoline_kernelINS0_14default_configENS1_33run_length_encode_config_selectorIfjNS0_4plusIjEEEEZZNS1_33reduce_by_key_impl_wrapped_configILNS1_25lookback_scan_determinismE0ES3_S7_PKfNS0_17constant_iteratorIjlEEPfPlSF_S6_NS0_8equal_toIfEEEE10hipError_tPvRmT2_T3_mT4_T5_T6_T7_T8_P12ihipStream_tbENKUlT_T0_E_clISt17integral_constantIbLb0EESY_IbLb1EEEEDaSU_SV_EUlSU_E_NS1_11comp_targetILNS1_3genE3ELNS1_11target_archE908ELNS1_3gpuE7ELNS1_3repE0EEENS1_30default_config_static_selectorELNS0_4arch9wavefront6targetE1EEEvT1_,comdat
.Lfunc_end403:
	.size	_ZN7rocprim17ROCPRIM_400000_NS6detail17trampoline_kernelINS0_14default_configENS1_33run_length_encode_config_selectorIfjNS0_4plusIjEEEEZZNS1_33reduce_by_key_impl_wrapped_configILNS1_25lookback_scan_determinismE0ES3_S7_PKfNS0_17constant_iteratorIjlEEPfPlSF_S6_NS0_8equal_toIfEEEE10hipError_tPvRmT2_T3_mT4_T5_T6_T7_T8_P12ihipStream_tbENKUlT_T0_E_clISt17integral_constantIbLb0EESY_IbLb1EEEEDaSU_SV_EUlSU_E_NS1_11comp_targetILNS1_3genE3ELNS1_11target_archE908ELNS1_3gpuE7ELNS1_3repE0EEENS1_30default_config_static_selectorELNS0_4arch9wavefront6targetE1EEEvT1_, .Lfunc_end403-_ZN7rocprim17ROCPRIM_400000_NS6detail17trampoline_kernelINS0_14default_configENS1_33run_length_encode_config_selectorIfjNS0_4plusIjEEEEZZNS1_33reduce_by_key_impl_wrapped_configILNS1_25lookback_scan_determinismE0ES3_S7_PKfNS0_17constant_iteratorIjlEEPfPlSF_S6_NS0_8equal_toIfEEEE10hipError_tPvRmT2_T3_mT4_T5_T6_T7_T8_P12ihipStream_tbENKUlT_T0_E_clISt17integral_constantIbLb0EESY_IbLb1EEEEDaSU_SV_EUlSU_E_NS1_11comp_targetILNS1_3genE3ELNS1_11target_archE908ELNS1_3gpuE7ELNS1_3repE0EEENS1_30default_config_static_selectorELNS0_4arch9wavefront6targetE1EEEvT1_
                                        ; -- End function
	.section	.AMDGPU.csdata,"",@progbits
; Kernel info:
; codeLenInByte = 0
; NumSgprs: 6
; NumVgprs: 0
; NumAgprs: 0
; TotalNumVgprs: 0
; ScratchSize: 0
; MemoryBound: 0
; FloatMode: 240
; IeeeMode: 1
; LDSByteSize: 0 bytes/workgroup (compile time only)
; SGPRBlocks: 0
; VGPRBlocks: 0
; NumSGPRsForWavesPerEU: 6
; NumVGPRsForWavesPerEU: 1
; AccumOffset: 4
; Occupancy: 8
; WaveLimiterHint : 0
; COMPUTE_PGM_RSRC2:SCRATCH_EN: 0
; COMPUTE_PGM_RSRC2:USER_SGPR: 2
; COMPUTE_PGM_RSRC2:TRAP_HANDLER: 0
; COMPUTE_PGM_RSRC2:TGID_X_EN: 1
; COMPUTE_PGM_RSRC2:TGID_Y_EN: 0
; COMPUTE_PGM_RSRC2:TGID_Z_EN: 0
; COMPUTE_PGM_RSRC2:TIDIG_COMP_CNT: 0
; COMPUTE_PGM_RSRC3_GFX90A:ACCUM_OFFSET: 0
; COMPUTE_PGM_RSRC3_GFX90A:TG_SPLIT: 0
	.section	.text._ZN7rocprim17ROCPRIM_400000_NS6detail17trampoline_kernelINS0_14default_configENS1_33run_length_encode_config_selectorIfjNS0_4plusIjEEEEZZNS1_33reduce_by_key_impl_wrapped_configILNS1_25lookback_scan_determinismE0ES3_S7_PKfNS0_17constant_iteratorIjlEEPfPlSF_S6_NS0_8equal_toIfEEEE10hipError_tPvRmT2_T3_mT4_T5_T6_T7_T8_P12ihipStream_tbENKUlT_T0_E_clISt17integral_constantIbLb0EESY_IbLb1EEEEDaSU_SV_EUlSU_E_NS1_11comp_targetILNS1_3genE2ELNS1_11target_archE906ELNS1_3gpuE6ELNS1_3repE0EEENS1_30default_config_static_selectorELNS0_4arch9wavefront6targetE1EEEvT1_,"axG",@progbits,_ZN7rocprim17ROCPRIM_400000_NS6detail17trampoline_kernelINS0_14default_configENS1_33run_length_encode_config_selectorIfjNS0_4plusIjEEEEZZNS1_33reduce_by_key_impl_wrapped_configILNS1_25lookback_scan_determinismE0ES3_S7_PKfNS0_17constant_iteratorIjlEEPfPlSF_S6_NS0_8equal_toIfEEEE10hipError_tPvRmT2_T3_mT4_T5_T6_T7_T8_P12ihipStream_tbENKUlT_T0_E_clISt17integral_constantIbLb0EESY_IbLb1EEEEDaSU_SV_EUlSU_E_NS1_11comp_targetILNS1_3genE2ELNS1_11target_archE906ELNS1_3gpuE6ELNS1_3repE0EEENS1_30default_config_static_selectorELNS0_4arch9wavefront6targetE1EEEvT1_,comdat
	.protected	_ZN7rocprim17ROCPRIM_400000_NS6detail17trampoline_kernelINS0_14default_configENS1_33run_length_encode_config_selectorIfjNS0_4plusIjEEEEZZNS1_33reduce_by_key_impl_wrapped_configILNS1_25lookback_scan_determinismE0ES3_S7_PKfNS0_17constant_iteratorIjlEEPfPlSF_S6_NS0_8equal_toIfEEEE10hipError_tPvRmT2_T3_mT4_T5_T6_T7_T8_P12ihipStream_tbENKUlT_T0_E_clISt17integral_constantIbLb0EESY_IbLb1EEEEDaSU_SV_EUlSU_E_NS1_11comp_targetILNS1_3genE2ELNS1_11target_archE906ELNS1_3gpuE6ELNS1_3repE0EEENS1_30default_config_static_selectorELNS0_4arch9wavefront6targetE1EEEvT1_ ; -- Begin function _ZN7rocprim17ROCPRIM_400000_NS6detail17trampoline_kernelINS0_14default_configENS1_33run_length_encode_config_selectorIfjNS0_4plusIjEEEEZZNS1_33reduce_by_key_impl_wrapped_configILNS1_25lookback_scan_determinismE0ES3_S7_PKfNS0_17constant_iteratorIjlEEPfPlSF_S6_NS0_8equal_toIfEEEE10hipError_tPvRmT2_T3_mT4_T5_T6_T7_T8_P12ihipStream_tbENKUlT_T0_E_clISt17integral_constantIbLb0EESY_IbLb1EEEEDaSU_SV_EUlSU_E_NS1_11comp_targetILNS1_3genE2ELNS1_11target_archE906ELNS1_3gpuE6ELNS1_3repE0EEENS1_30default_config_static_selectorELNS0_4arch9wavefront6targetE1EEEvT1_
	.globl	_ZN7rocprim17ROCPRIM_400000_NS6detail17trampoline_kernelINS0_14default_configENS1_33run_length_encode_config_selectorIfjNS0_4plusIjEEEEZZNS1_33reduce_by_key_impl_wrapped_configILNS1_25lookback_scan_determinismE0ES3_S7_PKfNS0_17constant_iteratorIjlEEPfPlSF_S6_NS0_8equal_toIfEEEE10hipError_tPvRmT2_T3_mT4_T5_T6_T7_T8_P12ihipStream_tbENKUlT_T0_E_clISt17integral_constantIbLb0EESY_IbLb1EEEEDaSU_SV_EUlSU_E_NS1_11comp_targetILNS1_3genE2ELNS1_11target_archE906ELNS1_3gpuE6ELNS1_3repE0EEENS1_30default_config_static_selectorELNS0_4arch9wavefront6targetE1EEEvT1_
	.p2align	8
	.type	_ZN7rocprim17ROCPRIM_400000_NS6detail17trampoline_kernelINS0_14default_configENS1_33run_length_encode_config_selectorIfjNS0_4plusIjEEEEZZNS1_33reduce_by_key_impl_wrapped_configILNS1_25lookback_scan_determinismE0ES3_S7_PKfNS0_17constant_iteratorIjlEEPfPlSF_S6_NS0_8equal_toIfEEEE10hipError_tPvRmT2_T3_mT4_T5_T6_T7_T8_P12ihipStream_tbENKUlT_T0_E_clISt17integral_constantIbLb0EESY_IbLb1EEEEDaSU_SV_EUlSU_E_NS1_11comp_targetILNS1_3genE2ELNS1_11target_archE906ELNS1_3gpuE6ELNS1_3repE0EEENS1_30default_config_static_selectorELNS0_4arch9wavefront6targetE1EEEvT1_,@function
_ZN7rocprim17ROCPRIM_400000_NS6detail17trampoline_kernelINS0_14default_configENS1_33run_length_encode_config_selectorIfjNS0_4plusIjEEEEZZNS1_33reduce_by_key_impl_wrapped_configILNS1_25lookback_scan_determinismE0ES3_S7_PKfNS0_17constant_iteratorIjlEEPfPlSF_S6_NS0_8equal_toIfEEEE10hipError_tPvRmT2_T3_mT4_T5_T6_T7_T8_P12ihipStream_tbENKUlT_T0_E_clISt17integral_constantIbLb0EESY_IbLb1EEEEDaSU_SV_EUlSU_E_NS1_11comp_targetILNS1_3genE2ELNS1_11target_archE906ELNS1_3gpuE6ELNS1_3repE0EEENS1_30default_config_static_selectorELNS0_4arch9wavefront6targetE1EEEvT1_: ; @_ZN7rocprim17ROCPRIM_400000_NS6detail17trampoline_kernelINS0_14default_configENS1_33run_length_encode_config_selectorIfjNS0_4plusIjEEEEZZNS1_33reduce_by_key_impl_wrapped_configILNS1_25lookback_scan_determinismE0ES3_S7_PKfNS0_17constant_iteratorIjlEEPfPlSF_S6_NS0_8equal_toIfEEEE10hipError_tPvRmT2_T3_mT4_T5_T6_T7_T8_P12ihipStream_tbENKUlT_T0_E_clISt17integral_constantIbLb0EESY_IbLb1EEEEDaSU_SV_EUlSU_E_NS1_11comp_targetILNS1_3genE2ELNS1_11target_archE906ELNS1_3gpuE6ELNS1_3repE0EEENS1_30default_config_static_selectorELNS0_4arch9wavefront6targetE1EEEvT1_
; %bb.0:
	.section	.rodata,"a",@progbits
	.p2align	6, 0x0
	.amdhsa_kernel _ZN7rocprim17ROCPRIM_400000_NS6detail17trampoline_kernelINS0_14default_configENS1_33run_length_encode_config_selectorIfjNS0_4plusIjEEEEZZNS1_33reduce_by_key_impl_wrapped_configILNS1_25lookback_scan_determinismE0ES3_S7_PKfNS0_17constant_iteratorIjlEEPfPlSF_S6_NS0_8equal_toIfEEEE10hipError_tPvRmT2_T3_mT4_T5_T6_T7_T8_P12ihipStream_tbENKUlT_T0_E_clISt17integral_constantIbLb0EESY_IbLb1EEEEDaSU_SV_EUlSU_E_NS1_11comp_targetILNS1_3genE2ELNS1_11target_archE906ELNS1_3gpuE6ELNS1_3repE0EEENS1_30default_config_static_selectorELNS0_4arch9wavefront6targetE1EEEvT1_
		.amdhsa_group_segment_fixed_size 0
		.amdhsa_private_segment_fixed_size 0
		.amdhsa_kernarg_size 128
		.amdhsa_user_sgpr_count 2
		.amdhsa_user_sgpr_dispatch_ptr 0
		.amdhsa_user_sgpr_queue_ptr 0
		.amdhsa_user_sgpr_kernarg_segment_ptr 1
		.amdhsa_user_sgpr_dispatch_id 0
		.amdhsa_user_sgpr_kernarg_preload_length 0
		.amdhsa_user_sgpr_kernarg_preload_offset 0
		.amdhsa_user_sgpr_private_segment_size 0
		.amdhsa_uses_dynamic_stack 0
		.amdhsa_enable_private_segment 0
		.amdhsa_system_sgpr_workgroup_id_x 1
		.amdhsa_system_sgpr_workgroup_id_y 0
		.amdhsa_system_sgpr_workgroup_id_z 0
		.amdhsa_system_sgpr_workgroup_info 0
		.amdhsa_system_vgpr_workitem_id 0
		.amdhsa_next_free_vgpr 1
		.amdhsa_next_free_sgpr 0
		.amdhsa_accum_offset 4
		.amdhsa_reserve_vcc 0
		.amdhsa_float_round_mode_32 0
		.amdhsa_float_round_mode_16_64 0
		.amdhsa_float_denorm_mode_32 3
		.amdhsa_float_denorm_mode_16_64 3
		.amdhsa_dx10_clamp 1
		.amdhsa_ieee_mode 1
		.amdhsa_fp16_overflow 0
		.amdhsa_tg_split 0
		.amdhsa_exception_fp_ieee_invalid_op 0
		.amdhsa_exception_fp_denorm_src 0
		.amdhsa_exception_fp_ieee_div_zero 0
		.amdhsa_exception_fp_ieee_overflow 0
		.amdhsa_exception_fp_ieee_underflow 0
		.amdhsa_exception_fp_ieee_inexact 0
		.amdhsa_exception_int_div_zero 0
	.end_amdhsa_kernel
	.section	.text._ZN7rocprim17ROCPRIM_400000_NS6detail17trampoline_kernelINS0_14default_configENS1_33run_length_encode_config_selectorIfjNS0_4plusIjEEEEZZNS1_33reduce_by_key_impl_wrapped_configILNS1_25lookback_scan_determinismE0ES3_S7_PKfNS0_17constant_iteratorIjlEEPfPlSF_S6_NS0_8equal_toIfEEEE10hipError_tPvRmT2_T3_mT4_T5_T6_T7_T8_P12ihipStream_tbENKUlT_T0_E_clISt17integral_constantIbLb0EESY_IbLb1EEEEDaSU_SV_EUlSU_E_NS1_11comp_targetILNS1_3genE2ELNS1_11target_archE906ELNS1_3gpuE6ELNS1_3repE0EEENS1_30default_config_static_selectorELNS0_4arch9wavefront6targetE1EEEvT1_,"axG",@progbits,_ZN7rocprim17ROCPRIM_400000_NS6detail17trampoline_kernelINS0_14default_configENS1_33run_length_encode_config_selectorIfjNS0_4plusIjEEEEZZNS1_33reduce_by_key_impl_wrapped_configILNS1_25lookback_scan_determinismE0ES3_S7_PKfNS0_17constant_iteratorIjlEEPfPlSF_S6_NS0_8equal_toIfEEEE10hipError_tPvRmT2_T3_mT4_T5_T6_T7_T8_P12ihipStream_tbENKUlT_T0_E_clISt17integral_constantIbLb0EESY_IbLb1EEEEDaSU_SV_EUlSU_E_NS1_11comp_targetILNS1_3genE2ELNS1_11target_archE906ELNS1_3gpuE6ELNS1_3repE0EEENS1_30default_config_static_selectorELNS0_4arch9wavefront6targetE1EEEvT1_,comdat
.Lfunc_end404:
	.size	_ZN7rocprim17ROCPRIM_400000_NS6detail17trampoline_kernelINS0_14default_configENS1_33run_length_encode_config_selectorIfjNS0_4plusIjEEEEZZNS1_33reduce_by_key_impl_wrapped_configILNS1_25lookback_scan_determinismE0ES3_S7_PKfNS0_17constant_iteratorIjlEEPfPlSF_S6_NS0_8equal_toIfEEEE10hipError_tPvRmT2_T3_mT4_T5_T6_T7_T8_P12ihipStream_tbENKUlT_T0_E_clISt17integral_constantIbLb0EESY_IbLb1EEEEDaSU_SV_EUlSU_E_NS1_11comp_targetILNS1_3genE2ELNS1_11target_archE906ELNS1_3gpuE6ELNS1_3repE0EEENS1_30default_config_static_selectorELNS0_4arch9wavefront6targetE1EEEvT1_, .Lfunc_end404-_ZN7rocprim17ROCPRIM_400000_NS6detail17trampoline_kernelINS0_14default_configENS1_33run_length_encode_config_selectorIfjNS0_4plusIjEEEEZZNS1_33reduce_by_key_impl_wrapped_configILNS1_25lookback_scan_determinismE0ES3_S7_PKfNS0_17constant_iteratorIjlEEPfPlSF_S6_NS0_8equal_toIfEEEE10hipError_tPvRmT2_T3_mT4_T5_T6_T7_T8_P12ihipStream_tbENKUlT_T0_E_clISt17integral_constantIbLb0EESY_IbLb1EEEEDaSU_SV_EUlSU_E_NS1_11comp_targetILNS1_3genE2ELNS1_11target_archE906ELNS1_3gpuE6ELNS1_3repE0EEENS1_30default_config_static_selectorELNS0_4arch9wavefront6targetE1EEEvT1_
                                        ; -- End function
	.section	.AMDGPU.csdata,"",@progbits
; Kernel info:
; codeLenInByte = 0
; NumSgprs: 6
; NumVgprs: 0
; NumAgprs: 0
; TotalNumVgprs: 0
; ScratchSize: 0
; MemoryBound: 0
; FloatMode: 240
; IeeeMode: 1
; LDSByteSize: 0 bytes/workgroup (compile time only)
; SGPRBlocks: 0
; VGPRBlocks: 0
; NumSGPRsForWavesPerEU: 6
; NumVGPRsForWavesPerEU: 1
; AccumOffset: 4
; Occupancy: 8
; WaveLimiterHint : 0
; COMPUTE_PGM_RSRC2:SCRATCH_EN: 0
; COMPUTE_PGM_RSRC2:USER_SGPR: 2
; COMPUTE_PGM_RSRC2:TRAP_HANDLER: 0
; COMPUTE_PGM_RSRC2:TGID_X_EN: 1
; COMPUTE_PGM_RSRC2:TGID_Y_EN: 0
; COMPUTE_PGM_RSRC2:TGID_Z_EN: 0
; COMPUTE_PGM_RSRC2:TIDIG_COMP_CNT: 0
; COMPUTE_PGM_RSRC3_GFX90A:ACCUM_OFFSET: 0
; COMPUTE_PGM_RSRC3_GFX90A:TG_SPLIT: 0
	.section	.text._ZN7rocprim17ROCPRIM_400000_NS6detail17trampoline_kernelINS0_14default_configENS1_33run_length_encode_config_selectorIfjNS0_4plusIjEEEEZZNS1_33reduce_by_key_impl_wrapped_configILNS1_25lookback_scan_determinismE0ES3_S7_PKfNS0_17constant_iteratorIjlEEPfPlSF_S6_NS0_8equal_toIfEEEE10hipError_tPvRmT2_T3_mT4_T5_T6_T7_T8_P12ihipStream_tbENKUlT_T0_E_clISt17integral_constantIbLb0EESY_IbLb1EEEEDaSU_SV_EUlSU_E_NS1_11comp_targetILNS1_3genE10ELNS1_11target_archE1201ELNS1_3gpuE5ELNS1_3repE0EEENS1_30default_config_static_selectorELNS0_4arch9wavefront6targetE1EEEvT1_,"axG",@progbits,_ZN7rocprim17ROCPRIM_400000_NS6detail17trampoline_kernelINS0_14default_configENS1_33run_length_encode_config_selectorIfjNS0_4plusIjEEEEZZNS1_33reduce_by_key_impl_wrapped_configILNS1_25lookback_scan_determinismE0ES3_S7_PKfNS0_17constant_iteratorIjlEEPfPlSF_S6_NS0_8equal_toIfEEEE10hipError_tPvRmT2_T3_mT4_T5_T6_T7_T8_P12ihipStream_tbENKUlT_T0_E_clISt17integral_constantIbLb0EESY_IbLb1EEEEDaSU_SV_EUlSU_E_NS1_11comp_targetILNS1_3genE10ELNS1_11target_archE1201ELNS1_3gpuE5ELNS1_3repE0EEENS1_30default_config_static_selectorELNS0_4arch9wavefront6targetE1EEEvT1_,comdat
	.protected	_ZN7rocprim17ROCPRIM_400000_NS6detail17trampoline_kernelINS0_14default_configENS1_33run_length_encode_config_selectorIfjNS0_4plusIjEEEEZZNS1_33reduce_by_key_impl_wrapped_configILNS1_25lookback_scan_determinismE0ES3_S7_PKfNS0_17constant_iteratorIjlEEPfPlSF_S6_NS0_8equal_toIfEEEE10hipError_tPvRmT2_T3_mT4_T5_T6_T7_T8_P12ihipStream_tbENKUlT_T0_E_clISt17integral_constantIbLb0EESY_IbLb1EEEEDaSU_SV_EUlSU_E_NS1_11comp_targetILNS1_3genE10ELNS1_11target_archE1201ELNS1_3gpuE5ELNS1_3repE0EEENS1_30default_config_static_selectorELNS0_4arch9wavefront6targetE1EEEvT1_ ; -- Begin function _ZN7rocprim17ROCPRIM_400000_NS6detail17trampoline_kernelINS0_14default_configENS1_33run_length_encode_config_selectorIfjNS0_4plusIjEEEEZZNS1_33reduce_by_key_impl_wrapped_configILNS1_25lookback_scan_determinismE0ES3_S7_PKfNS0_17constant_iteratorIjlEEPfPlSF_S6_NS0_8equal_toIfEEEE10hipError_tPvRmT2_T3_mT4_T5_T6_T7_T8_P12ihipStream_tbENKUlT_T0_E_clISt17integral_constantIbLb0EESY_IbLb1EEEEDaSU_SV_EUlSU_E_NS1_11comp_targetILNS1_3genE10ELNS1_11target_archE1201ELNS1_3gpuE5ELNS1_3repE0EEENS1_30default_config_static_selectorELNS0_4arch9wavefront6targetE1EEEvT1_
	.globl	_ZN7rocprim17ROCPRIM_400000_NS6detail17trampoline_kernelINS0_14default_configENS1_33run_length_encode_config_selectorIfjNS0_4plusIjEEEEZZNS1_33reduce_by_key_impl_wrapped_configILNS1_25lookback_scan_determinismE0ES3_S7_PKfNS0_17constant_iteratorIjlEEPfPlSF_S6_NS0_8equal_toIfEEEE10hipError_tPvRmT2_T3_mT4_T5_T6_T7_T8_P12ihipStream_tbENKUlT_T0_E_clISt17integral_constantIbLb0EESY_IbLb1EEEEDaSU_SV_EUlSU_E_NS1_11comp_targetILNS1_3genE10ELNS1_11target_archE1201ELNS1_3gpuE5ELNS1_3repE0EEENS1_30default_config_static_selectorELNS0_4arch9wavefront6targetE1EEEvT1_
	.p2align	8
	.type	_ZN7rocprim17ROCPRIM_400000_NS6detail17trampoline_kernelINS0_14default_configENS1_33run_length_encode_config_selectorIfjNS0_4plusIjEEEEZZNS1_33reduce_by_key_impl_wrapped_configILNS1_25lookback_scan_determinismE0ES3_S7_PKfNS0_17constant_iteratorIjlEEPfPlSF_S6_NS0_8equal_toIfEEEE10hipError_tPvRmT2_T3_mT4_T5_T6_T7_T8_P12ihipStream_tbENKUlT_T0_E_clISt17integral_constantIbLb0EESY_IbLb1EEEEDaSU_SV_EUlSU_E_NS1_11comp_targetILNS1_3genE10ELNS1_11target_archE1201ELNS1_3gpuE5ELNS1_3repE0EEENS1_30default_config_static_selectorELNS0_4arch9wavefront6targetE1EEEvT1_,@function
_ZN7rocprim17ROCPRIM_400000_NS6detail17trampoline_kernelINS0_14default_configENS1_33run_length_encode_config_selectorIfjNS0_4plusIjEEEEZZNS1_33reduce_by_key_impl_wrapped_configILNS1_25lookback_scan_determinismE0ES3_S7_PKfNS0_17constant_iteratorIjlEEPfPlSF_S6_NS0_8equal_toIfEEEE10hipError_tPvRmT2_T3_mT4_T5_T6_T7_T8_P12ihipStream_tbENKUlT_T0_E_clISt17integral_constantIbLb0EESY_IbLb1EEEEDaSU_SV_EUlSU_E_NS1_11comp_targetILNS1_3genE10ELNS1_11target_archE1201ELNS1_3gpuE5ELNS1_3repE0EEENS1_30default_config_static_selectorELNS0_4arch9wavefront6targetE1EEEvT1_: ; @_ZN7rocprim17ROCPRIM_400000_NS6detail17trampoline_kernelINS0_14default_configENS1_33run_length_encode_config_selectorIfjNS0_4plusIjEEEEZZNS1_33reduce_by_key_impl_wrapped_configILNS1_25lookback_scan_determinismE0ES3_S7_PKfNS0_17constant_iteratorIjlEEPfPlSF_S6_NS0_8equal_toIfEEEE10hipError_tPvRmT2_T3_mT4_T5_T6_T7_T8_P12ihipStream_tbENKUlT_T0_E_clISt17integral_constantIbLb0EESY_IbLb1EEEEDaSU_SV_EUlSU_E_NS1_11comp_targetILNS1_3genE10ELNS1_11target_archE1201ELNS1_3gpuE5ELNS1_3repE0EEENS1_30default_config_static_selectorELNS0_4arch9wavefront6targetE1EEEvT1_
; %bb.0:
	.section	.rodata,"a",@progbits
	.p2align	6, 0x0
	.amdhsa_kernel _ZN7rocprim17ROCPRIM_400000_NS6detail17trampoline_kernelINS0_14default_configENS1_33run_length_encode_config_selectorIfjNS0_4plusIjEEEEZZNS1_33reduce_by_key_impl_wrapped_configILNS1_25lookback_scan_determinismE0ES3_S7_PKfNS0_17constant_iteratorIjlEEPfPlSF_S6_NS0_8equal_toIfEEEE10hipError_tPvRmT2_T3_mT4_T5_T6_T7_T8_P12ihipStream_tbENKUlT_T0_E_clISt17integral_constantIbLb0EESY_IbLb1EEEEDaSU_SV_EUlSU_E_NS1_11comp_targetILNS1_3genE10ELNS1_11target_archE1201ELNS1_3gpuE5ELNS1_3repE0EEENS1_30default_config_static_selectorELNS0_4arch9wavefront6targetE1EEEvT1_
		.amdhsa_group_segment_fixed_size 0
		.amdhsa_private_segment_fixed_size 0
		.amdhsa_kernarg_size 128
		.amdhsa_user_sgpr_count 2
		.amdhsa_user_sgpr_dispatch_ptr 0
		.amdhsa_user_sgpr_queue_ptr 0
		.amdhsa_user_sgpr_kernarg_segment_ptr 1
		.amdhsa_user_sgpr_dispatch_id 0
		.amdhsa_user_sgpr_kernarg_preload_length 0
		.amdhsa_user_sgpr_kernarg_preload_offset 0
		.amdhsa_user_sgpr_private_segment_size 0
		.amdhsa_uses_dynamic_stack 0
		.amdhsa_enable_private_segment 0
		.amdhsa_system_sgpr_workgroup_id_x 1
		.amdhsa_system_sgpr_workgroup_id_y 0
		.amdhsa_system_sgpr_workgroup_id_z 0
		.amdhsa_system_sgpr_workgroup_info 0
		.amdhsa_system_vgpr_workitem_id 0
		.amdhsa_next_free_vgpr 1
		.amdhsa_next_free_sgpr 0
		.amdhsa_accum_offset 4
		.amdhsa_reserve_vcc 0
		.amdhsa_float_round_mode_32 0
		.amdhsa_float_round_mode_16_64 0
		.amdhsa_float_denorm_mode_32 3
		.amdhsa_float_denorm_mode_16_64 3
		.amdhsa_dx10_clamp 1
		.amdhsa_ieee_mode 1
		.amdhsa_fp16_overflow 0
		.amdhsa_tg_split 0
		.amdhsa_exception_fp_ieee_invalid_op 0
		.amdhsa_exception_fp_denorm_src 0
		.amdhsa_exception_fp_ieee_div_zero 0
		.amdhsa_exception_fp_ieee_overflow 0
		.amdhsa_exception_fp_ieee_underflow 0
		.amdhsa_exception_fp_ieee_inexact 0
		.amdhsa_exception_int_div_zero 0
	.end_amdhsa_kernel
	.section	.text._ZN7rocprim17ROCPRIM_400000_NS6detail17trampoline_kernelINS0_14default_configENS1_33run_length_encode_config_selectorIfjNS0_4plusIjEEEEZZNS1_33reduce_by_key_impl_wrapped_configILNS1_25lookback_scan_determinismE0ES3_S7_PKfNS0_17constant_iteratorIjlEEPfPlSF_S6_NS0_8equal_toIfEEEE10hipError_tPvRmT2_T3_mT4_T5_T6_T7_T8_P12ihipStream_tbENKUlT_T0_E_clISt17integral_constantIbLb0EESY_IbLb1EEEEDaSU_SV_EUlSU_E_NS1_11comp_targetILNS1_3genE10ELNS1_11target_archE1201ELNS1_3gpuE5ELNS1_3repE0EEENS1_30default_config_static_selectorELNS0_4arch9wavefront6targetE1EEEvT1_,"axG",@progbits,_ZN7rocprim17ROCPRIM_400000_NS6detail17trampoline_kernelINS0_14default_configENS1_33run_length_encode_config_selectorIfjNS0_4plusIjEEEEZZNS1_33reduce_by_key_impl_wrapped_configILNS1_25lookback_scan_determinismE0ES3_S7_PKfNS0_17constant_iteratorIjlEEPfPlSF_S6_NS0_8equal_toIfEEEE10hipError_tPvRmT2_T3_mT4_T5_T6_T7_T8_P12ihipStream_tbENKUlT_T0_E_clISt17integral_constantIbLb0EESY_IbLb1EEEEDaSU_SV_EUlSU_E_NS1_11comp_targetILNS1_3genE10ELNS1_11target_archE1201ELNS1_3gpuE5ELNS1_3repE0EEENS1_30default_config_static_selectorELNS0_4arch9wavefront6targetE1EEEvT1_,comdat
.Lfunc_end405:
	.size	_ZN7rocprim17ROCPRIM_400000_NS6detail17trampoline_kernelINS0_14default_configENS1_33run_length_encode_config_selectorIfjNS0_4plusIjEEEEZZNS1_33reduce_by_key_impl_wrapped_configILNS1_25lookback_scan_determinismE0ES3_S7_PKfNS0_17constant_iteratorIjlEEPfPlSF_S6_NS0_8equal_toIfEEEE10hipError_tPvRmT2_T3_mT4_T5_T6_T7_T8_P12ihipStream_tbENKUlT_T0_E_clISt17integral_constantIbLb0EESY_IbLb1EEEEDaSU_SV_EUlSU_E_NS1_11comp_targetILNS1_3genE10ELNS1_11target_archE1201ELNS1_3gpuE5ELNS1_3repE0EEENS1_30default_config_static_selectorELNS0_4arch9wavefront6targetE1EEEvT1_, .Lfunc_end405-_ZN7rocprim17ROCPRIM_400000_NS6detail17trampoline_kernelINS0_14default_configENS1_33run_length_encode_config_selectorIfjNS0_4plusIjEEEEZZNS1_33reduce_by_key_impl_wrapped_configILNS1_25lookback_scan_determinismE0ES3_S7_PKfNS0_17constant_iteratorIjlEEPfPlSF_S6_NS0_8equal_toIfEEEE10hipError_tPvRmT2_T3_mT4_T5_T6_T7_T8_P12ihipStream_tbENKUlT_T0_E_clISt17integral_constantIbLb0EESY_IbLb1EEEEDaSU_SV_EUlSU_E_NS1_11comp_targetILNS1_3genE10ELNS1_11target_archE1201ELNS1_3gpuE5ELNS1_3repE0EEENS1_30default_config_static_selectorELNS0_4arch9wavefront6targetE1EEEvT1_
                                        ; -- End function
	.section	.AMDGPU.csdata,"",@progbits
; Kernel info:
; codeLenInByte = 0
; NumSgprs: 6
; NumVgprs: 0
; NumAgprs: 0
; TotalNumVgprs: 0
; ScratchSize: 0
; MemoryBound: 0
; FloatMode: 240
; IeeeMode: 1
; LDSByteSize: 0 bytes/workgroup (compile time only)
; SGPRBlocks: 0
; VGPRBlocks: 0
; NumSGPRsForWavesPerEU: 6
; NumVGPRsForWavesPerEU: 1
; AccumOffset: 4
; Occupancy: 8
; WaveLimiterHint : 0
; COMPUTE_PGM_RSRC2:SCRATCH_EN: 0
; COMPUTE_PGM_RSRC2:USER_SGPR: 2
; COMPUTE_PGM_RSRC2:TRAP_HANDLER: 0
; COMPUTE_PGM_RSRC2:TGID_X_EN: 1
; COMPUTE_PGM_RSRC2:TGID_Y_EN: 0
; COMPUTE_PGM_RSRC2:TGID_Z_EN: 0
; COMPUTE_PGM_RSRC2:TIDIG_COMP_CNT: 0
; COMPUTE_PGM_RSRC3_GFX90A:ACCUM_OFFSET: 0
; COMPUTE_PGM_RSRC3_GFX90A:TG_SPLIT: 0
	.section	.text._ZN7rocprim17ROCPRIM_400000_NS6detail17trampoline_kernelINS0_14default_configENS1_33run_length_encode_config_selectorIfjNS0_4plusIjEEEEZZNS1_33reduce_by_key_impl_wrapped_configILNS1_25lookback_scan_determinismE0ES3_S7_PKfNS0_17constant_iteratorIjlEEPfPlSF_S6_NS0_8equal_toIfEEEE10hipError_tPvRmT2_T3_mT4_T5_T6_T7_T8_P12ihipStream_tbENKUlT_T0_E_clISt17integral_constantIbLb0EESY_IbLb1EEEEDaSU_SV_EUlSU_E_NS1_11comp_targetILNS1_3genE10ELNS1_11target_archE1200ELNS1_3gpuE4ELNS1_3repE0EEENS1_30default_config_static_selectorELNS0_4arch9wavefront6targetE1EEEvT1_,"axG",@progbits,_ZN7rocprim17ROCPRIM_400000_NS6detail17trampoline_kernelINS0_14default_configENS1_33run_length_encode_config_selectorIfjNS0_4plusIjEEEEZZNS1_33reduce_by_key_impl_wrapped_configILNS1_25lookback_scan_determinismE0ES3_S7_PKfNS0_17constant_iteratorIjlEEPfPlSF_S6_NS0_8equal_toIfEEEE10hipError_tPvRmT2_T3_mT4_T5_T6_T7_T8_P12ihipStream_tbENKUlT_T0_E_clISt17integral_constantIbLb0EESY_IbLb1EEEEDaSU_SV_EUlSU_E_NS1_11comp_targetILNS1_3genE10ELNS1_11target_archE1200ELNS1_3gpuE4ELNS1_3repE0EEENS1_30default_config_static_selectorELNS0_4arch9wavefront6targetE1EEEvT1_,comdat
	.protected	_ZN7rocprim17ROCPRIM_400000_NS6detail17trampoline_kernelINS0_14default_configENS1_33run_length_encode_config_selectorIfjNS0_4plusIjEEEEZZNS1_33reduce_by_key_impl_wrapped_configILNS1_25lookback_scan_determinismE0ES3_S7_PKfNS0_17constant_iteratorIjlEEPfPlSF_S6_NS0_8equal_toIfEEEE10hipError_tPvRmT2_T3_mT4_T5_T6_T7_T8_P12ihipStream_tbENKUlT_T0_E_clISt17integral_constantIbLb0EESY_IbLb1EEEEDaSU_SV_EUlSU_E_NS1_11comp_targetILNS1_3genE10ELNS1_11target_archE1200ELNS1_3gpuE4ELNS1_3repE0EEENS1_30default_config_static_selectorELNS0_4arch9wavefront6targetE1EEEvT1_ ; -- Begin function _ZN7rocprim17ROCPRIM_400000_NS6detail17trampoline_kernelINS0_14default_configENS1_33run_length_encode_config_selectorIfjNS0_4plusIjEEEEZZNS1_33reduce_by_key_impl_wrapped_configILNS1_25lookback_scan_determinismE0ES3_S7_PKfNS0_17constant_iteratorIjlEEPfPlSF_S6_NS0_8equal_toIfEEEE10hipError_tPvRmT2_T3_mT4_T5_T6_T7_T8_P12ihipStream_tbENKUlT_T0_E_clISt17integral_constantIbLb0EESY_IbLb1EEEEDaSU_SV_EUlSU_E_NS1_11comp_targetILNS1_3genE10ELNS1_11target_archE1200ELNS1_3gpuE4ELNS1_3repE0EEENS1_30default_config_static_selectorELNS0_4arch9wavefront6targetE1EEEvT1_
	.globl	_ZN7rocprim17ROCPRIM_400000_NS6detail17trampoline_kernelINS0_14default_configENS1_33run_length_encode_config_selectorIfjNS0_4plusIjEEEEZZNS1_33reduce_by_key_impl_wrapped_configILNS1_25lookback_scan_determinismE0ES3_S7_PKfNS0_17constant_iteratorIjlEEPfPlSF_S6_NS0_8equal_toIfEEEE10hipError_tPvRmT2_T3_mT4_T5_T6_T7_T8_P12ihipStream_tbENKUlT_T0_E_clISt17integral_constantIbLb0EESY_IbLb1EEEEDaSU_SV_EUlSU_E_NS1_11comp_targetILNS1_3genE10ELNS1_11target_archE1200ELNS1_3gpuE4ELNS1_3repE0EEENS1_30default_config_static_selectorELNS0_4arch9wavefront6targetE1EEEvT1_
	.p2align	8
	.type	_ZN7rocprim17ROCPRIM_400000_NS6detail17trampoline_kernelINS0_14default_configENS1_33run_length_encode_config_selectorIfjNS0_4plusIjEEEEZZNS1_33reduce_by_key_impl_wrapped_configILNS1_25lookback_scan_determinismE0ES3_S7_PKfNS0_17constant_iteratorIjlEEPfPlSF_S6_NS0_8equal_toIfEEEE10hipError_tPvRmT2_T3_mT4_T5_T6_T7_T8_P12ihipStream_tbENKUlT_T0_E_clISt17integral_constantIbLb0EESY_IbLb1EEEEDaSU_SV_EUlSU_E_NS1_11comp_targetILNS1_3genE10ELNS1_11target_archE1200ELNS1_3gpuE4ELNS1_3repE0EEENS1_30default_config_static_selectorELNS0_4arch9wavefront6targetE1EEEvT1_,@function
_ZN7rocprim17ROCPRIM_400000_NS6detail17trampoline_kernelINS0_14default_configENS1_33run_length_encode_config_selectorIfjNS0_4plusIjEEEEZZNS1_33reduce_by_key_impl_wrapped_configILNS1_25lookback_scan_determinismE0ES3_S7_PKfNS0_17constant_iteratorIjlEEPfPlSF_S6_NS0_8equal_toIfEEEE10hipError_tPvRmT2_T3_mT4_T5_T6_T7_T8_P12ihipStream_tbENKUlT_T0_E_clISt17integral_constantIbLb0EESY_IbLb1EEEEDaSU_SV_EUlSU_E_NS1_11comp_targetILNS1_3genE10ELNS1_11target_archE1200ELNS1_3gpuE4ELNS1_3repE0EEENS1_30default_config_static_selectorELNS0_4arch9wavefront6targetE1EEEvT1_: ; @_ZN7rocprim17ROCPRIM_400000_NS6detail17trampoline_kernelINS0_14default_configENS1_33run_length_encode_config_selectorIfjNS0_4plusIjEEEEZZNS1_33reduce_by_key_impl_wrapped_configILNS1_25lookback_scan_determinismE0ES3_S7_PKfNS0_17constant_iteratorIjlEEPfPlSF_S6_NS0_8equal_toIfEEEE10hipError_tPvRmT2_T3_mT4_T5_T6_T7_T8_P12ihipStream_tbENKUlT_T0_E_clISt17integral_constantIbLb0EESY_IbLb1EEEEDaSU_SV_EUlSU_E_NS1_11comp_targetILNS1_3genE10ELNS1_11target_archE1200ELNS1_3gpuE4ELNS1_3repE0EEENS1_30default_config_static_selectorELNS0_4arch9wavefront6targetE1EEEvT1_
; %bb.0:
	.section	.rodata,"a",@progbits
	.p2align	6, 0x0
	.amdhsa_kernel _ZN7rocprim17ROCPRIM_400000_NS6detail17trampoline_kernelINS0_14default_configENS1_33run_length_encode_config_selectorIfjNS0_4plusIjEEEEZZNS1_33reduce_by_key_impl_wrapped_configILNS1_25lookback_scan_determinismE0ES3_S7_PKfNS0_17constant_iteratorIjlEEPfPlSF_S6_NS0_8equal_toIfEEEE10hipError_tPvRmT2_T3_mT4_T5_T6_T7_T8_P12ihipStream_tbENKUlT_T0_E_clISt17integral_constantIbLb0EESY_IbLb1EEEEDaSU_SV_EUlSU_E_NS1_11comp_targetILNS1_3genE10ELNS1_11target_archE1200ELNS1_3gpuE4ELNS1_3repE0EEENS1_30default_config_static_selectorELNS0_4arch9wavefront6targetE1EEEvT1_
		.amdhsa_group_segment_fixed_size 0
		.amdhsa_private_segment_fixed_size 0
		.amdhsa_kernarg_size 128
		.amdhsa_user_sgpr_count 2
		.amdhsa_user_sgpr_dispatch_ptr 0
		.amdhsa_user_sgpr_queue_ptr 0
		.amdhsa_user_sgpr_kernarg_segment_ptr 1
		.amdhsa_user_sgpr_dispatch_id 0
		.amdhsa_user_sgpr_kernarg_preload_length 0
		.amdhsa_user_sgpr_kernarg_preload_offset 0
		.amdhsa_user_sgpr_private_segment_size 0
		.amdhsa_uses_dynamic_stack 0
		.amdhsa_enable_private_segment 0
		.amdhsa_system_sgpr_workgroup_id_x 1
		.amdhsa_system_sgpr_workgroup_id_y 0
		.amdhsa_system_sgpr_workgroup_id_z 0
		.amdhsa_system_sgpr_workgroup_info 0
		.amdhsa_system_vgpr_workitem_id 0
		.amdhsa_next_free_vgpr 1
		.amdhsa_next_free_sgpr 0
		.amdhsa_accum_offset 4
		.amdhsa_reserve_vcc 0
		.amdhsa_float_round_mode_32 0
		.amdhsa_float_round_mode_16_64 0
		.amdhsa_float_denorm_mode_32 3
		.amdhsa_float_denorm_mode_16_64 3
		.amdhsa_dx10_clamp 1
		.amdhsa_ieee_mode 1
		.amdhsa_fp16_overflow 0
		.amdhsa_tg_split 0
		.amdhsa_exception_fp_ieee_invalid_op 0
		.amdhsa_exception_fp_denorm_src 0
		.amdhsa_exception_fp_ieee_div_zero 0
		.amdhsa_exception_fp_ieee_overflow 0
		.amdhsa_exception_fp_ieee_underflow 0
		.amdhsa_exception_fp_ieee_inexact 0
		.amdhsa_exception_int_div_zero 0
	.end_amdhsa_kernel
	.section	.text._ZN7rocprim17ROCPRIM_400000_NS6detail17trampoline_kernelINS0_14default_configENS1_33run_length_encode_config_selectorIfjNS0_4plusIjEEEEZZNS1_33reduce_by_key_impl_wrapped_configILNS1_25lookback_scan_determinismE0ES3_S7_PKfNS0_17constant_iteratorIjlEEPfPlSF_S6_NS0_8equal_toIfEEEE10hipError_tPvRmT2_T3_mT4_T5_T6_T7_T8_P12ihipStream_tbENKUlT_T0_E_clISt17integral_constantIbLb0EESY_IbLb1EEEEDaSU_SV_EUlSU_E_NS1_11comp_targetILNS1_3genE10ELNS1_11target_archE1200ELNS1_3gpuE4ELNS1_3repE0EEENS1_30default_config_static_selectorELNS0_4arch9wavefront6targetE1EEEvT1_,"axG",@progbits,_ZN7rocprim17ROCPRIM_400000_NS6detail17trampoline_kernelINS0_14default_configENS1_33run_length_encode_config_selectorIfjNS0_4plusIjEEEEZZNS1_33reduce_by_key_impl_wrapped_configILNS1_25lookback_scan_determinismE0ES3_S7_PKfNS0_17constant_iteratorIjlEEPfPlSF_S6_NS0_8equal_toIfEEEE10hipError_tPvRmT2_T3_mT4_T5_T6_T7_T8_P12ihipStream_tbENKUlT_T0_E_clISt17integral_constantIbLb0EESY_IbLb1EEEEDaSU_SV_EUlSU_E_NS1_11comp_targetILNS1_3genE10ELNS1_11target_archE1200ELNS1_3gpuE4ELNS1_3repE0EEENS1_30default_config_static_selectorELNS0_4arch9wavefront6targetE1EEEvT1_,comdat
.Lfunc_end406:
	.size	_ZN7rocprim17ROCPRIM_400000_NS6detail17trampoline_kernelINS0_14default_configENS1_33run_length_encode_config_selectorIfjNS0_4plusIjEEEEZZNS1_33reduce_by_key_impl_wrapped_configILNS1_25lookback_scan_determinismE0ES3_S7_PKfNS0_17constant_iteratorIjlEEPfPlSF_S6_NS0_8equal_toIfEEEE10hipError_tPvRmT2_T3_mT4_T5_T6_T7_T8_P12ihipStream_tbENKUlT_T0_E_clISt17integral_constantIbLb0EESY_IbLb1EEEEDaSU_SV_EUlSU_E_NS1_11comp_targetILNS1_3genE10ELNS1_11target_archE1200ELNS1_3gpuE4ELNS1_3repE0EEENS1_30default_config_static_selectorELNS0_4arch9wavefront6targetE1EEEvT1_, .Lfunc_end406-_ZN7rocprim17ROCPRIM_400000_NS6detail17trampoline_kernelINS0_14default_configENS1_33run_length_encode_config_selectorIfjNS0_4plusIjEEEEZZNS1_33reduce_by_key_impl_wrapped_configILNS1_25lookback_scan_determinismE0ES3_S7_PKfNS0_17constant_iteratorIjlEEPfPlSF_S6_NS0_8equal_toIfEEEE10hipError_tPvRmT2_T3_mT4_T5_T6_T7_T8_P12ihipStream_tbENKUlT_T0_E_clISt17integral_constantIbLb0EESY_IbLb1EEEEDaSU_SV_EUlSU_E_NS1_11comp_targetILNS1_3genE10ELNS1_11target_archE1200ELNS1_3gpuE4ELNS1_3repE0EEENS1_30default_config_static_selectorELNS0_4arch9wavefront6targetE1EEEvT1_
                                        ; -- End function
	.section	.AMDGPU.csdata,"",@progbits
; Kernel info:
; codeLenInByte = 0
; NumSgprs: 6
; NumVgprs: 0
; NumAgprs: 0
; TotalNumVgprs: 0
; ScratchSize: 0
; MemoryBound: 0
; FloatMode: 240
; IeeeMode: 1
; LDSByteSize: 0 bytes/workgroup (compile time only)
; SGPRBlocks: 0
; VGPRBlocks: 0
; NumSGPRsForWavesPerEU: 6
; NumVGPRsForWavesPerEU: 1
; AccumOffset: 4
; Occupancy: 8
; WaveLimiterHint : 0
; COMPUTE_PGM_RSRC2:SCRATCH_EN: 0
; COMPUTE_PGM_RSRC2:USER_SGPR: 2
; COMPUTE_PGM_RSRC2:TRAP_HANDLER: 0
; COMPUTE_PGM_RSRC2:TGID_X_EN: 1
; COMPUTE_PGM_RSRC2:TGID_Y_EN: 0
; COMPUTE_PGM_RSRC2:TGID_Z_EN: 0
; COMPUTE_PGM_RSRC2:TIDIG_COMP_CNT: 0
; COMPUTE_PGM_RSRC3_GFX90A:ACCUM_OFFSET: 0
; COMPUTE_PGM_RSRC3_GFX90A:TG_SPLIT: 0
	.section	.text._ZN7rocprim17ROCPRIM_400000_NS6detail17trampoline_kernelINS0_14default_configENS1_33run_length_encode_config_selectorIfjNS0_4plusIjEEEEZZNS1_33reduce_by_key_impl_wrapped_configILNS1_25lookback_scan_determinismE0ES3_S7_PKfNS0_17constant_iteratorIjlEEPfPlSF_S6_NS0_8equal_toIfEEEE10hipError_tPvRmT2_T3_mT4_T5_T6_T7_T8_P12ihipStream_tbENKUlT_T0_E_clISt17integral_constantIbLb0EESY_IbLb1EEEEDaSU_SV_EUlSU_E_NS1_11comp_targetILNS1_3genE9ELNS1_11target_archE1100ELNS1_3gpuE3ELNS1_3repE0EEENS1_30default_config_static_selectorELNS0_4arch9wavefront6targetE1EEEvT1_,"axG",@progbits,_ZN7rocprim17ROCPRIM_400000_NS6detail17trampoline_kernelINS0_14default_configENS1_33run_length_encode_config_selectorIfjNS0_4plusIjEEEEZZNS1_33reduce_by_key_impl_wrapped_configILNS1_25lookback_scan_determinismE0ES3_S7_PKfNS0_17constant_iteratorIjlEEPfPlSF_S6_NS0_8equal_toIfEEEE10hipError_tPvRmT2_T3_mT4_T5_T6_T7_T8_P12ihipStream_tbENKUlT_T0_E_clISt17integral_constantIbLb0EESY_IbLb1EEEEDaSU_SV_EUlSU_E_NS1_11comp_targetILNS1_3genE9ELNS1_11target_archE1100ELNS1_3gpuE3ELNS1_3repE0EEENS1_30default_config_static_selectorELNS0_4arch9wavefront6targetE1EEEvT1_,comdat
	.protected	_ZN7rocprim17ROCPRIM_400000_NS6detail17trampoline_kernelINS0_14default_configENS1_33run_length_encode_config_selectorIfjNS0_4plusIjEEEEZZNS1_33reduce_by_key_impl_wrapped_configILNS1_25lookback_scan_determinismE0ES3_S7_PKfNS0_17constant_iteratorIjlEEPfPlSF_S6_NS0_8equal_toIfEEEE10hipError_tPvRmT2_T3_mT4_T5_T6_T7_T8_P12ihipStream_tbENKUlT_T0_E_clISt17integral_constantIbLb0EESY_IbLb1EEEEDaSU_SV_EUlSU_E_NS1_11comp_targetILNS1_3genE9ELNS1_11target_archE1100ELNS1_3gpuE3ELNS1_3repE0EEENS1_30default_config_static_selectorELNS0_4arch9wavefront6targetE1EEEvT1_ ; -- Begin function _ZN7rocprim17ROCPRIM_400000_NS6detail17trampoline_kernelINS0_14default_configENS1_33run_length_encode_config_selectorIfjNS0_4plusIjEEEEZZNS1_33reduce_by_key_impl_wrapped_configILNS1_25lookback_scan_determinismE0ES3_S7_PKfNS0_17constant_iteratorIjlEEPfPlSF_S6_NS0_8equal_toIfEEEE10hipError_tPvRmT2_T3_mT4_T5_T6_T7_T8_P12ihipStream_tbENKUlT_T0_E_clISt17integral_constantIbLb0EESY_IbLb1EEEEDaSU_SV_EUlSU_E_NS1_11comp_targetILNS1_3genE9ELNS1_11target_archE1100ELNS1_3gpuE3ELNS1_3repE0EEENS1_30default_config_static_selectorELNS0_4arch9wavefront6targetE1EEEvT1_
	.globl	_ZN7rocprim17ROCPRIM_400000_NS6detail17trampoline_kernelINS0_14default_configENS1_33run_length_encode_config_selectorIfjNS0_4plusIjEEEEZZNS1_33reduce_by_key_impl_wrapped_configILNS1_25lookback_scan_determinismE0ES3_S7_PKfNS0_17constant_iteratorIjlEEPfPlSF_S6_NS0_8equal_toIfEEEE10hipError_tPvRmT2_T3_mT4_T5_T6_T7_T8_P12ihipStream_tbENKUlT_T0_E_clISt17integral_constantIbLb0EESY_IbLb1EEEEDaSU_SV_EUlSU_E_NS1_11comp_targetILNS1_3genE9ELNS1_11target_archE1100ELNS1_3gpuE3ELNS1_3repE0EEENS1_30default_config_static_selectorELNS0_4arch9wavefront6targetE1EEEvT1_
	.p2align	8
	.type	_ZN7rocprim17ROCPRIM_400000_NS6detail17trampoline_kernelINS0_14default_configENS1_33run_length_encode_config_selectorIfjNS0_4plusIjEEEEZZNS1_33reduce_by_key_impl_wrapped_configILNS1_25lookback_scan_determinismE0ES3_S7_PKfNS0_17constant_iteratorIjlEEPfPlSF_S6_NS0_8equal_toIfEEEE10hipError_tPvRmT2_T3_mT4_T5_T6_T7_T8_P12ihipStream_tbENKUlT_T0_E_clISt17integral_constantIbLb0EESY_IbLb1EEEEDaSU_SV_EUlSU_E_NS1_11comp_targetILNS1_3genE9ELNS1_11target_archE1100ELNS1_3gpuE3ELNS1_3repE0EEENS1_30default_config_static_selectorELNS0_4arch9wavefront6targetE1EEEvT1_,@function
_ZN7rocprim17ROCPRIM_400000_NS6detail17trampoline_kernelINS0_14default_configENS1_33run_length_encode_config_selectorIfjNS0_4plusIjEEEEZZNS1_33reduce_by_key_impl_wrapped_configILNS1_25lookback_scan_determinismE0ES3_S7_PKfNS0_17constant_iteratorIjlEEPfPlSF_S6_NS0_8equal_toIfEEEE10hipError_tPvRmT2_T3_mT4_T5_T6_T7_T8_P12ihipStream_tbENKUlT_T0_E_clISt17integral_constantIbLb0EESY_IbLb1EEEEDaSU_SV_EUlSU_E_NS1_11comp_targetILNS1_3genE9ELNS1_11target_archE1100ELNS1_3gpuE3ELNS1_3repE0EEENS1_30default_config_static_selectorELNS0_4arch9wavefront6targetE1EEEvT1_: ; @_ZN7rocprim17ROCPRIM_400000_NS6detail17trampoline_kernelINS0_14default_configENS1_33run_length_encode_config_selectorIfjNS0_4plusIjEEEEZZNS1_33reduce_by_key_impl_wrapped_configILNS1_25lookback_scan_determinismE0ES3_S7_PKfNS0_17constant_iteratorIjlEEPfPlSF_S6_NS0_8equal_toIfEEEE10hipError_tPvRmT2_T3_mT4_T5_T6_T7_T8_P12ihipStream_tbENKUlT_T0_E_clISt17integral_constantIbLb0EESY_IbLb1EEEEDaSU_SV_EUlSU_E_NS1_11comp_targetILNS1_3genE9ELNS1_11target_archE1100ELNS1_3gpuE3ELNS1_3repE0EEENS1_30default_config_static_selectorELNS0_4arch9wavefront6targetE1EEEvT1_
; %bb.0:
	.section	.rodata,"a",@progbits
	.p2align	6, 0x0
	.amdhsa_kernel _ZN7rocprim17ROCPRIM_400000_NS6detail17trampoline_kernelINS0_14default_configENS1_33run_length_encode_config_selectorIfjNS0_4plusIjEEEEZZNS1_33reduce_by_key_impl_wrapped_configILNS1_25lookback_scan_determinismE0ES3_S7_PKfNS0_17constant_iteratorIjlEEPfPlSF_S6_NS0_8equal_toIfEEEE10hipError_tPvRmT2_T3_mT4_T5_T6_T7_T8_P12ihipStream_tbENKUlT_T0_E_clISt17integral_constantIbLb0EESY_IbLb1EEEEDaSU_SV_EUlSU_E_NS1_11comp_targetILNS1_3genE9ELNS1_11target_archE1100ELNS1_3gpuE3ELNS1_3repE0EEENS1_30default_config_static_selectorELNS0_4arch9wavefront6targetE1EEEvT1_
		.amdhsa_group_segment_fixed_size 0
		.amdhsa_private_segment_fixed_size 0
		.amdhsa_kernarg_size 128
		.amdhsa_user_sgpr_count 2
		.amdhsa_user_sgpr_dispatch_ptr 0
		.amdhsa_user_sgpr_queue_ptr 0
		.amdhsa_user_sgpr_kernarg_segment_ptr 1
		.amdhsa_user_sgpr_dispatch_id 0
		.amdhsa_user_sgpr_kernarg_preload_length 0
		.amdhsa_user_sgpr_kernarg_preload_offset 0
		.amdhsa_user_sgpr_private_segment_size 0
		.amdhsa_uses_dynamic_stack 0
		.amdhsa_enable_private_segment 0
		.amdhsa_system_sgpr_workgroup_id_x 1
		.amdhsa_system_sgpr_workgroup_id_y 0
		.amdhsa_system_sgpr_workgroup_id_z 0
		.amdhsa_system_sgpr_workgroup_info 0
		.amdhsa_system_vgpr_workitem_id 0
		.amdhsa_next_free_vgpr 1
		.amdhsa_next_free_sgpr 0
		.amdhsa_accum_offset 4
		.amdhsa_reserve_vcc 0
		.amdhsa_float_round_mode_32 0
		.amdhsa_float_round_mode_16_64 0
		.amdhsa_float_denorm_mode_32 3
		.amdhsa_float_denorm_mode_16_64 3
		.amdhsa_dx10_clamp 1
		.amdhsa_ieee_mode 1
		.amdhsa_fp16_overflow 0
		.amdhsa_tg_split 0
		.amdhsa_exception_fp_ieee_invalid_op 0
		.amdhsa_exception_fp_denorm_src 0
		.amdhsa_exception_fp_ieee_div_zero 0
		.amdhsa_exception_fp_ieee_overflow 0
		.amdhsa_exception_fp_ieee_underflow 0
		.amdhsa_exception_fp_ieee_inexact 0
		.amdhsa_exception_int_div_zero 0
	.end_amdhsa_kernel
	.section	.text._ZN7rocprim17ROCPRIM_400000_NS6detail17trampoline_kernelINS0_14default_configENS1_33run_length_encode_config_selectorIfjNS0_4plusIjEEEEZZNS1_33reduce_by_key_impl_wrapped_configILNS1_25lookback_scan_determinismE0ES3_S7_PKfNS0_17constant_iteratorIjlEEPfPlSF_S6_NS0_8equal_toIfEEEE10hipError_tPvRmT2_T3_mT4_T5_T6_T7_T8_P12ihipStream_tbENKUlT_T0_E_clISt17integral_constantIbLb0EESY_IbLb1EEEEDaSU_SV_EUlSU_E_NS1_11comp_targetILNS1_3genE9ELNS1_11target_archE1100ELNS1_3gpuE3ELNS1_3repE0EEENS1_30default_config_static_selectorELNS0_4arch9wavefront6targetE1EEEvT1_,"axG",@progbits,_ZN7rocprim17ROCPRIM_400000_NS6detail17trampoline_kernelINS0_14default_configENS1_33run_length_encode_config_selectorIfjNS0_4plusIjEEEEZZNS1_33reduce_by_key_impl_wrapped_configILNS1_25lookback_scan_determinismE0ES3_S7_PKfNS0_17constant_iteratorIjlEEPfPlSF_S6_NS0_8equal_toIfEEEE10hipError_tPvRmT2_T3_mT4_T5_T6_T7_T8_P12ihipStream_tbENKUlT_T0_E_clISt17integral_constantIbLb0EESY_IbLb1EEEEDaSU_SV_EUlSU_E_NS1_11comp_targetILNS1_3genE9ELNS1_11target_archE1100ELNS1_3gpuE3ELNS1_3repE0EEENS1_30default_config_static_selectorELNS0_4arch9wavefront6targetE1EEEvT1_,comdat
.Lfunc_end407:
	.size	_ZN7rocprim17ROCPRIM_400000_NS6detail17trampoline_kernelINS0_14default_configENS1_33run_length_encode_config_selectorIfjNS0_4plusIjEEEEZZNS1_33reduce_by_key_impl_wrapped_configILNS1_25lookback_scan_determinismE0ES3_S7_PKfNS0_17constant_iteratorIjlEEPfPlSF_S6_NS0_8equal_toIfEEEE10hipError_tPvRmT2_T3_mT4_T5_T6_T7_T8_P12ihipStream_tbENKUlT_T0_E_clISt17integral_constantIbLb0EESY_IbLb1EEEEDaSU_SV_EUlSU_E_NS1_11comp_targetILNS1_3genE9ELNS1_11target_archE1100ELNS1_3gpuE3ELNS1_3repE0EEENS1_30default_config_static_selectorELNS0_4arch9wavefront6targetE1EEEvT1_, .Lfunc_end407-_ZN7rocprim17ROCPRIM_400000_NS6detail17trampoline_kernelINS0_14default_configENS1_33run_length_encode_config_selectorIfjNS0_4plusIjEEEEZZNS1_33reduce_by_key_impl_wrapped_configILNS1_25lookback_scan_determinismE0ES3_S7_PKfNS0_17constant_iteratorIjlEEPfPlSF_S6_NS0_8equal_toIfEEEE10hipError_tPvRmT2_T3_mT4_T5_T6_T7_T8_P12ihipStream_tbENKUlT_T0_E_clISt17integral_constantIbLb0EESY_IbLb1EEEEDaSU_SV_EUlSU_E_NS1_11comp_targetILNS1_3genE9ELNS1_11target_archE1100ELNS1_3gpuE3ELNS1_3repE0EEENS1_30default_config_static_selectorELNS0_4arch9wavefront6targetE1EEEvT1_
                                        ; -- End function
	.section	.AMDGPU.csdata,"",@progbits
; Kernel info:
; codeLenInByte = 0
; NumSgprs: 6
; NumVgprs: 0
; NumAgprs: 0
; TotalNumVgprs: 0
; ScratchSize: 0
; MemoryBound: 0
; FloatMode: 240
; IeeeMode: 1
; LDSByteSize: 0 bytes/workgroup (compile time only)
; SGPRBlocks: 0
; VGPRBlocks: 0
; NumSGPRsForWavesPerEU: 6
; NumVGPRsForWavesPerEU: 1
; AccumOffset: 4
; Occupancy: 8
; WaveLimiterHint : 0
; COMPUTE_PGM_RSRC2:SCRATCH_EN: 0
; COMPUTE_PGM_RSRC2:USER_SGPR: 2
; COMPUTE_PGM_RSRC2:TRAP_HANDLER: 0
; COMPUTE_PGM_RSRC2:TGID_X_EN: 1
; COMPUTE_PGM_RSRC2:TGID_Y_EN: 0
; COMPUTE_PGM_RSRC2:TGID_Z_EN: 0
; COMPUTE_PGM_RSRC2:TIDIG_COMP_CNT: 0
; COMPUTE_PGM_RSRC3_GFX90A:ACCUM_OFFSET: 0
; COMPUTE_PGM_RSRC3_GFX90A:TG_SPLIT: 0
	.section	.text._ZN7rocprim17ROCPRIM_400000_NS6detail17trampoline_kernelINS0_14default_configENS1_33run_length_encode_config_selectorIfjNS0_4plusIjEEEEZZNS1_33reduce_by_key_impl_wrapped_configILNS1_25lookback_scan_determinismE0ES3_S7_PKfNS0_17constant_iteratorIjlEEPfPlSF_S6_NS0_8equal_toIfEEEE10hipError_tPvRmT2_T3_mT4_T5_T6_T7_T8_P12ihipStream_tbENKUlT_T0_E_clISt17integral_constantIbLb0EESY_IbLb1EEEEDaSU_SV_EUlSU_E_NS1_11comp_targetILNS1_3genE8ELNS1_11target_archE1030ELNS1_3gpuE2ELNS1_3repE0EEENS1_30default_config_static_selectorELNS0_4arch9wavefront6targetE1EEEvT1_,"axG",@progbits,_ZN7rocprim17ROCPRIM_400000_NS6detail17trampoline_kernelINS0_14default_configENS1_33run_length_encode_config_selectorIfjNS0_4plusIjEEEEZZNS1_33reduce_by_key_impl_wrapped_configILNS1_25lookback_scan_determinismE0ES3_S7_PKfNS0_17constant_iteratorIjlEEPfPlSF_S6_NS0_8equal_toIfEEEE10hipError_tPvRmT2_T3_mT4_T5_T6_T7_T8_P12ihipStream_tbENKUlT_T0_E_clISt17integral_constantIbLb0EESY_IbLb1EEEEDaSU_SV_EUlSU_E_NS1_11comp_targetILNS1_3genE8ELNS1_11target_archE1030ELNS1_3gpuE2ELNS1_3repE0EEENS1_30default_config_static_selectorELNS0_4arch9wavefront6targetE1EEEvT1_,comdat
	.protected	_ZN7rocprim17ROCPRIM_400000_NS6detail17trampoline_kernelINS0_14default_configENS1_33run_length_encode_config_selectorIfjNS0_4plusIjEEEEZZNS1_33reduce_by_key_impl_wrapped_configILNS1_25lookback_scan_determinismE0ES3_S7_PKfNS0_17constant_iteratorIjlEEPfPlSF_S6_NS0_8equal_toIfEEEE10hipError_tPvRmT2_T3_mT4_T5_T6_T7_T8_P12ihipStream_tbENKUlT_T0_E_clISt17integral_constantIbLb0EESY_IbLb1EEEEDaSU_SV_EUlSU_E_NS1_11comp_targetILNS1_3genE8ELNS1_11target_archE1030ELNS1_3gpuE2ELNS1_3repE0EEENS1_30default_config_static_selectorELNS0_4arch9wavefront6targetE1EEEvT1_ ; -- Begin function _ZN7rocprim17ROCPRIM_400000_NS6detail17trampoline_kernelINS0_14default_configENS1_33run_length_encode_config_selectorIfjNS0_4plusIjEEEEZZNS1_33reduce_by_key_impl_wrapped_configILNS1_25lookback_scan_determinismE0ES3_S7_PKfNS0_17constant_iteratorIjlEEPfPlSF_S6_NS0_8equal_toIfEEEE10hipError_tPvRmT2_T3_mT4_T5_T6_T7_T8_P12ihipStream_tbENKUlT_T0_E_clISt17integral_constantIbLb0EESY_IbLb1EEEEDaSU_SV_EUlSU_E_NS1_11comp_targetILNS1_3genE8ELNS1_11target_archE1030ELNS1_3gpuE2ELNS1_3repE0EEENS1_30default_config_static_selectorELNS0_4arch9wavefront6targetE1EEEvT1_
	.globl	_ZN7rocprim17ROCPRIM_400000_NS6detail17trampoline_kernelINS0_14default_configENS1_33run_length_encode_config_selectorIfjNS0_4plusIjEEEEZZNS1_33reduce_by_key_impl_wrapped_configILNS1_25lookback_scan_determinismE0ES3_S7_PKfNS0_17constant_iteratorIjlEEPfPlSF_S6_NS0_8equal_toIfEEEE10hipError_tPvRmT2_T3_mT4_T5_T6_T7_T8_P12ihipStream_tbENKUlT_T0_E_clISt17integral_constantIbLb0EESY_IbLb1EEEEDaSU_SV_EUlSU_E_NS1_11comp_targetILNS1_3genE8ELNS1_11target_archE1030ELNS1_3gpuE2ELNS1_3repE0EEENS1_30default_config_static_selectorELNS0_4arch9wavefront6targetE1EEEvT1_
	.p2align	8
	.type	_ZN7rocprim17ROCPRIM_400000_NS6detail17trampoline_kernelINS0_14default_configENS1_33run_length_encode_config_selectorIfjNS0_4plusIjEEEEZZNS1_33reduce_by_key_impl_wrapped_configILNS1_25lookback_scan_determinismE0ES3_S7_PKfNS0_17constant_iteratorIjlEEPfPlSF_S6_NS0_8equal_toIfEEEE10hipError_tPvRmT2_T3_mT4_T5_T6_T7_T8_P12ihipStream_tbENKUlT_T0_E_clISt17integral_constantIbLb0EESY_IbLb1EEEEDaSU_SV_EUlSU_E_NS1_11comp_targetILNS1_3genE8ELNS1_11target_archE1030ELNS1_3gpuE2ELNS1_3repE0EEENS1_30default_config_static_selectorELNS0_4arch9wavefront6targetE1EEEvT1_,@function
_ZN7rocprim17ROCPRIM_400000_NS6detail17trampoline_kernelINS0_14default_configENS1_33run_length_encode_config_selectorIfjNS0_4plusIjEEEEZZNS1_33reduce_by_key_impl_wrapped_configILNS1_25lookback_scan_determinismE0ES3_S7_PKfNS0_17constant_iteratorIjlEEPfPlSF_S6_NS0_8equal_toIfEEEE10hipError_tPvRmT2_T3_mT4_T5_T6_T7_T8_P12ihipStream_tbENKUlT_T0_E_clISt17integral_constantIbLb0EESY_IbLb1EEEEDaSU_SV_EUlSU_E_NS1_11comp_targetILNS1_3genE8ELNS1_11target_archE1030ELNS1_3gpuE2ELNS1_3repE0EEENS1_30default_config_static_selectorELNS0_4arch9wavefront6targetE1EEEvT1_: ; @_ZN7rocprim17ROCPRIM_400000_NS6detail17trampoline_kernelINS0_14default_configENS1_33run_length_encode_config_selectorIfjNS0_4plusIjEEEEZZNS1_33reduce_by_key_impl_wrapped_configILNS1_25lookback_scan_determinismE0ES3_S7_PKfNS0_17constant_iteratorIjlEEPfPlSF_S6_NS0_8equal_toIfEEEE10hipError_tPvRmT2_T3_mT4_T5_T6_T7_T8_P12ihipStream_tbENKUlT_T0_E_clISt17integral_constantIbLb0EESY_IbLb1EEEEDaSU_SV_EUlSU_E_NS1_11comp_targetILNS1_3genE8ELNS1_11target_archE1030ELNS1_3gpuE2ELNS1_3repE0EEENS1_30default_config_static_selectorELNS0_4arch9wavefront6targetE1EEEvT1_
; %bb.0:
	.section	.rodata,"a",@progbits
	.p2align	6, 0x0
	.amdhsa_kernel _ZN7rocprim17ROCPRIM_400000_NS6detail17trampoline_kernelINS0_14default_configENS1_33run_length_encode_config_selectorIfjNS0_4plusIjEEEEZZNS1_33reduce_by_key_impl_wrapped_configILNS1_25lookback_scan_determinismE0ES3_S7_PKfNS0_17constant_iteratorIjlEEPfPlSF_S6_NS0_8equal_toIfEEEE10hipError_tPvRmT2_T3_mT4_T5_T6_T7_T8_P12ihipStream_tbENKUlT_T0_E_clISt17integral_constantIbLb0EESY_IbLb1EEEEDaSU_SV_EUlSU_E_NS1_11comp_targetILNS1_3genE8ELNS1_11target_archE1030ELNS1_3gpuE2ELNS1_3repE0EEENS1_30default_config_static_selectorELNS0_4arch9wavefront6targetE1EEEvT1_
		.amdhsa_group_segment_fixed_size 0
		.amdhsa_private_segment_fixed_size 0
		.amdhsa_kernarg_size 128
		.amdhsa_user_sgpr_count 2
		.amdhsa_user_sgpr_dispatch_ptr 0
		.amdhsa_user_sgpr_queue_ptr 0
		.amdhsa_user_sgpr_kernarg_segment_ptr 1
		.amdhsa_user_sgpr_dispatch_id 0
		.amdhsa_user_sgpr_kernarg_preload_length 0
		.amdhsa_user_sgpr_kernarg_preload_offset 0
		.amdhsa_user_sgpr_private_segment_size 0
		.amdhsa_uses_dynamic_stack 0
		.amdhsa_enable_private_segment 0
		.amdhsa_system_sgpr_workgroup_id_x 1
		.amdhsa_system_sgpr_workgroup_id_y 0
		.amdhsa_system_sgpr_workgroup_id_z 0
		.amdhsa_system_sgpr_workgroup_info 0
		.amdhsa_system_vgpr_workitem_id 0
		.amdhsa_next_free_vgpr 1
		.amdhsa_next_free_sgpr 0
		.amdhsa_accum_offset 4
		.amdhsa_reserve_vcc 0
		.amdhsa_float_round_mode_32 0
		.amdhsa_float_round_mode_16_64 0
		.amdhsa_float_denorm_mode_32 3
		.amdhsa_float_denorm_mode_16_64 3
		.amdhsa_dx10_clamp 1
		.amdhsa_ieee_mode 1
		.amdhsa_fp16_overflow 0
		.amdhsa_tg_split 0
		.amdhsa_exception_fp_ieee_invalid_op 0
		.amdhsa_exception_fp_denorm_src 0
		.amdhsa_exception_fp_ieee_div_zero 0
		.amdhsa_exception_fp_ieee_overflow 0
		.amdhsa_exception_fp_ieee_underflow 0
		.amdhsa_exception_fp_ieee_inexact 0
		.amdhsa_exception_int_div_zero 0
	.end_amdhsa_kernel
	.section	.text._ZN7rocprim17ROCPRIM_400000_NS6detail17trampoline_kernelINS0_14default_configENS1_33run_length_encode_config_selectorIfjNS0_4plusIjEEEEZZNS1_33reduce_by_key_impl_wrapped_configILNS1_25lookback_scan_determinismE0ES3_S7_PKfNS0_17constant_iteratorIjlEEPfPlSF_S6_NS0_8equal_toIfEEEE10hipError_tPvRmT2_T3_mT4_T5_T6_T7_T8_P12ihipStream_tbENKUlT_T0_E_clISt17integral_constantIbLb0EESY_IbLb1EEEEDaSU_SV_EUlSU_E_NS1_11comp_targetILNS1_3genE8ELNS1_11target_archE1030ELNS1_3gpuE2ELNS1_3repE0EEENS1_30default_config_static_selectorELNS0_4arch9wavefront6targetE1EEEvT1_,"axG",@progbits,_ZN7rocprim17ROCPRIM_400000_NS6detail17trampoline_kernelINS0_14default_configENS1_33run_length_encode_config_selectorIfjNS0_4plusIjEEEEZZNS1_33reduce_by_key_impl_wrapped_configILNS1_25lookback_scan_determinismE0ES3_S7_PKfNS0_17constant_iteratorIjlEEPfPlSF_S6_NS0_8equal_toIfEEEE10hipError_tPvRmT2_T3_mT4_T5_T6_T7_T8_P12ihipStream_tbENKUlT_T0_E_clISt17integral_constantIbLb0EESY_IbLb1EEEEDaSU_SV_EUlSU_E_NS1_11comp_targetILNS1_3genE8ELNS1_11target_archE1030ELNS1_3gpuE2ELNS1_3repE0EEENS1_30default_config_static_selectorELNS0_4arch9wavefront6targetE1EEEvT1_,comdat
.Lfunc_end408:
	.size	_ZN7rocprim17ROCPRIM_400000_NS6detail17trampoline_kernelINS0_14default_configENS1_33run_length_encode_config_selectorIfjNS0_4plusIjEEEEZZNS1_33reduce_by_key_impl_wrapped_configILNS1_25lookback_scan_determinismE0ES3_S7_PKfNS0_17constant_iteratorIjlEEPfPlSF_S6_NS0_8equal_toIfEEEE10hipError_tPvRmT2_T3_mT4_T5_T6_T7_T8_P12ihipStream_tbENKUlT_T0_E_clISt17integral_constantIbLb0EESY_IbLb1EEEEDaSU_SV_EUlSU_E_NS1_11comp_targetILNS1_3genE8ELNS1_11target_archE1030ELNS1_3gpuE2ELNS1_3repE0EEENS1_30default_config_static_selectorELNS0_4arch9wavefront6targetE1EEEvT1_, .Lfunc_end408-_ZN7rocprim17ROCPRIM_400000_NS6detail17trampoline_kernelINS0_14default_configENS1_33run_length_encode_config_selectorIfjNS0_4plusIjEEEEZZNS1_33reduce_by_key_impl_wrapped_configILNS1_25lookback_scan_determinismE0ES3_S7_PKfNS0_17constant_iteratorIjlEEPfPlSF_S6_NS0_8equal_toIfEEEE10hipError_tPvRmT2_T3_mT4_T5_T6_T7_T8_P12ihipStream_tbENKUlT_T0_E_clISt17integral_constantIbLb0EESY_IbLb1EEEEDaSU_SV_EUlSU_E_NS1_11comp_targetILNS1_3genE8ELNS1_11target_archE1030ELNS1_3gpuE2ELNS1_3repE0EEENS1_30default_config_static_selectorELNS0_4arch9wavefront6targetE1EEEvT1_
                                        ; -- End function
	.section	.AMDGPU.csdata,"",@progbits
; Kernel info:
; codeLenInByte = 0
; NumSgprs: 6
; NumVgprs: 0
; NumAgprs: 0
; TotalNumVgprs: 0
; ScratchSize: 0
; MemoryBound: 0
; FloatMode: 240
; IeeeMode: 1
; LDSByteSize: 0 bytes/workgroup (compile time only)
; SGPRBlocks: 0
; VGPRBlocks: 0
; NumSGPRsForWavesPerEU: 6
; NumVGPRsForWavesPerEU: 1
; AccumOffset: 4
; Occupancy: 8
; WaveLimiterHint : 0
; COMPUTE_PGM_RSRC2:SCRATCH_EN: 0
; COMPUTE_PGM_RSRC2:USER_SGPR: 2
; COMPUTE_PGM_RSRC2:TRAP_HANDLER: 0
; COMPUTE_PGM_RSRC2:TGID_X_EN: 1
; COMPUTE_PGM_RSRC2:TGID_Y_EN: 0
; COMPUTE_PGM_RSRC2:TGID_Z_EN: 0
; COMPUTE_PGM_RSRC2:TIDIG_COMP_CNT: 0
; COMPUTE_PGM_RSRC3_GFX90A:ACCUM_OFFSET: 0
; COMPUTE_PGM_RSRC3_GFX90A:TG_SPLIT: 0
	.section	.text._ZN2at6native8internal12_GLOBAL__N_126adjacent_difference_kernelIPKiEEvlT_Pi,"axG",@progbits,_ZN2at6native8internal12_GLOBAL__N_126adjacent_difference_kernelIPKiEEvlT_Pi,comdat
	.globl	_ZN2at6native8internal12_GLOBAL__N_126adjacent_difference_kernelIPKiEEvlT_Pi ; -- Begin function _ZN2at6native8internal12_GLOBAL__N_126adjacent_difference_kernelIPKiEEvlT_Pi
	.p2align	8
	.type	_ZN2at6native8internal12_GLOBAL__N_126adjacent_difference_kernelIPKiEEvlT_Pi,@function
_ZN2at6native8internal12_GLOBAL__N_126adjacent_difference_kernelIPKiEEvlT_Pi: ; @_ZN2at6native8internal12_GLOBAL__N_126adjacent_difference_kernelIPKiEEvlT_Pi
; %bb.0:
	s_load_dword s3, s[0:1], 0x24
	s_load_dwordx4 s[4:7], s[0:1], 0x0
	s_add_u32 s10, s0, 24
	s_addc_u32 s11, s1, 0
	v_mov_b32_e32 v1, 0
	s_waitcnt lgkmcnt(0)
	s_and_b32 s12, s3, 0xffff
	v_mov_b32_e32 v2, s2
	v_mad_u64_u32 v[4:5], s[8:9], s12, v2, v[0:1]
	v_cmp_gt_i64_e32 vcc, s[4:5], v[4:5]
	s_and_saveexec_b64 s[8:9], vcc
	s_cbranch_execz .LBB409_5
; %bb.1:
	s_load_dword s13, s[10:11], 0x0
	s_load_dwordx2 s[8:9], s[0:1], 0x10
	s_mul_hi_u32 s1, s12, s2
	s_mul_i32 s0, s12, s2
	s_mov_b32 s3, 0
	s_waitcnt lgkmcnt(0)
	s_mul_i32 s2, s13, s12
	v_mov_b32_e32 v2, v1
	v_mov_b32_e32 v3, v4
	s_mov_b32 s10, s3
	s_mov_b32 s11, s2
	s_mov_b64 s[12:13], 0
	v_mov_b64_e32 v[4:5], v[0:1]
	s_branch .LBB409_3
.LBB409_2:                              ;   in Loop: Header=BB409_3 Depth=1
	s_or_b64 exec, exec, s[14:15]
	v_ashrrev_i64 v[6:7], 30, v[2:3]
	v_lshl_add_u64 v[6:7], s[8:9], 0, v[6:7]
	v_lshl_add_u64 v[4:5], v[4:5], 0, s[2:3]
	global_store_dword v[6:7], v0, off
	v_lshl_add_u64 v[6:7], s[0:1], 0, v[4:5]
	v_cmp_le_i64_e32 vcc, s[4:5], v[6:7]
	s_or_b64 s[12:13], vcc, s[12:13]
	v_lshl_add_u64 v[2:3], v[2:3], 0, s[10:11]
	s_andn2_b64 exec, exec, s[12:13]
	s_cbranch_execz .LBB409_5
.LBB409_3:                              ; =>This Inner Loop Header: Depth=1
	v_add_u32_e32 v0, s0, v4
	v_cmp_lt_i32_e32 vcc, 0, v0
	v_mov_b32_e32 v0, 0
	s_and_saveexec_b64 s[14:15], vcc
	s_cbranch_execz .LBB409_2
; %bb.4:                                ;   in Loop: Header=BB409_3 Depth=1
	v_add_u32_e32 v8, s0, v4
	v_and_b32_e32 v0, 0x7fffffff, v8
	v_lshl_add_u64 v[6:7], v[0:1], 2, s[6:7]
	v_add_u32_e32 v0, -1, v8
	v_lshl_add_u64 v[8:9], v[0:1], 2, s[6:7]
	global_load_dword v0, v[6:7], off
	global_load_dword v10, v[8:9], off
	s_waitcnt vmcnt(0)
	v_cmp_ne_u32_e32 vcc, v0, v10
	s_nop 1
	v_cndmask_b32_e64 v0, 0, 1, vcc
	s_branch .LBB409_2
.LBB409_5:
	s_endpgm
	.section	.rodata,"a",@progbits
	.p2align	6, 0x0
	.amdhsa_kernel _ZN2at6native8internal12_GLOBAL__N_126adjacent_difference_kernelIPKiEEvlT_Pi
		.amdhsa_group_segment_fixed_size 0
		.amdhsa_private_segment_fixed_size 0
		.amdhsa_kernarg_size 280
		.amdhsa_user_sgpr_count 2
		.amdhsa_user_sgpr_dispatch_ptr 0
		.amdhsa_user_sgpr_queue_ptr 0
		.amdhsa_user_sgpr_kernarg_segment_ptr 1
		.amdhsa_user_sgpr_dispatch_id 0
		.amdhsa_user_sgpr_kernarg_preload_length 0
		.amdhsa_user_sgpr_kernarg_preload_offset 0
		.amdhsa_user_sgpr_private_segment_size 0
		.amdhsa_uses_dynamic_stack 0
		.amdhsa_enable_private_segment 0
		.amdhsa_system_sgpr_workgroup_id_x 1
		.amdhsa_system_sgpr_workgroup_id_y 0
		.amdhsa_system_sgpr_workgroup_id_z 0
		.amdhsa_system_sgpr_workgroup_info 0
		.amdhsa_system_vgpr_workitem_id 0
		.amdhsa_next_free_vgpr 11
		.amdhsa_next_free_sgpr 16
		.amdhsa_accum_offset 12
		.amdhsa_reserve_vcc 1
		.amdhsa_float_round_mode_32 0
		.amdhsa_float_round_mode_16_64 0
		.amdhsa_float_denorm_mode_32 3
		.amdhsa_float_denorm_mode_16_64 3
		.amdhsa_dx10_clamp 1
		.amdhsa_ieee_mode 1
		.amdhsa_fp16_overflow 0
		.amdhsa_tg_split 0
		.amdhsa_exception_fp_ieee_invalid_op 0
		.amdhsa_exception_fp_denorm_src 0
		.amdhsa_exception_fp_ieee_div_zero 0
		.amdhsa_exception_fp_ieee_overflow 0
		.amdhsa_exception_fp_ieee_underflow 0
		.amdhsa_exception_fp_ieee_inexact 0
		.amdhsa_exception_int_div_zero 0
	.end_amdhsa_kernel
	.section	.text._ZN2at6native8internal12_GLOBAL__N_126adjacent_difference_kernelIPKiEEvlT_Pi,"axG",@progbits,_ZN2at6native8internal12_GLOBAL__N_126adjacent_difference_kernelIPKiEEvlT_Pi,comdat
.Lfunc_end409:
	.size	_ZN2at6native8internal12_GLOBAL__N_126adjacent_difference_kernelIPKiEEvlT_Pi, .Lfunc_end409-_ZN2at6native8internal12_GLOBAL__N_126adjacent_difference_kernelIPKiEEvlT_Pi
                                        ; -- End function
	.section	.AMDGPU.csdata,"",@progbits
; Kernel info:
; codeLenInByte = 292
; NumSgprs: 22
; NumVgprs: 11
; NumAgprs: 0
; TotalNumVgprs: 11
; ScratchSize: 0
; MemoryBound: 0
; FloatMode: 240
; IeeeMode: 1
; LDSByteSize: 0 bytes/workgroup (compile time only)
; SGPRBlocks: 2
; VGPRBlocks: 1
; NumSGPRsForWavesPerEU: 22
; NumVGPRsForWavesPerEU: 11
; AccumOffset: 12
; Occupancy: 8
; WaveLimiterHint : 0
; COMPUTE_PGM_RSRC2:SCRATCH_EN: 0
; COMPUTE_PGM_RSRC2:USER_SGPR: 2
; COMPUTE_PGM_RSRC2:TRAP_HANDLER: 0
; COMPUTE_PGM_RSRC2:TGID_X_EN: 1
; COMPUTE_PGM_RSRC2:TGID_Y_EN: 0
; COMPUTE_PGM_RSRC2:TGID_Z_EN: 0
; COMPUTE_PGM_RSRC2:TIDIG_COMP_CNT: 0
; COMPUTE_PGM_RSRC3_GFX90A:ACCUM_OFFSET: 2
; COMPUTE_PGM_RSRC3_GFX90A:TG_SPLIT: 0
	.section	.text._ZN7rocprim17ROCPRIM_400000_NS6detail17trampoline_kernelINS0_14default_configENS1_25partition_config_selectorILNS1_17partition_subalgoE8EiNS0_10empty_typeEbEEZZNS1_14partition_implILS5_8ELb0ES3_jPKiPS6_PKS6_NS0_5tupleIJPiS6_EEENSE_IJSB_SB_EEENS0_18inequality_wrapperIN6hipcub16HIPCUB_304000_NS8EqualityEEEPlJS6_EEE10hipError_tPvRmT3_T4_T5_T6_T7_T9_mT8_P12ihipStream_tbDpT10_ENKUlT_T0_E_clISt17integral_constantIbLb0EES17_EEDaS12_S13_EUlS12_E_NS1_11comp_targetILNS1_3genE0ELNS1_11target_archE4294967295ELNS1_3gpuE0ELNS1_3repE0EEENS1_30default_config_static_selectorELNS0_4arch9wavefront6targetE1EEEvT1_,"axG",@progbits,_ZN7rocprim17ROCPRIM_400000_NS6detail17trampoline_kernelINS0_14default_configENS1_25partition_config_selectorILNS1_17partition_subalgoE8EiNS0_10empty_typeEbEEZZNS1_14partition_implILS5_8ELb0ES3_jPKiPS6_PKS6_NS0_5tupleIJPiS6_EEENSE_IJSB_SB_EEENS0_18inequality_wrapperIN6hipcub16HIPCUB_304000_NS8EqualityEEEPlJS6_EEE10hipError_tPvRmT3_T4_T5_T6_T7_T9_mT8_P12ihipStream_tbDpT10_ENKUlT_T0_E_clISt17integral_constantIbLb0EES17_EEDaS12_S13_EUlS12_E_NS1_11comp_targetILNS1_3genE0ELNS1_11target_archE4294967295ELNS1_3gpuE0ELNS1_3repE0EEENS1_30default_config_static_selectorELNS0_4arch9wavefront6targetE1EEEvT1_,comdat
	.protected	_ZN7rocprim17ROCPRIM_400000_NS6detail17trampoline_kernelINS0_14default_configENS1_25partition_config_selectorILNS1_17partition_subalgoE8EiNS0_10empty_typeEbEEZZNS1_14partition_implILS5_8ELb0ES3_jPKiPS6_PKS6_NS0_5tupleIJPiS6_EEENSE_IJSB_SB_EEENS0_18inequality_wrapperIN6hipcub16HIPCUB_304000_NS8EqualityEEEPlJS6_EEE10hipError_tPvRmT3_T4_T5_T6_T7_T9_mT8_P12ihipStream_tbDpT10_ENKUlT_T0_E_clISt17integral_constantIbLb0EES17_EEDaS12_S13_EUlS12_E_NS1_11comp_targetILNS1_3genE0ELNS1_11target_archE4294967295ELNS1_3gpuE0ELNS1_3repE0EEENS1_30default_config_static_selectorELNS0_4arch9wavefront6targetE1EEEvT1_ ; -- Begin function _ZN7rocprim17ROCPRIM_400000_NS6detail17trampoline_kernelINS0_14default_configENS1_25partition_config_selectorILNS1_17partition_subalgoE8EiNS0_10empty_typeEbEEZZNS1_14partition_implILS5_8ELb0ES3_jPKiPS6_PKS6_NS0_5tupleIJPiS6_EEENSE_IJSB_SB_EEENS0_18inequality_wrapperIN6hipcub16HIPCUB_304000_NS8EqualityEEEPlJS6_EEE10hipError_tPvRmT3_T4_T5_T6_T7_T9_mT8_P12ihipStream_tbDpT10_ENKUlT_T0_E_clISt17integral_constantIbLb0EES17_EEDaS12_S13_EUlS12_E_NS1_11comp_targetILNS1_3genE0ELNS1_11target_archE4294967295ELNS1_3gpuE0ELNS1_3repE0EEENS1_30default_config_static_selectorELNS0_4arch9wavefront6targetE1EEEvT1_
	.globl	_ZN7rocprim17ROCPRIM_400000_NS6detail17trampoline_kernelINS0_14default_configENS1_25partition_config_selectorILNS1_17partition_subalgoE8EiNS0_10empty_typeEbEEZZNS1_14partition_implILS5_8ELb0ES3_jPKiPS6_PKS6_NS0_5tupleIJPiS6_EEENSE_IJSB_SB_EEENS0_18inequality_wrapperIN6hipcub16HIPCUB_304000_NS8EqualityEEEPlJS6_EEE10hipError_tPvRmT3_T4_T5_T6_T7_T9_mT8_P12ihipStream_tbDpT10_ENKUlT_T0_E_clISt17integral_constantIbLb0EES17_EEDaS12_S13_EUlS12_E_NS1_11comp_targetILNS1_3genE0ELNS1_11target_archE4294967295ELNS1_3gpuE0ELNS1_3repE0EEENS1_30default_config_static_selectorELNS0_4arch9wavefront6targetE1EEEvT1_
	.p2align	8
	.type	_ZN7rocprim17ROCPRIM_400000_NS6detail17trampoline_kernelINS0_14default_configENS1_25partition_config_selectorILNS1_17partition_subalgoE8EiNS0_10empty_typeEbEEZZNS1_14partition_implILS5_8ELb0ES3_jPKiPS6_PKS6_NS0_5tupleIJPiS6_EEENSE_IJSB_SB_EEENS0_18inequality_wrapperIN6hipcub16HIPCUB_304000_NS8EqualityEEEPlJS6_EEE10hipError_tPvRmT3_T4_T5_T6_T7_T9_mT8_P12ihipStream_tbDpT10_ENKUlT_T0_E_clISt17integral_constantIbLb0EES17_EEDaS12_S13_EUlS12_E_NS1_11comp_targetILNS1_3genE0ELNS1_11target_archE4294967295ELNS1_3gpuE0ELNS1_3repE0EEENS1_30default_config_static_selectorELNS0_4arch9wavefront6targetE1EEEvT1_,@function
_ZN7rocprim17ROCPRIM_400000_NS6detail17trampoline_kernelINS0_14default_configENS1_25partition_config_selectorILNS1_17partition_subalgoE8EiNS0_10empty_typeEbEEZZNS1_14partition_implILS5_8ELb0ES3_jPKiPS6_PKS6_NS0_5tupleIJPiS6_EEENSE_IJSB_SB_EEENS0_18inequality_wrapperIN6hipcub16HIPCUB_304000_NS8EqualityEEEPlJS6_EEE10hipError_tPvRmT3_T4_T5_T6_T7_T9_mT8_P12ihipStream_tbDpT10_ENKUlT_T0_E_clISt17integral_constantIbLb0EES17_EEDaS12_S13_EUlS12_E_NS1_11comp_targetILNS1_3genE0ELNS1_11target_archE4294967295ELNS1_3gpuE0ELNS1_3repE0EEENS1_30default_config_static_selectorELNS0_4arch9wavefront6targetE1EEEvT1_: ; @_ZN7rocprim17ROCPRIM_400000_NS6detail17trampoline_kernelINS0_14default_configENS1_25partition_config_selectorILNS1_17partition_subalgoE8EiNS0_10empty_typeEbEEZZNS1_14partition_implILS5_8ELb0ES3_jPKiPS6_PKS6_NS0_5tupleIJPiS6_EEENSE_IJSB_SB_EEENS0_18inequality_wrapperIN6hipcub16HIPCUB_304000_NS8EqualityEEEPlJS6_EEE10hipError_tPvRmT3_T4_T5_T6_T7_T9_mT8_P12ihipStream_tbDpT10_ENKUlT_T0_E_clISt17integral_constantIbLb0EES17_EEDaS12_S13_EUlS12_E_NS1_11comp_targetILNS1_3genE0ELNS1_11target_archE4294967295ELNS1_3gpuE0ELNS1_3repE0EEENS1_30default_config_static_selectorELNS0_4arch9wavefront6targetE1EEEvT1_
; %bb.0:
	.section	.rodata,"a",@progbits
	.p2align	6, 0x0
	.amdhsa_kernel _ZN7rocprim17ROCPRIM_400000_NS6detail17trampoline_kernelINS0_14default_configENS1_25partition_config_selectorILNS1_17partition_subalgoE8EiNS0_10empty_typeEbEEZZNS1_14partition_implILS5_8ELb0ES3_jPKiPS6_PKS6_NS0_5tupleIJPiS6_EEENSE_IJSB_SB_EEENS0_18inequality_wrapperIN6hipcub16HIPCUB_304000_NS8EqualityEEEPlJS6_EEE10hipError_tPvRmT3_T4_T5_T6_T7_T9_mT8_P12ihipStream_tbDpT10_ENKUlT_T0_E_clISt17integral_constantIbLb0EES17_EEDaS12_S13_EUlS12_E_NS1_11comp_targetILNS1_3genE0ELNS1_11target_archE4294967295ELNS1_3gpuE0ELNS1_3repE0EEENS1_30default_config_static_selectorELNS0_4arch9wavefront6targetE1EEEvT1_
		.amdhsa_group_segment_fixed_size 0
		.amdhsa_private_segment_fixed_size 0
		.amdhsa_kernarg_size 112
		.amdhsa_user_sgpr_count 2
		.amdhsa_user_sgpr_dispatch_ptr 0
		.amdhsa_user_sgpr_queue_ptr 0
		.amdhsa_user_sgpr_kernarg_segment_ptr 1
		.amdhsa_user_sgpr_dispatch_id 0
		.amdhsa_user_sgpr_kernarg_preload_length 0
		.amdhsa_user_sgpr_kernarg_preload_offset 0
		.amdhsa_user_sgpr_private_segment_size 0
		.amdhsa_uses_dynamic_stack 0
		.amdhsa_enable_private_segment 0
		.amdhsa_system_sgpr_workgroup_id_x 1
		.amdhsa_system_sgpr_workgroup_id_y 0
		.amdhsa_system_sgpr_workgroup_id_z 0
		.amdhsa_system_sgpr_workgroup_info 0
		.amdhsa_system_vgpr_workitem_id 0
		.amdhsa_next_free_vgpr 1
		.amdhsa_next_free_sgpr 0
		.amdhsa_accum_offset 4
		.amdhsa_reserve_vcc 0
		.amdhsa_float_round_mode_32 0
		.amdhsa_float_round_mode_16_64 0
		.amdhsa_float_denorm_mode_32 3
		.amdhsa_float_denorm_mode_16_64 3
		.amdhsa_dx10_clamp 1
		.amdhsa_ieee_mode 1
		.amdhsa_fp16_overflow 0
		.amdhsa_tg_split 0
		.amdhsa_exception_fp_ieee_invalid_op 0
		.amdhsa_exception_fp_denorm_src 0
		.amdhsa_exception_fp_ieee_div_zero 0
		.amdhsa_exception_fp_ieee_overflow 0
		.amdhsa_exception_fp_ieee_underflow 0
		.amdhsa_exception_fp_ieee_inexact 0
		.amdhsa_exception_int_div_zero 0
	.end_amdhsa_kernel
	.section	.text._ZN7rocprim17ROCPRIM_400000_NS6detail17trampoline_kernelINS0_14default_configENS1_25partition_config_selectorILNS1_17partition_subalgoE8EiNS0_10empty_typeEbEEZZNS1_14partition_implILS5_8ELb0ES3_jPKiPS6_PKS6_NS0_5tupleIJPiS6_EEENSE_IJSB_SB_EEENS0_18inequality_wrapperIN6hipcub16HIPCUB_304000_NS8EqualityEEEPlJS6_EEE10hipError_tPvRmT3_T4_T5_T6_T7_T9_mT8_P12ihipStream_tbDpT10_ENKUlT_T0_E_clISt17integral_constantIbLb0EES17_EEDaS12_S13_EUlS12_E_NS1_11comp_targetILNS1_3genE0ELNS1_11target_archE4294967295ELNS1_3gpuE0ELNS1_3repE0EEENS1_30default_config_static_selectorELNS0_4arch9wavefront6targetE1EEEvT1_,"axG",@progbits,_ZN7rocprim17ROCPRIM_400000_NS6detail17trampoline_kernelINS0_14default_configENS1_25partition_config_selectorILNS1_17partition_subalgoE8EiNS0_10empty_typeEbEEZZNS1_14partition_implILS5_8ELb0ES3_jPKiPS6_PKS6_NS0_5tupleIJPiS6_EEENSE_IJSB_SB_EEENS0_18inequality_wrapperIN6hipcub16HIPCUB_304000_NS8EqualityEEEPlJS6_EEE10hipError_tPvRmT3_T4_T5_T6_T7_T9_mT8_P12ihipStream_tbDpT10_ENKUlT_T0_E_clISt17integral_constantIbLb0EES17_EEDaS12_S13_EUlS12_E_NS1_11comp_targetILNS1_3genE0ELNS1_11target_archE4294967295ELNS1_3gpuE0ELNS1_3repE0EEENS1_30default_config_static_selectorELNS0_4arch9wavefront6targetE1EEEvT1_,comdat
.Lfunc_end410:
	.size	_ZN7rocprim17ROCPRIM_400000_NS6detail17trampoline_kernelINS0_14default_configENS1_25partition_config_selectorILNS1_17partition_subalgoE8EiNS0_10empty_typeEbEEZZNS1_14partition_implILS5_8ELb0ES3_jPKiPS6_PKS6_NS0_5tupleIJPiS6_EEENSE_IJSB_SB_EEENS0_18inequality_wrapperIN6hipcub16HIPCUB_304000_NS8EqualityEEEPlJS6_EEE10hipError_tPvRmT3_T4_T5_T6_T7_T9_mT8_P12ihipStream_tbDpT10_ENKUlT_T0_E_clISt17integral_constantIbLb0EES17_EEDaS12_S13_EUlS12_E_NS1_11comp_targetILNS1_3genE0ELNS1_11target_archE4294967295ELNS1_3gpuE0ELNS1_3repE0EEENS1_30default_config_static_selectorELNS0_4arch9wavefront6targetE1EEEvT1_, .Lfunc_end410-_ZN7rocprim17ROCPRIM_400000_NS6detail17trampoline_kernelINS0_14default_configENS1_25partition_config_selectorILNS1_17partition_subalgoE8EiNS0_10empty_typeEbEEZZNS1_14partition_implILS5_8ELb0ES3_jPKiPS6_PKS6_NS0_5tupleIJPiS6_EEENSE_IJSB_SB_EEENS0_18inequality_wrapperIN6hipcub16HIPCUB_304000_NS8EqualityEEEPlJS6_EEE10hipError_tPvRmT3_T4_T5_T6_T7_T9_mT8_P12ihipStream_tbDpT10_ENKUlT_T0_E_clISt17integral_constantIbLb0EES17_EEDaS12_S13_EUlS12_E_NS1_11comp_targetILNS1_3genE0ELNS1_11target_archE4294967295ELNS1_3gpuE0ELNS1_3repE0EEENS1_30default_config_static_selectorELNS0_4arch9wavefront6targetE1EEEvT1_
                                        ; -- End function
	.section	.AMDGPU.csdata,"",@progbits
; Kernel info:
; codeLenInByte = 0
; NumSgprs: 6
; NumVgprs: 0
; NumAgprs: 0
; TotalNumVgprs: 0
; ScratchSize: 0
; MemoryBound: 0
; FloatMode: 240
; IeeeMode: 1
; LDSByteSize: 0 bytes/workgroup (compile time only)
; SGPRBlocks: 0
; VGPRBlocks: 0
; NumSGPRsForWavesPerEU: 6
; NumVGPRsForWavesPerEU: 1
; AccumOffset: 4
; Occupancy: 8
; WaveLimiterHint : 0
; COMPUTE_PGM_RSRC2:SCRATCH_EN: 0
; COMPUTE_PGM_RSRC2:USER_SGPR: 2
; COMPUTE_PGM_RSRC2:TRAP_HANDLER: 0
; COMPUTE_PGM_RSRC2:TGID_X_EN: 1
; COMPUTE_PGM_RSRC2:TGID_Y_EN: 0
; COMPUTE_PGM_RSRC2:TGID_Z_EN: 0
; COMPUTE_PGM_RSRC2:TIDIG_COMP_CNT: 0
; COMPUTE_PGM_RSRC3_GFX90A:ACCUM_OFFSET: 0
; COMPUTE_PGM_RSRC3_GFX90A:TG_SPLIT: 0
	.section	.text._ZN7rocprim17ROCPRIM_400000_NS6detail17trampoline_kernelINS0_14default_configENS1_25partition_config_selectorILNS1_17partition_subalgoE8EiNS0_10empty_typeEbEEZZNS1_14partition_implILS5_8ELb0ES3_jPKiPS6_PKS6_NS0_5tupleIJPiS6_EEENSE_IJSB_SB_EEENS0_18inequality_wrapperIN6hipcub16HIPCUB_304000_NS8EqualityEEEPlJS6_EEE10hipError_tPvRmT3_T4_T5_T6_T7_T9_mT8_P12ihipStream_tbDpT10_ENKUlT_T0_E_clISt17integral_constantIbLb0EES17_EEDaS12_S13_EUlS12_E_NS1_11comp_targetILNS1_3genE5ELNS1_11target_archE942ELNS1_3gpuE9ELNS1_3repE0EEENS1_30default_config_static_selectorELNS0_4arch9wavefront6targetE1EEEvT1_,"axG",@progbits,_ZN7rocprim17ROCPRIM_400000_NS6detail17trampoline_kernelINS0_14default_configENS1_25partition_config_selectorILNS1_17partition_subalgoE8EiNS0_10empty_typeEbEEZZNS1_14partition_implILS5_8ELb0ES3_jPKiPS6_PKS6_NS0_5tupleIJPiS6_EEENSE_IJSB_SB_EEENS0_18inequality_wrapperIN6hipcub16HIPCUB_304000_NS8EqualityEEEPlJS6_EEE10hipError_tPvRmT3_T4_T5_T6_T7_T9_mT8_P12ihipStream_tbDpT10_ENKUlT_T0_E_clISt17integral_constantIbLb0EES17_EEDaS12_S13_EUlS12_E_NS1_11comp_targetILNS1_3genE5ELNS1_11target_archE942ELNS1_3gpuE9ELNS1_3repE0EEENS1_30default_config_static_selectorELNS0_4arch9wavefront6targetE1EEEvT1_,comdat
	.protected	_ZN7rocprim17ROCPRIM_400000_NS6detail17trampoline_kernelINS0_14default_configENS1_25partition_config_selectorILNS1_17partition_subalgoE8EiNS0_10empty_typeEbEEZZNS1_14partition_implILS5_8ELb0ES3_jPKiPS6_PKS6_NS0_5tupleIJPiS6_EEENSE_IJSB_SB_EEENS0_18inequality_wrapperIN6hipcub16HIPCUB_304000_NS8EqualityEEEPlJS6_EEE10hipError_tPvRmT3_T4_T5_T6_T7_T9_mT8_P12ihipStream_tbDpT10_ENKUlT_T0_E_clISt17integral_constantIbLb0EES17_EEDaS12_S13_EUlS12_E_NS1_11comp_targetILNS1_3genE5ELNS1_11target_archE942ELNS1_3gpuE9ELNS1_3repE0EEENS1_30default_config_static_selectorELNS0_4arch9wavefront6targetE1EEEvT1_ ; -- Begin function _ZN7rocprim17ROCPRIM_400000_NS6detail17trampoline_kernelINS0_14default_configENS1_25partition_config_selectorILNS1_17partition_subalgoE8EiNS0_10empty_typeEbEEZZNS1_14partition_implILS5_8ELb0ES3_jPKiPS6_PKS6_NS0_5tupleIJPiS6_EEENSE_IJSB_SB_EEENS0_18inequality_wrapperIN6hipcub16HIPCUB_304000_NS8EqualityEEEPlJS6_EEE10hipError_tPvRmT3_T4_T5_T6_T7_T9_mT8_P12ihipStream_tbDpT10_ENKUlT_T0_E_clISt17integral_constantIbLb0EES17_EEDaS12_S13_EUlS12_E_NS1_11comp_targetILNS1_3genE5ELNS1_11target_archE942ELNS1_3gpuE9ELNS1_3repE0EEENS1_30default_config_static_selectorELNS0_4arch9wavefront6targetE1EEEvT1_
	.globl	_ZN7rocprim17ROCPRIM_400000_NS6detail17trampoline_kernelINS0_14default_configENS1_25partition_config_selectorILNS1_17partition_subalgoE8EiNS0_10empty_typeEbEEZZNS1_14partition_implILS5_8ELb0ES3_jPKiPS6_PKS6_NS0_5tupleIJPiS6_EEENSE_IJSB_SB_EEENS0_18inequality_wrapperIN6hipcub16HIPCUB_304000_NS8EqualityEEEPlJS6_EEE10hipError_tPvRmT3_T4_T5_T6_T7_T9_mT8_P12ihipStream_tbDpT10_ENKUlT_T0_E_clISt17integral_constantIbLb0EES17_EEDaS12_S13_EUlS12_E_NS1_11comp_targetILNS1_3genE5ELNS1_11target_archE942ELNS1_3gpuE9ELNS1_3repE0EEENS1_30default_config_static_selectorELNS0_4arch9wavefront6targetE1EEEvT1_
	.p2align	8
	.type	_ZN7rocprim17ROCPRIM_400000_NS6detail17trampoline_kernelINS0_14default_configENS1_25partition_config_selectorILNS1_17partition_subalgoE8EiNS0_10empty_typeEbEEZZNS1_14partition_implILS5_8ELb0ES3_jPKiPS6_PKS6_NS0_5tupleIJPiS6_EEENSE_IJSB_SB_EEENS0_18inequality_wrapperIN6hipcub16HIPCUB_304000_NS8EqualityEEEPlJS6_EEE10hipError_tPvRmT3_T4_T5_T6_T7_T9_mT8_P12ihipStream_tbDpT10_ENKUlT_T0_E_clISt17integral_constantIbLb0EES17_EEDaS12_S13_EUlS12_E_NS1_11comp_targetILNS1_3genE5ELNS1_11target_archE942ELNS1_3gpuE9ELNS1_3repE0EEENS1_30default_config_static_selectorELNS0_4arch9wavefront6targetE1EEEvT1_,@function
_ZN7rocprim17ROCPRIM_400000_NS6detail17trampoline_kernelINS0_14default_configENS1_25partition_config_selectorILNS1_17partition_subalgoE8EiNS0_10empty_typeEbEEZZNS1_14partition_implILS5_8ELb0ES3_jPKiPS6_PKS6_NS0_5tupleIJPiS6_EEENSE_IJSB_SB_EEENS0_18inequality_wrapperIN6hipcub16HIPCUB_304000_NS8EqualityEEEPlJS6_EEE10hipError_tPvRmT3_T4_T5_T6_T7_T9_mT8_P12ihipStream_tbDpT10_ENKUlT_T0_E_clISt17integral_constantIbLb0EES17_EEDaS12_S13_EUlS12_E_NS1_11comp_targetILNS1_3genE5ELNS1_11target_archE942ELNS1_3gpuE9ELNS1_3repE0EEENS1_30default_config_static_selectorELNS0_4arch9wavefront6targetE1EEEvT1_: ; @_ZN7rocprim17ROCPRIM_400000_NS6detail17trampoline_kernelINS0_14default_configENS1_25partition_config_selectorILNS1_17partition_subalgoE8EiNS0_10empty_typeEbEEZZNS1_14partition_implILS5_8ELb0ES3_jPKiPS6_PKS6_NS0_5tupleIJPiS6_EEENSE_IJSB_SB_EEENS0_18inequality_wrapperIN6hipcub16HIPCUB_304000_NS8EqualityEEEPlJS6_EEE10hipError_tPvRmT3_T4_T5_T6_T7_T9_mT8_P12ihipStream_tbDpT10_ENKUlT_T0_E_clISt17integral_constantIbLb0EES17_EEDaS12_S13_EUlS12_E_NS1_11comp_targetILNS1_3genE5ELNS1_11target_archE942ELNS1_3gpuE9ELNS1_3repE0EEENS1_30default_config_static_selectorELNS0_4arch9wavefront6targetE1EEEvT1_
; %bb.0:
	s_load_dwordx2 s[8:9], s[0:1], 0x50
	s_load_dwordx4 s[4:7], s[0:1], 0x8
	s_load_dwordx4 s[36:39], s[0:1], 0x40
	s_load_dword s3, s[0:1], 0x68
	s_waitcnt lgkmcnt(0)
	v_mov_b32_e32 v3, s9
	s_lshl_b64 s[10:11], s[6:7], 2
	s_add_u32 s10, s4, s10
	s_mul_i32 s9, s3, 0x1e00
	s_addc_u32 s11, s5, s11
	s_add_i32 s12, s3, -1
	s_add_i32 s3, s9, s6
	s_sub_i32 s3, s8, s3
	v_mov_b32_e32 v2, s8
	s_add_u32 s8, s6, s9
	s_addc_u32 s9, s7, 0
	s_cmp_eq_u32 s2, s12
	s_load_dwordx2 s[34:35], s[38:39], 0x0
	v_cmp_ge_u64_e32 vcc, s[8:9], v[2:3]
	s_cselect_b64 s[38:39], -1, 0
	s_mul_i32 s4, s2, 0x1e00
	s_mov_b32 s5, 0
	s_and_b64 s[42:43], s[38:39], vcc
	s_xor_b64 s[40:41], s[42:43], -1
	s_lshl_b64 s[4:5], s[4:5], 2
	s_add_u32 s4, s10, s4
	s_mov_b64 s[8:9], -1
	s_addc_u32 s5, s11, s5
	s_and_b64 vcc, exec, s[40:41]
	s_cbranch_vccz .LBB411_2
; %bb.1:
	v_lshlrev_b32_e32 v2, 2, v0
	v_mov_b32_e32 v3, 0
	v_lshl_add_u64 v[4:5], s[4:5], 0, v[2:3]
	v_add_co_u32_e32 v6, vcc, 0x1000, v4
	global_load_dword v1, v2, s[4:5]
	global_load_dword v3, v2, s[4:5] offset:2048
	v_addc_co_u32_e32 v7, vcc, 0, v5, vcc
	v_add_co_u32_e32 v8, vcc, 0x2000, v4
	s_mov_b64 s[8:9], 0
	s_nop 0
	v_addc_co_u32_e32 v9, vcc, 0, v5, vcc
	v_add_co_u32_e32 v10, vcc, 0x3000, v4
	s_nop 1
	v_addc_co_u32_e32 v11, vcc, 0, v5, vcc
	v_add_co_u32_e32 v12, vcc, 0x4000, v4
	s_nop 1
	v_addc_co_u32_e32 v13, vcc, 0, v5, vcc
	global_load_dword v14, v[6:7], off
	global_load_dword v15, v[6:7], off offset:2048
	global_load_dword v16, v[8:9], off
	global_load_dword v17, v[8:9], off offset:2048
	;; [unrolled: 2-line block ×4, first 2 shown]
	v_add_co_u32_e32 v6, vcc, 0x5000, v4
	s_nop 1
	v_addc_co_u32_e32 v7, vcc, 0, v5, vcc
	v_add_co_u32_e32 v8, vcc, 0x6000, v4
	s_nop 1
	v_addc_co_u32_e32 v9, vcc, 0, v5, vcc
	global_load_dword v10, v[6:7], off
	global_load_dword v11, v[6:7], off offset:2048
	global_load_dword v12, v[8:9], off
	global_load_dword v13, v[8:9], off offset:2048
	v_add_co_u32_e32 v4, vcc, 0x7000, v4
	s_nop 1
	v_addc_co_u32_e32 v5, vcc, 0, v5, vcc
	global_load_dword v4, v[4:5], off
	s_waitcnt vmcnt(13)
	ds_write2st64_b32 v2, v1, v3 offset1:8
	s_waitcnt vmcnt(11)
	ds_write2st64_b32 v2, v14, v15 offset0:16 offset1:24
	s_waitcnt vmcnt(9)
	ds_write2st64_b32 v2, v16, v17 offset0:32 offset1:40
	;; [unrolled: 2-line block ×6, first 2 shown]
	s_waitcnt vmcnt(0)
	ds_write_b32 v2, v4 offset:28672
	s_waitcnt lgkmcnt(0)
	s_barrier
.LBB411_2:
	s_andn2_b64 vcc, exec, s[8:9]
	s_addk_i32 s3, 0x1e00
	s_cbranch_vccnz .LBB411_34
; %bb.3:
	v_cmp_gt_u32_e32 vcc, s3, v0
                                        ; implicit-def: $vgpr2_vgpr3_vgpr4_vgpr5_vgpr6_vgpr7_vgpr8_vgpr9_vgpr10_vgpr11_vgpr12_vgpr13_vgpr14_vgpr15_vgpr16_vgpr17
	s_and_saveexec_b64 s[8:9], vcc
	s_cbranch_execz .LBB411_5
; %bb.4:
	v_lshlrev_b32_e32 v1, 2, v0
	global_load_dword v2, v1, s[4:5]
.LBB411_5:
	s_or_b64 exec, exec, s[8:9]
	v_or_b32_e32 v1, 0x200, v0
	v_cmp_gt_u32_e32 vcc, s3, v1
	s_and_saveexec_b64 s[8:9], vcc
	s_cbranch_execz .LBB411_7
; %bb.6:
	v_lshlrev_b32_e32 v1, 2, v0
	global_load_dword v3, v1, s[4:5] offset:2048
.LBB411_7:
	s_or_b64 exec, exec, s[8:9]
	v_or_b32_e32 v1, 0x400, v0
	v_cmp_gt_u32_e32 vcc, s3, v1
	s_and_saveexec_b64 s[8:9], vcc
	s_cbranch_execz .LBB411_9
; %bb.8:
	v_lshlrev_b32_e32 v1, 2, v1
	global_load_dword v4, v1, s[4:5]
.LBB411_9:
	s_or_b64 exec, exec, s[8:9]
	v_or_b32_e32 v1, 0x600, v0
	v_cmp_gt_u32_e32 vcc, s3, v1
	s_and_saveexec_b64 s[8:9], vcc
	s_cbranch_execz .LBB411_11
; %bb.10:
	v_lshlrev_b32_e32 v1, 2, v1
	global_load_dword v5, v1, s[4:5]
.LBB411_11:
	;; [unrolled: 9-line block ×13, first 2 shown]
	s_or_b64 exec, exec, s[8:9]
	v_lshlrev_b32_e32 v1, 2, v0
	s_waitcnt vmcnt(0)
	ds_write2st64_b32 v1, v2, v3 offset1:8
	ds_write2st64_b32 v1, v4, v5 offset0:16 offset1:24
	ds_write2st64_b32 v1, v6, v7 offset0:32 offset1:40
	;; [unrolled: 1-line block ×6, first 2 shown]
	ds_write_b32 v1, v16 offset:28672
	s_waitcnt lgkmcnt(0)
	s_barrier
.LBB411_34:
	v_mul_u32_u24_e32 v10, 15, v0
	v_lshlrev_b32_e32 v17, 2, v10
	s_waitcnt lgkmcnt(0)
	ds_read2_b32 v[30:31], v17 offset1:1
	ds_read2_b32 v[28:29], v17 offset0:2 offset1:3
	ds_read2_b32 v[26:27], v17 offset0:4 offset1:5
	;; [unrolled: 1-line block ×6, first 2 shown]
	ds_read_b32 v1, v17 offset:56
	s_cmp_lg_u32 s2, 0
	s_cselect_b64 s[44:45], -1, 0
	s_cmp_lg_u64 s[6:7], 0
	s_cselect_b64 s[6:7], -1, 0
	s_or_b64 s[6:7], s[44:45], s[6:7]
	v_mad_u32_u24 v15, v0, 15, 1
	v_mad_u32_u24 v11, v0, 15, 2
	;; [unrolled: 1-line block ×14, first 2 shown]
	s_mov_b64 s[46:47], 0
	s_and_b64 vcc, exec, s[6:7]
	s_waitcnt lgkmcnt(0)
	s_barrier
	s_cbranch_vccz .LBB411_39
; %bb.35:
	s_add_u32 s4, s4, -4
	s_addc_u32 s5, s5, -1
	s_load_dword s8, s[4:5], 0x0
	v_lshlrev_b32_e32 v32, 2, v0
	s_and_b64 vcc, exec, s[40:41]
	ds_write_b32 v32, v1
	s_cbranch_vccz .LBB411_41
; %bb.36:
	v_cmp_ne_u32_e32 vcc, 0, v0
	s_waitcnt lgkmcnt(0)
	v_mov_b32_e32 v33, s8
	s_barrier
	s_and_saveexec_b64 s[4:5], vcc
	s_cbranch_execz .LBB411_38
; %bb.37:
	v_add_u32_e32 v33, -4, v32
	ds_read_b32 v33, v33
.LBB411_38:
	s_or_b64 exec, exec, s[4:5]
	v_cmp_ne_u32_e32 vcc, v19, v1
	s_waitcnt lgkmcnt(0)
	v_cmp_ne_u32_e64 s[4:5], v33, v30
	v_cndmask_b32_e64 v35, 0, 1, vcc
	v_cmp_ne_u32_e32 vcc, v18, v19
	s_nop 1
	v_cndmask_b32_e64 v36, 0, 1, vcc
	v_cmp_ne_u32_e32 vcc, v21, v18
	s_nop 1
	;; [unrolled: 3-line block ×13, first 2 shown]
	v_cndmask_b32_e64 v48, 0, 1, vcc
	s_branch .LBB411_45
.LBB411_39:
                                        ; implicit-def: $sgpr4_sgpr5
                                        ; implicit-def: $vgpr35
                                        ; implicit-def: $vgpr36
                                        ; implicit-def: $vgpr37
                                        ; implicit-def: $vgpr38
                                        ; implicit-def: $vgpr39
                                        ; implicit-def: $vgpr40
                                        ; implicit-def: $vgpr41
                                        ; implicit-def: $vgpr42
                                        ; implicit-def: $vgpr48
                                        ; implicit-def: $vgpr47
                                        ; implicit-def: $vgpr46
                                        ; implicit-def: $vgpr45
                                        ; implicit-def: $vgpr44
                                        ; implicit-def: $vgpr43
	s_branch .LBB411_46
.LBB411_40:
                                        ; implicit-def: $sgpr8
	s_branch .LBB411_54
.LBB411_41:
                                        ; implicit-def: $sgpr4_sgpr5
                                        ; implicit-def: $vgpr35
                                        ; implicit-def: $vgpr36
                                        ; implicit-def: $vgpr37
                                        ; implicit-def: $vgpr38
                                        ; implicit-def: $vgpr39
                                        ; implicit-def: $vgpr40
                                        ; implicit-def: $vgpr41
                                        ; implicit-def: $vgpr42
                                        ; implicit-def: $vgpr48
                                        ; implicit-def: $vgpr47
                                        ; implicit-def: $vgpr46
                                        ; implicit-def: $vgpr45
                                        ; implicit-def: $vgpr44
                                        ; implicit-def: $vgpr43
	s_cbranch_execz .LBB411_45
; %bb.42:
	v_cmp_ne_u32_e32 vcc, 0, v0
	s_waitcnt lgkmcnt(0)
	v_mov_b32_e32 v33, s8
	s_barrier
	s_and_saveexec_b64 s[4:5], vcc
	s_cbranch_execz .LBB411_44
; %bb.43:
	v_add_u32_e32 v32, -4, v32
	ds_read_b32 v33, v32
.LBB411_44:
	s_or_b64 exec, exec, s[4:5]
	v_cmp_gt_u32_e32 vcc, s3, v2
	v_cmp_ne_u32_e64 s[4:5], v19, v1
	s_and_b64 s[4:5], vcc, s[4:5]
	v_cmp_gt_u32_e32 vcc, s3, v5
	v_cndmask_b32_e64 v35, 0, 1, s[4:5]
	v_cmp_ne_u32_e64 s[4:5], v18, v19
	s_and_b64 s[4:5], vcc, s[4:5]
	v_cmp_gt_u32_e32 vcc, s3, v4
	v_cndmask_b32_e64 v36, 0, 1, s[4:5]
	;; [unrolled: 4-line block ×14, first 2 shown]
	s_waitcnt lgkmcnt(0)
	v_cmp_ne_u32_e64 s[4:5], v33, v30
	s_and_b64 s[4:5], vcc, s[4:5]
.LBB411_45:
	s_mov_b64 s[46:47], -1
	s_cbranch_execnz .LBB411_40
.LBB411_46:
	s_movk_i32 s4, 0xffc8
	v_mad_i32_i24 v17, v0, s4, v17
	s_and_b64 vcc, exec, s[40:41]
	v_cmp_ne_u32_e64 s[30:31], v19, v1
	v_cmp_ne_u32_e64 s[4:5], v18, v19
	;; [unrolled: 1-line block ×3, first 2 shown]
	s_waitcnt lgkmcnt(0)
	v_cmp_ne_u32_e64 s[8:9], v20, v21
	v_cmp_ne_u32_e64 s[10:11], v23, v20
	;; [unrolled: 1-line block ×11, first 2 shown]
	ds_write_b32 v17, v1
	s_cbranch_vccz .LBB411_50
; %bb.47:
	v_cndmask_b32_e64 v35, 0, 1, s[30:31]
	v_cndmask_b32_e64 v36, 0, 1, s[4:5]
	;; [unrolled: 1-line block ×14, first 2 shown]
	v_cmp_ne_u32_e32 vcc, 0, v0
	s_waitcnt lgkmcnt(0)
	s_barrier
	s_waitcnt lgkmcnt(0)
                                        ; implicit-def: $sgpr4_sgpr5
	s_and_saveexec_b64 s[6:7], vcc
	s_xor_b64 s[6:7], exec, s[6:7]
	s_cbranch_execz .LBB411_49
; %bb.48:
	v_add_u32_e32 v32, -4, v17
	ds_read_b32 v32, v32
	s_or_b64 s[46:47], s[46:47], exec
	s_waitcnt lgkmcnt(0)
	v_cmp_ne_u32_e32 vcc, v32, v30
	s_and_b64 s[4:5], vcc, exec
.LBB411_49:
	s_or_b64 exec, exec, s[6:7]
	s_mov_b32 s8, 1
	s_branch .LBB411_54
.LBB411_50:
                                        ; implicit-def: $sgpr4_sgpr5
                                        ; implicit-def: $vgpr35
                                        ; implicit-def: $vgpr36
                                        ; implicit-def: $vgpr37
                                        ; implicit-def: $vgpr38
                                        ; implicit-def: $vgpr39
                                        ; implicit-def: $vgpr40
                                        ; implicit-def: $vgpr41
                                        ; implicit-def: $vgpr42
                                        ; implicit-def: $vgpr48
                                        ; implicit-def: $vgpr47
                                        ; implicit-def: $vgpr46
                                        ; implicit-def: $vgpr45
                                        ; implicit-def: $vgpr44
                                        ; implicit-def: $vgpr43
                                        ; implicit-def: $sgpr8
	s_cbranch_execz .LBB411_54
; %bb.51:
	v_cmp_gt_u32_e32 vcc, s3, v2
	v_cmp_ne_u32_e64 s[4:5], v19, v1
	s_and_b64 s[4:5], vcc, s[4:5]
	v_cmp_gt_u32_e32 vcc, s3, v5
	v_cndmask_b32_e64 v35, 0, 1, s[4:5]
	v_cmp_ne_u32_e64 s[4:5], v18, v19
	s_and_b64 s[4:5], vcc, s[4:5]
	v_cmp_gt_u32_e32 vcc, s3, v4
	v_cndmask_b32_e64 v36, 0, 1, s[4:5]
	;; [unrolled: 4-line block ×13, first 2 shown]
	v_cmp_ne_u32_e64 s[4:5], v30, v31
	s_and_b64 s[4:5], vcc, s[4:5]
	v_cmp_ne_u32_e32 vcc, 0, v0
	v_cndmask_b32_e64 v48, 0, 1, s[4:5]
	s_waitcnt lgkmcnt(0)
	s_barrier
	s_waitcnt lgkmcnt(0)
                                        ; implicit-def: $sgpr4_sgpr5
	s_and_saveexec_b64 s[6:7], vcc
	s_cbranch_execz .LBB411_53
; %bb.52:
	v_add_u32_e32 v17, -4, v17
	ds_read_b32 v17, v17
	v_cmp_gt_u32_e32 vcc, s3, v10
	s_or_b64 s[46:47], s[46:47], exec
	s_waitcnt lgkmcnt(0)
	v_cmp_ne_u32_e64 s[4:5], v17, v30
	s_and_b64 s[4:5], vcc, s[4:5]
	s_and_b64 s[4:5], s[4:5], exec
.LBB411_53:
	s_or_b64 exec, exec, s[6:7]
	s_mov_b32 s8, 1
.LBB411_54:
	s_waitcnt lgkmcnt(0)
	v_mov_b32_e32 v49, s8
	s_and_saveexec_b64 s[6:7], s[46:47]
; %bb.55:
	v_cndmask_b32_e64 v49, 0, 1, s[4:5]
; %bb.56:
	s_or_b64 exec, exec, s[6:7]
	s_load_dwordx2 s[20:21], s[0:1], 0x60
	s_andn2_b64 vcc, exec, s[42:43]
	s_cbranch_vccnz .LBB411_58
; %bb.57:
	v_cmp_gt_u32_e32 vcc, s3, v10
	s_nop 1
	v_cndmask_b32_e32 v49, 0, v49, vcc
	v_cmp_gt_u32_e32 vcc, s3, v15
	s_nop 1
	v_cndmask_b32_e32 v48, 0, v48, vcc
	;; [unrolled: 3-line block ×15, first 2 shown]
.LBB411_58:
	v_and_b32_e32 v54, 0xff, v45
	v_and_b32_e32 v55, 0xff, v44
	;; [unrolled: 1-line block ×5, first 2 shown]
	v_add3_u32 v3, v55, v56, v54
	v_and_b32_e32 v50, 0xff, v49
	v_and_b32_e32 v51, 0xff, v48
	v_add3_u32 v3, v3, v53, v52
	v_and_b32_e32 v57, 0xff, v42
	v_and_b32_e32 v58, 0xff, v41
	;; [unrolled: 3-line block ×5, first 2 shown]
	v_add3_u32 v3, v3, v61, v62
	v_add3_u32 v66, v3, v63, v2
	v_mbcnt_lo_u32_b32 v2, -1, 0
	v_mbcnt_hi_u32_b32 v64, -1, v2
	v_and_b32_e32 v2, 15, v64
	v_cmp_eq_u32_e64 s[14:15], 0, v2
	v_cmp_lt_u32_e64 s[12:13], 1, v2
	v_cmp_lt_u32_e64 s[10:11], 3, v2
	;; [unrolled: 1-line block ×3, first 2 shown]
	v_and_b32_e32 v2, 16, v64
	v_cmp_eq_u32_e64 s[6:7], 0, v2
	v_or_b32_e32 v2, 63, v0
	v_cmp_lt_u32_e64 s[18:19], 31, v64
	v_lshrrev_b32_e32 v65, 6, v0
	v_cmp_eq_u32_e64 s[4:5], v2, v0
	s_and_b64 vcc, exec, s[44:45]
	s_waitcnt lgkmcnt(0)
	s_barrier
	s_cbranch_vccz .LBB411_85
; %bb.59:
	v_mov_b32_dpp v2, v66 row_shr:1 row_mask:0xf bank_mask:0xf
	v_cndmask_b32_e64 v2, v2, 0, s[14:15]
	v_add_u32_e32 v2, v2, v66
	s_nop 1
	v_mov_b32_dpp v3, v2 row_shr:2 row_mask:0xf bank_mask:0xf
	v_cndmask_b32_e64 v3, 0, v3, s[12:13]
	v_add_u32_e32 v2, v2, v3
	s_nop 1
	;; [unrolled: 4-line block ×4, first 2 shown]
	v_mov_b32_dpp v3, v2 row_bcast:15 row_mask:0xf bank_mask:0xf
	v_cndmask_b32_e64 v3, v3, 0, s[6:7]
	v_add_u32_e32 v2, v2, v3
	s_nop 1
	v_mov_b32_dpp v3, v2 row_bcast:31 row_mask:0xf bank_mask:0xf
	v_cndmask_b32_e64 v3, 0, v3, s[18:19]
	v_add_u32_e32 v2, v2, v3
	s_and_saveexec_b64 s[16:17], s[4:5]
	s_cbranch_execz .LBB411_61
; %bb.60:
	v_lshlrev_b32_e32 v3, 2, v65
	ds_write_b32 v3, v2
.LBB411_61:
	s_or_b64 exec, exec, s[16:17]
	v_cmp_gt_u32_e32 vcc, 8, v0
	s_waitcnt lgkmcnt(0)
	s_barrier
	s_and_saveexec_b64 s[16:17], vcc
	s_cbranch_execz .LBB411_63
; %bb.62:
	v_lshlrev_b32_e32 v3, 2, v0
	ds_read_b32 v4, v3
	v_and_b32_e32 v5, 7, v64
	v_cmp_ne_u32_e32 vcc, 0, v5
	s_waitcnt lgkmcnt(0)
	v_mov_b32_dpp v6, v4 row_shr:1 row_mask:0xf bank_mask:0xf
	v_cndmask_b32_e32 v6, 0, v6, vcc
	v_add_u32_e32 v4, v6, v4
	v_cmp_lt_u32_e32 vcc, 1, v5
	s_nop 0
	v_mov_b32_dpp v6, v4 row_shr:2 row_mask:0xf bank_mask:0xf
	v_cndmask_b32_e32 v6, 0, v6, vcc
	v_add_u32_e32 v4, v4, v6
	v_cmp_lt_u32_e32 vcc, 3, v5
	s_nop 0
	v_mov_b32_dpp v6, v4 row_shr:4 row_mask:0xf bank_mask:0xf
	v_cndmask_b32_e32 v5, 0, v6, vcc
	v_add_u32_e32 v4, v4, v5
	ds_write_b32 v3, v4
.LBB411_63:
	s_or_b64 exec, exec, s[16:17]
	v_cmp_gt_u32_e32 vcc, 64, v0
	v_cmp_lt_u32_e64 s[16:17], 63, v0
	s_waitcnt lgkmcnt(0)
	s_barrier
	s_waitcnt lgkmcnt(0)
                                        ; implicit-def: $vgpr12
	s_and_saveexec_b64 s[22:23], s[16:17]
	s_cbranch_execz .LBB411_65
; %bb.64:
	v_lshl_add_u32 v3, v65, 2, -4
	ds_read_b32 v12, v3
	s_waitcnt lgkmcnt(0)
	v_add_u32_e32 v2, v12, v2
.LBB411_65:
	s_or_b64 exec, exec, s[22:23]
	v_add_u32_e32 v3, -1, v64
	v_and_b32_e32 v4, 64, v64
	v_cmp_lt_i32_e64 s[16:17], v3, v4
	s_nop 1
	v_cndmask_b32_e64 v3, v3, v64, s[16:17]
	v_lshlrev_b32_e32 v3, 2, v3
	ds_bpermute_b32 v13, v3, v2
	v_cmp_eq_u32_e64 s[16:17], 0, v64
	s_and_saveexec_b64 s[22:23], vcc
	s_cbranch_execz .LBB411_84
; %bb.66:
	v_mov_b32_e32 v9, 0
	ds_read_b32 v2, v9 offset:28
	s_and_saveexec_b64 s[24:25], s[16:17]
	s_cbranch_execz .LBB411_68
; %bb.67:
	s_add_i32 s26, s2, 64
	s_mov_b32 s27, 0
	s_lshl_b64 s[26:27], s[26:27], 3
	s_add_u32 s26, s20, s26
	v_mov_b32_e32 v3, 1
	s_addc_u32 s27, s21, s27
	s_waitcnt lgkmcnt(0)
	global_store_dwordx2 v9, v[2:3], s[26:27] sc1
.LBB411_68:
	s_or_b64 exec, exec, s[24:25]
	v_xad_u32 v4, v64, -1, s2
	v_add_u32_e32 v8, 64, v4
	v_lshl_add_u64 v[10:11], v[8:9], 3, s[20:21]
	global_load_dwordx2 v[6:7], v[10:11], off sc1
	s_waitcnt vmcnt(0)
	v_cmp_eq_u16_sdwa s[26:27], v7, v9 src0_sel:BYTE_0 src1_sel:DWORD
	s_and_saveexec_b64 s[24:25], s[26:27]
	s_cbranch_execz .LBB411_72
; %bb.69:
	s_mov_b64 s[26:27], 0
	v_mov_b32_e32 v3, 0
.LBB411_70:                             ; =>This Inner Loop Header: Depth=1
	global_load_dwordx2 v[6:7], v[10:11], off sc1
	s_waitcnt vmcnt(0)
	v_cmp_ne_u16_sdwa s[28:29], v7, v3 src0_sel:BYTE_0 src1_sel:DWORD
	s_or_b64 s[26:27], s[28:29], s[26:27]
	s_andn2_b64 exec, exec, s[26:27]
	s_cbranch_execnz .LBB411_70
; %bb.71:
	s_or_b64 exec, exec, s[26:27]
.LBB411_72:
	s_or_b64 exec, exec, s[24:25]
	v_and_b32_e32 v15, 63, v64
	v_mov_b32_e32 v14, 2
	v_cmp_ne_u32_e32 vcc, 63, v15
	v_cmp_eq_u16_sdwa s[24:25], v7, v14 src0_sel:BYTE_0 src1_sel:DWORD
	v_lshlrev_b64 v[8:9], v64, -1
	v_addc_co_u32_e32 v10, vcc, 0, v64, vcc
	v_and_b32_e32 v3, s25, v9
	v_lshlrev_b32_e32 v16, 2, v10
	v_or_b32_e32 v3, 0x80000000, v3
	ds_bpermute_b32 v10, v16, v6
	v_and_b32_e32 v5, s24, v8
	v_ffbl_b32_e32 v3, v3
	v_add_u32_e32 v3, 32, v3
	v_ffbl_b32_e32 v5, v5
	v_min_u32_e32 v3, v5, v3
	v_cmp_lt_u32_e32 vcc, v15, v3
	v_add_u32_e32 v32, 2, v15
	v_add_u32_e32 v34, 4, v15
	s_waitcnt lgkmcnt(0)
	v_cndmask_b32_e32 v5, 0, v10, vcc
	v_cmp_gt_u32_e32 vcc, 62, v15
	v_add_u32_e32 v5, v5, v6
	v_add_u32_e32 v68, 8, v15
	v_cndmask_b32_e64 v6, 0, 1, vcc
	v_lshlrev_b32_e32 v6, 1, v6
	v_add_lshl_u32 v17, v6, v64, 2
	ds_bpermute_b32 v6, v17, v5
	v_cmp_le_u32_e32 vcc, v32, v3
	v_add_u32_e32 v70, 16, v15
	v_add_u32_e32 v72, 32, v15
	s_waitcnt lgkmcnt(0)
	v_cndmask_b32_e32 v6, 0, v6, vcc
	v_cmp_gt_u32_e32 vcc, 60, v15
	v_add_u32_e32 v5, v5, v6
	s_nop 0
	v_cndmask_b32_e64 v6, 0, 1, vcc
	v_lshlrev_b32_e32 v6, 2, v6
	v_add_lshl_u32 v33, v6, v64, 2
	ds_bpermute_b32 v6, v33, v5
	v_cmp_le_u32_e32 vcc, v34, v3
	s_waitcnt lgkmcnt(0)
	s_nop 0
	v_cndmask_b32_e32 v6, 0, v6, vcc
	v_cmp_gt_u32_e32 vcc, 56, v15
	v_add_u32_e32 v5, v5, v6
	s_nop 0
	v_cndmask_b32_e64 v6, 0, 1, vcc
	v_lshlrev_b32_e32 v6, 3, v6
	v_add_lshl_u32 v67, v6, v64, 2
	ds_bpermute_b32 v6, v67, v5
	v_cmp_le_u32_e32 vcc, v68, v3
	s_waitcnt lgkmcnt(0)
	s_nop 0
	;; [unrolled: 11-line block ×4, first 2 shown]
	v_cndmask_b32_e32 v3, 0, v6, vcc
	v_add_u32_e32 v6, v5, v3
	v_mov_b32_e32 v5, 0
	s_branch .LBB411_74
.LBB411_73:                             ;   in Loop: Header=BB411_74 Depth=1
	s_or_b64 exec, exec, s[24:25]
	v_cmp_eq_u16_sdwa s[24:25], v7, v14 src0_sel:BYTE_0 src1_sel:DWORD
	ds_bpermute_b32 v73, v16, v6
	v_subrev_u32_e32 v4, 64, v4
	v_and_b32_e32 v10, s25, v9
	v_or_b32_e32 v10, 0x80000000, v10
	v_and_b32_e32 v11, s24, v8
	v_ffbl_b32_e32 v10, v10
	v_add_u32_e32 v10, 32, v10
	v_ffbl_b32_e32 v11, v11
	v_min_u32_e32 v10, v11, v10
	v_cmp_lt_u32_e32 vcc, v15, v10
	s_waitcnt lgkmcnt(0)
	s_nop 0
	v_cndmask_b32_e32 v11, 0, v73, vcc
	v_add_u32_e32 v6, v11, v6
	ds_bpermute_b32 v11, v17, v6
	v_cmp_le_u32_e32 vcc, v32, v10
	s_waitcnt lgkmcnt(0)
	s_nop 0
	v_cndmask_b32_e32 v11, 0, v11, vcc
	v_add_u32_e32 v6, v6, v11
	ds_bpermute_b32 v11, v33, v6
	v_cmp_le_u32_e32 vcc, v34, v10
	s_waitcnt lgkmcnt(0)
	s_nop 0
	v_cndmask_b32_e32 v11, 0, v11, vcc
	v_add_u32_e32 v6, v6, v11
	ds_bpermute_b32 v11, v67, v6
	v_cmp_le_u32_e32 vcc, v68, v10
	s_waitcnt lgkmcnt(0)
	s_nop 0
	v_cndmask_b32_e32 v11, 0, v11, vcc
	v_add_u32_e32 v6, v6, v11
	ds_bpermute_b32 v11, v69, v6
	v_cmp_le_u32_e32 vcc, v70, v10
	s_waitcnt lgkmcnt(0)
	s_nop 0
	v_cndmask_b32_e32 v11, 0, v11, vcc
	v_add_u32_e32 v6, v6, v11
	ds_bpermute_b32 v11, v71, v6
	v_cmp_le_u32_e32 vcc, v72, v10
	s_waitcnt lgkmcnt(0)
	s_nop 0
	v_cndmask_b32_e32 v10, 0, v11, vcc
	v_add3_u32 v6, v10, v3, v6
.LBB411_74:                             ; =>This Loop Header: Depth=1
                                        ;     Child Loop BB411_77 Depth 2
	v_cmp_ne_u16_sdwa s[24:25], v7, v14 src0_sel:BYTE_0 src1_sel:DWORD
	s_nop 1
	v_cndmask_b32_e64 v3, 0, 1, s[24:25]
	;;#ASMSTART
	;;#ASMEND
	s_nop 0
	v_cmp_ne_u32_e32 vcc, 0, v3
	s_cmp_lg_u64 vcc, exec
	v_mov_b32_e32 v3, v6
	s_cbranch_scc1 .LBB411_79
; %bb.75:                               ;   in Loop: Header=BB411_74 Depth=1
	v_lshl_add_u64 v[10:11], v[4:5], 3, s[20:21]
	global_load_dwordx2 v[6:7], v[10:11], off sc1
	s_waitcnt vmcnt(0)
	v_cmp_eq_u16_sdwa s[26:27], v7, v5 src0_sel:BYTE_0 src1_sel:DWORD
	s_and_saveexec_b64 s[24:25], s[26:27]
	s_cbranch_execz .LBB411_73
; %bb.76:                               ;   in Loop: Header=BB411_74 Depth=1
	s_mov_b64 s[26:27], 0
.LBB411_77:                             ;   Parent Loop BB411_74 Depth=1
                                        ; =>  This Inner Loop Header: Depth=2
	global_load_dwordx2 v[6:7], v[10:11], off sc1
	s_waitcnt vmcnt(0)
	v_cmp_ne_u16_sdwa s[28:29], v7, v5 src0_sel:BYTE_0 src1_sel:DWORD
	s_or_b64 s[26:27], s[28:29], s[26:27]
	s_andn2_b64 exec, exec, s[26:27]
	s_cbranch_execnz .LBB411_77
; %bb.78:                               ;   in Loop: Header=BB411_74 Depth=1
	s_or_b64 exec, exec, s[26:27]
	s_branch .LBB411_73
.LBB411_79:                             ;   in Loop: Header=BB411_74 Depth=1
                                        ; implicit-def: $vgpr6
                                        ; implicit-def: $vgpr7
	s_cbranch_execz .LBB411_74
; %bb.80:
	s_and_saveexec_b64 s[24:25], s[16:17]
	s_cbranch_execz .LBB411_82
; %bb.81:
	s_add_i32 s2, s2, 64
	s_mov_b32 s3, 0
	s_lshl_b64 s[2:3], s[2:3], 3
	s_add_u32 s2, s20, s2
	v_add_u32_e32 v4, v3, v2
	v_mov_b32_e32 v5, 2
	s_addc_u32 s3, s21, s3
	v_mov_b32_e32 v6, 0
	global_store_dwordx2 v6, v[4:5], s[2:3] sc1
	ds_write_b64 v6, v[2:3] offset:30720
.LBB411_82:
	s_or_b64 exec, exec, s[24:25]
	v_cmp_eq_u32_e32 vcc, 0, v0
	s_and_b64 exec, exec, vcc
	s_cbranch_execz .LBB411_84
; %bb.83:
	v_mov_b32_e32 v2, 0
	ds_write_b32 v2, v3 offset:28
.LBB411_84:
	s_or_b64 exec, exec, s[22:23]
	v_mov_b32_e32 v14, 0
	s_waitcnt lgkmcnt(0)
	s_barrier
	ds_read_b32 v2, v14 offset:28
	v_cndmask_b32_e64 v3, v13, v12, s[16:17]
	v_cmp_ne_u32_e32 vcc, 0, v0
	s_waitcnt lgkmcnt(0)
	s_barrier
	v_cndmask_b32_e32 v3, 0, v3, vcc
	v_add_u32_e32 v2, v2, v3
	v_add_u32_e32 v3, v2, v50
	;; [unrolled: 1-line block ×10, first 2 shown]
	ds_read_b64 v[32:33], v14 offset:30720
	v_add_u32_e32 v12, v11, v59
	v_add_u32_e32 v13, v12, v60
	;; [unrolled: 1-line block ×5, first 2 shown]
	s_waitcnt lgkmcnt(0)
	v_mov_b32_e32 v34, v33
	s_load_dwordx2 s[2:3], s[0:1], 0x28
	s_branch .LBB411_95
.LBB411_85:
                                        ; implicit-def: $vgpr34
                                        ; implicit-def: $vgpr32
                                        ; implicit-def: $vgpr2_vgpr3_vgpr4_vgpr5_vgpr6_vgpr7_vgpr8_vgpr9_vgpr10_vgpr11_vgpr12_vgpr13_vgpr14_vgpr15_vgpr16_vgpr17
	s_load_dwordx2 s[2:3], s[0:1], 0x28
	s_cbranch_execz .LBB411_95
; %bb.86:
	v_mov_b32_dpp v2, v66 row_shr:1 row_mask:0xf bank_mask:0xf
	v_cndmask_b32_e64 v2, v2, 0, s[14:15]
	v_add_u32_e32 v2, v2, v66
	s_nop 1
	v_mov_b32_dpp v3, v2 row_shr:2 row_mask:0xf bank_mask:0xf
	v_cndmask_b32_e64 v3, 0, v3, s[12:13]
	v_add_u32_e32 v2, v2, v3
	s_nop 1
	;; [unrolled: 4-line block ×4, first 2 shown]
	v_mov_b32_dpp v3, v2 row_bcast:15 row_mask:0xf bank_mask:0xf
	v_cndmask_b32_e64 v3, v3, 0, s[6:7]
	v_add_u32_e32 v2, v2, v3
	s_nop 1
	v_mov_b32_dpp v3, v2 row_bcast:31 row_mask:0xf bank_mask:0xf
	v_cndmask_b32_e64 v3, 0, v3, s[18:19]
	v_add_u32_e32 v2, v2, v3
	s_and_saveexec_b64 s[0:1], s[4:5]
	s_cbranch_execz .LBB411_88
; %bb.87:
	v_lshlrev_b32_e32 v3, 2, v65
	ds_write_b32 v3, v2
.LBB411_88:
	s_or_b64 exec, exec, s[0:1]
	v_cmp_gt_u32_e32 vcc, 8, v0
	s_waitcnt lgkmcnt(0)
	s_barrier
	s_and_saveexec_b64 s[0:1], vcc
	s_cbranch_execz .LBB411_90
; %bb.89:
	v_lshlrev_b32_e32 v3, 2, v0
	ds_read_b32 v4, v3
	v_and_b32_e32 v5, 7, v64
	v_cmp_ne_u32_e32 vcc, 0, v5
	s_waitcnt lgkmcnt(0)
	v_mov_b32_dpp v6, v4 row_shr:1 row_mask:0xf bank_mask:0xf
	v_cndmask_b32_e32 v6, 0, v6, vcc
	v_add_u32_e32 v4, v6, v4
	v_cmp_lt_u32_e32 vcc, 1, v5
	s_nop 0
	v_mov_b32_dpp v6, v4 row_shr:2 row_mask:0xf bank_mask:0xf
	v_cndmask_b32_e32 v6, 0, v6, vcc
	v_add_u32_e32 v4, v4, v6
	v_cmp_lt_u32_e32 vcc, 3, v5
	s_nop 0
	v_mov_b32_dpp v6, v4 row_shr:4 row_mask:0xf bank_mask:0xf
	v_cndmask_b32_e32 v5, 0, v6, vcc
	v_add_u32_e32 v4, v4, v5
	ds_write_b32 v3, v4
.LBB411_90:
	s_or_b64 exec, exec, s[0:1]
	v_cmp_lt_u32_e32 vcc, 63, v0
	v_mov_b32_e32 v4, 0
	v_mov_b32_e32 v3, 0
	s_waitcnt lgkmcnt(0)
	s_barrier
	s_and_saveexec_b64 s[0:1], vcc
	s_cbranch_execz .LBB411_92
; %bb.91:
	v_lshl_add_u32 v3, v65, 2, -4
	ds_read_b32 v3, v3
.LBB411_92:
	s_or_b64 exec, exec, s[0:1]
	v_add_u32_e32 v5, -1, v64
	v_and_b32_e32 v6, 64, v64
	v_cmp_lt_i32_e32 vcc, v5, v6
	s_waitcnt lgkmcnt(0)
	v_add_u32_e32 v2, v3, v2
	ds_read_b32 v32, v4 offset:28
	v_cndmask_b32_e32 v5, v5, v64, vcc
	v_lshlrev_b32_e32 v5, 2, v5
	ds_bpermute_b32 v2, v5, v2
	v_cmp_eq_u32_e32 vcc, 0, v0
	s_and_saveexec_b64 s[0:1], vcc
	s_cbranch_execz .LBB411_94
; %bb.93:
	v_mov_b32_e32 v4, 0
	v_mov_b32_e32 v33, 2
	s_waitcnt lgkmcnt(1)
	global_store_dwordx2 v4, v[32:33], s[20:21] offset:512 sc1
.LBB411_94:
	s_or_b64 exec, exec, s[0:1]
	v_cmp_eq_u32_e64 s[0:1], 0, v64
	v_mov_b32_e32 v34, 0
	s_waitcnt lgkmcnt(0)
	v_cndmask_b32_e64 v2, v2, v3, s[0:1]
	v_cndmask_b32_e64 v2, v2, 0, vcc
	v_add_u32_e32 v3, v2, v50
	v_add_u32_e32 v4, v3, v51
	;; [unrolled: 1-line block ×14, first 2 shown]
	s_barrier
.LBB411_95:
	s_movk_i32 s0, 0x201
	v_cmp_gt_u32_e32 vcc, s0, v32
	s_mov_b64 s[0:1], -1
	s_cbranch_vccnz .LBB411_99
; %bb.96:
	s_and_b64 vcc, exec, s[0:1]
	s_cbranch_vccnz .LBB411_145
.LBB411_97:
	v_cmp_eq_u32_e32 vcc, 0, v0
	s_and_b64 s[0:1], vcc, s[38:39]
	s_waitcnt lgkmcnt(0)
	s_and_saveexec_b64 s[2:3], s[0:1]
	s_cbranch_execnz .LBB411_189
.LBB411_98:
	s_endpgm
.LBB411_99:
	v_add_u32_e32 v17, v34, v32
	s_lshl_b64 s[0:1], s[34:35], 2
	s_waitcnt lgkmcnt(0)
	s_add_u32 s0, s2, s0
	v_cmp_lt_u32_e32 vcc, v2, v17
	s_addc_u32 s1, s3, s1
	s_or_b64 s[6:7], s[40:41], vcc
	s_and_saveexec_b64 s[4:5], s[6:7]
	s_cbranch_execz .LBB411_102
; %bb.100:
	v_and_b32_e32 v33, 1, v49
	v_cmp_eq_u32_e32 vcc, 1, v33
	s_and_b64 exec, exec, vcc
	s_cbranch_execz .LBB411_102
; %bb.101:
	v_mov_b32_e32 v51, 0
	v_mov_b32_e32 v50, v2
	v_lshl_add_u64 v[50:51], v[50:51], 2, s[0:1]
	global_store_dword v[50:51], v30, off
.LBB411_102:
	s_or_b64 exec, exec, s[4:5]
	v_cmp_lt_u32_e32 vcc, v3, v17
	s_or_b64 s[6:7], s[40:41], vcc
	s_and_saveexec_b64 s[4:5], s[6:7]
	s_cbranch_execz .LBB411_105
; %bb.103:
	v_and_b32_e32 v33, 1, v48
	v_cmp_eq_u32_e32 vcc, 1, v33
	s_and_b64 exec, exec, vcc
	s_cbranch_execz .LBB411_105
; %bb.104:
	v_mov_b32_e32 v51, 0
	v_mov_b32_e32 v50, v3
	v_lshl_add_u64 v[50:51], v[50:51], 2, s[0:1]
	global_store_dword v[50:51], v31, off
.LBB411_105:
	s_or_b64 exec, exec, s[4:5]
	v_cmp_lt_u32_e32 vcc, v4, v17
	;; [unrolled: 16-line block ×14, first 2 shown]
	s_or_b64 s[6:7], s[40:41], vcc
	s_and_saveexec_b64 s[4:5], s[6:7]
	s_cbranch_execz .LBB411_144
; %bb.142:
	v_and_b32_e32 v17, 1, v35
	v_cmp_eq_u32_e32 vcc, 1, v17
	s_and_b64 exec, exec, vcc
	s_cbranch_execz .LBB411_144
; %bb.143:
	v_mov_b32_e32 v17, 0
	v_lshl_add_u64 v[50:51], v[16:17], 2, s[0:1]
	global_store_dword v[50:51], v1, off
.LBB411_144:
	s_or_b64 exec, exec, s[4:5]
	s_branch .LBB411_97
.LBB411_145:
	v_and_b32_e32 v17, 1, v49
	v_cmp_eq_u32_e32 vcc, 1, v17
	s_and_saveexec_b64 s[0:1], vcc
	s_cbranch_execz .LBB411_147
; %bb.146:
	v_sub_u32_e32 v2, v2, v34
	v_lshlrev_b32_e32 v2, 2, v2
	ds_write_b32 v2, v30
.LBB411_147:
	s_or_b64 exec, exec, s[0:1]
	v_and_b32_e32 v2, 1, v48
	v_cmp_eq_u32_e32 vcc, 1, v2
	s_and_saveexec_b64 s[0:1], vcc
	s_cbranch_execz .LBB411_149
; %bb.148:
	v_sub_u32_e32 v2, v3, v34
	v_lshlrev_b32_e32 v2, 2, v2
	ds_write_b32 v2, v31
.LBB411_149:
	s_or_b64 exec, exec, s[0:1]
	;; [unrolled: 10-line block ×15, first 2 shown]
	v_cmp_lt_u32_e32 vcc, v0, v32
	s_waitcnt lgkmcnt(0)
	s_barrier
	s_and_saveexec_b64 s[0:1], vcc
	s_cbranch_execz .LBB411_188
; %bb.176:
	s_lshl_b64 s[4:5], s[34:35], 2
	v_mov_b32_e32 v35, 0
	s_add_u32 s2, s2, s4
	s_addc_u32 s3, s3, s5
	v_lshlrev_b64 v[2:3], 2, v[34:35]
	v_lshl_add_u64 v[2:3], s[2:3], 0, v[2:3]
	v_xad_u32 v1, v0, -1, v32
	s_movk_i32 s2, 0x1ff
	v_cmp_lt_u32_e32 vcc, s2, v1
	s_mov_b64 s[4:5], -1
	v_mov_b32_e32 v4, v0
	s_and_saveexec_b64 s[2:3], vcc
	s_cbranch_execz .LBB411_185
; %bb.177:
	v_lshrrev_b32_e32 v8, 9, v1
	v_add_u32_e32 v4, -1, v8
	v_or_b32_e32 v1, 0x200, v0
	v_lshrrev_b32_e32 v5, 1, v4
	v_add_u32_e32 v10, 1, v5
	v_cmp_lt_u32_e32 vcc, 13, v4
	v_lshlrev_b32_e32 v9, 2, v0
	v_mov_b64_e32 v[4:5], v[0:1]
	s_and_saveexec_b64 s[4:5], vcc
	s_cbranch_execz .LBB411_181
; %bb.178:
	v_and_b32_e32 v11, -8, v10
	s_mov_b32 s8, 0
	s_mov_b64 s[6:7], 0
	v_mov_b32_e32 v7, 0
	v_mov_b32_e32 v12, v9
	v_mov_b64_e32 v[4:5], v[0:1]
.LBB411_179:                            ; =>This Inner Loop Header: Depth=1
	ds_read2st64_b32 v[14:15], v12 offset1:8
	v_mov_b32_e32 v6, v4
	ds_read2st64_b32 v[26:27], v12 offset0:48 offset1:56
	v_lshl_add_u64 v[48:49], v[6:7], 2, v[2:3]
	v_mov_b32_e32 v6, v5
	ds_read2st64_b32 v[18:19], v12 offset0:16 offset1:24
	ds_read2st64_b32 v[30:31], v12 offset0:64 offset1:72
	v_lshl_add_u64 v[50:51], v[6:7], 2, v[2:3]
	v_add_u32_e32 v6, 0x400, v4
	ds_read2st64_b32 v[38:39], v12 offset0:80 offset1:88
	v_lshl_add_u64 v[52:53], v[6:7], 2, v[2:3]
	v_add_u32_e32 v6, 0x800, v4
	v_add_u32_e32 v16, 0x400, v5
	v_mov_b32_e32 v17, v7
	v_add_u32_e32 v20, 0x800, v5
	ds_read2st64_b32 v[22:23], v12 offset0:32 offset1:40
	v_mov_b32_e32 v21, v7
	ds_read2st64_b32 v[42:43], v12 offset0:96 offset1:104
	v_lshl_add_u64 v[54:55], v[6:7], 2, v[2:3]
	v_add_u32_e32 v6, 0xc00, v4
	v_add_u32_e32 v24, 0xc00, v5
	v_mov_b32_e32 v25, v7
	ds_read2st64_b32 v[46:47], v12 offset0:112 offset1:120
	v_lshl_add_u64 v[16:17], v[16:17], 2, v[2:3]
	v_lshl_add_u64 v[20:21], v[20:21], 2, v[2:3]
	s_waitcnt lgkmcnt(7)
	global_store_dword v[48:49], v14, off
	global_store_dword v[50:51], v15, off
	s_waitcnt lgkmcnt(5)
	global_store_dword v[52:53], v18, off
	global_store_dword v[16:17], v19, off
	;; [unrolled: 3-line block ×3, first 2 shown]
	v_lshl_add_u64 v[14:15], v[6:7], 2, v[2:3]
	v_add_u32_e32 v6, 0x1000, v4
	v_add_u32_e32 v28, 0x1000, v5
	v_mov_b32_e32 v29, v7
	v_lshl_add_u64 v[24:25], v[24:25], 2, v[2:3]
	global_store_dword v[14:15], v26, off
	global_store_dword v[24:25], v27, off
	v_lshl_add_u64 v[14:15], v[6:7], 2, v[2:3]
	v_add_u32_e32 v6, 0x1400, v4
	v_add_u32_e32 v36, 0x1400, v5
	v_mov_b32_e32 v37, v7
	v_add_u32_e32 v11, -8, v11
	v_lshl_add_u64 v[28:29], v[28:29], 2, v[2:3]
	global_store_dword v[14:15], v30, off
	global_store_dword v[28:29], v31, off
	v_lshl_add_u64 v[14:15], v[6:7], 2, v[2:3]
	v_add_u32_e32 v6, 0x1800, v4
	v_add_u32_e32 v40, 0x1800, v5
	v_mov_b32_e32 v41, v7
	s_add_i32 s8, s8, 16
	v_lshl_add_u64 v[36:37], v[36:37], 2, v[2:3]
	v_cmp_eq_u32_e32 vcc, 0, v11
	global_store_dword v[14:15], v38, off
	global_store_dword v[36:37], v39, off
	v_lshl_add_u64 v[14:15], v[6:7], 2, v[2:3]
	v_add_u32_e32 v6, 0x1c00, v4
	v_add_u32_e32 v44, 0x1c00, v5
	v_mov_b32_e32 v45, v7
	v_add_u32_e32 v12, 0x8000, v12
	v_lshl_add_u64 v[40:41], v[40:41], 2, v[2:3]
	v_add_u32_e32 v5, 0x2000, v5
	v_mov_b32_e32 v35, s8
	s_or_b64 s[6:7], vcc, s[6:7]
	v_add_u32_e32 v4, 0x2000, v4
	s_waitcnt lgkmcnt(1)
	global_store_dword v[14:15], v42, off
	global_store_dword v[40:41], v43, off
	v_lshl_add_u64 v[14:15], v[6:7], 2, v[2:3]
	v_lshl_add_u64 v[44:45], v[44:45], 2, v[2:3]
	s_waitcnt lgkmcnt(0)
	global_store_dword v[14:15], v46, off
	global_store_dword v[44:45], v47, off
	s_andn2_b64 exec, exec, s[6:7]
	s_cbranch_execnz .LBB411_179
; %bb.180:
	s_or_b64 exec, exec, s[6:7]
.LBB411_181:
	s_or_b64 exec, exec, s[4:5]
	v_and_b32_e32 v1, 7, v10
	v_cmp_ne_u32_e32 vcc, 0, v1
	s_and_saveexec_b64 s[4:5], vcc
	s_cbranch_execz .LBB411_184
; %bb.182:
	v_lshl_or_b32 v9, v35, 11, v9
	s_mov_b64 s[6:7], 0
	v_mov_b32_e32 v7, 0
.LBB411_183:                            ; =>This Inner Loop Header: Depth=1
	ds_read2st64_b32 v[10:11], v9 offset1:8
	v_add_u32_e32 v1, -1, v1
	v_mov_b32_e32 v6, v4
	v_cmp_eq_u32_e32 vcc, 0, v1
	v_add_u32_e32 v4, 0x400, v4
	v_add_u32_e32 v9, 0x1000, v9
	v_lshl_add_u64 v[12:13], v[6:7], 2, v[2:3]
	v_mov_b32_e32 v6, v5
	v_add_u32_e32 v5, 0x400, v5
	s_or_b64 s[6:7], vcc, s[6:7]
	v_lshl_add_u64 v[14:15], v[6:7], 2, v[2:3]
	s_waitcnt lgkmcnt(0)
	global_store_dword v[12:13], v10, off
	global_store_dword v[14:15], v11, off
	s_andn2_b64 exec, exec, s[6:7]
	s_cbranch_execnz .LBB411_183
.LBB411_184:
	s_or_b64 exec, exec, s[4:5]
	v_add_u32_e32 v1, 1, v8
	v_and_b32_e32 v5, 0xfffffe, v1
	v_cmp_ne_u32_e32 vcc, v1, v5
	v_lshl_or_b32 v4, v5, 9, v0
	s_orn2_b64 s[4:5], vcc, exec
.LBB411_185:
	s_or_b64 exec, exec, s[2:3]
	s_and_b64 exec, exec, s[4:5]
	s_cbranch_execz .LBB411_188
; %bb.186:
	v_lshlrev_b32_e32 v1, 2, v4
	s_mov_b64 s[2:3], 0
	v_mov_b32_e32 v5, 0
.LBB411_187:                            ; =>This Inner Loop Header: Depth=1
	ds_read_b32 v8, v1
	v_lshl_add_u64 v[6:7], v[4:5], 2, v[2:3]
	v_add_u32_e32 v4, 0x200, v4
	v_cmp_ge_u32_e32 vcc, v4, v32
	v_add_u32_e32 v1, 0x800, v1
	s_or_b64 s[2:3], vcc, s[2:3]
	s_waitcnt lgkmcnt(0)
	global_store_dword v[6:7], v8, off
	s_andn2_b64 exec, exec, s[2:3]
	s_cbranch_execnz .LBB411_187
.LBB411_188:
	s_or_b64 exec, exec, s[0:1]
	v_cmp_eq_u32_e32 vcc, 0, v0
	s_and_b64 s[0:1], vcc, s[38:39]
	s_and_saveexec_b64 s[2:3], s[0:1]
	s_cbranch_execz .LBB411_98
.LBB411_189:
	v_mov_b32_e32 v33, 0
	v_lshl_add_u64 v[0:1], s[34:35], 0, v[32:33]
	v_mov_b32_e32 v35, v33
	v_lshl_add_u64 v[0:1], v[0:1], 0, v[34:35]
	global_store_dwordx2 v33, v[0:1], s[36:37]
	s_endpgm
	.section	.rodata,"a",@progbits
	.p2align	6, 0x0
	.amdhsa_kernel _ZN7rocprim17ROCPRIM_400000_NS6detail17trampoline_kernelINS0_14default_configENS1_25partition_config_selectorILNS1_17partition_subalgoE8EiNS0_10empty_typeEbEEZZNS1_14partition_implILS5_8ELb0ES3_jPKiPS6_PKS6_NS0_5tupleIJPiS6_EEENSE_IJSB_SB_EEENS0_18inequality_wrapperIN6hipcub16HIPCUB_304000_NS8EqualityEEEPlJS6_EEE10hipError_tPvRmT3_T4_T5_T6_T7_T9_mT8_P12ihipStream_tbDpT10_ENKUlT_T0_E_clISt17integral_constantIbLb0EES17_EEDaS12_S13_EUlS12_E_NS1_11comp_targetILNS1_3genE5ELNS1_11target_archE942ELNS1_3gpuE9ELNS1_3repE0EEENS1_30default_config_static_selectorELNS0_4arch9wavefront6targetE1EEEvT1_
		.amdhsa_group_segment_fixed_size 30728
		.amdhsa_private_segment_fixed_size 0
		.amdhsa_kernarg_size 112
		.amdhsa_user_sgpr_count 2
		.amdhsa_user_sgpr_dispatch_ptr 0
		.amdhsa_user_sgpr_queue_ptr 0
		.amdhsa_user_sgpr_kernarg_segment_ptr 1
		.amdhsa_user_sgpr_dispatch_id 0
		.amdhsa_user_sgpr_kernarg_preload_length 0
		.amdhsa_user_sgpr_kernarg_preload_offset 0
		.amdhsa_user_sgpr_private_segment_size 0
		.amdhsa_uses_dynamic_stack 0
		.amdhsa_enable_private_segment 0
		.amdhsa_system_sgpr_workgroup_id_x 1
		.amdhsa_system_sgpr_workgroup_id_y 0
		.amdhsa_system_sgpr_workgroup_id_z 0
		.amdhsa_system_sgpr_workgroup_info 0
		.amdhsa_system_vgpr_workitem_id 0
		.amdhsa_next_free_vgpr 74
		.amdhsa_next_free_sgpr 48
		.amdhsa_accum_offset 76
		.amdhsa_reserve_vcc 1
		.amdhsa_float_round_mode_32 0
		.amdhsa_float_round_mode_16_64 0
		.amdhsa_float_denorm_mode_32 3
		.amdhsa_float_denorm_mode_16_64 3
		.amdhsa_dx10_clamp 1
		.amdhsa_ieee_mode 1
		.amdhsa_fp16_overflow 0
		.amdhsa_tg_split 0
		.amdhsa_exception_fp_ieee_invalid_op 0
		.amdhsa_exception_fp_denorm_src 0
		.amdhsa_exception_fp_ieee_div_zero 0
		.amdhsa_exception_fp_ieee_overflow 0
		.amdhsa_exception_fp_ieee_underflow 0
		.amdhsa_exception_fp_ieee_inexact 0
		.amdhsa_exception_int_div_zero 0
	.end_amdhsa_kernel
	.section	.text._ZN7rocprim17ROCPRIM_400000_NS6detail17trampoline_kernelINS0_14default_configENS1_25partition_config_selectorILNS1_17partition_subalgoE8EiNS0_10empty_typeEbEEZZNS1_14partition_implILS5_8ELb0ES3_jPKiPS6_PKS6_NS0_5tupleIJPiS6_EEENSE_IJSB_SB_EEENS0_18inequality_wrapperIN6hipcub16HIPCUB_304000_NS8EqualityEEEPlJS6_EEE10hipError_tPvRmT3_T4_T5_T6_T7_T9_mT8_P12ihipStream_tbDpT10_ENKUlT_T0_E_clISt17integral_constantIbLb0EES17_EEDaS12_S13_EUlS12_E_NS1_11comp_targetILNS1_3genE5ELNS1_11target_archE942ELNS1_3gpuE9ELNS1_3repE0EEENS1_30default_config_static_selectorELNS0_4arch9wavefront6targetE1EEEvT1_,"axG",@progbits,_ZN7rocprim17ROCPRIM_400000_NS6detail17trampoline_kernelINS0_14default_configENS1_25partition_config_selectorILNS1_17partition_subalgoE8EiNS0_10empty_typeEbEEZZNS1_14partition_implILS5_8ELb0ES3_jPKiPS6_PKS6_NS0_5tupleIJPiS6_EEENSE_IJSB_SB_EEENS0_18inequality_wrapperIN6hipcub16HIPCUB_304000_NS8EqualityEEEPlJS6_EEE10hipError_tPvRmT3_T4_T5_T6_T7_T9_mT8_P12ihipStream_tbDpT10_ENKUlT_T0_E_clISt17integral_constantIbLb0EES17_EEDaS12_S13_EUlS12_E_NS1_11comp_targetILNS1_3genE5ELNS1_11target_archE942ELNS1_3gpuE9ELNS1_3repE0EEENS1_30default_config_static_selectorELNS0_4arch9wavefront6targetE1EEEvT1_,comdat
.Lfunc_end411:
	.size	_ZN7rocprim17ROCPRIM_400000_NS6detail17trampoline_kernelINS0_14default_configENS1_25partition_config_selectorILNS1_17partition_subalgoE8EiNS0_10empty_typeEbEEZZNS1_14partition_implILS5_8ELb0ES3_jPKiPS6_PKS6_NS0_5tupleIJPiS6_EEENSE_IJSB_SB_EEENS0_18inequality_wrapperIN6hipcub16HIPCUB_304000_NS8EqualityEEEPlJS6_EEE10hipError_tPvRmT3_T4_T5_T6_T7_T9_mT8_P12ihipStream_tbDpT10_ENKUlT_T0_E_clISt17integral_constantIbLb0EES17_EEDaS12_S13_EUlS12_E_NS1_11comp_targetILNS1_3genE5ELNS1_11target_archE942ELNS1_3gpuE9ELNS1_3repE0EEENS1_30default_config_static_selectorELNS0_4arch9wavefront6targetE1EEEvT1_, .Lfunc_end411-_ZN7rocprim17ROCPRIM_400000_NS6detail17trampoline_kernelINS0_14default_configENS1_25partition_config_selectorILNS1_17partition_subalgoE8EiNS0_10empty_typeEbEEZZNS1_14partition_implILS5_8ELb0ES3_jPKiPS6_PKS6_NS0_5tupleIJPiS6_EEENSE_IJSB_SB_EEENS0_18inequality_wrapperIN6hipcub16HIPCUB_304000_NS8EqualityEEEPlJS6_EEE10hipError_tPvRmT3_T4_T5_T6_T7_T9_mT8_P12ihipStream_tbDpT10_ENKUlT_T0_E_clISt17integral_constantIbLb0EES17_EEDaS12_S13_EUlS12_E_NS1_11comp_targetILNS1_3genE5ELNS1_11target_archE942ELNS1_3gpuE9ELNS1_3repE0EEENS1_30default_config_static_selectorELNS0_4arch9wavefront6targetE1EEEvT1_
                                        ; -- End function
	.section	.AMDGPU.csdata,"",@progbits
; Kernel info:
; codeLenInByte = 7852
; NumSgprs: 54
; NumVgprs: 74
; NumAgprs: 0
; TotalNumVgprs: 74
; ScratchSize: 0
; MemoryBound: 0
; FloatMode: 240
; IeeeMode: 1
; LDSByteSize: 30728 bytes/workgroup (compile time only)
; SGPRBlocks: 6
; VGPRBlocks: 9
; NumSGPRsForWavesPerEU: 54
; NumVGPRsForWavesPerEU: 74
; AccumOffset: 76
; Occupancy: 4
; WaveLimiterHint : 1
; COMPUTE_PGM_RSRC2:SCRATCH_EN: 0
; COMPUTE_PGM_RSRC2:USER_SGPR: 2
; COMPUTE_PGM_RSRC2:TRAP_HANDLER: 0
; COMPUTE_PGM_RSRC2:TGID_X_EN: 1
; COMPUTE_PGM_RSRC2:TGID_Y_EN: 0
; COMPUTE_PGM_RSRC2:TGID_Z_EN: 0
; COMPUTE_PGM_RSRC2:TIDIG_COMP_CNT: 0
; COMPUTE_PGM_RSRC3_GFX90A:ACCUM_OFFSET: 18
; COMPUTE_PGM_RSRC3_GFX90A:TG_SPLIT: 0
	.section	.text._ZN7rocprim17ROCPRIM_400000_NS6detail17trampoline_kernelINS0_14default_configENS1_25partition_config_selectorILNS1_17partition_subalgoE8EiNS0_10empty_typeEbEEZZNS1_14partition_implILS5_8ELb0ES3_jPKiPS6_PKS6_NS0_5tupleIJPiS6_EEENSE_IJSB_SB_EEENS0_18inequality_wrapperIN6hipcub16HIPCUB_304000_NS8EqualityEEEPlJS6_EEE10hipError_tPvRmT3_T4_T5_T6_T7_T9_mT8_P12ihipStream_tbDpT10_ENKUlT_T0_E_clISt17integral_constantIbLb0EES17_EEDaS12_S13_EUlS12_E_NS1_11comp_targetILNS1_3genE4ELNS1_11target_archE910ELNS1_3gpuE8ELNS1_3repE0EEENS1_30default_config_static_selectorELNS0_4arch9wavefront6targetE1EEEvT1_,"axG",@progbits,_ZN7rocprim17ROCPRIM_400000_NS6detail17trampoline_kernelINS0_14default_configENS1_25partition_config_selectorILNS1_17partition_subalgoE8EiNS0_10empty_typeEbEEZZNS1_14partition_implILS5_8ELb0ES3_jPKiPS6_PKS6_NS0_5tupleIJPiS6_EEENSE_IJSB_SB_EEENS0_18inequality_wrapperIN6hipcub16HIPCUB_304000_NS8EqualityEEEPlJS6_EEE10hipError_tPvRmT3_T4_T5_T6_T7_T9_mT8_P12ihipStream_tbDpT10_ENKUlT_T0_E_clISt17integral_constantIbLb0EES17_EEDaS12_S13_EUlS12_E_NS1_11comp_targetILNS1_3genE4ELNS1_11target_archE910ELNS1_3gpuE8ELNS1_3repE0EEENS1_30default_config_static_selectorELNS0_4arch9wavefront6targetE1EEEvT1_,comdat
	.protected	_ZN7rocprim17ROCPRIM_400000_NS6detail17trampoline_kernelINS0_14default_configENS1_25partition_config_selectorILNS1_17partition_subalgoE8EiNS0_10empty_typeEbEEZZNS1_14partition_implILS5_8ELb0ES3_jPKiPS6_PKS6_NS0_5tupleIJPiS6_EEENSE_IJSB_SB_EEENS0_18inequality_wrapperIN6hipcub16HIPCUB_304000_NS8EqualityEEEPlJS6_EEE10hipError_tPvRmT3_T4_T5_T6_T7_T9_mT8_P12ihipStream_tbDpT10_ENKUlT_T0_E_clISt17integral_constantIbLb0EES17_EEDaS12_S13_EUlS12_E_NS1_11comp_targetILNS1_3genE4ELNS1_11target_archE910ELNS1_3gpuE8ELNS1_3repE0EEENS1_30default_config_static_selectorELNS0_4arch9wavefront6targetE1EEEvT1_ ; -- Begin function _ZN7rocprim17ROCPRIM_400000_NS6detail17trampoline_kernelINS0_14default_configENS1_25partition_config_selectorILNS1_17partition_subalgoE8EiNS0_10empty_typeEbEEZZNS1_14partition_implILS5_8ELb0ES3_jPKiPS6_PKS6_NS0_5tupleIJPiS6_EEENSE_IJSB_SB_EEENS0_18inequality_wrapperIN6hipcub16HIPCUB_304000_NS8EqualityEEEPlJS6_EEE10hipError_tPvRmT3_T4_T5_T6_T7_T9_mT8_P12ihipStream_tbDpT10_ENKUlT_T0_E_clISt17integral_constantIbLb0EES17_EEDaS12_S13_EUlS12_E_NS1_11comp_targetILNS1_3genE4ELNS1_11target_archE910ELNS1_3gpuE8ELNS1_3repE0EEENS1_30default_config_static_selectorELNS0_4arch9wavefront6targetE1EEEvT1_
	.globl	_ZN7rocprim17ROCPRIM_400000_NS6detail17trampoline_kernelINS0_14default_configENS1_25partition_config_selectorILNS1_17partition_subalgoE8EiNS0_10empty_typeEbEEZZNS1_14partition_implILS5_8ELb0ES3_jPKiPS6_PKS6_NS0_5tupleIJPiS6_EEENSE_IJSB_SB_EEENS0_18inequality_wrapperIN6hipcub16HIPCUB_304000_NS8EqualityEEEPlJS6_EEE10hipError_tPvRmT3_T4_T5_T6_T7_T9_mT8_P12ihipStream_tbDpT10_ENKUlT_T0_E_clISt17integral_constantIbLb0EES17_EEDaS12_S13_EUlS12_E_NS1_11comp_targetILNS1_3genE4ELNS1_11target_archE910ELNS1_3gpuE8ELNS1_3repE0EEENS1_30default_config_static_selectorELNS0_4arch9wavefront6targetE1EEEvT1_
	.p2align	8
	.type	_ZN7rocprim17ROCPRIM_400000_NS6detail17trampoline_kernelINS0_14default_configENS1_25partition_config_selectorILNS1_17partition_subalgoE8EiNS0_10empty_typeEbEEZZNS1_14partition_implILS5_8ELb0ES3_jPKiPS6_PKS6_NS0_5tupleIJPiS6_EEENSE_IJSB_SB_EEENS0_18inequality_wrapperIN6hipcub16HIPCUB_304000_NS8EqualityEEEPlJS6_EEE10hipError_tPvRmT3_T4_T5_T6_T7_T9_mT8_P12ihipStream_tbDpT10_ENKUlT_T0_E_clISt17integral_constantIbLb0EES17_EEDaS12_S13_EUlS12_E_NS1_11comp_targetILNS1_3genE4ELNS1_11target_archE910ELNS1_3gpuE8ELNS1_3repE0EEENS1_30default_config_static_selectorELNS0_4arch9wavefront6targetE1EEEvT1_,@function
_ZN7rocprim17ROCPRIM_400000_NS6detail17trampoline_kernelINS0_14default_configENS1_25partition_config_selectorILNS1_17partition_subalgoE8EiNS0_10empty_typeEbEEZZNS1_14partition_implILS5_8ELb0ES3_jPKiPS6_PKS6_NS0_5tupleIJPiS6_EEENSE_IJSB_SB_EEENS0_18inequality_wrapperIN6hipcub16HIPCUB_304000_NS8EqualityEEEPlJS6_EEE10hipError_tPvRmT3_T4_T5_T6_T7_T9_mT8_P12ihipStream_tbDpT10_ENKUlT_T0_E_clISt17integral_constantIbLb0EES17_EEDaS12_S13_EUlS12_E_NS1_11comp_targetILNS1_3genE4ELNS1_11target_archE910ELNS1_3gpuE8ELNS1_3repE0EEENS1_30default_config_static_selectorELNS0_4arch9wavefront6targetE1EEEvT1_: ; @_ZN7rocprim17ROCPRIM_400000_NS6detail17trampoline_kernelINS0_14default_configENS1_25partition_config_selectorILNS1_17partition_subalgoE8EiNS0_10empty_typeEbEEZZNS1_14partition_implILS5_8ELb0ES3_jPKiPS6_PKS6_NS0_5tupleIJPiS6_EEENSE_IJSB_SB_EEENS0_18inequality_wrapperIN6hipcub16HIPCUB_304000_NS8EqualityEEEPlJS6_EEE10hipError_tPvRmT3_T4_T5_T6_T7_T9_mT8_P12ihipStream_tbDpT10_ENKUlT_T0_E_clISt17integral_constantIbLb0EES17_EEDaS12_S13_EUlS12_E_NS1_11comp_targetILNS1_3genE4ELNS1_11target_archE910ELNS1_3gpuE8ELNS1_3repE0EEENS1_30default_config_static_selectorELNS0_4arch9wavefront6targetE1EEEvT1_
; %bb.0:
	.section	.rodata,"a",@progbits
	.p2align	6, 0x0
	.amdhsa_kernel _ZN7rocprim17ROCPRIM_400000_NS6detail17trampoline_kernelINS0_14default_configENS1_25partition_config_selectorILNS1_17partition_subalgoE8EiNS0_10empty_typeEbEEZZNS1_14partition_implILS5_8ELb0ES3_jPKiPS6_PKS6_NS0_5tupleIJPiS6_EEENSE_IJSB_SB_EEENS0_18inequality_wrapperIN6hipcub16HIPCUB_304000_NS8EqualityEEEPlJS6_EEE10hipError_tPvRmT3_T4_T5_T6_T7_T9_mT8_P12ihipStream_tbDpT10_ENKUlT_T0_E_clISt17integral_constantIbLb0EES17_EEDaS12_S13_EUlS12_E_NS1_11comp_targetILNS1_3genE4ELNS1_11target_archE910ELNS1_3gpuE8ELNS1_3repE0EEENS1_30default_config_static_selectorELNS0_4arch9wavefront6targetE1EEEvT1_
		.amdhsa_group_segment_fixed_size 0
		.amdhsa_private_segment_fixed_size 0
		.amdhsa_kernarg_size 112
		.amdhsa_user_sgpr_count 2
		.amdhsa_user_sgpr_dispatch_ptr 0
		.amdhsa_user_sgpr_queue_ptr 0
		.amdhsa_user_sgpr_kernarg_segment_ptr 1
		.amdhsa_user_sgpr_dispatch_id 0
		.amdhsa_user_sgpr_kernarg_preload_length 0
		.amdhsa_user_sgpr_kernarg_preload_offset 0
		.amdhsa_user_sgpr_private_segment_size 0
		.amdhsa_uses_dynamic_stack 0
		.amdhsa_enable_private_segment 0
		.amdhsa_system_sgpr_workgroup_id_x 1
		.amdhsa_system_sgpr_workgroup_id_y 0
		.amdhsa_system_sgpr_workgroup_id_z 0
		.amdhsa_system_sgpr_workgroup_info 0
		.amdhsa_system_vgpr_workitem_id 0
		.amdhsa_next_free_vgpr 1
		.amdhsa_next_free_sgpr 0
		.amdhsa_accum_offset 4
		.amdhsa_reserve_vcc 0
		.amdhsa_float_round_mode_32 0
		.amdhsa_float_round_mode_16_64 0
		.amdhsa_float_denorm_mode_32 3
		.amdhsa_float_denorm_mode_16_64 3
		.amdhsa_dx10_clamp 1
		.amdhsa_ieee_mode 1
		.amdhsa_fp16_overflow 0
		.amdhsa_tg_split 0
		.amdhsa_exception_fp_ieee_invalid_op 0
		.amdhsa_exception_fp_denorm_src 0
		.amdhsa_exception_fp_ieee_div_zero 0
		.amdhsa_exception_fp_ieee_overflow 0
		.amdhsa_exception_fp_ieee_underflow 0
		.amdhsa_exception_fp_ieee_inexact 0
		.amdhsa_exception_int_div_zero 0
	.end_amdhsa_kernel
	.section	.text._ZN7rocprim17ROCPRIM_400000_NS6detail17trampoline_kernelINS0_14default_configENS1_25partition_config_selectorILNS1_17partition_subalgoE8EiNS0_10empty_typeEbEEZZNS1_14partition_implILS5_8ELb0ES3_jPKiPS6_PKS6_NS0_5tupleIJPiS6_EEENSE_IJSB_SB_EEENS0_18inequality_wrapperIN6hipcub16HIPCUB_304000_NS8EqualityEEEPlJS6_EEE10hipError_tPvRmT3_T4_T5_T6_T7_T9_mT8_P12ihipStream_tbDpT10_ENKUlT_T0_E_clISt17integral_constantIbLb0EES17_EEDaS12_S13_EUlS12_E_NS1_11comp_targetILNS1_3genE4ELNS1_11target_archE910ELNS1_3gpuE8ELNS1_3repE0EEENS1_30default_config_static_selectorELNS0_4arch9wavefront6targetE1EEEvT1_,"axG",@progbits,_ZN7rocprim17ROCPRIM_400000_NS6detail17trampoline_kernelINS0_14default_configENS1_25partition_config_selectorILNS1_17partition_subalgoE8EiNS0_10empty_typeEbEEZZNS1_14partition_implILS5_8ELb0ES3_jPKiPS6_PKS6_NS0_5tupleIJPiS6_EEENSE_IJSB_SB_EEENS0_18inequality_wrapperIN6hipcub16HIPCUB_304000_NS8EqualityEEEPlJS6_EEE10hipError_tPvRmT3_T4_T5_T6_T7_T9_mT8_P12ihipStream_tbDpT10_ENKUlT_T0_E_clISt17integral_constantIbLb0EES17_EEDaS12_S13_EUlS12_E_NS1_11comp_targetILNS1_3genE4ELNS1_11target_archE910ELNS1_3gpuE8ELNS1_3repE0EEENS1_30default_config_static_selectorELNS0_4arch9wavefront6targetE1EEEvT1_,comdat
.Lfunc_end412:
	.size	_ZN7rocprim17ROCPRIM_400000_NS6detail17trampoline_kernelINS0_14default_configENS1_25partition_config_selectorILNS1_17partition_subalgoE8EiNS0_10empty_typeEbEEZZNS1_14partition_implILS5_8ELb0ES3_jPKiPS6_PKS6_NS0_5tupleIJPiS6_EEENSE_IJSB_SB_EEENS0_18inequality_wrapperIN6hipcub16HIPCUB_304000_NS8EqualityEEEPlJS6_EEE10hipError_tPvRmT3_T4_T5_T6_T7_T9_mT8_P12ihipStream_tbDpT10_ENKUlT_T0_E_clISt17integral_constantIbLb0EES17_EEDaS12_S13_EUlS12_E_NS1_11comp_targetILNS1_3genE4ELNS1_11target_archE910ELNS1_3gpuE8ELNS1_3repE0EEENS1_30default_config_static_selectorELNS0_4arch9wavefront6targetE1EEEvT1_, .Lfunc_end412-_ZN7rocprim17ROCPRIM_400000_NS6detail17trampoline_kernelINS0_14default_configENS1_25partition_config_selectorILNS1_17partition_subalgoE8EiNS0_10empty_typeEbEEZZNS1_14partition_implILS5_8ELb0ES3_jPKiPS6_PKS6_NS0_5tupleIJPiS6_EEENSE_IJSB_SB_EEENS0_18inequality_wrapperIN6hipcub16HIPCUB_304000_NS8EqualityEEEPlJS6_EEE10hipError_tPvRmT3_T4_T5_T6_T7_T9_mT8_P12ihipStream_tbDpT10_ENKUlT_T0_E_clISt17integral_constantIbLb0EES17_EEDaS12_S13_EUlS12_E_NS1_11comp_targetILNS1_3genE4ELNS1_11target_archE910ELNS1_3gpuE8ELNS1_3repE0EEENS1_30default_config_static_selectorELNS0_4arch9wavefront6targetE1EEEvT1_
                                        ; -- End function
	.section	.AMDGPU.csdata,"",@progbits
; Kernel info:
; codeLenInByte = 0
; NumSgprs: 6
; NumVgprs: 0
; NumAgprs: 0
; TotalNumVgprs: 0
; ScratchSize: 0
; MemoryBound: 0
; FloatMode: 240
; IeeeMode: 1
; LDSByteSize: 0 bytes/workgroup (compile time only)
; SGPRBlocks: 0
; VGPRBlocks: 0
; NumSGPRsForWavesPerEU: 6
; NumVGPRsForWavesPerEU: 1
; AccumOffset: 4
; Occupancy: 8
; WaveLimiterHint : 0
; COMPUTE_PGM_RSRC2:SCRATCH_EN: 0
; COMPUTE_PGM_RSRC2:USER_SGPR: 2
; COMPUTE_PGM_RSRC2:TRAP_HANDLER: 0
; COMPUTE_PGM_RSRC2:TGID_X_EN: 1
; COMPUTE_PGM_RSRC2:TGID_Y_EN: 0
; COMPUTE_PGM_RSRC2:TGID_Z_EN: 0
; COMPUTE_PGM_RSRC2:TIDIG_COMP_CNT: 0
; COMPUTE_PGM_RSRC3_GFX90A:ACCUM_OFFSET: 0
; COMPUTE_PGM_RSRC3_GFX90A:TG_SPLIT: 0
	.section	.text._ZN7rocprim17ROCPRIM_400000_NS6detail17trampoline_kernelINS0_14default_configENS1_25partition_config_selectorILNS1_17partition_subalgoE8EiNS0_10empty_typeEbEEZZNS1_14partition_implILS5_8ELb0ES3_jPKiPS6_PKS6_NS0_5tupleIJPiS6_EEENSE_IJSB_SB_EEENS0_18inequality_wrapperIN6hipcub16HIPCUB_304000_NS8EqualityEEEPlJS6_EEE10hipError_tPvRmT3_T4_T5_T6_T7_T9_mT8_P12ihipStream_tbDpT10_ENKUlT_T0_E_clISt17integral_constantIbLb0EES17_EEDaS12_S13_EUlS12_E_NS1_11comp_targetILNS1_3genE3ELNS1_11target_archE908ELNS1_3gpuE7ELNS1_3repE0EEENS1_30default_config_static_selectorELNS0_4arch9wavefront6targetE1EEEvT1_,"axG",@progbits,_ZN7rocprim17ROCPRIM_400000_NS6detail17trampoline_kernelINS0_14default_configENS1_25partition_config_selectorILNS1_17partition_subalgoE8EiNS0_10empty_typeEbEEZZNS1_14partition_implILS5_8ELb0ES3_jPKiPS6_PKS6_NS0_5tupleIJPiS6_EEENSE_IJSB_SB_EEENS0_18inequality_wrapperIN6hipcub16HIPCUB_304000_NS8EqualityEEEPlJS6_EEE10hipError_tPvRmT3_T4_T5_T6_T7_T9_mT8_P12ihipStream_tbDpT10_ENKUlT_T0_E_clISt17integral_constantIbLb0EES17_EEDaS12_S13_EUlS12_E_NS1_11comp_targetILNS1_3genE3ELNS1_11target_archE908ELNS1_3gpuE7ELNS1_3repE0EEENS1_30default_config_static_selectorELNS0_4arch9wavefront6targetE1EEEvT1_,comdat
	.protected	_ZN7rocprim17ROCPRIM_400000_NS6detail17trampoline_kernelINS0_14default_configENS1_25partition_config_selectorILNS1_17partition_subalgoE8EiNS0_10empty_typeEbEEZZNS1_14partition_implILS5_8ELb0ES3_jPKiPS6_PKS6_NS0_5tupleIJPiS6_EEENSE_IJSB_SB_EEENS0_18inequality_wrapperIN6hipcub16HIPCUB_304000_NS8EqualityEEEPlJS6_EEE10hipError_tPvRmT3_T4_T5_T6_T7_T9_mT8_P12ihipStream_tbDpT10_ENKUlT_T0_E_clISt17integral_constantIbLb0EES17_EEDaS12_S13_EUlS12_E_NS1_11comp_targetILNS1_3genE3ELNS1_11target_archE908ELNS1_3gpuE7ELNS1_3repE0EEENS1_30default_config_static_selectorELNS0_4arch9wavefront6targetE1EEEvT1_ ; -- Begin function _ZN7rocprim17ROCPRIM_400000_NS6detail17trampoline_kernelINS0_14default_configENS1_25partition_config_selectorILNS1_17partition_subalgoE8EiNS0_10empty_typeEbEEZZNS1_14partition_implILS5_8ELb0ES3_jPKiPS6_PKS6_NS0_5tupleIJPiS6_EEENSE_IJSB_SB_EEENS0_18inequality_wrapperIN6hipcub16HIPCUB_304000_NS8EqualityEEEPlJS6_EEE10hipError_tPvRmT3_T4_T5_T6_T7_T9_mT8_P12ihipStream_tbDpT10_ENKUlT_T0_E_clISt17integral_constantIbLb0EES17_EEDaS12_S13_EUlS12_E_NS1_11comp_targetILNS1_3genE3ELNS1_11target_archE908ELNS1_3gpuE7ELNS1_3repE0EEENS1_30default_config_static_selectorELNS0_4arch9wavefront6targetE1EEEvT1_
	.globl	_ZN7rocprim17ROCPRIM_400000_NS6detail17trampoline_kernelINS0_14default_configENS1_25partition_config_selectorILNS1_17partition_subalgoE8EiNS0_10empty_typeEbEEZZNS1_14partition_implILS5_8ELb0ES3_jPKiPS6_PKS6_NS0_5tupleIJPiS6_EEENSE_IJSB_SB_EEENS0_18inequality_wrapperIN6hipcub16HIPCUB_304000_NS8EqualityEEEPlJS6_EEE10hipError_tPvRmT3_T4_T5_T6_T7_T9_mT8_P12ihipStream_tbDpT10_ENKUlT_T0_E_clISt17integral_constantIbLb0EES17_EEDaS12_S13_EUlS12_E_NS1_11comp_targetILNS1_3genE3ELNS1_11target_archE908ELNS1_3gpuE7ELNS1_3repE0EEENS1_30default_config_static_selectorELNS0_4arch9wavefront6targetE1EEEvT1_
	.p2align	8
	.type	_ZN7rocprim17ROCPRIM_400000_NS6detail17trampoline_kernelINS0_14default_configENS1_25partition_config_selectorILNS1_17partition_subalgoE8EiNS0_10empty_typeEbEEZZNS1_14partition_implILS5_8ELb0ES3_jPKiPS6_PKS6_NS0_5tupleIJPiS6_EEENSE_IJSB_SB_EEENS0_18inequality_wrapperIN6hipcub16HIPCUB_304000_NS8EqualityEEEPlJS6_EEE10hipError_tPvRmT3_T4_T5_T6_T7_T9_mT8_P12ihipStream_tbDpT10_ENKUlT_T0_E_clISt17integral_constantIbLb0EES17_EEDaS12_S13_EUlS12_E_NS1_11comp_targetILNS1_3genE3ELNS1_11target_archE908ELNS1_3gpuE7ELNS1_3repE0EEENS1_30default_config_static_selectorELNS0_4arch9wavefront6targetE1EEEvT1_,@function
_ZN7rocprim17ROCPRIM_400000_NS6detail17trampoline_kernelINS0_14default_configENS1_25partition_config_selectorILNS1_17partition_subalgoE8EiNS0_10empty_typeEbEEZZNS1_14partition_implILS5_8ELb0ES3_jPKiPS6_PKS6_NS0_5tupleIJPiS6_EEENSE_IJSB_SB_EEENS0_18inequality_wrapperIN6hipcub16HIPCUB_304000_NS8EqualityEEEPlJS6_EEE10hipError_tPvRmT3_T4_T5_T6_T7_T9_mT8_P12ihipStream_tbDpT10_ENKUlT_T0_E_clISt17integral_constantIbLb0EES17_EEDaS12_S13_EUlS12_E_NS1_11comp_targetILNS1_3genE3ELNS1_11target_archE908ELNS1_3gpuE7ELNS1_3repE0EEENS1_30default_config_static_selectorELNS0_4arch9wavefront6targetE1EEEvT1_: ; @_ZN7rocprim17ROCPRIM_400000_NS6detail17trampoline_kernelINS0_14default_configENS1_25partition_config_selectorILNS1_17partition_subalgoE8EiNS0_10empty_typeEbEEZZNS1_14partition_implILS5_8ELb0ES3_jPKiPS6_PKS6_NS0_5tupleIJPiS6_EEENSE_IJSB_SB_EEENS0_18inequality_wrapperIN6hipcub16HIPCUB_304000_NS8EqualityEEEPlJS6_EEE10hipError_tPvRmT3_T4_T5_T6_T7_T9_mT8_P12ihipStream_tbDpT10_ENKUlT_T0_E_clISt17integral_constantIbLb0EES17_EEDaS12_S13_EUlS12_E_NS1_11comp_targetILNS1_3genE3ELNS1_11target_archE908ELNS1_3gpuE7ELNS1_3repE0EEENS1_30default_config_static_selectorELNS0_4arch9wavefront6targetE1EEEvT1_
; %bb.0:
	.section	.rodata,"a",@progbits
	.p2align	6, 0x0
	.amdhsa_kernel _ZN7rocprim17ROCPRIM_400000_NS6detail17trampoline_kernelINS0_14default_configENS1_25partition_config_selectorILNS1_17partition_subalgoE8EiNS0_10empty_typeEbEEZZNS1_14partition_implILS5_8ELb0ES3_jPKiPS6_PKS6_NS0_5tupleIJPiS6_EEENSE_IJSB_SB_EEENS0_18inequality_wrapperIN6hipcub16HIPCUB_304000_NS8EqualityEEEPlJS6_EEE10hipError_tPvRmT3_T4_T5_T6_T7_T9_mT8_P12ihipStream_tbDpT10_ENKUlT_T0_E_clISt17integral_constantIbLb0EES17_EEDaS12_S13_EUlS12_E_NS1_11comp_targetILNS1_3genE3ELNS1_11target_archE908ELNS1_3gpuE7ELNS1_3repE0EEENS1_30default_config_static_selectorELNS0_4arch9wavefront6targetE1EEEvT1_
		.amdhsa_group_segment_fixed_size 0
		.amdhsa_private_segment_fixed_size 0
		.amdhsa_kernarg_size 112
		.amdhsa_user_sgpr_count 2
		.amdhsa_user_sgpr_dispatch_ptr 0
		.amdhsa_user_sgpr_queue_ptr 0
		.amdhsa_user_sgpr_kernarg_segment_ptr 1
		.amdhsa_user_sgpr_dispatch_id 0
		.amdhsa_user_sgpr_kernarg_preload_length 0
		.amdhsa_user_sgpr_kernarg_preload_offset 0
		.amdhsa_user_sgpr_private_segment_size 0
		.amdhsa_uses_dynamic_stack 0
		.amdhsa_enable_private_segment 0
		.amdhsa_system_sgpr_workgroup_id_x 1
		.amdhsa_system_sgpr_workgroup_id_y 0
		.amdhsa_system_sgpr_workgroup_id_z 0
		.amdhsa_system_sgpr_workgroup_info 0
		.amdhsa_system_vgpr_workitem_id 0
		.amdhsa_next_free_vgpr 1
		.amdhsa_next_free_sgpr 0
		.amdhsa_accum_offset 4
		.amdhsa_reserve_vcc 0
		.amdhsa_float_round_mode_32 0
		.amdhsa_float_round_mode_16_64 0
		.amdhsa_float_denorm_mode_32 3
		.amdhsa_float_denorm_mode_16_64 3
		.amdhsa_dx10_clamp 1
		.amdhsa_ieee_mode 1
		.amdhsa_fp16_overflow 0
		.amdhsa_tg_split 0
		.amdhsa_exception_fp_ieee_invalid_op 0
		.amdhsa_exception_fp_denorm_src 0
		.amdhsa_exception_fp_ieee_div_zero 0
		.amdhsa_exception_fp_ieee_overflow 0
		.amdhsa_exception_fp_ieee_underflow 0
		.amdhsa_exception_fp_ieee_inexact 0
		.amdhsa_exception_int_div_zero 0
	.end_amdhsa_kernel
	.section	.text._ZN7rocprim17ROCPRIM_400000_NS6detail17trampoline_kernelINS0_14default_configENS1_25partition_config_selectorILNS1_17partition_subalgoE8EiNS0_10empty_typeEbEEZZNS1_14partition_implILS5_8ELb0ES3_jPKiPS6_PKS6_NS0_5tupleIJPiS6_EEENSE_IJSB_SB_EEENS0_18inequality_wrapperIN6hipcub16HIPCUB_304000_NS8EqualityEEEPlJS6_EEE10hipError_tPvRmT3_T4_T5_T6_T7_T9_mT8_P12ihipStream_tbDpT10_ENKUlT_T0_E_clISt17integral_constantIbLb0EES17_EEDaS12_S13_EUlS12_E_NS1_11comp_targetILNS1_3genE3ELNS1_11target_archE908ELNS1_3gpuE7ELNS1_3repE0EEENS1_30default_config_static_selectorELNS0_4arch9wavefront6targetE1EEEvT1_,"axG",@progbits,_ZN7rocprim17ROCPRIM_400000_NS6detail17trampoline_kernelINS0_14default_configENS1_25partition_config_selectorILNS1_17partition_subalgoE8EiNS0_10empty_typeEbEEZZNS1_14partition_implILS5_8ELb0ES3_jPKiPS6_PKS6_NS0_5tupleIJPiS6_EEENSE_IJSB_SB_EEENS0_18inequality_wrapperIN6hipcub16HIPCUB_304000_NS8EqualityEEEPlJS6_EEE10hipError_tPvRmT3_T4_T5_T6_T7_T9_mT8_P12ihipStream_tbDpT10_ENKUlT_T0_E_clISt17integral_constantIbLb0EES17_EEDaS12_S13_EUlS12_E_NS1_11comp_targetILNS1_3genE3ELNS1_11target_archE908ELNS1_3gpuE7ELNS1_3repE0EEENS1_30default_config_static_selectorELNS0_4arch9wavefront6targetE1EEEvT1_,comdat
.Lfunc_end413:
	.size	_ZN7rocprim17ROCPRIM_400000_NS6detail17trampoline_kernelINS0_14default_configENS1_25partition_config_selectorILNS1_17partition_subalgoE8EiNS0_10empty_typeEbEEZZNS1_14partition_implILS5_8ELb0ES3_jPKiPS6_PKS6_NS0_5tupleIJPiS6_EEENSE_IJSB_SB_EEENS0_18inequality_wrapperIN6hipcub16HIPCUB_304000_NS8EqualityEEEPlJS6_EEE10hipError_tPvRmT3_T4_T5_T6_T7_T9_mT8_P12ihipStream_tbDpT10_ENKUlT_T0_E_clISt17integral_constantIbLb0EES17_EEDaS12_S13_EUlS12_E_NS1_11comp_targetILNS1_3genE3ELNS1_11target_archE908ELNS1_3gpuE7ELNS1_3repE0EEENS1_30default_config_static_selectorELNS0_4arch9wavefront6targetE1EEEvT1_, .Lfunc_end413-_ZN7rocprim17ROCPRIM_400000_NS6detail17trampoline_kernelINS0_14default_configENS1_25partition_config_selectorILNS1_17partition_subalgoE8EiNS0_10empty_typeEbEEZZNS1_14partition_implILS5_8ELb0ES3_jPKiPS6_PKS6_NS0_5tupleIJPiS6_EEENSE_IJSB_SB_EEENS0_18inequality_wrapperIN6hipcub16HIPCUB_304000_NS8EqualityEEEPlJS6_EEE10hipError_tPvRmT3_T4_T5_T6_T7_T9_mT8_P12ihipStream_tbDpT10_ENKUlT_T0_E_clISt17integral_constantIbLb0EES17_EEDaS12_S13_EUlS12_E_NS1_11comp_targetILNS1_3genE3ELNS1_11target_archE908ELNS1_3gpuE7ELNS1_3repE0EEENS1_30default_config_static_selectorELNS0_4arch9wavefront6targetE1EEEvT1_
                                        ; -- End function
	.section	.AMDGPU.csdata,"",@progbits
; Kernel info:
; codeLenInByte = 0
; NumSgprs: 6
; NumVgprs: 0
; NumAgprs: 0
; TotalNumVgprs: 0
; ScratchSize: 0
; MemoryBound: 0
; FloatMode: 240
; IeeeMode: 1
; LDSByteSize: 0 bytes/workgroup (compile time only)
; SGPRBlocks: 0
; VGPRBlocks: 0
; NumSGPRsForWavesPerEU: 6
; NumVGPRsForWavesPerEU: 1
; AccumOffset: 4
; Occupancy: 8
; WaveLimiterHint : 0
; COMPUTE_PGM_RSRC2:SCRATCH_EN: 0
; COMPUTE_PGM_RSRC2:USER_SGPR: 2
; COMPUTE_PGM_RSRC2:TRAP_HANDLER: 0
; COMPUTE_PGM_RSRC2:TGID_X_EN: 1
; COMPUTE_PGM_RSRC2:TGID_Y_EN: 0
; COMPUTE_PGM_RSRC2:TGID_Z_EN: 0
; COMPUTE_PGM_RSRC2:TIDIG_COMP_CNT: 0
; COMPUTE_PGM_RSRC3_GFX90A:ACCUM_OFFSET: 0
; COMPUTE_PGM_RSRC3_GFX90A:TG_SPLIT: 0
	.section	.text._ZN7rocprim17ROCPRIM_400000_NS6detail17trampoline_kernelINS0_14default_configENS1_25partition_config_selectorILNS1_17partition_subalgoE8EiNS0_10empty_typeEbEEZZNS1_14partition_implILS5_8ELb0ES3_jPKiPS6_PKS6_NS0_5tupleIJPiS6_EEENSE_IJSB_SB_EEENS0_18inequality_wrapperIN6hipcub16HIPCUB_304000_NS8EqualityEEEPlJS6_EEE10hipError_tPvRmT3_T4_T5_T6_T7_T9_mT8_P12ihipStream_tbDpT10_ENKUlT_T0_E_clISt17integral_constantIbLb0EES17_EEDaS12_S13_EUlS12_E_NS1_11comp_targetILNS1_3genE2ELNS1_11target_archE906ELNS1_3gpuE6ELNS1_3repE0EEENS1_30default_config_static_selectorELNS0_4arch9wavefront6targetE1EEEvT1_,"axG",@progbits,_ZN7rocprim17ROCPRIM_400000_NS6detail17trampoline_kernelINS0_14default_configENS1_25partition_config_selectorILNS1_17partition_subalgoE8EiNS0_10empty_typeEbEEZZNS1_14partition_implILS5_8ELb0ES3_jPKiPS6_PKS6_NS0_5tupleIJPiS6_EEENSE_IJSB_SB_EEENS0_18inequality_wrapperIN6hipcub16HIPCUB_304000_NS8EqualityEEEPlJS6_EEE10hipError_tPvRmT3_T4_T5_T6_T7_T9_mT8_P12ihipStream_tbDpT10_ENKUlT_T0_E_clISt17integral_constantIbLb0EES17_EEDaS12_S13_EUlS12_E_NS1_11comp_targetILNS1_3genE2ELNS1_11target_archE906ELNS1_3gpuE6ELNS1_3repE0EEENS1_30default_config_static_selectorELNS0_4arch9wavefront6targetE1EEEvT1_,comdat
	.protected	_ZN7rocprim17ROCPRIM_400000_NS6detail17trampoline_kernelINS0_14default_configENS1_25partition_config_selectorILNS1_17partition_subalgoE8EiNS0_10empty_typeEbEEZZNS1_14partition_implILS5_8ELb0ES3_jPKiPS6_PKS6_NS0_5tupleIJPiS6_EEENSE_IJSB_SB_EEENS0_18inequality_wrapperIN6hipcub16HIPCUB_304000_NS8EqualityEEEPlJS6_EEE10hipError_tPvRmT3_T4_T5_T6_T7_T9_mT8_P12ihipStream_tbDpT10_ENKUlT_T0_E_clISt17integral_constantIbLb0EES17_EEDaS12_S13_EUlS12_E_NS1_11comp_targetILNS1_3genE2ELNS1_11target_archE906ELNS1_3gpuE6ELNS1_3repE0EEENS1_30default_config_static_selectorELNS0_4arch9wavefront6targetE1EEEvT1_ ; -- Begin function _ZN7rocprim17ROCPRIM_400000_NS6detail17trampoline_kernelINS0_14default_configENS1_25partition_config_selectorILNS1_17partition_subalgoE8EiNS0_10empty_typeEbEEZZNS1_14partition_implILS5_8ELb0ES3_jPKiPS6_PKS6_NS0_5tupleIJPiS6_EEENSE_IJSB_SB_EEENS0_18inequality_wrapperIN6hipcub16HIPCUB_304000_NS8EqualityEEEPlJS6_EEE10hipError_tPvRmT3_T4_T5_T6_T7_T9_mT8_P12ihipStream_tbDpT10_ENKUlT_T0_E_clISt17integral_constantIbLb0EES17_EEDaS12_S13_EUlS12_E_NS1_11comp_targetILNS1_3genE2ELNS1_11target_archE906ELNS1_3gpuE6ELNS1_3repE0EEENS1_30default_config_static_selectorELNS0_4arch9wavefront6targetE1EEEvT1_
	.globl	_ZN7rocprim17ROCPRIM_400000_NS6detail17trampoline_kernelINS0_14default_configENS1_25partition_config_selectorILNS1_17partition_subalgoE8EiNS0_10empty_typeEbEEZZNS1_14partition_implILS5_8ELb0ES3_jPKiPS6_PKS6_NS0_5tupleIJPiS6_EEENSE_IJSB_SB_EEENS0_18inequality_wrapperIN6hipcub16HIPCUB_304000_NS8EqualityEEEPlJS6_EEE10hipError_tPvRmT3_T4_T5_T6_T7_T9_mT8_P12ihipStream_tbDpT10_ENKUlT_T0_E_clISt17integral_constantIbLb0EES17_EEDaS12_S13_EUlS12_E_NS1_11comp_targetILNS1_3genE2ELNS1_11target_archE906ELNS1_3gpuE6ELNS1_3repE0EEENS1_30default_config_static_selectorELNS0_4arch9wavefront6targetE1EEEvT1_
	.p2align	8
	.type	_ZN7rocprim17ROCPRIM_400000_NS6detail17trampoline_kernelINS0_14default_configENS1_25partition_config_selectorILNS1_17partition_subalgoE8EiNS0_10empty_typeEbEEZZNS1_14partition_implILS5_8ELb0ES3_jPKiPS6_PKS6_NS0_5tupleIJPiS6_EEENSE_IJSB_SB_EEENS0_18inequality_wrapperIN6hipcub16HIPCUB_304000_NS8EqualityEEEPlJS6_EEE10hipError_tPvRmT3_T4_T5_T6_T7_T9_mT8_P12ihipStream_tbDpT10_ENKUlT_T0_E_clISt17integral_constantIbLb0EES17_EEDaS12_S13_EUlS12_E_NS1_11comp_targetILNS1_3genE2ELNS1_11target_archE906ELNS1_3gpuE6ELNS1_3repE0EEENS1_30default_config_static_selectorELNS0_4arch9wavefront6targetE1EEEvT1_,@function
_ZN7rocprim17ROCPRIM_400000_NS6detail17trampoline_kernelINS0_14default_configENS1_25partition_config_selectorILNS1_17partition_subalgoE8EiNS0_10empty_typeEbEEZZNS1_14partition_implILS5_8ELb0ES3_jPKiPS6_PKS6_NS0_5tupleIJPiS6_EEENSE_IJSB_SB_EEENS0_18inequality_wrapperIN6hipcub16HIPCUB_304000_NS8EqualityEEEPlJS6_EEE10hipError_tPvRmT3_T4_T5_T6_T7_T9_mT8_P12ihipStream_tbDpT10_ENKUlT_T0_E_clISt17integral_constantIbLb0EES17_EEDaS12_S13_EUlS12_E_NS1_11comp_targetILNS1_3genE2ELNS1_11target_archE906ELNS1_3gpuE6ELNS1_3repE0EEENS1_30default_config_static_selectorELNS0_4arch9wavefront6targetE1EEEvT1_: ; @_ZN7rocprim17ROCPRIM_400000_NS6detail17trampoline_kernelINS0_14default_configENS1_25partition_config_selectorILNS1_17partition_subalgoE8EiNS0_10empty_typeEbEEZZNS1_14partition_implILS5_8ELb0ES3_jPKiPS6_PKS6_NS0_5tupleIJPiS6_EEENSE_IJSB_SB_EEENS0_18inequality_wrapperIN6hipcub16HIPCUB_304000_NS8EqualityEEEPlJS6_EEE10hipError_tPvRmT3_T4_T5_T6_T7_T9_mT8_P12ihipStream_tbDpT10_ENKUlT_T0_E_clISt17integral_constantIbLb0EES17_EEDaS12_S13_EUlS12_E_NS1_11comp_targetILNS1_3genE2ELNS1_11target_archE906ELNS1_3gpuE6ELNS1_3repE0EEENS1_30default_config_static_selectorELNS0_4arch9wavefront6targetE1EEEvT1_
; %bb.0:
	.section	.rodata,"a",@progbits
	.p2align	6, 0x0
	.amdhsa_kernel _ZN7rocprim17ROCPRIM_400000_NS6detail17trampoline_kernelINS0_14default_configENS1_25partition_config_selectorILNS1_17partition_subalgoE8EiNS0_10empty_typeEbEEZZNS1_14partition_implILS5_8ELb0ES3_jPKiPS6_PKS6_NS0_5tupleIJPiS6_EEENSE_IJSB_SB_EEENS0_18inequality_wrapperIN6hipcub16HIPCUB_304000_NS8EqualityEEEPlJS6_EEE10hipError_tPvRmT3_T4_T5_T6_T7_T9_mT8_P12ihipStream_tbDpT10_ENKUlT_T0_E_clISt17integral_constantIbLb0EES17_EEDaS12_S13_EUlS12_E_NS1_11comp_targetILNS1_3genE2ELNS1_11target_archE906ELNS1_3gpuE6ELNS1_3repE0EEENS1_30default_config_static_selectorELNS0_4arch9wavefront6targetE1EEEvT1_
		.amdhsa_group_segment_fixed_size 0
		.amdhsa_private_segment_fixed_size 0
		.amdhsa_kernarg_size 112
		.amdhsa_user_sgpr_count 2
		.amdhsa_user_sgpr_dispatch_ptr 0
		.amdhsa_user_sgpr_queue_ptr 0
		.amdhsa_user_sgpr_kernarg_segment_ptr 1
		.amdhsa_user_sgpr_dispatch_id 0
		.amdhsa_user_sgpr_kernarg_preload_length 0
		.amdhsa_user_sgpr_kernarg_preload_offset 0
		.amdhsa_user_sgpr_private_segment_size 0
		.amdhsa_uses_dynamic_stack 0
		.amdhsa_enable_private_segment 0
		.amdhsa_system_sgpr_workgroup_id_x 1
		.amdhsa_system_sgpr_workgroup_id_y 0
		.amdhsa_system_sgpr_workgroup_id_z 0
		.amdhsa_system_sgpr_workgroup_info 0
		.amdhsa_system_vgpr_workitem_id 0
		.amdhsa_next_free_vgpr 1
		.amdhsa_next_free_sgpr 0
		.amdhsa_accum_offset 4
		.amdhsa_reserve_vcc 0
		.amdhsa_float_round_mode_32 0
		.amdhsa_float_round_mode_16_64 0
		.amdhsa_float_denorm_mode_32 3
		.amdhsa_float_denorm_mode_16_64 3
		.amdhsa_dx10_clamp 1
		.amdhsa_ieee_mode 1
		.amdhsa_fp16_overflow 0
		.amdhsa_tg_split 0
		.amdhsa_exception_fp_ieee_invalid_op 0
		.amdhsa_exception_fp_denorm_src 0
		.amdhsa_exception_fp_ieee_div_zero 0
		.amdhsa_exception_fp_ieee_overflow 0
		.amdhsa_exception_fp_ieee_underflow 0
		.amdhsa_exception_fp_ieee_inexact 0
		.amdhsa_exception_int_div_zero 0
	.end_amdhsa_kernel
	.section	.text._ZN7rocprim17ROCPRIM_400000_NS6detail17trampoline_kernelINS0_14default_configENS1_25partition_config_selectorILNS1_17partition_subalgoE8EiNS0_10empty_typeEbEEZZNS1_14partition_implILS5_8ELb0ES3_jPKiPS6_PKS6_NS0_5tupleIJPiS6_EEENSE_IJSB_SB_EEENS0_18inequality_wrapperIN6hipcub16HIPCUB_304000_NS8EqualityEEEPlJS6_EEE10hipError_tPvRmT3_T4_T5_T6_T7_T9_mT8_P12ihipStream_tbDpT10_ENKUlT_T0_E_clISt17integral_constantIbLb0EES17_EEDaS12_S13_EUlS12_E_NS1_11comp_targetILNS1_3genE2ELNS1_11target_archE906ELNS1_3gpuE6ELNS1_3repE0EEENS1_30default_config_static_selectorELNS0_4arch9wavefront6targetE1EEEvT1_,"axG",@progbits,_ZN7rocprim17ROCPRIM_400000_NS6detail17trampoline_kernelINS0_14default_configENS1_25partition_config_selectorILNS1_17partition_subalgoE8EiNS0_10empty_typeEbEEZZNS1_14partition_implILS5_8ELb0ES3_jPKiPS6_PKS6_NS0_5tupleIJPiS6_EEENSE_IJSB_SB_EEENS0_18inequality_wrapperIN6hipcub16HIPCUB_304000_NS8EqualityEEEPlJS6_EEE10hipError_tPvRmT3_T4_T5_T6_T7_T9_mT8_P12ihipStream_tbDpT10_ENKUlT_T0_E_clISt17integral_constantIbLb0EES17_EEDaS12_S13_EUlS12_E_NS1_11comp_targetILNS1_3genE2ELNS1_11target_archE906ELNS1_3gpuE6ELNS1_3repE0EEENS1_30default_config_static_selectorELNS0_4arch9wavefront6targetE1EEEvT1_,comdat
.Lfunc_end414:
	.size	_ZN7rocprim17ROCPRIM_400000_NS6detail17trampoline_kernelINS0_14default_configENS1_25partition_config_selectorILNS1_17partition_subalgoE8EiNS0_10empty_typeEbEEZZNS1_14partition_implILS5_8ELb0ES3_jPKiPS6_PKS6_NS0_5tupleIJPiS6_EEENSE_IJSB_SB_EEENS0_18inequality_wrapperIN6hipcub16HIPCUB_304000_NS8EqualityEEEPlJS6_EEE10hipError_tPvRmT3_T4_T5_T6_T7_T9_mT8_P12ihipStream_tbDpT10_ENKUlT_T0_E_clISt17integral_constantIbLb0EES17_EEDaS12_S13_EUlS12_E_NS1_11comp_targetILNS1_3genE2ELNS1_11target_archE906ELNS1_3gpuE6ELNS1_3repE0EEENS1_30default_config_static_selectorELNS0_4arch9wavefront6targetE1EEEvT1_, .Lfunc_end414-_ZN7rocprim17ROCPRIM_400000_NS6detail17trampoline_kernelINS0_14default_configENS1_25partition_config_selectorILNS1_17partition_subalgoE8EiNS0_10empty_typeEbEEZZNS1_14partition_implILS5_8ELb0ES3_jPKiPS6_PKS6_NS0_5tupleIJPiS6_EEENSE_IJSB_SB_EEENS0_18inequality_wrapperIN6hipcub16HIPCUB_304000_NS8EqualityEEEPlJS6_EEE10hipError_tPvRmT3_T4_T5_T6_T7_T9_mT8_P12ihipStream_tbDpT10_ENKUlT_T0_E_clISt17integral_constantIbLb0EES17_EEDaS12_S13_EUlS12_E_NS1_11comp_targetILNS1_3genE2ELNS1_11target_archE906ELNS1_3gpuE6ELNS1_3repE0EEENS1_30default_config_static_selectorELNS0_4arch9wavefront6targetE1EEEvT1_
                                        ; -- End function
	.section	.AMDGPU.csdata,"",@progbits
; Kernel info:
; codeLenInByte = 0
; NumSgprs: 6
; NumVgprs: 0
; NumAgprs: 0
; TotalNumVgprs: 0
; ScratchSize: 0
; MemoryBound: 0
; FloatMode: 240
; IeeeMode: 1
; LDSByteSize: 0 bytes/workgroup (compile time only)
; SGPRBlocks: 0
; VGPRBlocks: 0
; NumSGPRsForWavesPerEU: 6
; NumVGPRsForWavesPerEU: 1
; AccumOffset: 4
; Occupancy: 8
; WaveLimiterHint : 0
; COMPUTE_PGM_RSRC2:SCRATCH_EN: 0
; COMPUTE_PGM_RSRC2:USER_SGPR: 2
; COMPUTE_PGM_RSRC2:TRAP_HANDLER: 0
; COMPUTE_PGM_RSRC2:TGID_X_EN: 1
; COMPUTE_PGM_RSRC2:TGID_Y_EN: 0
; COMPUTE_PGM_RSRC2:TGID_Z_EN: 0
; COMPUTE_PGM_RSRC2:TIDIG_COMP_CNT: 0
; COMPUTE_PGM_RSRC3_GFX90A:ACCUM_OFFSET: 0
; COMPUTE_PGM_RSRC3_GFX90A:TG_SPLIT: 0
	.section	.text._ZN7rocprim17ROCPRIM_400000_NS6detail17trampoline_kernelINS0_14default_configENS1_25partition_config_selectorILNS1_17partition_subalgoE8EiNS0_10empty_typeEbEEZZNS1_14partition_implILS5_8ELb0ES3_jPKiPS6_PKS6_NS0_5tupleIJPiS6_EEENSE_IJSB_SB_EEENS0_18inequality_wrapperIN6hipcub16HIPCUB_304000_NS8EqualityEEEPlJS6_EEE10hipError_tPvRmT3_T4_T5_T6_T7_T9_mT8_P12ihipStream_tbDpT10_ENKUlT_T0_E_clISt17integral_constantIbLb0EES17_EEDaS12_S13_EUlS12_E_NS1_11comp_targetILNS1_3genE10ELNS1_11target_archE1200ELNS1_3gpuE4ELNS1_3repE0EEENS1_30default_config_static_selectorELNS0_4arch9wavefront6targetE1EEEvT1_,"axG",@progbits,_ZN7rocprim17ROCPRIM_400000_NS6detail17trampoline_kernelINS0_14default_configENS1_25partition_config_selectorILNS1_17partition_subalgoE8EiNS0_10empty_typeEbEEZZNS1_14partition_implILS5_8ELb0ES3_jPKiPS6_PKS6_NS0_5tupleIJPiS6_EEENSE_IJSB_SB_EEENS0_18inequality_wrapperIN6hipcub16HIPCUB_304000_NS8EqualityEEEPlJS6_EEE10hipError_tPvRmT3_T4_T5_T6_T7_T9_mT8_P12ihipStream_tbDpT10_ENKUlT_T0_E_clISt17integral_constantIbLb0EES17_EEDaS12_S13_EUlS12_E_NS1_11comp_targetILNS1_3genE10ELNS1_11target_archE1200ELNS1_3gpuE4ELNS1_3repE0EEENS1_30default_config_static_selectorELNS0_4arch9wavefront6targetE1EEEvT1_,comdat
	.protected	_ZN7rocprim17ROCPRIM_400000_NS6detail17trampoline_kernelINS0_14default_configENS1_25partition_config_selectorILNS1_17partition_subalgoE8EiNS0_10empty_typeEbEEZZNS1_14partition_implILS5_8ELb0ES3_jPKiPS6_PKS6_NS0_5tupleIJPiS6_EEENSE_IJSB_SB_EEENS0_18inequality_wrapperIN6hipcub16HIPCUB_304000_NS8EqualityEEEPlJS6_EEE10hipError_tPvRmT3_T4_T5_T6_T7_T9_mT8_P12ihipStream_tbDpT10_ENKUlT_T0_E_clISt17integral_constantIbLb0EES17_EEDaS12_S13_EUlS12_E_NS1_11comp_targetILNS1_3genE10ELNS1_11target_archE1200ELNS1_3gpuE4ELNS1_3repE0EEENS1_30default_config_static_selectorELNS0_4arch9wavefront6targetE1EEEvT1_ ; -- Begin function _ZN7rocprim17ROCPRIM_400000_NS6detail17trampoline_kernelINS0_14default_configENS1_25partition_config_selectorILNS1_17partition_subalgoE8EiNS0_10empty_typeEbEEZZNS1_14partition_implILS5_8ELb0ES3_jPKiPS6_PKS6_NS0_5tupleIJPiS6_EEENSE_IJSB_SB_EEENS0_18inequality_wrapperIN6hipcub16HIPCUB_304000_NS8EqualityEEEPlJS6_EEE10hipError_tPvRmT3_T4_T5_T6_T7_T9_mT8_P12ihipStream_tbDpT10_ENKUlT_T0_E_clISt17integral_constantIbLb0EES17_EEDaS12_S13_EUlS12_E_NS1_11comp_targetILNS1_3genE10ELNS1_11target_archE1200ELNS1_3gpuE4ELNS1_3repE0EEENS1_30default_config_static_selectorELNS0_4arch9wavefront6targetE1EEEvT1_
	.globl	_ZN7rocprim17ROCPRIM_400000_NS6detail17trampoline_kernelINS0_14default_configENS1_25partition_config_selectorILNS1_17partition_subalgoE8EiNS0_10empty_typeEbEEZZNS1_14partition_implILS5_8ELb0ES3_jPKiPS6_PKS6_NS0_5tupleIJPiS6_EEENSE_IJSB_SB_EEENS0_18inequality_wrapperIN6hipcub16HIPCUB_304000_NS8EqualityEEEPlJS6_EEE10hipError_tPvRmT3_T4_T5_T6_T7_T9_mT8_P12ihipStream_tbDpT10_ENKUlT_T0_E_clISt17integral_constantIbLb0EES17_EEDaS12_S13_EUlS12_E_NS1_11comp_targetILNS1_3genE10ELNS1_11target_archE1200ELNS1_3gpuE4ELNS1_3repE0EEENS1_30default_config_static_selectorELNS0_4arch9wavefront6targetE1EEEvT1_
	.p2align	8
	.type	_ZN7rocprim17ROCPRIM_400000_NS6detail17trampoline_kernelINS0_14default_configENS1_25partition_config_selectorILNS1_17partition_subalgoE8EiNS0_10empty_typeEbEEZZNS1_14partition_implILS5_8ELb0ES3_jPKiPS6_PKS6_NS0_5tupleIJPiS6_EEENSE_IJSB_SB_EEENS0_18inequality_wrapperIN6hipcub16HIPCUB_304000_NS8EqualityEEEPlJS6_EEE10hipError_tPvRmT3_T4_T5_T6_T7_T9_mT8_P12ihipStream_tbDpT10_ENKUlT_T0_E_clISt17integral_constantIbLb0EES17_EEDaS12_S13_EUlS12_E_NS1_11comp_targetILNS1_3genE10ELNS1_11target_archE1200ELNS1_3gpuE4ELNS1_3repE0EEENS1_30default_config_static_selectorELNS0_4arch9wavefront6targetE1EEEvT1_,@function
_ZN7rocprim17ROCPRIM_400000_NS6detail17trampoline_kernelINS0_14default_configENS1_25partition_config_selectorILNS1_17partition_subalgoE8EiNS0_10empty_typeEbEEZZNS1_14partition_implILS5_8ELb0ES3_jPKiPS6_PKS6_NS0_5tupleIJPiS6_EEENSE_IJSB_SB_EEENS0_18inequality_wrapperIN6hipcub16HIPCUB_304000_NS8EqualityEEEPlJS6_EEE10hipError_tPvRmT3_T4_T5_T6_T7_T9_mT8_P12ihipStream_tbDpT10_ENKUlT_T0_E_clISt17integral_constantIbLb0EES17_EEDaS12_S13_EUlS12_E_NS1_11comp_targetILNS1_3genE10ELNS1_11target_archE1200ELNS1_3gpuE4ELNS1_3repE0EEENS1_30default_config_static_selectorELNS0_4arch9wavefront6targetE1EEEvT1_: ; @_ZN7rocprim17ROCPRIM_400000_NS6detail17trampoline_kernelINS0_14default_configENS1_25partition_config_selectorILNS1_17partition_subalgoE8EiNS0_10empty_typeEbEEZZNS1_14partition_implILS5_8ELb0ES3_jPKiPS6_PKS6_NS0_5tupleIJPiS6_EEENSE_IJSB_SB_EEENS0_18inequality_wrapperIN6hipcub16HIPCUB_304000_NS8EqualityEEEPlJS6_EEE10hipError_tPvRmT3_T4_T5_T6_T7_T9_mT8_P12ihipStream_tbDpT10_ENKUlT_T0_E_clISt17integral_constantIbLb0EES17_EEDaS12_S13_EUlS12_E_NS1_11comp_targetILNS1_3genE10ELNS1_11target_archE1200ELNS1_3gpuE4ELNS1_3repE0EEENS1_30default_config_static_selectorELNS0_4arch9wavefront6targetE1EEEvT1_
; %bb.0:
	.section	.rodata,"a",@progbits
	.p2align	6, 0x0
	.amdhsa_kernel _ZN7rocprim17ROCPRIM_400000_NS6detail17trampoline_kernelINS0_14default_configENS1_25partition_config_selectorILNS1_17partition_subalgoE8EiNS0_10empty_typeEbEEZZNS1_14partition_implILS5_8ELb0ES3_jPKiPS6_PKS6_NS0_5tupleIJPiS6_EEENSE_IJSB_SB_EEENS0_18inequality_wrapperIN6hipcub16HIPCUB_304000_NS8EqualityEEEPlJS6_EEE10hipError_tPvRmT3_T4_T5_T6_T7_T9_mT8_P12ihipStream_tbDpT10_ENKUlT_T0_E_clISt17integral_constantIbLb0EES17_EEDaS12_S13_EUlS12_E_NS1_11comp_targetILNS1_3genE10ELNS1_11target_archE1200ELNS1_3gpuE4ELNS1_3repE0EEENS1_30default_config_static_selectorELNS0_4arch9wavefront6targetE1EEEvT1_
		.amdhsa_group_segment_fixed_size 0
		.amdhsa_private_segment_fixed_size 0
		.amdhsa_kernarg_size 112
		.amdhsa_user_sgpr_count 2
		.amdhsa_user_sgpr_dispatch_ptr 0
		.amdhsa_user_sgpr_queue_ptr 0
		.amdhsa_user_sgpr_kernarg_segment_ptr 1
		.amdhsa_user_sgpr_dispatch_id 0
		.amdhsa_user_sgpr_kernarg_preload_length 0
		.amdhsa_user_sgpr_kernarg_preload_offset 0
		.amdhsa_user_sgpr_private_segment_size 0
		.amdhsa_uses_dynamic_stack 0
		.amdhsa_enable_private_segment 0
		.amdhsa_system_sgpr_workgroup_id_x 1
		.amdhsa_system_sgpr_workgroup_id_y 0
		.amdhsa_system_sgpr_workgroup_id_z 0
		.amdhsa_system_sgpr_workgroup_info 0
		.amdhsa_system_vgpr_workitem_id 0
		.amdhsa_next_free_vgpr 1
		.amdhsa_next_free_sgpr 0
		.amdhsa_accum_offset 4
		.amdhsa_reserve_vcc 0
		.amdhsa_float_round_mode_32 0
		.amdhsa_float_round_mode_16_64 0
		.amdhsa_float_denorm_mode_32 3
		.amdhsa_float_denorm_mode_16_64 3
		.amdhsa_dx10_clamp 1
		.amdhsa_ieee_mode 1
		.amdhsa_fp16_overflow 0
		.amdhsa_tg_split 0
		.amdhsa_exception_fp_ieee_invalid_op 0
		.amdhsa_exception_fp_denorm_src 0
		.amdhsa_exception_fp_ieee_div_zero 0
		.amdhsa_exception_fp_ieee_overflow 0
		.amdhsa_exception_fp_ieee_underflow 0
		.amdhsa_exception_fp_ieee_inexact 0
		.amdhsa_exception_int_div_zero 0
	.end_amdhsa_kernel
	.section	.text._ZN7rocprim17ROCPRIM_400000_NS6detail17trampoline_kernelINS0_14default_configENS1_25partition_config_selectorILNS1_17partition_subalgoE8EiNS0_10empty_typeEbEEZZNS1_14partition_implILS5_8ELb0ES3_jPKiPS6_PKS6_NS0_5tupleIJPiS6_EEENSE_IJSB_SB_EEENS0_18inequality_wrapperIN6hipcub16HIPCUB_304000_NS8EqualityEEEPlJS6_EEE10hipError_tPvRmT3_T4_T5_T6_T7_T9_mT8_P12ihipStream_tbDpT10_ENKUlT_T0_E_clISt17integral_constantIbLb0EES17_EEDaS12_S13_EUlS12_E_NS1_11comp_targetILNS1_3genE10ELNS1_11target_archE1200ELNS1_3gpuE4ELNS1_3repE0EEENS1_30default_config_static_selectorELNS0_4arch9wavefront6targetE1EEEvT1_,"axG",@progbits,_ZN7rocprim17ROCPRIM_400000_NS6detail17trampoline_kernelINS0_14default_configENS1_25partition_config_selectorILNS1_17partition_subalgoE8EiNS0_10empty_typeEbEEZZNS1_14partition_implILS5_8ELb0ES3_jPKiPS6_PKS6_NS0_5tupleIJPiS6_EEENSE_IJSB_SB_EEENS0_18inequality_wrapperIN6hipcub16HIPCUB_304000_NS8EqualityEEEPlJS6_EEE10hipError_tPvRmT3_T4_T5_T6_T7_T9_mT8_P12ihipStream_tbDpT10_ENKUlT_T0_E_clISt17integral_constantIbLb0EES17_EEDaS12_S13_EUlS12_E_NS1_11comp_targetILNS1_3genE10ELNS1_11target_archE1200ELNS1_3gpuE4ELNS1_3repE0EEENS1_30default_config_static_selectorELNS0_4arch9wavefront6targetE1EEEvT1_,comdat
.Lfunc_end415:
	.size	_ZN7rocprim17ROCPRIM_400000_NS6detail17trampoline_kernelINS0_14default_configENS1_25partition_config_selectorILNS1_17partition_subalgoE8EiNS0_10empty_typeEbEEZZNS1_14partition_implILS5_8ELb0ES3_jPKiPS6_PKS6_NS0_5tupleIJPiS6_EEENSE_IJSB_SB_EEENS0_18inequality_wrapperIN6hipcub16HIPCUB_304000_NS8EqualityEEEPlJS6_EEE10hipError_tPvRmT3_T4_T5_T6_T7_T9_mT8_P12ihipStream_tbDpT10_ENKUlT_T0_E_clISt17integral_constantIbLb0EES17_EEDaS12_S13_EUlS12_E_NS1_11comp_targetILNS1_3genE10ELNS1_11target_archE1200ELNS1_3gpuE4ELNS1_3repE0EEENS1_30default_config_static_selectorELNS0_4arch9wavefront6targetE1EEEvT1_, .Lfunc_end415-_ZN7rocprim17ROCPRIM_400000_NS6detail17trampoline_kernelINS0_14default_configENS1_25partition_config_selectorILNS1_17partition_subalgoE8EiNS0_10empty_typeEbEEZZNS1_14partition_implILS5_8ELb0ES3_jPKiPS6_PKS6_NS0_5tupleIJPiS6_EEENSE_IJSB_SB_EEENS0_18inequality_wrapperIN6hipcub16HIPCUB_304000_NS8EqualityEEEPlJS6_EEE10hipError_tPvRmT3_T4_T5_T6_T7_T9_mT8_P12ihipStream_tbDpT10_ENKUlT_T0_E_clISt17integral_constantIbLb0EES17_EEDaS12_S13_EUlS12_E_NS1_11comp_targetILNS1_3genE10ELNS1_11target_archE1200ELNS1_3gpuE4ELNS1_3repE0EEENS1_30default_config_static_selectorELNS0_4arch9wavefront6targetE1EEEvT1_
                                        ; -- End function
	.section	.AMDGPU.csdata,"",@progbits
; Kernel info:
; codeLenInByte = 0
; NumSgprs: 6
; NumVgprs: 0
; NumAgprs: 0
; TotalNumVgprs: 0
; ScratchSize: 0
; MemoryBound: 0
; FloatMode: 240
; IeeeMode: 1
; LDSByteSize: 0 bytes/workgroup (compile time only)
; SGPRBlocks: 0
; VGPRBlocks: 0
; NumSGPRsForWavesPerEU: 6
; NumVGPRsForWavesPerEU: 1
; AccumOffset: 4
; Occupancy: 8
; WaveLimiterHint : 0
; COMPUTE_PGM_RSRC2:SCRATCH_EN: 0
; COMPUTE_PGM_RSRC2:USER_SGPR: 2
; COMPUTE_PGM_RSRC2:TRAP_HANDLER: 0
; COMPUTE_PGM_RSRC2:TGID_X_EN: 1
; COMPUTE_PGM_RSRC2:TGID_Y_EN: 0
; COMPUTE_PGM_RSRC2:TGID_Z_EN: 0
; COMPUTE_PGM_RSRC2:TIDIG_COMP_CNT: 0
; COMPUTE_PGM_RSRC3_GFX90A:ACCUM_OFFSET: 0
; COMPUTE_PGM_RSRC3_GFX90A:TG_SPLIT: 0
	.section	.text._ZN7rocprim17ROCPRIM_400000_NS6detail17trampoline_kernelINS0_14default_configENS1_25partition_config_selectorILNS1_17partition_subalgoE8EiNS0_10empty_typeEbEEZZNS1_14partition_implILS5_8ELb0ES3_jPKiPS6_PKS6_NS0_5tupleIJPiS6_EEENSE_IJSB_SB_EEENS0_18inequality_wrapperIN6hipcub16HIPCUB_304000_NS8EqualityEEEPlJS6_EEE10hipError_tPvRmT3_T4_T5_T6_T7_T9_mT8_P12ihipStream_tbDpT10_ENKUlT_T0_E_clISt17integral_constantIbLb0EES17_EEDaS12_S13_EUlS12_E_NS1_11comp_targetILNS1_3genE9ELNS1_11target_archE1100ELNS1_3gpuE3ELNS1_3repE0EEENS1_30default_config_static_selectorELNS0_4arch9wavefront6targetE1EEEvT1_,"axG",@progbits,_ZN7rocprim17ROCPRIM_400000_NS6detail17trampoline_kernelINS0_14default_configENS1_25partition_config_selectorILNS1_17partition_subalgoE8EiNS0_10empty_typeEbEEZZNS1_14partition_implILS5_8ELb0ES3_jPKiPS6_PKS6_NS0_5tupleIJPiS6_EEENSE_IJSB_SB_EEENS0_18inequality_wrapperIN6hipcub16HIPCUB_304000_NS8EqualityEEEPlJS6_EEE10hipError_tPvRmT3_T4_T5_T6_T7_T9_mT8_P12ihipStream_tbDpT10_ENKUlT_T0_E_clISt17integral_constantIbLb0EES17_EEDaS12_S13_EUlS12_E_NS1_11comp_targetILNS1_3genE9ELNS1_11target_archE1100ELNS1_3gpuE3ELNS1_3repE0EEENS1_30default_config_static_selectorELNS0_4arch9wavefront6targetE1EEEvT1_,comdat
	.protected	_ZN7rocprim17ROCPRIM_400000_NS6detail17trampoline_kernelINS0_14default_configENS1_25partition_config_selectorILNS1_17partition_subalgoE8EiNS0_10empty_typeEbEEZZNS1_14partition_implILS5_8ELb0ES3_jPKiPS6_PKS6_NS0_5tupleIJPiS6_EEENSE_IJSB_SB_EEENS0_18inequality_wrapperIN6hipcub16HIPCUB_304000_NS8EqualityEEEPlJS6_EEE10hipError_tPvRmT3_T4_T5_T6_T7_T9_mT8_P12ihipStream_tbDpT10_ENKUlT_T0_E_clISt17integral_constantIbLb0EES17_EEDaS12_S13_EUlS12_E_NS1_11comp_targetILNS1_3genE9ELNS1_11target_archE1100ELNS1_3gpuE3ELNS1_3repE0EEENS1_30default_config_static_selectorELNS0_4arch9wavefront6targetE1EEEvT1_ ; -- Begin function _ZN7rocprim17ROCPRIM_400000_NS6detail17trampoline_kernelINS0_14default_configENS1_25partition_config_selectorILNS1_17partition_subalgoE8EiNS0_10empty_typeEbEEZZNS1_14partition_implILS5_8ELb0ES3_jPKiPS6_PKS6_NS0_5tupleIJPiS6_EEENSE_IJSB_SB_EEENS0_18inequality_wrapperIN6hipcub16HIPCUB_304000_NS8EqualityEEEPlJS6_EEE10hipError_tPvRmT3_T4_T5_T6_T7_T9_mT8_P12ihipStream_tbDpT10_ENKUlT_T0_E_clISt17integral_constantIbLb0EES17_EEDaS12_S13_EUlS12_E_NS1_11comp_targetILNS1_3genE9ELNS1_11target_archE1100ELNS1_3gpuE3ELNS1_3repE0EEENS1_30default_config_static_selectorELNS0_4arch9wavefront6targetE1EEEvT1_
	.globl	_ZN7rocprim17ROCPRIM_400000_NS6detail17trampoline_kernelINS0_14default_configENS1_25partition_config_selectorILNS1_17partition_subalgoE8EiNS0_10empty_typeEbEEZZNS1_14partition_implILS5_8ELb0ES3_jPKiPS6_PKS6_NS0_5tupleIJPiS6_EEENSE_IJSB_SB_EEENS0_18inequality_wrapperIN6hipcub16HIPCUB_304000_NS8EqualityEEEPlJS6_EEE10hipError_tPvRmT3_T4_T5_T6_T7_T9_mT8_P12ihipStream_tbDpT10_ENKUlT_T0_E_clISt17integral_constantIbLb0EES17_EEDaS12_S13_EUlS12_E_NS1_11comp_targetILNS1_3genE9ELNS1_11target_archE1100ELNS1_3gpuE3ELNS1_3repE0EEENS1_30default_config_static_selectorELNS0_4arch9wavefront6targetE1EEEvT1_
	.p2align	8
	.type	_ZN7rocprim17ROCPRIM_400000_NS6detail17trampoline_kernelINS0_14default_configENS1_25partition_config_selectorILNS1_17partition_subalgoE8EiNS0_10empty_typeEbEEZZNS1_14partition_implILS5_8ELb0ES3_jPKiPS6_PKS6_NS0_5tupleIJPiS6_EEENSE_IJSB_SB_EEENS0_18inequality_wrapperIN6hipcub16HIPCUB_304000_NS8EqualityEEEPlJS6_EEE10hipError_tPvRmT3_T4_T5_T6_T7_T9_mT8_P12ihipStream_tbDpT10_ENKUlT_T0_E_clISt17integral_constantIbLb0EES17_EEDaS12_S13_EUlS12_E_NS1_11comp_targetILNS1_3genE9ELNS1_11target_archE1100ELNS1_3gpuE3ELNS1_3repE0EEENS1_30default_config_static_selectorELNS0_4arch9wavefront6targetE1EEEvT1_,@function
_ZN7rocprim17ROCPRIM_400000_NS6detail17trampoline_kernelINS0_14default_configENS1_25partition_config_selectorILNS1_17partition_subalgoE8EiNS0_10empty_typeEbEEZZNS1_14partition_implILS5_8ELb0ES3_jPKiPS6_PKS6_NS0_5tupleIJPiS6_EEENSE_IJSB_SB_EEENS0_18inequality_wrapperIN6hipcub16HIPCUB_304000_NS8EqualityEEEPlJS6_EEE10hipError_tPvRmT3_T4_T5_T6_T7_T9_mT8_P12ihipStream_tbDpT10_ENKUlT_T0_E_clISt17integral_constantIbLb0EES17_EEDaS12_S13_EUlS12_E_NS1_11comp_targetILNS1_3genE9ELNS1_11target_archE1100ELNS1_3gpuE3ELNS1_3repE0EEENS1_30default_config_static_selectorELNS0_4arch9wavefront6targetE1EEEvT1_: ; @_ZN7rocprim17ROCPRIM_400000_NS6detail17trampoline_kernelINS0_14default_configENS1_25partition_config_selectorILNS1_17partition_subalgoE8EiNS0_10empty_typeEbEEZZNS1_14partition_implILS5_8ELb0ES3_jPKiPS6_PKS6_NS0_5tupleIJPiS6_EEENSE_IJSB_SB_EEENS0_18inequality_wrapperIN6hipcub16HIPCUB_304000_NS8EqualityEEEPlJS6_EEE10hipError_tPvRmT3_T4_T5_T6_T7_T9_mT8_P12ihipStream_tbDpT10_ENKUlT_T0_E_clISt17integral_constantIbLb0EES17_EEDaS12_S13_EUlS12_E_NS1_11comp_targetILNS1_3genE9ELNS1_11target_archE1100ELNS1_3gpuE3ELNS1_3repE0EEENS1_30default_config_static_selectorELNS0_4arch9wavefront6targetE1EEEvT1_
; %bb.0:
	.section	.rodata,"a",@progbits
	.p2align	6, 0x0
	.amdhsa_kernel _ZN7rocprim17ROCPRIM_400000_NS6detail17trampoline_kernelINS0_14default_configENS1_25partition_config_selectorILNS1_17partition_subalgoE8EiNS0_10empty_typeEbEEZZNS1_14partition_implILS5_8ELb0ES3_jPKiPS6_PKS6_NS0_5tupleIJPiS6_EEENSE_IJSB_SB_EEENS0_18inequality_wrapperIN6hipcub16HIPCUB_304000_NS8EqualityEEEPlJS6_EEE10hipError_tPvRmT3_T4_T5_T6_T7_T9_mT8_P12ihipStream_tbDpT10_ENKUlT_T0_E_clISt17integral_constantIbLb0EES17_EEDaS12_S13_EUlS12_E_NS1_11comp_targetILNS1_3genE9ELNS1_11target_archE1100ELNS1_3gpuE3ELNS1_3repE0EEENS1_30default_config_static_selectorELNS0_4arch9wavefront6targetE1EEEvT1_
		.amdhsa_group_segment_fixed_size 0
		.amdhsa_private_segment_fixed_size 0
		.amdhsa_kernarg_size 112
		.amdhsa_user_sgpr_count 2
		.amdhsa_user_sgpr_dispatch_ptr 0
		.amdhsa_user_sgpr_queue_ptr 0
		.amdhsa_user_sgpr_kernarg_segment_ptr 1
		.amdhsa_user_sgpr_dispatch_id 0
		.amdhsa_user_sgpr_kernarg_preload_length 0
		.amdhsa_user_sgpr_kernarg_preload_offset 0
		.amdhsa_user_sgpr_private_segment_size 0
		.amdhsa_uses_dynamic_stack 0
		.amdhsa_enable_private_segment 0
		.amdhsa_system_sgpr_workgroup_id_x 1
		.amdhsa_system_sgpr_workgroup_id_y 0
		.amdhsa_system_sgpr_workgroup_id_z 0
		.amdhsa_system_sgpr_workgroup_info 0
		.amdhsa_system_vgpr_workitem_id 0
		.amdhsa_next_free_vgpr 1
		.amdhsa_next_free_sgpr 0
		.amdhsa_accum_offset 4
		.amdhsa_reserve_vcc 0
		.amdhsa_float_round_mode_32 0
		.amdhsa_float_round_mode_16_64 0
		.amdhsa_float_denorm_mode_32 3
		.amdhsa_float_denorm_mode_16_64 3
		.amdhsa_dx10_clamp 1
		.amdhsa_ieee_mode 1
		.amdhsa_fp16_overflow 0
		.amdhsa_tg_split 0
		.amdhsa_exception_fp_ieee_invalid_op 0
		.amdhsa_exception_fp_denorm_src 0
		.amdhsa_exception_fp_ieee_div_zero 0
		.amdhsa_exception_fp_ieee_overflow 0
		.amdhsa_exception_fp_ieee_underflow 0
		.amdhsa_exception_fp_ieee_inexact 0
		.amdhsa_exception_int_div_zero 0
	.end_amdhsa_kernel
	.section	.text._ZN7rocprim17ROCPRIM_400000_NS6detail17trampoline_kernelINS0_14default_configENS1_25partition_config_selectorILNS1_17partition_subalgoE8EiNS0_10empty_typeEbEEZZNS1_14partition_implILS5_8ELb0ES3_jPKiPS6_PKS6_NS0_5tupleIJPiS6_EEENSE_IJSB_SB_EEENS0_18inequality_wrapperIN6hipcub16HIPCUB_304000_NS8EqualityEEEPlJS6_EEE10hipError_tPvRmT3_T4_T5_T6_T7_T9_mT8_P12ihipStream_tbDpT10_ENKUlT_T0_E_clISt17integral_constantIbLb0EES17_EEDaS12_S13_EUlS12_E_NS1_11comp_targetILNS1_3genE9ELNS1_11target_archE1100ELNS1_3gpuE3ELNS1_3repE0EEENS1_30default_config_static_selectorELNS0_4arch9wavefront6targetE1EEEvT1_,"axG",@progbits,_ZN7rocprim17ROCPRIM_400000_NS6detail17trampoline_kernelINS0_14default_configENS1_25partition_config_selectorILNS1_17partition_subalgoE8EiNS0_10empty_typeEbEEZZNS1_14partition_implILS5_8ELb0ES3_jPKiPS6_PKS6_NS0_5tupleIJPiS6_EEENSE_IJSB_SB_EEENS0_18inequality_wrapperIN6hipcub16HIPCUB_304000_NS8EqualityEEEPlJS6_EEE10hipError_tPvRmT3_T4_T5_T6_T7_T9_mT8_P12ihipStream_tbDpT10_ENKUlT_T0_E_clISt17integral_constantIbLb0EES17_EEDaS12_S13_EUlS12_E_NS1_11comp_targetILNS1_3genE9ELNS1_11target_archE1100ELNS1_3gpuE3ELNS1_3repE0EEENS1_30default_config_static_selectorELNS0_4arch9wavefront6targetE1EEEvT1_,comdat
.Lfunc_end416:
	.size	_ZN7rocprim17ROCPRIM_400000_NS6detail17trampoline_kernelINS0_14default_configENS1_25partition_config_selectorILNS1_17partition_subalgoE8EiNS0_10empty_typeEbEEZZNS1_14partition_implILS5_8ELb0ES3_jPKiPS6_PKS6_NS0_5tupleIJPiS6_EEENSE_IJSB_SB_EEENS0_18inequality_wrapperIN6hipcub16HIPCUB_304000_NS8EqualityEEEPlJS6_EEE10hipError_tPvRmT3_T4_T5_T6_T7_T9_mT8_P12ihipStream_tbDpT10_ENKUlT_T0_E_clISt17integral_constantIbLb0EES17_EEDaS12_S13_EUlS12_E_NS1_11comp_targetILNS1_3genE9ELNS1_11target_archE1100ELNS1_3gpuE3ELNS1_3repE0EEENS1_30default_config_static_selectorELNS0_4arch9wavefront6targetE1EEEvT1_, .Lfunc_end416-_ZN7rocprim17ROCPRIM_400000_NS6detail17trampoline_kernelINS0_14default_configENS1_25partition_config_selectorILNS1_17partition_subalgoE8EiNS0_10empty_typeEbEEZZNS1_14partition_implILS5_8ELb0ES3_jPKiPS6_PKS6_NS0_5tupleIJPiS6_EEENSE_IJSB_SB_EEENS0_18inequality_wrapperIN6hipcub16HIPCUB_304000_NS8EqualityEEEPlJS6_EEE10hipError_tPvRmT3_T4_T5_T6_T7_T9_mT8_P12ihipStream_tbDpT10_ENKUlT_T0_E_clISt17integral_constantIbLb0EES17_EEDaS12_S13_EUlS12_E_NS1_11comp_targetILNS1_3genE9ELNS1_11target_archE1100ELNS1_3gpuE3ELNS1_3repE0EEENS1_30default_config_static_selectorELNS0_4arch9wavefront6targetE1EEEvT1_
                                        ; -- End function
	.section	.AMDGPU.csdata,"",@progbits
; Kernel info:
; codeLenInByte = 0
; NumSgprs: 6
; NumVgprs: 0
; NumAgprs: 0
; TotalNumVgprs: 0
; ScratchSize: 0
; MemoryBound: 0
; FloatMode: 240
; IeeeMode: 1
; LDSByteSize: 0 bytes/workgroup (compile time only)
; SGPRBlocks: 0
; VGPRBlocks: 0
; NumSGPRsForWavesPerEU: 6
; NumVGPRsForWavesPerEU: 1
; AccumOffset: 4
; Occupancy: 8
; WaveLimiterHint : 0
; COMPUTE_PGM_RSRC2:SCRATCH_EN: 0
; COMPUTE_PGM_RSRC2:USER_SGPR: 2
; COMPUTE_PGM_RSRC2:TRAP_HANDLER: 0
; COMPUTE_PGM_RSRC2:TGID_X_EN: 1
; COMPUTE_PGM_RSRC2:TGID_Y_EN: 0
; COMPUTE_PGM_RSRC2:TGID_Z_EN: 0
; COMPUTE_PGM_RSRC2:TIDIG_COMP_CNT: 0
; COMPUTE_PGM_RSRC3_GFX90A:ACCUM_OFFSET: 0
; COMPUTE_PGM_RSRC3_GFX90A:TG_SPLIT: 0
	.section	.text._ZN7rocprim17ROCPRIM_400000_NS6detail17trampoline_kernelINS0_14default_configENS1_25partition_config_selectorILNS1_17partition_subalgoE8EiNS0_10empty_typeEbEEZZNS1_14partition_implILS5_8ELb0ES3_jPKiPS6_PKS6_NS0_5tupleIJPiS6_EEENSE_IJSB_SB_EEENS0_18inequality_wrapperIN6hipcub16HIPCUB_304000_NS8EqualityEEEPlJS6_EEE10hipError_tPvRmT3_T4_T5_T6_T7_T9_mT8_P12ihipStream_tbDpT10_ENKUlT_T0_E_clISt17integral_constantIbLb0EES17_EEDaS12_S13_EUlS12_E_NS1_11comp_targetILNS1_3genE8ELNS1_11target_archE1030ELNS1_3gpuE2ELNS1_3repE0EEENS1_30default_config_static_selectorELNS0_4arch9wavefront6targetE1EEEvT1_,"axG",@progbits,_ZN7rocprim17ROCPRIM_400000_NS6detail17trampoline_kernelINS0_14default_configENS1_25partition_config_selectorILNS1_17partition_subalgoE8EiNS0_10empty_typeEbEEZZNS1_14partition_implILS5_8ELb0ES3_jPKiPS6_PKS6_NS0_5tupleIJPiS6_EEENSE_IJSB_SB_EEENS0_18inequality_wrapperIN6hipcub16HIPCUB_304000_NS8EqualityEEEPlJS6_EEE10hipError_tPvRmT3_T4_T5_T6_T7_T9_mT8_P12ihipStream_tbDpT10_ENKUlT_T0_E_clISt17integral_constantIbLb0EES17_EEDaS12_S13_EUlS12_E_NS1_11comp_targetILNS1_3genE8ELNS1_11target_archE1030ELNS1_3gpuE2ELNS1_3repE0EEENS1_30default_config_static_selectorELNS0_4arch9wavefront6targetE1EEEvT1_,comdat
	.protected	_ZN7rocprim17ROCPRIM_400000_NS6detail17trampoline_kernelINS0_14default_configENS1_25partition_config_selectorILNS1_17partition_subalgoE8EiNS0_10empty_typeEbEEZZNS1_14partition_implILS5_8ELb0ES3_jPKiPS6_PKS6_NS0_5tupleIJPiS6_EEENSE_IJSB_SB_EEENS0_18inequality_wrapperIN6hipcub16HIPCUB_304000_NS8EqualityEEEPlJS6_EEE10hipError_tPvRmT3_T4_T5_T6_T7_T9_mT8_P12ihipStream_tbDpT10_ENKUlT_T0_E_clISt17integral_constantIbLb0EES17_EEDaS12_S13_EUlS12_E_NS1_11comp_targetILNS1_3genE8ELNS1_11target_archE1030ELNS1_3gpuE2ELNS1_3repE0EEENS1_30default_config_static_selectorELNS0_4arch9wavefront6targetE1EEEvT1_ ; -- Begin function _ZN7rocprim17ROCPRIM_400000_NS6detail17trampoline_kernelINS0_14default_configENS1_25partition_config_selectorILNS1_17partition_subalgoE8EiNS0_10empty_typeEbEEZZNS1_14partition_implILS5_8ELb0ES3_jPKiPS6_PKS6_NS0_5tupleIJPiS6_EEENSE_IJSB_SB_EEENS0_18inequality_wrapperIN6hipcub16HIPCUB_304000_NS8EqualityEEEPlJS6_EEE10hipError_tPvRmT3_T4_T5_T6_T7_T9_mT8_P12ihipStream_tbDpT10_ENKUlT_T0_E_clISt17integral_constantIbLb0EES17_EEDaS12_S13_EUlS12_E_NS1_11comp_targetILNS1_3genE8ELNS1_11target_archE1030ELNS1_3gpuE2ELNS1_3repE0EEENS1_30default_config_static_selectorELNS0_4arch9wavefront6targetE1EEEvT1_
	.globl	_ZN7rocprim17ROCPRIM_400000_NS6detail17trampoline_kernelINS0_14default_configENS1_25partition_config_selectorILNS1_17partition_subalgoE8EiNS0_10empty_typeEbEEZZNS1_14partition_implILS5_8ELb0ES3_jPKiPS6_PKS6_NS0_5tupleIJPiS6_EEENSE_IJSB_SB_EEENS0_18inequality_wrapperIN6hipcub16HIPCUB_304000_NS8EqualityEEEPlJS6_EEE10hipError_tPvRmT3_T4_T5_T6_T7_T9_mT8_P12ihipStream_tbDpT10_ENKUlT_T0_E_clISt17integral_constantIbLb0EES17_EEDaS12_S13_EUlS12_E_NS1_11comp_targetILNS1_3genE8ELNS1_11target_archE1030ELNS1_3gpuE2ELNS1_3repE0EEENS1_30default_config_static_selectorELNS0_4arch9wavefront6targetE1EEEvT1_
	.p2align	8
	.type	_ZN7rocprim17ROCPRIM_400000_NS6detail17trampoline_kernelINS0_14default_configENS1_25partition_config_selectorILNS1_17partition_subalgoE8EiNS0_10empty_typeEbEEZZNS1_14partition_implILS5_8ELb0ES3_jPKiPS6_PKS6_NS0_5tupleIJPiS6_EEENSE_IJSB_SB_EEENS0_18inequality_wrapperIN6hipcub16HIPCUB_304000_NS8EqualityEEEPlJS6_EEE10hipError_tPvRmT3_T4_T5_T6_T7_T9_mT8_P12ihipStream_tbDpT10_ENKUlT_T0_E_clISt17integral_constantIbLb0EES17_EEDaS12_S13_EUlS12_E_NS1_11comp_targetILNS1_3genE8ELNS1_11target_archE1030ELNS1_3gpuE2ELNS1_3repE0EEENS1_30default_config_static_selectorELNS0_4arch9wavefront6targetE1EEEvT1_,@function
_ZN7rocprim17ROCPRIM_400000_NS6detail17trampoline_kernelINS0_14default_configENS1_25partition_config_selectorILNS1_17partition_subalgoE8EiNS0_10empty_typeEbEEZZNS1_14partition_implILS5_8ELb0ES3_jPKiPS6_PKS6_NS0_5tupleIJPiS6_EEENSE_IJSB_SB_EEENS0_18inequality_wrapperIN6hipcub16HIPCUB_304000_NS8EqualityEEEPlJS6_EEE10hipError_tPvRmT3_T4_T5_T6_T7_T9_mT8_P12ihipStream_tbDpT10_ENKUlT_T0_E_clISt17integral_constantIbLb0EES17_EEDaS12_S13_EUlS12_E_NS1_11comp_targetILNS1_3genE8ELNS1_11target_archE1030ELNS1_3gpuE2ELNS1_3repE0EEENS1_30default_config_static_selectorELNS0_4arch9wavefront6targetE1EEEvT1_: ; @_ZN7rocprim17ROCPRIM_400000_NS6detail17trampoline_kernelINS0_14default_configENS1_25partition_config_selectorILNS1_17partition_subalgoE8EiNS0_10empty_typeEbEEZZNS1_14partition_implILS5_8ELb0ES3_jPKiPS6_PKS6_NS0_5tupleIJPiS6_EEENSE_IJSB_SB_EEENS0_18inequality_wrapperIN6hipcub16HIPCUB_304000_NS8EqualityEEEPlJS6_EEE10hipError_tPvRmT3_T4_T5_T6_T7_T9_mT8_P12ihipStream_tbDpT10_ENKUlT_T0_E_clISt17integral_constantIbLb0EES17_EEDaS12_S13_EUlS12_E_NS1_11comp_targetILNS1_3genE8ELNS1_11target_archE1030ELNS1_3gpuE2ELNS1_3repE0EEENS1_30default_config_static_selectorELNS0_4arch9wavefront6targetE1EEEvT1_
; %bb.0:
	.section	.rodata,"a",@progbits
	.p2align	6, 0x0
	.amdhsa_kernel _ZN7rocprim17ROCPRIM_400000_NS6detail17trampoline_kernelINS0_14default_configENS1_25partition_config_selectorILNS1_17partition_subalgoE8EiNS0_10empty_typeEbEEZZNS1_14partition_implILS5_8ELb0ES3_jPKiPS6_PKS6_NS0_5tupleIJPiS6_EEENSE_IJSB_SB_EEENS0_18inequality_wrapperIN6hipcub16HIPCUB_304000_NS8EqualityEEEPlJS6_EEE10hipError_tPvRmT3_T4_T5_T6_T7_T9_mT8_P12ihipStream_tbDpT10_ENKUlT_T0_E_clISt17integral_constantIbLb0EES17_EEDaS12_S13_EUlS12_E_NS1_11comp_targetILNS1_3genE8ELNS1_11target_archE1030ELNS1_3gpuE2ELNS1_3repE0EEENS1_30default_config_static_selectorELNS0_4arch9wavefront6targetE1EEEvT1_
		.amdhsa_group_segment_fixed_size 0
		.amdhsa_private_segment_fixed_size 0
		.amdhsa_kernarg_size 112
		.amdhsa_user_sgpr_count 2
		.amdhsa_user_sgpr_dispatch_ptr 0
		.amdhsa_user_sgpr_queue_ptr 0
		.amdhsa_user_sgpr_kernarg_segment_ptr 1
		.amdhsa_user_sgpr_dispatch_id 0
		.amdhsa_user_sgpr_kernarg_preload_length 0
		.amdhsa_user_sgpr_kernarg_preload_offset 0
		.amdhsa_user_sgpr_private_segment_size 0
		.amdhsa_uses_dynamic_stack 0
		.amdhsa_enable_private_segment 0
		.amdhsa_system_sgpr_workgroup_id_x 1
		.amdhsa_system_sgpr_workgroup_id_y 0
		.amdhsa_system_sgpr_workgroup_id_z 0
		.amdhsa_system_sgpr_workgroup_info 0
		.amdhsa_system_vgpr_workitem_id 0
		.amdhsa_next_free_vgpr 1
		.amdhsa_next_free_sgpr 0
		.amdhsa_accum_offset 4
		.amdhsa_reserve_vcc 0
		.amdhsa_float_round_mode_32 0
		.amdhsa_float_round_mode_16_64 0
		.amdhsa_float_denorm_mode_32 3
		.amdhsa_float_denorm_mode_16_64 3
		.amdhsa_dx10_clamp 1
		.amdhsa_ieee_mode 1
		.amdhsa_fp16_overflow 0
		.amdhsa_tg_split 0
		.amdhsa_exception_fp_ieee_invalid_op 0
		.amdhsa_exception_fp_denorm_src 0
		.amdhsa_exception_fp_ieee_div_zero 0
		.amdhsa_exception_fp_ieee_overflow 0
		.amdhsa_exception_fp_ieee_underflow 0
		.amdhsa_exception_fp_ieee_inexact 0
		.amdhsa_exception_int_div_zero 0
	.end_amdhsa_kernel
	.section	.text._ZN7rocprim17ROCPRIM_400000_NS6detail17trampoline_kernelINS0_14default_configENS1_25partition_config_selectorILNS1_17partition_subalgoE8EiNS0_10empty_typeEbEEZZNS1_14partition_implILS5_8ELb0ES3_jPKiPS6_PKS6_NS0_5tupleIJPiS6_EEENSE_IJSB_SB_EEENS0_18inequality_wrapperIN6hipcub16HIPCUB_304000_NS8EqualityEEEPlJS6_EEE10hipError_tPvRmT3_T4_T5_T6_T7_T9_mT8_P12ihipStream_tbDpT10_ENKUlT_T0_E_clISt17integral_constantIbLb0EES17_EEDaS12_S13_EUlS12_E_NS1_11comp_targetILNS1_3genE8ELNS1_11target_archE1030ELNS1_3gpuE2ELNS1_3repE0EEENS1_30default_config_static_selectorELNS0_4arch9wavefront6targetE1EEEvT1_,"axG",@progbits,_ZN7rocprim17ROCPRIM_400000_NS6detail17trampoline_kernelINS0_14default_configENS1_25partition_config_selectorILNS1_17partition_subalgoE8EiNS0_10empty_typeEbEEZZNS1_14partition_implILS5_8ELb0ES3_jPKiPS6_PKS6_NS0_5tupleIJPiS6_EEENSE_IJSB_SB_EEENS0_18inequality_wrapperIN6hipcub16HIPCUB_304000_NS8EqualityEEEPlJS6_EEE10hipError_tPvRmT3_T4_T5_T6_T7_T9_mT8_P12ihipStream_tbDpT10_ENKUlT_T0_E_clISt17integral_constantIbLb0EES17_EEDaS12_S13_EUlS12_E_NS1_11comp_targetILNS1_3genE8ELNS1_11target_archE1030ELNS1_3gpuE2ELNS1_3repE0EEENS1_30default_config_static_selectorELNS0_4arch9wavefront6targetE1EEEvT1_,comdat
.Lfunc_end417:
	.size	_ZN7rocprim17ROCPRIM_400000_NS6detail17trampoline_kernelINS0_14default_configENS1_25partition_config_selectorILNS1_17partition_subalgoE8EiNS0_10empty_typeEbEEZZNS1_14partition_implILS5_8ELb0ES3_jPKiPS6_PKS6_NS0_5tupleIJPiS6_EEENSE_IJSB_SB_EEENS0_18inequality_wrapperIN6hipcub16HIPCUB_304000_NS8EqualityEEEPlJS6_EEE10hipError_tPvRmT3_T4_T5_T6_T7_T9_mT8_P12ihipStream_tbDpT10_ENKUlT_T0_E_clISt17integral_constantIbLb0EES17_EEDaS12_S13_EUlS12_E_NS1_11comp_targetILNS1_3genE8ELNS1_11target_archE1030ELNS1_3gpuE2ELNS1_3repE0EEENS1_30default_config_static_selectorELNS0_4arch9wavefront6targetE1EEEvT1_, .Lfunc_end417-_ZN7rocprim17ROCPRIM_400000_NS6detail17trampoline_kernelINS0_14default_configENS1_25partition_config_selectorILNS1_17partition_subalgoE8EiNS0_10empty_typeEbEEZZNS1_14partition_implILS5_8ELb0ES3_jPKiPS6_PKS6_NS0_5tupleIJPiS6_EEENSE_IJSB_SB_EEENS0_18inequality_wrapperIN6hipcub16HIPCUB_304000_NS8EqualityEEEPlJS6_EEE10hipError_tPvRmT3_T4_T5_T6_T7_T9_mT8_P12ihipStream_tbDpT10_ENKUlT_T0_E_clISt17integral_constantIbLb0EES17_EEDaS12_S13_EUlS12_E_NS1_11comp_targetILNS1_3genE8ELNS1_11target_archE1030ELNS1_3gpuE2ELNS1_3repE0EEENS1_30default_config_static_selectorELNS0_4arch9wavefront6targetE1EEEvT1_
                                        ; -- End function
	.section	.AMDGPU.csdata,"",@progbits
; Kernel info:
; codeLenInByte = 0
; NumSgprs: 6
; NumVgprs: 0
; NumAgprs: 0
; TotalNumVgprs: 0
; ScratchSize: 0
; MemoryBound: 0
; FloatMode: 240
; IeeeMode: 1
; LDSByteSize: 0 bytes/workgroup (compile time only)
; SGPRBlocks: 0
; VGPRBlocks: 0
; NumSGPRsForWavesPerEU: 6
; NumVGPRsForWavesPerEU: 1
; AccumOffset: 4
; Occupancy: 8
; WaveLimiterHint : 0
; COMPUTE_PGM_RSRC2:SCRATCH_EN: 0
; COMPUTE_PGM_RSRC2:USER_SGPR: 2
; COMPUTE_PGM_RSRC2:TRAP_HANDLER: 0
; COMPUTE_PGM_RSRC2:TGID_X_EN: 1
; COMPUTE_PGM_RSRC2:TGID_Y_EN: 0
; COMPUTE_PGM_RSRC2:TGID_Z_EN: 0
; COMPUTE_PGM_RSRC2:TIDIG_COMP_CNT: 0
; COMPUTE_PGM_RSRC3_GFX90A:ACCUM_OFFSET: 0
; COMPUTE_PGM_RSRC3_GFX90A:TG_SPLIT: 0
	.section	.text._ZN7rocprim17ROCPRIM_400000_NS6detail17trampoline_kernelINS0_14default_configENS1_25partition_config_selectorILNS1_17partition_subalgoE8EiNS0_10empty_typeEbEEZZNS1_14partition_implILS5_8ELb0ES3_jPKiPS6_PKS6_NS0_5tupleIJPiS6_EEENSE_IJSB_SB_EEENS0_18inequality_wrapperIN6hipcub16HIPCUB_304000_NS8EqualityEEEPlJS6_EEE10hipError_tPvRmT3_T4_T5_T6_T7_T9_mT8_P12ihipStream_tbDpT10_ENKUlT_T0_E_clISt17integral_constantIbLb1EES17_EEDaS12_S13_EUlS12_E_NS1_11comp_targetILNS1_3genE0ELNS1_11target_archE4294967295ELNS1_3gpuE0ELNS1_3repE0EEENS1_30default_config_static_selectorELNS0_4arch9wavefront6targetE1EEEvT1_,"axG",@progbits,_ZN7rocprim17ROCPRIM_400000_NS6detail17trampoline_kernelINS0_14default_configENS1_25partition_config_selectorILNS1_17partition_subalgoE8EiNS0_10empty_typeEbEEZZNS1_14partition_implILS5_8ELb0ES3_jPKiPS6_PKS6_NS0_5tupleIJPiS6_EEENSE_IJSB_SB_EEENS0_18inequality_wrapperIN6hipcub16HIPCUB_304000_NS8EqualityEEEPlJS6_EEE10hipError_tPvRmT3_T4_T5_T6_T7_T9_mT8_P12ihipStream_tbDpT10_ENKUlT_T0_E_clISt17integral_constantIbLb1EES17_EEDaS12_S13_EUlS12_E_NS1_11comp_targetILNS1_3genE0ELNS1_11target_archE4294967295ELNS1_3gpuE0ELNS1_3repE0EEENS1_30default_config_static_selectorELNS0_4arch9wavefront6targetE1EEEvT1_,comdat
	.protected	_ZN7rocprim17ROCPRIM_400000_NS6detail17trampoline_kernelINS0_14default_configENS1_25partition_config_selectorILNS1_17partition_subalgoE8EiNS0_10empty_typeEbEEZZNS1_14partition_implILS5_8ELb0ES3_jPKiPS6_PKS6_NS0_5tupleIJPiS6_EEENSE_IJSB_SB_EEENS0_18inequality_wrapperIN6hipcub16HIPCUB_304000_NS8EqualityEEEPlJS6_EEE10hipError_tPvRmT3_T4_T5_T6_T7_T9_mT8_P12ihipStream_tbDpT10_ENKUlT_T0_E_clISt17integral_constantIbLb1EES17_EEDaS12_S13_EUlS12_E_NS1_11comp_targetILNS1_3genE0ELNS1_11target_archE4294967295ELNS1_3gpuE0ELNS1_3repE0EEENS1_30default_config_static_selectorELNS0_4arch9wavefront6targetE1EEEvT1_ ; -- Begin function _ZN7rocprim17ROCPRIM_400000_NS6detail17trampoline_kernelINS0_14default_configENS1_25partition_config_selectorILNS1_17partition_subalgoE8EiNS0_10empty_typeEbEEZZNS1_14partition_implILS5_8ELb0ES3_jPKiPS6_PKS6_NS0_5tupleIJPiS6_EEENSE_IJSB_SB_EEENS0_18inequality_wrapperIN6hipcub16HIPCUB_304000_NS8EqualityEEEPlJS6_EEE10hipError_tPvRmT3_T4_T5_T6_T7_T9_mT8_P12ihipStream_tbDpT10_ENKUlT_T0_E_clISt17integral_constantIbLb1EES17_EEDaS12_S13_EUlS12_E_NS1_11comp_targetILNS1_3genE0ELNS1_11target_archE4294967295ELNS1_3gpuE0ELNS1_3repE0EEENS1_30default_config_static_selectorELNS0_4arch9wavefront6targetE1EEEvT1_
	.globl	_ZN7rocprim17ROCPRIM_400000_NS6detail17trampoline_kernelINS0_14default_configENS1_25partition_config_selectorILNS1_17partition_subalgoE8EiNS0_10empty_typeEbEEZZNS1_14partition_implILS5_8ELb0ES3_jPKiPS6_PKS6_NS0_5tupleIJPiS6_EEENSE_IJSB_SB_EEENS0_18inequality_wrapperIN6hipcub16HIPCUB_304000_NS8EqualityEEEPlJS6_EEE10hipError_tPvRmT3_T4_T5_T6_T7_T9_mT8_P12ihipStream_tbDpT10_ENKUlT_T0_E_clISt17integral_constantIbLb1EES17_EEDaS12_S13_EUlS12_E_NS1_11comp_targetILNS1_3genE0ELNS1_11target_archE4294967295ELNS1_3gpuE0ELNS1_3repE0EEENS1_30default_config_static_selectorELNS0_4arch9wavefront6targetE1EEEvT1_
	.p2align	8
	.type	_ZN7rocprim17ROCPRIM_400000_NS6detail17trampoline_kernelINS0_14default_configENS1_25partition_config_selectorILNS1_17partition_subalgoE8EiNS0_10empty_typeEbEEZZNS1_14partition_implILS5_8ELb0ES3_jPKiPS6_PKS6_NS0_5tupleIJPiS6_EEENSE_IJSB_SB_EEENS0_18inequality_wrapperIN6hipcub16HIPCUB_304000_NS8EqualityEEEPlJS6_EEE10hipError_tPvRmT3_T4_T5_T6_T7_T9_mT8_P12ihipStream_tbDpT10_ENKUlT_T0_E_clISt17integral_constantIbLb1EES17_EEDaS12_S13_EUlS12_E_NS1_11comp_targetILNS1_3genE0ELNS1_11target_archE4294967295ELNS1_3gpuE0ELNS1_3repE0EEENS1_30default_config_static_selectorELNS0_4arch9wavefront6targetE1EEEvT1_,@function
_ZN7rocprim17ROCPRIM_400000_NS6detail17trampoline_kernelINS0_14default_configENS1_25partition_config_selectorILNS1_17partition_subalgoE8EiNS0_10empty_typeEbEEZZNS1_14partition_implILS5_8ELb0ES3_jPKiPS6_PKS6_NS0_5tupleIJPiS6_EEENSE_IJSB_SB_EEENS0_18inequality_wrapperIN6hipcub16HIPCUB_304000_NS8EqualityEEEPlJS6_EEE10hipError_tPvRmT3_T4_T5_T6_T7_T9_mT8_P12ihipStream_tbDpT10_ENKUlT_T0_E_clISt17integral_constantIbLb1EES17_EEDaS12_S13_EUlS12_E_NS1_11comp_targetILNS1_3genE0ELNS1_11target_archE4294967295ELNS1_3gpuE0ELNS1_3repE0EEENS1_30default_config_static_selectorELNS0_4arch9wavefront6targetE1EEEvT1_: ; @_ZN7rocprim17ROCPRIM_400000_NS6detail17trampoline_kernelINS0_14default_configENS1_25partition_config_selectorILNS1_17partition_subalgoE8EiNS0_10empty_typeEbEEZZNS1_14partition_implILS5_8ELb0ES3_jPKiPS6_PKS6_NS0_5tupleIJPiS6_EEENSE_IJSB_SB_EEENS0_18inequality_wrapperIN6hipcub16HIPCUB_304000_NS8EqualityEEEPlJS6_EEE10hipError_tPvRmT3_T4_T5_T6_T7_T9_mT8_P12ihipStream_tbDpT10_ENKUlT_T0_E_clISt17integral_constantIbLb1EES17_EEDaS12_S13_EUlS12_E_NS1_11comp_targetILNS1_3genE0ELNS1_11target_archE4294967295ELNS1_3gpuE0ELNS1_3repE0EEENS1_30default_config_static_selectorELNS0_4arch9wavefront6targetE1EEEvT1_
; %bb.0:
	.section	.rodata,"a",@progbits
	.p2align	6, 0x0
	.amdhsa_kernel _ZN7rocprim17ROCPRIM_400000_NS6detail17trampoline_kernelINS0_14default_configENS1_25partition_config_selectorILNS1_17partition_subalgoE8EiNS0_10empty_typeEbEEZZNS1_14partition_implILS5_8ELb0ES3_jPKiPS6_PKS6_NS0_5tupleIJPiS6_EEENSE_IJSB_SB_EEENS0_18inequality_wrapperIN6hipcub16HIPCUB_304000_NS8EqualityEEEPlJS6_EEE10hipError_tPvRmT3_T4_T5_T6_T7_T9_mT8_P12ihipStream_tbDpT10_ENKUlT_T0_E_clISt17integral_constantIbLb1EES17_EEDaS12_S13_EUlS12_E_NS1_11comp_targetILNS1_3genE0ELNS1_11target_archE4294967295ELNS1_3gpuE0ELNS1_3repE0EEENS1_30default_config_static_selectorELNS0_4arch9wavefront6targetE1EEEvT1_
		.amdhsa_group_segment_fixed_size 0
		.amdhsa_private_segment_fixed_size 0
		.amdhsa_kernarg_size 128
		.amdhsa_user_sgpr_count 2
		.amdhsa_user_sgpr_dispatch_ptr 0
		.amdhsa_user_sgpr_queue_ptr 0
		.amdhsa_user_sgpr_kernarg_segment_ptr 1
		.amdhsa_user_sgpr_dispatch_id 0
		.amdhsa_user_sgpr_kernarg_preload_length 0
		.amdhsa_user_sgpr_kernarg_preload_offset 0
		.amdhsa_user_sgpr_private_segment_size 0
		.amdhsa_uses_dynamic_stack 0
		.amdhsa_enable_private_segment 0
		.amdhsa_system_sgpr_workgroup_id_x 1
		.amdhsa_system_sgpr_workgroup_id_y 0
		.amdhsa_system_sgpr_workgroup_id_z 0
		.amdhsa_system_sgpr_workgroup_info 0
		.amdhsa_system_vgpr_workitem_id 0
		.amdhsa_next_free_vgpr 1
		.amdhsa_next_free_sgpr 0
		.amdhsa_accum_offset 4
		.amdhsa_reserve_vcc 0
		.amdhsa_float_round_mode_32 0
		.amdhsa_float_round_mode_16_64 0
		.amdhsa_float_denorm_mode_32 3
		.amdhsa_float_denorm_mode_16_64 3
		.amdhsa_dx10_clamp 1
		.amdhsa_ieee_mode 1
		.amdhsa_fp16_overflow 0
		.amdhsa_tg_split 0
		.amdhsa_exception_fp_ieee_invalid_op 0
		.amdhsa_exception_fp_denorm_src 0
		.amdhsa_exception_fp_ieee_div_zero 0
		.amdhsa_exception_fp_ieee_overflow 0
		.amdhsa_exception_fp_ieee_underflow 0
		.amdhsa_exception_fp_ieee_inexact 0
		.amdhsa_exception_int_div_zero 0
	.end_amdhsa_kernel
	.section	.text._ZN7rocprim17ROCPRIM_400000_NS6detail17trampoline_kernelINS0_14default_configENS1_25partition_config_selectorILNS1_17partition_subalgoE8EiNS0_10empty_typeEbEEZZNS1_14partition_implILS5_8ELb0ES3_jPKiPS6_PKS6_NS0_5tupleIJPiS6_EEENSE_IJSB_SB_EEENS0_18inequality_wrapperIN6hipcub16HIPCUB_304000_NS8EqualityEEEPlJS6_EEE10hipError_tPvRmT3_T4_T5_T6_T7_T9_mT8_P12ihipStream_tbDpT10_ENKUlT_T0_E_clISt17integral_constantIbLb1EES17_EEDaS12_S13_EUlS12_E_NS1_11comp_targetILNS1_3genE0ELNS1_11target_archE4294967295ELNS1_3gpuE0ELNS1_3repE0EEENS1_30default_config_static_selectorELNS0_4arch9wavefront6targetE1EEEvT1_,"axG",@progbits,_ZN7rocprim17ROCPRIM_400000_NS6detail17trampoline_kernelINS0_14default_configENS1_25partition_config_selectorILNS1_17partition_subalgoE8EiNS0_10empty_typeEbEEZZNS1_14partition_implILS5_8ELb0ES3_jPKiPS6_PKS6_NS0_5tupleIJPiS6_EEENSE_IJSB_SB_EEENS0_18inequality_wrapperIN6hipcub16HIPCUB_304000_NS8EqualityEEEPlJS6_EEE10hipError_tPvRmT3_T4_T5_T6_T7_T9_mT8_P12ihipStream_tbDpT10_ENKUlT_T0_E_clISt17integral_constantIbLb1EES17_EEDaS12_S13_EUlS12_E_NS1_11comp_targetILNS1_3genE0ELNS1_11target_archE4294967295ELNS1_3gpuE0ELNS1_3repE0EEENS1_30default_config_static_selectorELNS0_4arch9wavefront6targetE1EEEvT1_,comdat
.Lfunc_end418:
	.size	_ZN7rocprim17ROCPRIM_400000_NS6detail17trampoline_kernelINS0_14default_configENS1_25partition_config_selectorILNS1_17partition_subalgoE8EiNS0_10empty_typeEbEEZZNS1_14partition_implILS5_8ELb0ES3_jPKiPS6_PKS6_NS0_5tupleIJPiS6_EEENSE_IJSB_SB_EEENS0_18inequality_wrapperIN6hipcub16HIPCUB_304000_NS8EqualityEEEPlJS6_EEE10hipError_tPvRmT3_T4_T5_T6_T7_T9_mT8_P12ihipStream_tbDpT10_ENKUlT_T0_E_clISt17integral_constantIbLb1EES17_EEDaS12_S13_EUlS12_E_NS1_11comp_targetILNS1_3genE0ELNS1_11target_archE4294967295ELNS1_3gpuE0ELNS1_3repE0EEENS1_30default_config_static_selectorELNS0_4arch9wavefront6targetE1EEEvT1_, .Lfunc_end418-_ZN7rocprim17ROCPRIM_400000_NS6detail17trampoline_kernelINS0_14default_configENS1_25partition_config_selectorILNS1_17partition_subalgoE8EiNS0_10empty_typeEbEEZZNS1_14partition_implILS5_8ELb0ES3_jPKiPS6_PKS6_NS0_5tupleIJPiS6_EEENSE_IJSB_SB_EEENS0_18inequality_wrapperIN6hipcub16HIPCUB_304000_NS8EqualityEEEPlJS6_EEE10hipError_tPvRmT3_T4_T5_T6_T7_T9_mT8_P12ihipStream_tbDpT10_ENKUlT_T0_E_clISt17integral_constantIbLb1EES17_EEDaS12_S13_EUlS12_E_NS1_11comp_targetILNS1_3genE0ELNS1_11target_archE4294967295ELNS1_3gpuE0ELNS1_3repE0EEENS1_30default_config_static_selectorELNS0_4arch9wavefront6targetE1EEEvT1_
                                        ; -- End function
	.section	.AMDGPU.csdata,"",@progbits
; Kernel info:
; codeLenInByte = 0
; NumSgprs: 6
; NumVgprs: 0
; NumAgprs: 0
; TotalNumVgprs: 0
; ScratchSize: 0
; MemoryBound: 0
; FloatMode: 240
; IeeeMode: 1
; LDSByteSize: 0 bytes/workgroup (compile time only)
; SGPRBlocks: 0
; VGPRBlocks: 0
; NumSGPRsForWavesPerEU: 6
; NumVGPRsForWavesPerEU: 1
; AccumOffset: 4
; Occupancy: 8
; WaveLimiterHint : 0
; COMPUTE_PGM_RSRC2:SCRATCH_EN: 0
; COMPUTE_PGM_RSRC2:USER_SGPR: 2
; COMPUTE_PGM_RSRC2:TRAP_HANDLER: 0
; COMPUTE_PGM_RSRC2:TGID_X_EN: 1
; COMPUTE_PGM_RSRC2:TGID_Y_EN: 0
; COMPUTE_PGM_RSRC2:TGID_Z_EN: 0
; COMPUTE_PGM_RSRC2:TIDIG_COMP_CNT: 0
; COMPUTE_PGM_RSRC3_GFX90A:ACCUM_OFFSET: 0
; COMPUTE_PGM_RSRC3_GFX90A:TG_SPLIT: 0
	.section	.text._ZN7rocprim17ROCPRIM_400000_NS6detail17trampoline_kernelINS0_14default_configENS1_25partition_config_selectorILNS1_17partition_subalgoE8EiNS0_10empty_typeEbEEZZNS1_14partition_implILS5_8ELb0ES3_jPKiPS6_PKS6_NS0_5tupleIJPiS6_EEENSE_IJSB_SB_EEENS0_18inequality_wrapperIN6hipcub16HIPCUB_304000_NS8EqualityEEEPlJS6_EEE10hipError_tPvRmT3_T4_T5_T6_T7_T9_mT8_P12ihipStream_tbDpT10_ENKUlT_T0_E_clISt17integral_constantIbLb1EES17_EEDaS12_S13_EUlS12_E_NS1_11comp_targetILNS1_3genE5ELNS1_11target_archE942ELNS1_3gpuE9ELNS1_3repE0EEENS1_30default_config_static_selectorELNS0_4arch9wavefront6targetE1EEEvT1_,"axG",@progbits,_ZN7rocprim17ROCPRIM_400000_NS6detail17trampoline_kernelINS0_14default_configENS1_25partition_config_selectorILNS1_17partition_subalgoE8EiNS0_10empty_typeEbEEZZNS1_14partition_implILS5_8ELb0ES3_jPKiPS6_PKS6_NS0_5tupleIJPiS6_EEENSE_IJSB_SB_EEENS0_18inequality_wrapperIN6hipcub16HIPCUB_304000_NS8EqualityEEEPlJS6_EEE10hipError_tPvRmT3_T4_T5_T6_T7_T9_mT8_P12ihipStream_tbDpT10_ENKUlT_T0_E_clISt17integral_constantIbLb1EES17_EEDaS12_S13_EUlS12_E_NS1_11comp_targetILNS1_3genE5ELNS1_11target_archE942ELNS1_3gpuE9ELNS1_3repE0EEENS1_30default_config_static_selectorELNS0_4arch9wavefront6targetE1EEEvT1_,comdat
	.protected	_ZN7rocprim17ROCPRIM_400000_NS6detail17trampoline_kernelINS0_14default_configENS1_25partition_config_selectorILNS1_17partition_subalgoE8EiNS0_10empty_typeEbEEZZNS1_14partition_implILS5_8ELb0ES3_jPKiPS6_PKS6_NS0_5tupleIJPiS6_EEENSE_IJSB_SB_EEENS0_18inequality_wrapperIN6hipcub16HIPCUB_304000_NS8EqualityEEEPlJS6_EEE10hipError_tPvRmT3_T4_T5_T6_T7_T9_mT8_P12ihipStream_tbDpT10_ENKUlT_T0_E_clISt17integral_constantIbLb1EES17_EEDaS12_S13_EUlS12_E_NS1_11comp_targetILNS1_3genE5ELNS1_11target_archE942ELNS1_3gpuE9ELNS1_3repE0EEENS1_30default_config_static_selectorELNS0_4arch9wavefront6targetE1EEEvT1_ ; -- Begin function _ZN7rocprim17ROCPRIM_400000_NS6detail17trampoline_kernelINS0_14default_configENS1_25partition_config_selectorILNS1_17partition_subalgoE8EiNS0_10empty_typeEbEEZZNS1_14partition_implILS5_8ELb0ES3_jPKiPS6_PKS6_NS0_5tupleIJPiS6_EEENSE_IJSB_SB_EEENS0_18inequality_wrapperIN6hipcub16HIPCUB_304000_NS8EqualityEEEPlJS6_EEE10hipError_tPvRmT3_T4_T5_T6_T7_T9_mT8_P12ihipStream_tbDpT10_ENKUlT_T0_E_clISt17integral_constantIbLb1EES17_EEDaS12_S13_EUlS12_E_NS1_11comp_targetILNS1_3genE5ELNS1_11target_archE942ELNS1_3gpuE9ELNS1_3repE0EEENS1_30default_config_static_selectorELNS0_4arch9wavefront6targetE1EEEvT1_
	.globl	_ZN7rocprim17ROCPRIM_400000_NS6detail17trampoline_kernelINS0_14default_configENS1_25partition_config_selectorILNS1_17partition_subalgoE8EiNS0_10empty_typeEbEEZZNS1_14partition_implILS5_8ELb0ES3_jPKiPS6_PKS6_NS0_5tupleIJPiS6_EEENSE_IJSB_SB_EEENS0_18inequality_wrapperIN6hipcub16HIPCUB_304000_NS8EqualityEEEPlJS6_EEE10hipError_tPvRmT3_T4_T5_T6_T7_T9_mT8_P12ihipStream_tbDpT10_ENKUlT_T0_E_clISt17integral_constantIbLb1EES17_EEDaS12_S13_EUlS12_E_NS1_11comp_targetILNS1_3genE5ELNS1_11target_archE942ELNS1_3gpuE9ELNS1_3repE0EEENS1_30default_config_static_selectorELNS0_4arch9wavefront6targetE1EEEvT1_
	.p2align	8
	.type	_ZN7rocprim17ROCPRIM_400000_NS6detail17trampoline_kernelINS0_14default_configENS1_25partition_config_selectorILNS1_17partition_subalgoE8EiNS0_10empty_typeEbEEZZNS1_14partition_implILS5_8ELb0ES3_jPKiPS6_PKS6_NS0_5tupleIJPiS6_EEENSE_IJSB_SB_EEENS0_18inequality_wrapperIN6hipcub16HIPCUB_304000_NS8EqualityEEEPlJS6_EEE10hipError_tPvRmT3_T4_T5_T6_T7_T9_mT8_P12ihipStream_tbDpT10_ENKUlT_T0_E_clISt17integral_constantIbLb1EES17_EEDaS12_S13_EUlS12_E_NS1_11comp_targetILNS1_3genE5ELNS1_11target_archE942ELNS1_3gpuE9ELNS1_3repE0EEENS1_30default_config_static_selectorELNS0_4arch9wavefront6targetE1EEEvT1_,@function
_ZN7rocprim17ROCPRIM_400000_NS6detail17trampoline_kernelINS0_14default_configENS1_25partition_config_selectorILNS1_17partition_subalgoE8EiNS0_10empty_typeEbEEZZNS1_14partition_implILS5_8ELb0ES3_jPKiPS6_PKS6_NS0_5tupleIJPiS6_EEENSE_IJSB_SB_EEENS0_18inequality_wrapperIN6hipcub16HIPCUB_304000_NS8EqualityEEEPlJS6_EEE10hipError_tPvRmT3_T4_T5_T6_T7_T9_mT8_P12ihipStream_tbDpT10_ENKUlT_T0_E_clISt17integral_constantIbLb1EES17_EEDaS12_S13_EUlS12_E_NS1_11comp_targetILNS1_3genE5ELNS1_11target_archE942ELNS1_3gpuE9ELNS1_3repE0EEENS1_30default_config_static_selectorELNS0_4arch9wavefront6targetE1EEEvT1_: ; @_ZN7rocprim17ROCPRIM_400000_NS6detail17trampoline_kernelINS0_14default_configENS1_25partition_config_selectorILNS1_17partition_subalgoE8EiNS0_10empty_typeEbEEZZNS1_14partition_implILS5_8ELb0ES3_jPKiPS6_PKS6_NS0_5tupleIJPiS6_EEENSE_IJSB_SB_EEENS0_18inequality_wrapperIN6hipcub16HIPCUB_304000_NS8EqualityEEEPlJS6_EEE10hipError_tPvRmT3_T4_T5_T6_T7_T9_mT8_P12ihipStream_tbDpT10_ENKUlT_T0_E_clISt17integral_constantIbLb1EES17_EEDaS12_S13_EUlS12_E_NS1_11comp_targetILNS1_3genE5ELNS1_11target_archE942ELNS1_3gpuE9ELNS1_3repE0EEENS1_30default_config_static_selectorELNS0_4arch9wavefront6targetE1EEEvT1_
; %bb.0:
	s_load_dwordx4 s[36:39], s[0:1], 0x40
	s_load_dwordx2 s[8:9], s[0:1], 0x50
	s_load_dwordx2 s[42:43], s[0:1], 0x60
	v_cmp_ne_u32_e64 s[2:3], 0, v0
	v_cmp_eq_u32_e64 s[18:19], 0, v0
	s_and_saveexec_b64 s[4:5], s[18:19]
	s_cbranch_execz .LBB419_4
; %bb.1:
	s_mov_b64 s[10:11], exec
	v_mbcnt_lo_u32_b32 v1, s10, 0
	v_mbcnt_hi_u32_b32 v1, s11, v1
	v_cmp_eq_u32_e32 vcc, 0, v1
                                        ; implicit-def: $vgpr2
	s_and_saveexec_b64 s[6:7], vcc
	s_cbranch_execz .LBB419_3
; %bb.2:
	s_load_dwordx2 s[12:13], s[0:1], 0x70
	s_bcnt1_i32_b64 s10, s[10:11]
	v_mov_b32_e32 v2, 0
	v_mov_b32_e32 v3, s10
	s_waitcnt lgkmcnt(0)
	global_atomic_add v2, v2, v3, s[12:13] sc0
.LBB419_3:
	s_or_b64 exec, exec, s[6:7]
	s_waitcnt vmcnt(0)
	v_readfirstlane_b32 s6, v2
	v_mov_b32_e32 v2, 0
	s_nop 0
	v_add_u32_e32 v1, s6, v1
	ds_write_b32 v2, v1
.LBB419_4:
	s_or_b64 exec, exec, s[4:5]
	v_mov_b32_e32 v3, 0
	s_load_dwordx4 s[4:7], s[0:1], 0x8
	s_load_dwordx2 s[40:41], s[0:1], 0x28
	s_load_dword s10, s[0:1], 0x68
	s_waitcnt lgkmcnt(0)
	s_barrier
	ds_read_b32 v1, v3
	s_waitcnt lgkmcnt(0)
	s_barrier
	global_load_dwordx2 v[18:19], v3, s[38:39]
	s_lshl_b64 s[0:1], s[6:7], 2
	s_add_u32 s4, s4, s0
	s_movk_i32 s0, 0x1e00
	v_mul_lo_u32 v2, v1, s0
	s_mul_i32 s0, s10, 0x1e00
	s_addc_u32 s5, s5, s1
	s_add_i32 s1, s0, s6
	v_mov_b32_e32 v5, s9
	s_add_i32 s9, s10, -1
	s_sub_i32 s50, s8, s1
	s_add_u32 s0, s6, s0
	v_readfirstlane_b32 s33, v1
	s_addc_u32 s1, s7, 0
	v_mov_b32_e32 v4, s8
	s_cmp_eq_u32 s33, s9
	v_cmp_ge_u64_e32 vcc, s[0:1], v[4:5]
	s_cselect_b64 s[34:35], -1, 0
	s_and_b64 s[44:45], vcc, s[34:35]
	s_xor_b64 s[38:39], s[44:45], -1
	v_lshlrev_b64 v[4:5], 2, v[2:3]
	s_mov_b64 s[0:1], -1
	v_lshl_add_u64 v[34:35], s[4:5], 0, v[4:5]
	s_and_b64 vcc, exec, s[38:39]
	s_cbranch_vccz .LBB419_6
; %bb.5:
	v_lshlrev_b32_e32 v2, 2, v0
	v_lshl_add_u64 v[4:5], v[34:35], 0, v[2:3]
	v_add_co_u32_e32 v6, vcc, 0x1000, v4
	v_readfirstlane_b32 s0, v34
	s_nop 0
	v_addc_co_u32_e32 v7, vcc, 0, v5, vcc
	v_add_co_u32_e32 v8, vcc, 0x2000, v4
	v_readfirstlane_b32 s1, v35
	s_nop 0
	v_addc_co_u32_e32 v9, vcc, 0, v5, vcc
	v_add_co_u32_e32 v10, vcc, 0x3000, v4
	s_nop 1
	global_load_dword v1, v2, s[0:1]
	global_load_dword v3, v2, s[0:1] offset:2048
	v_addc_co_u32_e32 v11, vcc, 0, v5, vcc
	v_add_co_u32_e32 v12, vcc, 0x4000, v4
	s_mov_b64 s[0:1], 0
	s_nop 0
	v_addc_co_u32_e32 v13, vcc, 0, v5, vcc
	global_load_dword v14, v[6:7], off
	global_load_dword v15, v[6:7], off offset:2048
	global_load_dword v16, v[8:9], off
	global_load_dword v17, v[8:9], off offset:2048
	;; [unrolled: 2-line block ×4, first 2 shown]
	v_add_co_u32_e32 v6, vcc, 0x5000, v4
	s_nop 1
	v_addc_co_u32_e32 v7, vcc, 0, v5, vcc
	v_add_co_u32_e32 v8, vcc, 0x6000, v4
	s_nop 1
	v_addc_co_u32_e32 v9, vcc, 0, v5, vcc
	global_load_dword v10, v[6:7], off
	global_load_dword v11, v[6:7], off offset:2048
	global_load_dword v12, v[8:9], off
	global_load_dword v13, v[8:9], off offset:2048
	v_add_co_u32_e32 v4, vcc, 0x7000, v4
	s_nop 1
	v_addc_co_u32_e32 v5, vcc, 0, v5, vcc
	global_load_dword v4, v[4:5], off
	s_waitcnt vmcnt(13)
	ds_write2st64_b32 v2, v1, v3 offset1:8
	s_waitcnt vmcnt(11)
	ds_write2st64_b32 v2, v14, v15 offset0:16 offset1:24
	s_waitcnt vmcnt(9)
	ds_write2st64_b32 v2, v16, v17 offset0:32 offset1:40
	;; [unrolled: 2-line block ×6, first 2 shown]
	s_waitcnt vmcnt(0)
	ds_write_b32 v2, v4 offset:28672
	s_waitcnt lgkmcnt(0)
	s_barrier
.LBB419_6:
	s_andn2_b64 vcc, exec, s[0:1]
	s_addk_i32 s50, 0x1e00
	s_cbranch_vccnz .LBB419_38
; %bb.7:
	v_cmp_gt_u32_e32 vcc, s50, v0
                                        ; implicit-def: $vgpr2_vgpr3_vgpr4_vgpr5_vgpr6_vgpr7_vgpr8_vgpr9_vgpr10_vgpr11_vgpr12_vgpr13_vgpr14_vgpr15_vgpr16_vgpr17
	s_and_saveexec_b64 s[0:1], vcc
	s_cbranch_execz .LBB419_9
; %bb.8:
	v_lshlrev_b32_e32 v1, 2, v0
	v_readfirstlane_b32 s4, v34
	v_readfirstlane_b32 s5, v35
	s_nop 4
	global_load_dword v2, v1, s[4:5]
.LBB419_9:
	s_or_b64 exec, exec, s[0:1]
	v_or_b32_e32 v1, 0x200, v0
	v_cmp_gt_u32_e32 vcc, s50, v1
	s_and_saveexec_b64 s[0:1], vcc
	s_cbranch_execz .LBB419_11
; %bb.10:
	v_lshlrev_b32_e32 v1, 2, v0
	v_readfirstlane_b32 s4, v34
	v_readfirstlane_b32 s5, v35
	s_nop 4
	global_load_dword v3, v1, s[4:5] offset:2048
.LBB419_11:
	s_or_b64 exec, exec, s[0:1]
	v_or_b32_e32 v1, 0x400, v0
	v_cmp_gt_u32_e32 vcc, s50, v1
	s_and_saveexec_b64 s[0:1], vcc
	s_cbranch_execz .LBB419_13
; %bb.12:
	v_lshlrev_b32_e32 v1, 2, v1
	v_readfirstlane_b32 s4, v34
	v_readfirstlane_b32 s5, v35
	s_nop 4
	global_load_dword v4, v1, s[4:5]
.LBB419_13:
	s_or_b64 exec, exec, s[0:1]
	v_or_b32_e32 v1, 0x600, v0
	v_cmp_gt_u32_e32 vcc, s50, v1
	s_and_saveexec_b64 s[0:1], vcc
	s_cbranch_execz .LBB419_15
; %bb.14:
	v_lshlrev_b32_e32 v1, 2, v1
	v_readfirstlane_b32 s4, v34
	v_readfirstlane_b32 s5, v35
	s_nop 4
	global_load_dword v5, v1, s[4:5]
.LBB419_15:
	;; [unrolled: 12-line block ×13, first 2 shown]
	s_or_b64 exec, exec, s[0:1]
	v_lshlrev_b32_e32 v1, 2, v0
	s_waitcnt vmcnt(0)
	ds_write2st64_b32 v1, v2, v3 offset1:8
	ds_write2st64_b32 v1, v4, v5 offset0:16 offset1:24
	ds_write2st64_b32 v1, v6, v7 offset0:32 offset1:40
	ds_write2st64_b32 v1, v8, v9 offset0:48 offset1:56
	ds_write2st64_b32 v1, v10, v11 offset0:64 offset1:72
	ds_write2st64_b32 v1, v12, v13 offset0:80 offset1:88
	ds_write2st64_b32 v1, v14, v15 offset0:96 offset1:104
	ds_write_b32 v1, v16 offset:28672
	s_waitcnt lgkmcnt(0)
	s_barrier
.LBB419_38:
	v_mul_u32_u24_e32 v10, 15, v0
	v_lshlrev_b32_e32 v17, 2, v10
	ds_read2_b32 v[32:33], v17 offset1:1
	ds_read2_b32 v[30:31], v17 offset0:2 offset1:3
	ds_read2_b32 v[28:29], v17 offset0:4 offset1:5
	;; [unrolled: 1-line block ×6, first 2 shown]
	ds_read_b32 v1, v17 offset:56
	s_cmp_lg_u32 s33, 0
	s_cselect_b64 s[46:47], -1, 0
	s_cmp_lg_u64 s[6:7], 0
	s_cselect_b64 s[0:1], -1, 0
	s_or_b64 s[0:1], s[0:1], s[46:47]
	v_mad_u32_u24 v15, v0, 15, 1
	v_mad_u32_u24 v11, v0, 15, 2
	;; [unrolled: 1-line block ×14, first 2 shown]
	s_mov_b64 s[48:49], 0
	s_and_b64 vcc, exec, s[0:1]
	s_waitcnt lgkmcnt(0)
	s_barrier
	s_cbranch_vccz .LBB419_43
; %bb.39:
	global_load_dword v34, v[34:35], off offset:-4
	v_lshlrev_b32_e32 v35, 2, v0
	s_and_b64 vcc, exec, s[38:39]
	ds_write_b32 v35, v1
	s_cbranch_vccz .LBB419_45
; %bb.40:
	s_waitcnt vmcnt(0)
	v_mov_b32_e32 v36, v34
	s_waitcnt lgkmcnt(0)
	s_barrier
	s_and_saveexec_b64 s[0:1], s[2:3]
	s_cbranch_execz .LBB419_42
; %bb.41:
	v_add_u32_e32 v36, -4, v35
	ds_read_b32 v36, v36
.LBB419_42:
	s_or_b64 exec, exec, s[0:1]
	v_cmp_ne_u32_e32 vcc, v21, v1
	s_waitcnt lgkmcnt(0)
	v_cmp_ne_u32_e64 s[0:1], v36, v32
	v_cndmask_b32_e64 v37, 0, 1, vcc
	v_cmp_ne_u32_e32 vcc, v20, v21
	s_nop 1
	v_cndmask_b32_e64 v40, 0, 1, vcc
	v_cmp_ne_u32_e32 vcc, v23, v20
	s_nop 1
	;; [unrolled: 3-line block ×13, first 2 shown]
	v_cndmask_b32_e64 v52, 0, 1, vcc
	s_branch .LBB419_49
.LBB419_43:
                                        ; implicit-def: $sgpr0_sgpr1
                                        ; implicit-def: $vgpr37
                                        ; implicit-def: $vgpr40
                                        ; implicit-def: $vgpr41
                                        ; implicit-def: $vgpr42
                                        ; implicit-def: $vgpr43
                                        ; implicit-def: $vgpr44
                                        ; implicit-def: $vgpr45
                                        ; implicit-def: $vgpr46
                                        ; implicit-def: $vgpr52
                                        ; implicit-def: $vgpr51
                                        ; implicit-def: $vgpr50
                                        ; implicit-def: $vgpr49
                                        ; implicit-def: $vgpr48
                                        ; implicit-def: $vgpr47
	s_branch .LBB419_50
.LBB419_44:
                                        ; implicit-def: $sgpr6
	s_branch .LBB419_58
.LBB419_45:
                                        ; implicit-def: $sgpr0_sgpr1
                                        ; implicit-def: $vgpr37
                                        ; implicit-def: $vgpr40
                                        ; implicit-def: $vgpr41
                                        ; implicit-def: $vgpr42
                                        ; implicit-def: $vgpr43
                                        ; implicit-def: $vgpr44
                                        ; implicit-def: $vgpr45
                                        ; implicit-def: $vgpr46
                                        ; implicit-def: $vgpr52
                                        ; implicit-def: $vgpr51
                                        ; implicit-def: $vgpr50
                                        ; implicit-def: $vgpr49
                                        ; implicit-def: $vgpr48
                                        ; implicit-def: $vgpr47
	s_cbranch_execz .LBB419_49
; %bb.46:
	s_waitcnt lgkmcnt(0)
	s_barrier
	s_and_saveexec_b64 s[0:1], s[2:3]
	s_cbranch_execz .LBB419_48
; %bb.47:
	s_waitcnt vmcnt(0)
	v_add_u32_e32 v34, -4, v35
	ds_read_b32 v34, v34
.LBB419_48:
	s_or_b64 exec, exec, s[0:1]
	v_cmp_gt_u32_e32 vcc, s50, v2
	v_cmp_ne_u32_e64 s[0:1], v21, v1
	s_and_b64 s[0:1], vcc, s[0:1]
	v_cmp_gt_u32_e32 vcc, s50, v5
	v_cndmask_b32_e64 v37, 0, 1, s[0:1]
	v_cmp_ne_u32_e64 s[0:1], v20, v21
	s_and_b64 s[0:1], vcc, s[0:1]
	v_cmp_gt_u32_e32 vcc, s50, v4
	v_cndmask_b32_e64 v40, 0, 1, s[0:1]
	;; [unrolled: 4-line block ×14, first 2 shown]
	s_waitcnt vmcnt(0) lgkmcnt(0)
	v_cmp_ne_u32_e64 s[0:1], v34, v32
	s_and_b64 s[0:1], vcc, s[0:1]
.LBB419_49:
	s_mov_b64 s[48:49], -1
	s_cbranch_execnz .LBB419_44
.LBB419_50:
	s_movk_i32 s0, 0xffc8
	v_mad_i32_i24 v17, v0, s0, v17
	s_and_b64 vcc, exec, s[38:39]
	v_cmp_ne_u32_e64 s[0:1], v21, v1
	v_cmp_ne_u32_e64 s[4:5], v20, v21
	;; [unrolled: 1-line block ×14, first 2 shown]
	ds_write_b32 v17, v1
	s_cbranch_vccz .LBB419_54
; %bb.51:
	v_cndmask_b32_e64 v37, 0, 1, s[0:1]
	v_cndmask_b32_e64 v40, 0, 1, s[4:5]
	;; [unrolled: 1-line block ×14, first 2 shown]
	s_waitcnt lgkmcnt(0)
	s_barrier
	s_waitcnt lgkmcnt(0)
                                        ; implicit-def: $sgpr0_sgpr1
	s_and_saveexec_b64 s[4:5], s[2:3]
	s_xor_b64 s[4:5], exec, s[4:5]
	s_cbranch_execz .LBB419_53
; %bb.52:
	s_waitcnt vmcnt(0)
	v_add_u32_e32 v34, -4, v17
	ds_read_b32 v34, v34
	s_or_b64 s[48:49], s[48:49], exec
	s_waitcnt lgkmcnt(0)
	v_cmp_ne_u32_e32 vcc, v34, v32
	s_and_b64 s[0:1], vcc, exec
.LBB419_53:
	s_or_b64 exec, exec, s[4:5]
	s_mov_b32 s6, 1
	s_branch .LBB419_58
.LBB419_54:
                                        ; implicit-def: $sgpr0_sgpr1
                                        ; implicit-def: $vgpr37
                                        ; implicit-def: $vgpr40
                                        ; implicit-def: $vgpr41
                                        ; implicit-def: $vgpr42
                                        ; implicit-def: $vgpr43
                                        ; implicit-def: $vgpr44
                                        ; implicit-def: $vgpr45
                                        ; implicit-def: $vgpr46
                                        ; implicit-def: $vgpr52
                                        ; implicit-def: $vgpr51
                                        ; implicit-def: $vgpr50
                                        ; implicit-def: $vgpr49
                                        ; implicit-def: $vgpr48
                                        ; implicit-def: $vgpr47
                                        ; implicit-def: $sgpr6
	s_cbranch_execz .LBB419_58
; %bb.55:
	v_cmp_gt_u32_e32 vcc, s50, v2
	v_cmp_ne_u32_e64 s[0:1], v21, v1
	s_and_b64 s[0:1], vcc, s[0:1]
	v_cmp_gt_u32_e32 vcc, s50, v5
	v_cndmask_b32_e64 v37, 0, 1, s[0:1]
	v_cmp_ne_u32_e64 s[0:1], v20, v21
	s_and_b64 s[0:1], vcc, s[0:1]
	v_cmp_gt_u32_e32 vcc, s50, v4
	v_cndmask_b32_e64 v40, 0, 1, s[0:1]
	;; [unrolled: 4-line block ×13, first 2 shown]
	v_cmp_ne_u32_e64 s[0:1], v32, v33
	s_and_b64 s[0:1], vcc, s[0:1]
	s_waitcnt lgkmcnt(0)
	v_cndmask_b32_e64 v52, 0, 1, s[0:1]
	s_barrier
	s_waitcnt lgkmcnt(0)
                                        ; implicit-def: $sgpr0_sgpr1
	s_and_saveexec_b64 s[4:5], s[2:3]
	s_cbranch_execz .LBB419_57
; %bb.56:
	v_add_u32_e32 v17, -4, v17
	ds_read_b32 v17, v17
	v_cmp_gt_u32_e32 vcc, s50, v10
	s_or_b64 s[48:49], s[48:49], exec
	s_waitcnt lgkmcnt(0)
	v_cmp_ne_u32_e64 s[0:1], v17, v32
	s_and_b64 s[0:1], vcc, s[0:1]
	s_and_b64 s[0:1], s[0:1], exec
.LBB419_57:
	s_or_b64 exec, exec, s[4:5]
	s_mov_b32 s6, 1
.LBB419_58:
	v_mov_b32_e32 v53, s6
	s_and_saveexec_b64 s[2:3], s[48:49]
; %bb.59:
	v_cndmask_b32_e64 v53, 0, 1, s[0:1]
; %bb.60:
	s_or_b64 exec, exec, s[2:3]
	s_andn2_b64 vcc, exec, s[44:45]
	s_cbranch_vccnz .LBB419_62
; %bb.61:
	v_cmp_gt_u32_e32 vcc, s50, v10
	s_nop 1
	v_cndmask_b32_e32 v53, 0, v53, vcc
	v_cmp_gt_u32_e32 vcc, s50, v15
	s_nop 1
	v_cndmask_b32_e32 v52, 0, v52, vcc
	;; [unrolled: 3-line block ×15, first 2 shown]
.LBB419_62:
	v_and_b32_e32 v56, 0xff, v49
	v_and_b32_e32 v57, 0xff, v48
	;; [unrolled: 1-line block ×5, first 2 shown]
	v_add3_u32 v3, v57, v58, v56
	v_and_b32_e32 v38, 0xff, v53
	v_and_b32_e32 v39, 0xff, v52
	v_add3_u32 v3, v3, v55, v54
	v_and_b32_e32 v59, 0xff, v46
	v_and_b32_e32 v60, 0xff, v45
	;; [unrolled: 3-line block ×5, first 2 shown]
	v_add3_u32 v3, v3, v63, v64
	v_add3_u32 v68, v3, v65, v2
	v_mbcnt_lo_u32_b32 v2, -1, 0
	v_mbcnt_hi_u32_b32 v66, -1, v2
	v_and_b32_e32 v2, 15, v66
	v_cmp_eq_u32_e64 s[14:15], 0, v2
	v_cmp_lt_u32_e64 s[12:13], 1, v2
	v_cmp_lt_u32_e64 s[10:11], 3, v2
	;; [unrolled: 1-line block ×3, first 2 shown]
	v_and_b32_e32 v2, 16, v66
	v_cmp_eq_u32_e64 s[6:7], 0, v2
	v_or_b32_e32 v2, 63, v0
	v_cmp_lt_u32_e64 s[2:3], 31, v66
	v_lshrrev_b32_e32 v67, 6, v0
	v_cmp_eq_u32_e64 s[4:5], v2, v0
	s_and_b64 vcc, exec, s[46:47]
	s_waitcnt lgkmcnt(0)
	s_barrier
	s_cbranch_vccz .LBB419_93
; %bb.63:
	v_mov_b32_dpp v2, v68 row_shr:1 row_mask:0xf bank_mask:0xf
	v_cndmask_b32_e64 v2, v2, 0, s[14:15]
	v_add_u32_e32 v2, v2, v68
	s_nop 1
	v_mov_b32_dpp v3, v2 row_shr:2 row_mask:0xf bank_mask:0xf
	v_cndmask_b32_e64 v3, 0, v3, s[12:13]
	v_add_u32_e32 v2, v2, v3
	s_nop 1
	;; [unrolled: 4-line block ×4, first 2 shown]
	v_mov_b32_dpp v3, v2 row_bcast:15 row_mask:0xf bank_mask:0xf
	v_cndmask_b32_e64 v3, v3, 0, s[6:7]
	v_add_u32_e32 v2, v2, v3
	s_nop 1
	v_mov_b32_dpp v3, v2 row_bcast:31 row_mask:0xf bank_mask:0xf
	v_cndmask_b32_e64 v3, 0, v3, s[2:3]
	v_add_u32_e32 v2, v2, v3
	s_and_saveexec_b64 s[0:1], s[4:5]
	s_cbranch_execz .LBB419_65
; %bb.64:
	v_lshlrev_b32_e32 v3, 2, v67
	ds_write_b32 v3, v2
.LBB419_65:
	s_or_b64 exec, exec, s[0:1]
	v_cmp_gt_u32_e32 vcc, 8, v0
	s_waitcnt lgkmcnt(0)
	s_barrier
	s_and_saveexec_b64 s[0:1], vcc
	s_cbranch_execz .LBB419_67
; %bb.66:
	v_lshlrev_b32_e32 v3, 2, v0
	ds_read_b32 v4, v3
	v_and_b32_e32 v5, 7, v66
	v_cmp_ne_u32_e32 vcc, 0, v5
	s_waitcnt lgkmcnt(0)
	v_mov_b32_dpp v6, v4 row_shr:1 row_mask:0xf bank_mask:0xf
	v_cndmask_b32_e32 v6, 0, v6, vcc
	v_add_u32_e32 v4, v6, v4
	v_cmp_lt_u32_e32 vcc, 1, v5
	s_nop 0
	v_mov_b32_dpp v6, v4 row_shr:2 row_mask:0xf bank_mask:0xf
	v_cndmask_b32_e32 v6, 0, v6, vcc
	v_add_u32_e32 v4, v4, v6
	v_cmp_lt_u32_e32 vcc, 3, v5
	s_nop 0
	v_mov_b32_dpp v6, v4 row_shr:4 row_mask:0xf bank_mask:0xf
	v_cndmask_b32_e32 v5, 0, v6, vcc
	v_add_u32_e32 v4, v4, v5
	ds_write_b32 v3, v4
.LBB419_67:
	s_or_b64 exec, exec, s[0:1]
	v_cmp_gt_u32_e32 vcc, 64, v0
	v_cmp_lt_u32_e64 s[0:1], 63, v0
	s_waitcnt lgkmcnt(0)
	s_barrier
	s_waitcnt lgkmcnt(0)
                                        ; implicit-def: $vgpr12
	s_and_saveexec_b64 s[16:17], s[0:1]
	s_cbranch_execz .LBB419_69
; %bb.68:
	v_lshl_add_u32 v3, v67, 2, -4
	ds_read_b32 v12, v3
	s_waitcnt lgkmcnt(0)
	v_add_u32_e32 v2, v12, v2
.LBB419_69:
	s_or_b64 exec, exec, s[16:17]
	v_add_u32_e32 v3, -1, v66
	v_and_b32_e32 v4, 64, v66
	v_cmp_lt_i32_e64 s[0:1], v3, v4
	v_cmp_eq_u32_e64 s[16:17], 0, v66
	s_nop 0
	v_cndmask_b32_e64 v3, v3, v66, s[0:1]
	v_lshlrev_b32_e32 v3, 2, v3
	ds_bpermute_b32 v13, v3, v2
	s_and_saveexec_b64 s[0:1], vcc
	s_cbranch_execz .LBB419_92
; %bb.70:
	v_mov_b32_e32 v11, 0
	ds_read_b32 v2, v11 offset:28
	s_and_saveexec_b64 s[20:21], s[16:17]
	s_cbranch_execz .LBB419_72
; %bb.71:
	s_add_i32 s22, s33, 64
	s_mov_b32 s23, 0
	s_lshl_b64 s[22:23], s[22:23], 3
	s_add_u32 s22, s42, s22
	v_mov_b32_e32 v3, 1
	s_addc_u32 s23, s43, s23
	s_waitcnt lgkmcnt(0)
	global_store_dwordx2 v11, v[2:3], s[22:23] sc1
.LBB419_72:
	s_or_b64 exec, exec, s[20:21]
	v_xad_u32 v4, v66, -1, s33
	v_add_u32_e32 v10, 64, v4
	v_lshl_add_u64 v[6:7], v[10:11], 3, s[42:43]
	global_load_dwordx2 v[8:9], v[6:7], off sc1
	s_waitcnt vmcnt(0)
	v_cmp_eq_u16_sdwa s[22:23], v9, v11 src0_sel:BYTE_0 src1_sel:DWORD
	s_and_saveexec_b64 s[20:21], s[22:23]
	s_cbranch_execz .LBB419_78
; %bb.73:
	s_mov_b32 s24, 1
	s_mov_b64 s[22:23], 0
	v_mov_b32_e32 v3, 0
.LBB419_74:                             ; =>This Loop Header: Depth=1
                                        ;     Child Loop BB419_75 Depth 2
	s_max_u32 s25, s24, 1
.LBB419_75:                             ;   Parent Loop BB419_74 Depth=1
                                        ; =>  This Inner Loop Header: Depth=2
	s_add_i32 s25, s25, -1
	s_cmp_eq_u32 s25, 0
	s_sleep 1
	s_cbranch_scc0 .LBB419_75
; %bb.76:                               ;   in Loop: Header=BB419_74 Depth=1
	global_load_dwordx2 v[8:9], v[6:7], off sc1
	s_cmp_lt_u32 s24, 32
	s_cselect_b64 s[26:27], -1, 0
	s_cmp_lg_u64 s[26:27], 0
	s_addc_u32 s24, s24, 0
	s_waitcnt vmcnt(0)
	v_cmp_ne_u16_sdwa s[26:27], v9, v3 src0_sel:BYTE_0 src1_sel:DWORD
	s_or_b64 s[22:23], s[26:27], s[22:23]
	s_andn2_b64 exec, exec, s[22:23]
	s_cbranch_execnz .LBB419_74
; %bb.77:
	s_or_b64 exec, exec, s[22:23]
.LBB419_78:
	s_or_b64 exec, exec, s[20:21]
	v_and_b32_e32 v15, 63, v66
	v_mov_b32_e32 v14, 2
	v_cmp_ne_u32_e32 vcc, 63, v15
	v_cmp_eq_u16_sdwa s[20:21], v9, v14 src0_sel:BYTE_0 src1_sel:DWORD
	v_lshlrev_b64 v[6:7], v66, -1
	v_addc_co_u32_e32 v10, vcc, 0, v66, vcc
	v_and_b32_e32 v3, s21, v7
	v_lshlrev_b32_e32 v16, 2, v10
	v_or_b32_e32 v3, 0x80000000, v3
	ds_bpermute_b32 v10, v16, v8
	v_and_b32_e32 v5, s20, v6
	v_ffbl_b32_e32 v3, v3
	v_add_u32_e32 v3, 32, v3
	v_ffbl_b32_e32 v5, v5
	v_min_u32_e32 v3, v5, v3
	v_cmp_lt_u32_e32 vcc, v15, v3
	v_add_u32_e32 v34, 2, v15
	v_add_u32_e32 v36, 4, v15
	s_waitcnt lgkmcnt(0)
	v_cndmask_b32_e32 v5, 0, v10, vcc
	v_cmp_gt_u32_e32 vcc, 62, v15
	v_add_u32_e32 v5, v5, v8
	v_add_u32_e32 v70, 8, v15
	v_cndmask_b32_e64 v8, 0, 1, vcc
	v_lshlrev_b32_e32 v8, 1, v8
	v_add_lshl_u32 v17, v8, v66, 2
	ds_bpermute_b32 v8, v17, v5
	v_cmp_le_u32_e32 vcc, v34, v3
	v_add_u32_e32 v72, 16, v15
	v_add_u32_e32 v74, 32, v15
	s_waitcnt lgkmcnt(0)
	v_cndmask_b32_e32 v8, 0, v8, vcc
	v_cmp_gt_u32_e32 vcc, 60, v15
	v_add_u32_e32 v5, v5, v8
	s_nop 0
	v_cndmask_b32_e64 v8, 0, 1, vcc
	v_lshlrev_b32_e32 v8, 2, v8
	v_add_lshl_u32 v35, v8, v66, 2
	ds_bpermute_b32 v8, v35, v5
	v_cmp_le_u32_e32 vcc, v36, v3
	s_waitcnt lgkmcnt(0)
	s_nop 0
	v_cndmask_b32_e32 v8, 0, v8, vcc
	v_cmp_gt_u32_e32 vcc, 56, v15
	v_add_u32_e32 v5, v5, v8
	s_nop 0
	v_cndmask_b32_e64 v8, 0, 1, vcc
	v_lshlrev_b32_e32 v8, 3, v8
	v_add_lshl_u32 v69, v8, v66, 2
	ds_bpermute_b32 v8, v69, v5
	v_cmp_le_u32_e32 vcc, v70, v3
	s_waitcnt lgkmcnt(0)
	s_nop 0
	;; [unrolled: 11-line block ×4, first 2 shown]
	v_cndmask_b32_e32 v3, 0, v8, vcc
	v_add_u32_e32 v8, v5, v3
	v_mov_b32_e32 v5, 0
	s_branch .LBB419_80
.LBB419_79:                             ;   in Loop: Header=BB419_80 Depth=1
	s_or_b64 exec, exec, s[20:21]
	v_cmp_eq_u16_sdwa s[20:21], v9, v14 src0_sel:BYTE_0 src1_sel:DWORD
	ds_bpermute_b32 v75, v16, v8
	v_subrev_u32_e32 v4, 64, v4
	v_and_b32_e32 v10, s21, v7
	v_or_b32_e32 v10, 0x80000000, v10
	v_and_b32_e32 v11, s20, v6
	v_ffbl_b32_e32 v10, v10
	v_add_u32_e32 v10, 32, v10
	v_ffbl_b32_e32 v11, v11
	v_min_u32_e32 v10, v11, v10
	v_cmp_lt_u32_e32 vcc, v15, v10
	s_waitcnt lgkmcnt(0)
	s_nop 0
	v_cndmask_b32_e32 v11, 0, v75, vcc
	v_add_u32_e32 v8, v11, v8
	ds_bpermute_b32 v11, v17, v8
	v_cmp_le_u32_e32 vcc, v34, v10
	s_waitcnt lgkmcnt(0)
	s_nop 0
	v_cndmask_b32_e32 v11, 0, v11, vcc
	v_add_u32_e32 v8, v8, v11
	ds_bpermute_b32 v11, v35, v8
	v_cmp_le_u32_e32 vcc, v36, v10
	;; [unrolled: 6-line block ×5, first 2 shown]
	s_waitcnt lgkmcnt(0)
	s_nop 0
	v_cndmask_b32_e32 v10, 0, v11, vcc
	v_add3_u32 v8, v10, v3, v8
.LBB419_80:                             ; =>This Loop Header: Depth=1
                                        ;     Child Loop BB419_83 Depth 2
                                        ;       Child Loop BB419_84 Depth 3
	v_cmp_ne_u16_sdwa s[20:21], v9, v14 src0_sel:BYTE_0 src1_sel:DWORD
	s_nop 1
	v_cndmask_b32_e64 v3, 0, 1, s[20:21]
	;;#ASMSTART
	;;#ASMEND
	s_nop 0
	v_cmp_ne_u32_e32 vcc, 0, v3
	s_cmp_lg_u64 vcc, exec
	v_mov_b32_e32 v3, v8
	s_cbranch_scc1 .LBB419_87
; %bb.81:                               ;   in Loop: Header=BB419_80 Depth=1
	v_lshl_add_u64 v[10:11], v[4:5], 3, s[42:43]
	global_load_dwordx2 v[8:9], v[10:11], off sc1
	s_waitcnt vmcnt(0)
	v_cmp_eq_u16_sdwa s[22:23], v9, v5 src0_sel:BYTE_0 src1_sel:DWORD
	s_and_saveexec_b64 s[20:21], s[22:23]
	s_cbranch_execz .LBB419_79
; %bb.82:                               ;   in Loop: Header=BB419_80 Depth=1
	s_mov_b32 s24, 1
	s_mov_b64 s[22:23], 0
.LBB419_83:                             ;   Parent Loop BB419_80 Depth=1
                                        ; =>  This Loop Header: Depth=2
                                        ;       Child Loop BB419_84 Depth 3
	s_max_u32 s25, s24, 1
.LBB419_84:                             ;   Parent Loop BB419_80 Depth=1
                                        ;     Parent Loop BB419_83 Depth=2
                                        ; =>    This Inner Loop Header: Depth=3
	s_add_i32 s25, s25, -1
	s_cmp_eq_u32 s25, 0
	s_sleep 1
	s_cbranch_scc0 .LBB419_84
; %bb.85:                               ;   in Loop: Header=BB419_83 Depth=2
	global_load_dwordx2 v[8:9], v[10:11], off sc1
	s_cmp_lt_u32 s24, 32
	s_cselect_b64 s[26:27], -1, 0
	s_cmp_lg_u64 s[26:27], 0
	s_addc_u32 s24, s24, 0
	s_waitcnt vmcnt(0)
	v_cmp_ne_u16_sdwa s[26:27], v9, v5 src0_sel:BYTE_0 src1_sel:DWORD
	s_or_b64 s[22:23], s[26:27], s[22:23]
	s_andn2_b64 exec, exec, s[22:23]
	s_cbranch_execnz .LBB419_83
; %bb.86:                               ;   in Loop: Header=BB419_80 Depth=1
	s_or_b64 exec, exec, s[22:23]
	s_branch .LBB419_79
.LBB419_87:                             ;   in Loop: Header=BB419_80 Depth=1
                                        ; implicit-def: $vgpr8
                                        ; implicit-def: $vgpr9
	s_cbranch_execz .LBB419_80
; %bb.88:
	s_and_saveexec_b64 s[20:21], s[16:17]
	s_cbranch_execz .LBB419_90
; %bb.89:
	s_add_i32 s22, s33, 64
	s_mov_b32 s23, 0
	s_lshl_b64 s[22:23], s[22:23], 3
	s_add_u32 s22, s42, s22
	v_add_u32_e32 v4, v3, v2
	v_mov_b32_e32 v5, 2
	s_addc_u32 s23, s43, s23
	v_mov_b32_e32 v6, 0
	global_store_dwordx2 v6, v[4:5], s[22:23] sc1
	ds_write_b64 v6, v[2:3] offset:30720
.LBB419_90:
	s_or_b64 exec, exec, s[20:21]
	s_and_b64 exec, exec, s[18:19]
	s_cbranch_execz .LBB419_92
; %bb.91:
	v_mov_b32_e32 v2, 0
	ds_write_b32 v2, v3 offset:28
.LBB419_92:
	s_or_b64 exec, exec, s[0:1]
	v_mov_b32_e32 v14, 0
	s_waitcnt lgkmcnt(0)
	s_barrier
	ds_read_b32 v2, v14 offset:28
	v_cndmask_b32_e64 v3, v13, v12, s[16:17]
	v_cndmask_b32_e64 v3, v3, 0, s[18:19]
	s_waitcnt lgkmcnt(0)
	s_barrier
	v_add_u32_e32 v2, v2, v3
	v_add_u32_e32 v3, v2, v38
	;; [unrolled: 1-line block ×10, first 2 shown]
	s_waitcnt vmcnt(0)
	ds_read_b64 v[34:35], v14 offset:30720
	v_add_u32_e32 v12, v11, v61
	v_add_u32_e32 v13, v12, v62
	;; [unrolled: 1-line block ×5, first 2 shown]
	s_waitcnt lgkmcnt(0)
	v_mov_b32_e32 v36, v35
	s_branch .LBB419_103
.LBB419_93:
                                        ; implicit-def: $vgpr36
                                        ; implicit-def: $vgpr34
                                        ; implicit-def: $vgpr2_vgpr3_vgpr4_vgpr5_vgpr6_vgpr7_vgpr8_vgpr9_vgpr10_vgpr11_vgpr12_vgpr13_vgpr14_vgpr15_vgpr16_vgpr17
	s_cbranch_execz .LBB419_103
; %bb.94:
	s_nop 0
	v_mov_b32_dpp v2, v68 row_shr:1 row_mask:0xf bank_mask:0xf
	v_cndmask_b32_e64 v2, v2, 0, s[14:15]
	v_add_u32_e32 v2, v2, v68
	s_nop 1
	v_mov_b32_dpp v3, v2 row_shr:2 row_mask:0xf bank_mask:0xf
	v_cndmask_b32_e64 v3, 0, v3, s[12:13]
	v_add_u32_e32 v2, v2, v3
	;; [unrolled: 4-line block ×4, first 2 shown]
	s_nop 1
	v_mov_b32_dpp v3, v2 row_bcast:15 row_mask:0xf bank_mask:0xf
	v_cndmask_b32_e64 v3, v3, 0, s[6:7]
	v_add_u32_e32 v2, v2, v3
	s_nop 1
	v_mov_b32_dpp v3, v2 row_bcast:31 row_mask:0xf bank_mask:0xf
	v_cndmask_b32_e64 v3, 0, v3, s[2:3]
	v_add_u32_e32 v2, v2, v3
	s_and_saveexec_b64 s[0:1], s[4:5]
	s_cbranch_execz .LBB419_96
; %bb.95:
	v_lshlrev_b32_e32 v3, 2, v67
	ds_write_b32 v3, v2
.LBB419_96:
	s_or_b64 exec, exec, s[0:1]
	v_cmp_gt_u32_e32 vcc, 8, v0
	s_waitcnt lgkmcnt(0)
	s_barrier
	s_and_saveexec_b64 s[0:1], vcc
	s_cbranch_execz .LBB419_98
; %bb.97:
	v_lshlrev_b32_e32 v3, 2, v0
	ds_read_b32 v4, v3
	v_and_b32_e32 v5, 7, v66
	v_cmp_ne_u32_e32 vcc, 0, v5
	s_waitcnt lgkmcnt(0)
	v_mov_b32_dpp v6, v4 row_shr:1 row_mask:0xf bank_mask:0xf
	v_cndmask_b32_e32 v6, 0, v6, vcc
	v_add_u32_e32 v4, v6, v4
	v_cmp_lt_u32_e32 vcc, 1, v5
	s_nop 0
	v_mov_b32_dpp v6, v4 row_shr:2 row_mask:0xf bank_mask:0xf
	v_cndmask_b32_e32 v6, 0, v6, vcc
	v_add_u32_e32 v4, v4, v6
	v_cmp_lt_u32_e32 vcc, 3, v5
	s_nop 0
	v_mov_b32_dpp v6, v4 row_shr:4 row_mask:0xf bank_mask:0xf
	v_cndmask_b32_e32 v5, 0, v6, vcc
	v_add_u32_e32 v4, v4, v5
	ds_write_b32 v3, v4
.LBB419_98:
	s_or_b64 exec, exec, s[0:1]
	v_cmp_lt_u32_e32 vcc, 63, v0
	v_mov_b32_e32 v4, 0
	v_mov_b32_e32 v3, 0
	s_waitcnt lgkmcnt(0)
	s_barrier
	s_and_saveexec_b64 s[0:1], vcc
	s_cbranch_execz .LBB419_100
; %bb.99:
	v_lshl_add_u32 v3, v67, 2, -4
	ds_read_b32 v3, v3
.LBB419_100:
	s_or_b64 exec, exec, s[0:1]
	v_add_u32_e32 v5, -1, v66
	v_and_b32_e32 v6, 64, v66
	v_cmp_lt_i32_e32 vcc, v5, v6
	s_waitcnt lgkmcnt(0)
	v_add_u32_e32 v2, v3, v2
	s_waitcnt vmcnt(0)
	ds_read_b32 v34, v4 offset:28
	v_cndmask_b32_e32 v5, v5, v66, vcc
	v_lshlrev_b32_e32 v5, 2, v5
	ds_bpermute_b32 v2, v5, v2
	s_and_saveexec_b64 s[0:1], s[18:19]
	s_cbranch_execz .LBB419_102
; %bb.101:
	v_mov_b32_e32 v4, 0
	v_mov_b32_e32 v35, 2
	s_waitcnt lgkmcnt(1)
	global_store_dwordx2 v4, v[34:35], s[42:43] offset:512 sc1
.LBB419_102:
	s_or_b64 exec, exec, s[0:1]
	v_cmp_eq_u32_e32 vcc, 0, v66
	v_mov_b32_e32 v36, 0
	s_waitcnt lgkmcnt(0)
	v_cndmask_b32_e32 v2, v2, v3, vcc
	v_cndmask_b32_e64 v2, v2, 0, s[18:19]
	v_add_u32_e32 v3, v2, v38
	v_add_u32_e32 v4, v3, v39
	;; [unrolled: 1-line block ×14, first 2 shown]
	s_barrier
.LBB419_103:
	s_movk_i32 s0, 0x201
	s_waitcnt vmcnt(0)
	v_cmp_gt_u32_e32 vcc, s0, v34
	s_mov_b64 s[0:1], -1
	s_cbranch_vccnz .LBB419_107
; %bb.104:
	s_and_b64 vcc, exec, s[0:1]
	s_cbranch_vccnz .LBB419_153
.LBB419_105:
	s_and_b64 s[0:1], s[18:19], s[34:35]
	s_and_saveexec_b64 s[2:3], s[0:1]
	s_cbranch_execnz .LBB419_197
.LBB419_106:
	s_endpgm
.LBB419_107:
	v_add_u32_e32 v17, v36, v34
	v_lshlrev_b64 v[38:39], 2, v[18:19]
	v_cmp_lt_u32_e32 vcc, v2, v17
	v_lshl_add_u64 v[38:39], s[40:41], 0, v[38:39]
	s_or_b64 s[2:3], s[38:39], vcc
	s_and_saveexec_b64 s[0:1], s[2:3]
	s_cbranch_execz .LBB419_110
; %bb.108:
	v_and_b32_e32 v35, 1, v53
	v_cmp_eq_u32_e32 vcc, 1, v35
	s_and_b64 exec, exec, vcc
	s_cbranch_execz .LBB419_110
; %bb.109:
	v_mov_b32_e32 v55, 0
	v_mov_b32_e32 v54, v2
	v_lshl_add_u64 v[54:55], v[54:55], 2, v[38:39]
	global_store_dword v[54:55], v32, off
.LBB419_110:
	s_or_b64 exec, exec, s[0:1]
	v_cmp_lt_u32_e32 vcc, v3, v17
	s_or_b64 s[2:3], s[38:39], vcc
	s_and_saveexec_b64 s[0:1], s[2:3]
	s_cbranch_execz .LBB419_113
; %bb.111:
	v_and_b32_e32 v35, 1, v52
	v_cmp_eq_u32_e32 vcc, 1, v35
	s_and_b64 exec, exec, vcc
	s_cbranch_execz .LBB419_113
; %bb.112:
	v_mov_b32_e32 v55, 0
	v_mov_b32_e32 v54, v3
	v_lshl_add_u64 v[54:55], v[54:55], 2, v[38:39]
	global_store_dword v[54:55], v33, off
.LBB419_113:
	s_or_b64 exec, exec, s[0:1]
	v_cmp_lt_u32_e32 vcc, v4, v17
	;; [unrolled: 16-line block ×14, first 2 shown]
	s_or_b64 s[2:3], s[38:39], vcc
	s_and_saveexec_b64 s[0:1], s[2:3]
	s_cbranch_execz .LBB419_152
; %bb.150:
	v_and_b32_e32 v17, 1, v37
	v_cmp_eq_u32_e32 vcc, 1, v17
	s_and_b64 exec, exec, vcc
	s_cbranch_execz .LBB419_152
; %bb.151:
	v_mov_b32_e32 v17, 0
	v_lshl_add_u64 v[38:39], v[16:17], 2, v[38:39]
	global_store_dword v[38:39], v1, off
.LBB419_152:
	s_or_b64 exec, exec, s[0:1]
	s_branch .LBB419_105
.LBB419_153:
	v_and_b32_e32 v17, 1, v53
	v_cmp_eq_u32_e32 vcc, 1, v17
	s_and_saveexec_b64 s[0:1], vcc
	s_cbranch_execz .LBB419_155
; %bb.154:
	v_sub_u32_e32 v2, v2, v36
	v_lshlrev_b32_e32 v2, 2, v2
	ds_write_b32 v2, v32
.LBB419_155:
	s_or_b64 exec, exec, s[0:1]
	v_and_b32_e32 v2, 1, v52
	v_cmp_eq_u32_e32 vcc, 1, v2
	s_and_saveexec_b64 s[0:1], vcc
	s_cbranch_execz .LBB419_157
; %bb.156:
	v_sub_u32_e32 v2, v3, v36
	v_lshlrev_b32_e32 v2, 2, v2
	ds_write_b32 v2, v33
.LBB419_157:
	s_or_b64 exec, exec, s[0:1]
	;; [unrolled: 10-line block ×15, first 2 shown]
	v_cmp_lt_u32_e32 vcc, v0, v34
	s_waitcnt lgkmcnt(0)
	s_barrier
	s_and_saveexec_b64 s[0:1], vcc
	s_cbranch_execz .LBB419_196
; %bb.184:
	v_mov_b32_e32 v37, 0
	v_lshlrev_b64 v[2:3], 2, v[18:19]
	v_lshl_add_u64 v[2:3], s[40:41], 0, v[2:3]
	v_lshlrev_b64 v[4:5], 2, v[36:37]
	v_xad_u32 v1, v0, -1, v34
	s_movk_i32 s2, 0x1ff
	v_lshl_add_u64 v[2:3], v[2:3], 0, v[4:5]
	v_cmp_lt_u32_e32 vcc, s2, v1
	s_mov_b64 s[4:5], -1
	s_and_saveexec_b64 s[2:3], vcc
	s_cbranch_execz .LBB419_193
; %bb.185:
	v_lshrrev_b32_e32 v8, 9, v1
	v_add_u32_e32 v4, -1, v8
	v_or_b32_e32 v1, 0x200, v0
	v_lshrrev_b32_e32 v5, 1, v4
	v_add_u32_e32 v10, 1, v5
	v_cmp_lt_u32_e32 vcc, 13, v4
	v_lshlrev_b32_e32 v9, 2, v0
	v_mov_b64_e32 v[4:5], v[0:1]
	s_and_saveexec_b64 s[4:5], vcc
	s_cbranch_execz .LBB419_189
; %bb.186:
	v_and_b32_e32 v11, -8, v10
	s_mov_b32 s8, 0
	s_mov_b64 s[6:7], 0
	v_mov_b32_e32 v7, 0
	v_mov_b32_e32 v12, v9
	v_mov_b64_e32 v[4:5], v[0:1]
.LBB419_187:                            ; =>This Inner Loop Header: Depth=1
	ds_read2st64_b32 v[14:15], v12 offset1:8
	v_mov_b32_e32 v6, v4
	ds_read2st64_b32 v[28:29], v12 offset0:48 offset1:56
	v_lshl_add_u64 v[50:51], v[6:7], 2, v[2:3]
	v_mov_b32_e32 v6, v5
	ds_read2st64_b32 v[20:21], v12 offset0:16 offset1:24
	ds_read2st64_b32 v[32:33], v12 offset0:64 offset1:72
	v_lshl_add_u64 v[52:53], v[6:7], 2, v[2:3]
	v_add_u32_e32 v6, 0x400, v4
	ds_read2st64_b32 v[40:41], v12 offset0:80 offset1:88
	v_lshl_add_u64 v[54:55], v[6:7], 2, v[2:3]
	v_add_u32_e32 v6, 0x800, v4
	v_add_u32_e32 v16, 0x400, v5
	v_mov_b32_e32 v17, v7
	v_add_u32_e32 v22, 0x800, v5
	ds_read2st64_b32 v[24:25], v12 offset0:32 offset1:40
	v_mov_b32_e32 v23, v7
	ds_read2st64_b32 v[44:45], v12 offset0:96 offset1:104
	v_lshl_add_u64 v[56:57], v[6:7], 2, v[2:3]
	v_add_u32_e32 v6, 0xc00, v4
	v_add_u32_e32 v26, 0xc00, v5
	v_mov_b32_e32 v27, v7
	ds_read2st64_b32 v[48:49], v12 offset0:112 offset1:120
	v_lshl_add_u64 v[16:17], v[16:17], 2, v[2:3]
	v_lshl_add_u64 v[22:23], v[22:23], 2, v[2:3]
	s_waitcnt lgkmcnt(7)
	global_store_dword v[50:51], v14, off
	global_store_dword v[52:53], v15, off
	s_waitcnt lgkmcnt(5)
	global_store_dword v[54:55], v20, off
	global_store_dword v[16:17], v21, off
	;; [unrolled: 3-line block ×3, first 2 shown]
	v_lshl_add_u64 v[14:15], v[6:7], 2, v[2:3]
	v_add_u32_e32 v6, 0x1000, v4
	v_add_u32_e32 v30, 0x1000, v5
	v_mov_b32_e32 v31, v7
	v_lshl_add_u64 v[26:27], v[26:27], 2, v[2:3]
	global_store_dword v[14:15], v28, off
	global_store_dword v[26:27], v29, off
	v_lshl_add_u64 v[14:15], v[6:7], 2, v[2:3]
	v_add_u32_e32 v6, 0x1400, v4
	v_add_u32_e32 v38, 0x1400, v5
	v_mov_b32_e32 v39, v7
	v_add_u32_e32 v11, -8, v11
	v_lshl_add_u64 v[30:31], v[30:31], 2, v[2:3]
	global_store_dword v[14:15], v32, off
	global_store_dword v[30:31], v33, off
	v_lshl_add_u64 v[14:15], v[6:7], 2, v[2:3]
	v_add_u32_e32 v6, 0x1800, v4
	v_add_u32_e32 v42, 0x1800, v5
	v_mov_b32_e32 v43, v7
	s_add_i32 s8, s8, 16
	v_lshl_add_u64 v[38:39], v[38:39], 2, v[2:3]
	v_cmp_eq_u32_e32 vcc, 0, v11
	global_store_dword v[14:15], v40, off
	global_store_dword v[38:39], v41, off
	v_lshl_add_u64 v[14:15], v[6:7], 2, v[2:3]
	v_add_u32_e32 v6, 0x1c00, v4
	v_add_u32_e32 v46, 0x1c00, v5
	v_mov_b32_e32 v47, v7
	v_add_u32_e32 v12, 0x8000, v12
	v_lshl_add_u64 v[42:43], v[42:43], 2, v[2:3]
	v_add_u32_e32 v5, 0x2000, v5
	v_mov_b32_e32 v37, s8
	s_or_b64 s[6:7], vcc, s[6:7]
	v_add_u32_e32 v4, 0x2000, v4
	s_waitcnt lgkmcnt(1)
	global_store_dword v[14:15], v44, off
	global_store_dword v[42:43], v45, off
	v_lshl_add_u64 v[14:15], v[6:7], 2, v[2:3]
	v_lshl_add_u64 v[46:47], v[46:47], 2, v[2:3]
	s_waitcnt lgkmcnt(0)
	global_store_dword v[14:15], v48, off
	global_store_dword v[46:47], v49, off
	s_andn2_b64 exec, exec, s[6:7]
	s_cbranch_execnz .LBB419_187
; %bb.188:
	s_or_b64 exec, exec, s[6:7]
.LBB419_189:
	s_or_b64 exec, exec, s[4:5]
	v_and_b32_e32 v1, 7, v10
	v_cmp_ne_u32_e32 vcc, 0, v1
	s_and_saveexec_b64 s[4:5], vcc
	s_cbranch_execz .LBB419_192
; %bb.190:
	v_lshl_or_b32 v9, v37, 11, v9
	s_mov_b64 s[6:7], 0
	v_mov_b32_e32 v7, 0
.LBB419_191:                            ; =>This Inner Loop Header: Depth=1
	ds_read2st64_b32 v[10:11], v9 offset1:8
	v_add_u32_e32 v1, -1, v1
	v_mov_b32_e32 v6, v4
	v_cmp_eq_u32_e32 vcc, 0, v1
	v_add_u32_e32 v4, 0x400, v4
	v_add_u32_e32 v9, 0x1000, v9
	v_lshl_add_u64 v[12:13], v[6:7], 2, v[2:3]
	v_mov_b32_e32 v6, v5
	v_add_u32_e32 v5, 0x400, v5
	s_or_b64 s[6:7], vcc, s[6:7]
	v_lshl_add_u64 v[14:15], v[6:7], 2, v[2:3]
	s_waitcnt lgkmcnt(0)
	global_store_dword v[12:13], v10, off
	global_store_dword v[14:15], v11, off
	s_andn2_b64 exec, exec, s[6:7]
	s_cbranch_execnz .LBB419_191
.LBB419_192:
	s_or_b64 exec, exec, s[4:5]
	v_add_u32_e32 v1, 1, v8
	v_and_b32_e32 v4, 0xfffffe, v1
	v_cmp_ne_u32_e32 vcc, v1, v4
	v_lshl_or_b32 v0, v4, 9, v0
	s_orn2_b64 s[4:5], vcc, exec
.LBB419_193:
	s_or_b64 exec, exec, s[2:3]
	s_and_b64 exec, exec, s[4:5]
	s_cbranch_execz .LBB419_196
; %bb.194:
	v_lshlrev_b32_e32 v4, 2, v0
	s_mov_b64 s[2:3], 0
	v_mov_b32_e32 v1, 0
.LBB419_195:                            ; =>This Inner Loop Header: Depth=1
	ds_read_b32 v5, v4
	v_lshl_add_u64 v[6:7], v[0:1], 2, v[2:3]
	v_add_u32_e32 v0, 0x200, v0
	v_cmp_ge_u32_e32 vcc, v0, v34
	v_add_u32_e32 v4, 0x800, v4
	s_or_b64 s[2:3], vcc, s[2:3]
	s_waitcnt lgkmcnt(0)
	global_store_dword v[6:7], v5, off
	s_andn2_b64 exec, exec, s[2:3]
	s_cbranch_execnz .LBB419_195
.LBB419_196:
	s_or_b64 exec, exec, s[0:1]
	s_and_b64 s[0:1], s[18:19], s[34:35]
	s_and_saveexec_b64 s[2:3], s[0:1]
	s_cbranch_execz .LBB419_106
.LBB419_197:
	v_mov_b32_e32 v35, 0
	v_lshl_add_u64 v[0:1], v[18:19], 0, v[34:35]
	v_mov_b32_e32 v37, v35
	v_lshl_add_u64 v[0:1], v[0:1], 0, v[36:37]
	global_store_dwordx2 v35, v[0:1], s[36:37]
	s_endpgm
	.section	.rodata,"a",@progbits
	.p2align	6, 0x0
	.amdhsa_kernel _ZN7rocprim17ROCPRIM_400000_NS6detail17trampoline_kernelINS0_14default_configENS1_25partition_config_selectorILNS1_17partition_subalgoE8EiNS0_10empty_typeEbEEZZNS1_14partition_implILS5_8ELb0ES3_jPKiPS6_PKS6_NS0_5tupleIJPiS6_EEENSE_IJSB_SB_EEENS0_18inequality_wrapperIN6hipcub16HIPCUB_304000_NS8EqualityEEEPlJS6_EEE10hipError_tPvRmT3_T4_T5_T6_T7_T9_mT8_P12ihipStream_tbDpT10_ENKUlT_T0_E_clISt17integral_constantIbLb1EES17_EEDaS12_S13_EUlS12_E_NS1_11comp_targetILNS1_3genE5ELNS1_11target_archE942ELNS1_3gpuE9ELNS1_3repE0EEENS1_30default_config_static_selectorELNS0_4arch9wavefront6targetE1EEEvT1_
		.amdhsa_group_segment_fixed_size 30728
		.amdhsa_private_segment_fixed_size 0
		.amdhsa_kernarg_size 128
		.amdhsa_user_sgpr_count 2
		.amdhsa_user_sgpr_dispatch_ptr 0
		.amdhsa_user_sgpr_queue_ptr 0
		.amdhsa_user_sgpr_kernarg_segment_ptr 1
		.amdhsa_user_sgpr_dispatch_id 0
		.amdhsa_user_sgpr_kernarg_preload_length 0
		.amdhsa_user_sgpr_kernarg_preload_offset 0
		.amdhsa_user_sgpr_private_segment_size 0
		.amdhsa_uses_dynamic_stack 0
		.amdhsa_enable_private_segment 0
		.amdhsa_system_sgpr_workgroup_id_x 1
		.amdhsa_system_sgpr_workgroup_id_y 0
		.amdhsa_system_sgpr_workgroup_id_z 0
		.amdhsa_system_sgpr_workgroup_info 0
		.amdhsa_system_vgpr_workitem_id 0
		.amdhsa_next_free_vgpr 76
		.amdhsa_next_free_sgpr 51
		.amdhsa_accum_offset 76
		.amdhsa_reserve_vcc 1
		.amdhsa_float_round_mode_32 0
		.amdhsa_float_round_mode_16_64 0
		.amdhsa_float_denorm_mode_32 3
		.amdhsa_float_denorm_mode_16_64 3
		.amdhsa_dx10_clamp 1
		.amdhsa_ieee_mode 1
		.amdhsa_fp16_overflow 0
		.amdhsa_tg_split 0
		.amdhsa_exception_fp_ieee_invalid_op 0
		.amdhsa_exception_fp_denorm_src 0
		.amdhsa_exception_fp_ieee_div_zero 0
		.amdhsa_exception_fp_ieee_overflow 0
		.amdhsa_exception_fp_ieee_underflow 0
		.amdhsa_exception_fp_ieee_inexact 0
		.amdhsa_exception_int_div_zero 0
	.end_amdhsa_kernel
	.section	.text._ZN7rocprim17ROCPRIM_400000_NS6detail17trampoline_kernelINS0_14default_configENS1_25partition_config_selectorILNS1_17partition_subalgoE8EiNS0_10empty_typeEbEEZZNS1_14partition_implILS5_8ELb0ES3_jPKiPS6_PKS6_NS0_5tupleIJPiS6_EEENSE_IJSB_SB_EEENS0_18inequality_wrapperIN6hipcub16HIPCUB_304000_NS8EqualityEEEPlJS6_EEE10hipError_tPvRmT3_T4_T5_T6_T7_T9_mT8_P12ihipStream_tbDpT10_ENKUlT_T0_E_clISt17integral_constantIbLb1EES17_EEDaS12_S13_EUlS12_E_NS1_11comp_targetILNS1_3genE5ELNS1_11target_archE942ELNS1_3gpuE9ELNS1_3repE0EEENS1_30default_config_static_selectorELNS0_4arch9wavefront6targetE1EEEvT1_,"axG",@progbits,_ZN7rocprim17ROCPRIM_400000_NS6detail17trampoline_kernelINS0_14default_configENS1_25partition_config_selectorILNS1_17partition_subalgoE8EiNS0_10empty_typeEbEEZZNS1_14partition_implILS5_8ELb0ES3_jPKiPS6_PKS6_NS0_5tupleIJPiS6_EEENSE_IJSB_SB_EEENS0_18inequality_wrapperIN6hipcub16HIPCUB_304000_NS8EqualityEEEPlJS6_EEE10hipError_tPvRmT3_T4_T5_T6_T7_T9_mT8_P12ihipStream_tbDpT10_ENKUlT_T0_E_clISt17integral_constantIbLb1EES17_EEDaS12_S13_EUlS12_E_NS1_11comp_targetILNS1_3genE5ELNS1_11target_archE942ELNS1_3gpuE9ELNS1_3repE0EEENS1_30default_config_static_selectorELNS0_4arch9wavefront6targetE1EEEvT1_,comdat
.Lfunc_end419:
	.size	_ZN7rocprim17ROCPRIM_400000_NS6detail17trampoline_kernelINS0_14default_configENS1_25partition_config_selectorILNS1_17partition_subalgoE8EiNS0_10empty_typeEbEEZZNS1_14partition_implILS5_8ELb0ES3_jPKiPS6_PKS6_NS0_5tupleIJPiS6_EEENSE_IJSB_SB_EEENS0_18inequality_wrapperIN6hipcub16HIPCUB_304000_NS8EqualityEEEPlJS6_EEE10hipError_tPvRmT3_T4_T5_T6_T7_T9_mT8_P12ihipStream_tbDpT10_ENKUlT_T0_E_clISt17integral_constantIbLb1EES17_EEDaS12_S13_EUlS12_E_NS1_11comp_targetILNS1_3genE5ELNS1_11target_archE942ELNS1_3gpuE9ELNS1_3repE0EEENS1_30default_config_static_selectorELNS0_4arch9wavefront6targetE1EEEvT1_, .Lfunc_end419-_ZN7rocprim17ROCPRIM_400000_NS6detail17trampoline_kernelINS0_14default_configENS1_25partition_config_selectorILNS1_17partition_subalgoE8EiNS0_10empty_typeEbEEZZNS1_14partition_implILS5_8ELb0ES3_jPKiPS6_PKS6_NS0_5tupleIJPiS6_EEENSE_IJSB_SB_EEENS0_18inequality_wrapperIN6hipcub16HIPCUB_304000_NS8EqualityEEEPlJS6_EEE10hipError_tPvRmT3_T4_T5_T6_T7_T9_mT8_P12ihipStream_tbDpT10_ENKUlT_T0_E_clISt17integral_constantIbLb1EES17_EEDaS12_S13_EUlS12_E_NS1_11comp_targetILNS1_3genE5ELNS1_11target_archE942ELNS1_3gpuE9ELNS1_3repE0EEENS1_30default_config_static_selectorELNS0_4arch9wavefront6targetE1EEEvT1_
                                        ; -- End function
	.section	.AMDGPU.csdata,"",@progbits
; Kernel info:
; codeLenInByte = 8228
; NumSgprs: 57
; NumVgprs: 76
; NumAgprs: 0
; TotalNumVgprs: 76
; ScratchSize: 0
; MemoryBound: 0
; FloatMode: 240
; IeeeMode: 1
; LDSByteSize: 30728 bytes/workgroup (compile time only)
; SGPRBlocks: 7
; VGPRBlocks: 9
; NumSGPRsForWavesPerEU: 57
; NumVGPRsForWavesPerEU: 76
; AccumOffset: 76
; Occupancy: 4
; WaveLimiterHint : 1
; COMPUTE_PGM_RSRC2:SCRATCH_EN: 0
; COMPUTE_PGM_RSRC2:USER_SGPR: 2
; COMPUTE_PGM_RSRC2:TRAP_HANDLER: 0
; COMPUTE_PGM_RSRC2:TGID_X_EN: 1
; COMPUTE_PGM_RSRC2:TGID_Y_EN: 0
; COMPUTE_PGM_RSRC2:TGID_Z_EN: 0
; COMPUTE_PGM_RSRC2:TIDIG_COMP_CNT: 0
; COMPUTE_PGM_RSRC3_GFX90A:ACCUM_OFFSET: 18
; COMPUTE_PGM_RSRC3_GFX90A:TG_SPLIT: 0
	.section	.text._ZN7rocprim17ROCPRIM_400000_NS6detail17trampoline_kernelINS0_14default_configENS1_25partition_config_selectorILNS1_17partition_subalgoE8EiNS0_10empty_typeEbEEZZNS1_14partition_implILS5_8ELb0ES3_jPKiPS6_PKS6_NS0_5tupleIJPiS6_EEENSE_IJSB_SB_EEENS0_18inequality_wrapperIN6hipcub16HIPCUB_304000_NS8EqualityEEEPlJS6_EEE10hipError_tPvRmT3_T4_T5_T6_T7_T9_mT8_P12ihipStream_tbDpT10_ENKUlT_T0_E_clISt17integral_constantIbLb1EES17_EEDaS12_S13_EUlS12_E_NS1_11comp_targetILNS1_3genE4ELNS1_11target_archE910ELNS1_3gpuE8ELNS1_3repE0EEENS1_30default_config_static_selectorELNS0_4arch9wavefront6targetE1EEEvT1_,"axG",@progbits,_ZN7rocprim17ROCPRIM_400000_NS6detail17trampoline_kernelINS0_14default_configENS1_25partition_config_selectorILNS1_17partition_subalgoE8EiNS0_10empty_typeEbEEZZNS1_14partition_implILS5_8ELb0ES3_jPKiPS6_PKS6_NS0_5tupleIJPiS6_EEENSE_IJSB_SB_EEENS0_18inequality_wrapperIN6hipcub16HIPCUB_304000_NS8EqualityEEEPlJS6_EEE10hipError_tPvRmT3_T4_T5_T6_T7_T9_mT8_P12ihipStream_tbDpT10_ENKUlT_T0_E_clISt17integral_constantIbLb1EES17_EEDaS12_S13_EUlS12_E_NS1_11comp_targetILNS1_3genE4ELNS1_11target_archE910ELNS1_3gpuE8ELNS1_3repE0EEENS1_30default_config_static_selectorELNS0_4arch9wavefront6targetE1EEEvT1_,comdat
	.protected	_ZN7rocprim17ROCPRIM_400000_NS6detail17trampoline_kernelINS0_14default_configENS1_25partition_config_selectorILNS1_17partition_subalgoE8EiNS0_10empty_typeEbEEZZNS1_14partition_implILS5_8ELb0ES3_jPKiPS6_PKS6_NS0_5tupleIJPiS6_EEENSE_IJSB_SB_EEENS0_18inequality_wrapperIN6hipcub16HIPCUB_304000_NS8EqualityEEEPlJS6_EEE10hipError_tPvRmT3_T4_T5_T6_T7_T9_mT8_P12ihipStream_tbDpT10_ENKUlT_T0_E_clISt17integral_constantIbLb1EES17_EEDaS12_S13_EUlS12_E_NS1_11comp_targetILNS1_3genE4ELNS1_11target_archE910ELNS1_3gpuE8ELNS1_3repE0EEENS1_30default_config_static_selectorELNS0_4arch9wavefront6targetE1EEEvT1_ ; -- Begin function _ZN7rocprim17ROCPRIM_400000_NS6detail17trampoline_kernelINS0_14default_configENS1_25partition_config_selectorILNS1_17partition_subalgoE8EiNS0_10empty_typeEbEEZZNS1_14partition_implILS5_8ELb0ES3_jPKiPS6_PKS6_NS0_5tupleIJPiS6_EEENSE_IJSB_SB_EEENS0_18inequality_wrapperIN6hipcub16HIPCUB_304000_NS8EqualityEEEPlJS6_EEE10hipError_tPvRmT3_T4_T5_T6_T7_T9_mT8_P12ihipStream_tbDpT10_ENKUlT_T0_E_clISt17integral_constantIbLb1EES17_EEDaS12_S13_EUlS12_E_NS1_11comp_targetILNS1_3genE4ELNS1_11target_archE910ELNS1_3gpuE8ELNS1_3repE0EEENS1_30default_config_static_selectorELNS0_4arch9wavefront6targetE1EEEvT1_
	.globl	_ZN7rocprim17ROCPRIM_400000_NS6detail17trampoline_kernelINS0_14default_configENS1_25partition_config_selectorILNS1_17partition_subalgoE8EiNS0_10empty_typeEbEEZZNS1_14partition_implILS5_8ELb0ES3_jPKiPS6_PKS6_NS0_5tupleIJPiS6_EEENSE_IJSB_SB_EEENS0_18inequality_wrapperIN6hipcub16HIPCUB_304000_NS8EqualityEEEPlJS6_EEE10hipError_tPvRmT3_T4_T5_T6_T7_T9_mT8_P12ihipStream_tbDpT10_ENKUlT_T0_E_clISt17integral_constantIbLb1EES17_EEDaS12_S13_EUlS12_E_NS1_11comp_targetILNS1_3genE4ELNS1_11target_archE910ELNS1_3gpuE8ELNS1_3repE0EEENS1_30default_config_static_selectorELNS0_4arch9wavefront6targetE1EEEvT1_
	.p2align	8
	.type	_ZN7rocprim17ROCPRIM_400000_NS6detail17trampoline_kernelINS0_14default_configENS1_25partition_config_selectorILNS1_17partition_subalgoE8EiNS0_10empty_typeEbEEZZNS1_14partition_implILS5_8ELb0ES3_jPKiPS6_PKS6_NS0_5tupleIJPiS6_EEENSE_IJSB_SB_EEENS0_18inequality_wrapperIN6hipcub16HIPCUB_304000_NS8EqualityEEEPlJS6_EEE10hipError_tPvRmT3_T4_T5_T6_T7_T9_mT8_P12ihipStream_tbDpT10_ENKUlT_T0_E_clISt17integral_constantIbLb1EES17_EEDaS12_S13_EUlS12_E_NS1_11comp_targetILNS1_3genE4ELNS1_11target_archE910ELNS1_3gpuE8ELNS1_3repE0EEENS1_30default_config_static_selectorELNS0_4arch9wavefront6targetE1EEEvT1_,@function
_ZN7rocprim17ROCPRIM_400000_NS6detail17trampoline_kernelINS0_14default_configENS1_25partition_config_selectorILNS1_17partition_subalgoE8EiNS0_10empty_typeEbEEZZNS1_14partition_implILS5_8ELb0ES3_jPKiPS6_PKS6_NS0_5tupleIJPiS6_EEENSE_IJSB_SB_EEENS0_18inequality_wrapperIN6hipcub16HIPCUB_304000_NS8EqualityEEEPlJS6_EEE10hipError_tPvRmT3_T4_T5_T6_T7_T9_mT8_P12ihipStream_tbDpT10_ENKUlT_T0_E_clISt17integral_constantIbLb1EES17_EEDaS12_S13_EUlS12_E_NS1_11comp_targetILNS1_3genE4ELNS1_11target_archE910ELNS1_3gpuE8ELNS1_3repE0EEENS1_30default_config_static_selectorELNS0_4arch9wavefront6targetE1EEEvT1_: ; @_ZN7rocprim17ROCPRIM_400000_NS6detail17trampoline_kernelINS0_14default_configENS1_25partition_config_selectorILNS1_17partition_subalgoE8EiNS0_10empty_typeEbEEZZNS1_14partition_implILS5_8ELb0ES3_jPKiPS6_PKS6_NS0_5tupleIJPiS6_EEENSE_IJSB_SB_EEENS0_18inequality_wrapperIN6hipcub16HIPCUB_304000_NS8EqualityEEEPlJS6_EEE10hipError_tPvRmT3_T4_T5_T6_T7_T9_mT8_P12ihipStream_tbDpT10_ENKUlT_T0_E_clISt17integral_constantIbLb1EES17_EEDaS12_S13_EUlS12_E_NS1_11comp_targetILNS1_3genE4ELNS1_11target_archE910ELNS1_3gpuE8ELNS1_3repE0EEENS1_30default_config_static_selectorELNS0_4arch9wavefront6targetE1EEEvT1_
; %bb.0:
	.section	.rodata,"a",@progbits
	.p2align	6, 0x0
	.amdhsa_kernel _ZN7rocprim17ROCPRIM_400000_NS6detail17trampoline_kernelINS0_14default_configENS1_25partition_config_selectorILNS1_17partition_subalgoE8EiNS0_10empty_typeEbEEZZNS1_14partition_implILS5_8ELb0ES3_jPKiPS6_PKS6_NS0_5tupleIJPiS6_EEENSE_IJSB_SB_EEENS0_18inequality_wrapperIN6hipcub16HIPCUB_304000_NS8EqualityEEEPlJS6_EEE10hipError_tPvRmT3_T4_T5_T6_T7_T9_mT8_P12ihipStream_tbDpT10_ENKUlT_T0_E_clISt17integral_constantIbLb1EES17_EEDaS12_S13_EUlS12_E_NS1_11comp_targetILNS1_3genE4ELNS1_11target_archE910ELNS1_3gpuE8ELNS1_3repE0EEENS1_30default_config_static_selectorELNS0_4arch9wavefront6targetE1EEEvT1_
		.amdhsa_group_segment_fixed_size 0
		.amdhsa_private_segment_fixed_size 0
		.amdhsa_kernarg_size 128
		.amdhsa_user_sgpr_count 2
		.amdhsa_user_sgpr_dispatch_ptr 0
		.amdhsa_user_sgpr_queue_ptr 0
		.amdhsa_user_sgpr_kernarg_segment_ptr 1
		.amdhsa_user_sgpr_dispatch_id 0
		.amdhsa_user_sgpr_kernarg_preload_length 0
		.amdhsa_user_sgpr_kernarg_preload_offset 0
		.amdhsa_user_sgpr_private_segment_size 0
		.amdhsa_uses_dynamic_stack 0
		.amdhsa_enable_private_segment 0
		.amdhsa_system_sgpr_workgroup_id_x 1
		.amdhsa_system_sgpr_workgroup_id_y 0
		.amdhsa_system_sgpr_workgroup_id_z 0
		.amdhsa_system_sgpr_workgroup_info 0
		.amdhsa_system_vgpr_workitem_id 0
		.amdhsa_next_free_vgpr 1
		.amdhsa_next_free_sgpr 0
		.amdhsa_accum_offset 4
		.amdhsa_reserve_vcc 0
		.amdhsa_float_round_mode_32 0
		.amdhsa_float_round_mode_16_64 0
		.amdhsa_float_denorm_mode_32 3
		.amdhsa_float_denorm_mode_16_64 3
		.amdhsa_dx10_clamp 1
		.amdhsa_ieee_mode 1
		.amdhsa_fp16_overflow 0
		.amdhsa_tg_split 0
		.amdhsa_exception_fp_ieee_invalid_op 0
		.amdhsa_exception_fp_denorm_src 0
		.amdhsa_exception_fp_ieee_div_zero 0
		.amdhsa_exception_fp_ieee_overflow 0
		.amdhsa_exception_fp_ieee_underflow 0
		.amdhsa_exception_fp_ieee_inexact 0
		.amdhsa_exception_int_div_zero 0
	.end_amdhsa_kernel
	.section	.text._ZN7rocprim17ROCPRIM_400000_NS6detail17trampoline_kernelINS0_14default_configENS1_25partition_config_selectorILNS1_17partition_subalgoE8EiNS0_10empty_typeEbEEZZNS1_14partition_implILS5_8ELb0ES3_jPKiPS6_PKS6_NS0_5tupleIJPiS6_EEENSE_IJSB_SB_EEENS0_18inequality_wrapperIN6hipcub16HIPCUB_304000_NS8EqualityEEEPlJS6_EEE10hipError_tPvRmT3_T4_T5_T6_T7_T9_mT8_P12ihipStream_tbDpT10_ENKUlT_T0_E_clISt17integral_constantIbLb1EES17_EEDaS12_S13_EUlS12_E_NS1_11comp_targetILNS1_3genE4ELNS1_11target_archE910ELNS1_3gpuE8ELNS1_3repE0EEENS1_30default_config_static_selectorELNS0_4arch9wavefront6targetE1EEEvT1_,"axG",@progbits,_ZN7rocprim17ROCPRIM_400000_NS6detail17trampoline_kernelINS0_14default_configENS1_25partition_config_selectorILNS1_17partition_subalgoE8EiNS0_10empty_typeEbEEZZNS1_14partition_implILS5_8ELb0ES3_jPKiPS6_PKS6_NS0_5tupleIJPiS6_EEENSE_IJSB_SB_EEENS0_18inequality_wrapperIN6hipcub16HIPCUB_304000_NS8EqualityEEEPlJS6_EEE10hipError_tPvRmT3_T4_T5_T6_T7_T9_mT8_P12ihipStream_tbDpT10_ENKUlT_T0_E_clISt17integral_constantIbLb1EES17_EEDaS12_S13_EUlS12_E_NS1_11comp_targetILNS1_3genE4ELNS1_11target_archE910ELNS1_3gpuE8ELNS1_3repE0EEENS1_30default_config_static_selectorELNS0_4arch9wavefront6targetE1EEEvT1_,comdat
.Lfunc_end420:
	.size	_ZN7rocprim17ROCPRIM_400000_NS6detail17trampoline_kernelINS0_14default_configENS1_25partition_config_selectorILNS1_17partition_subalgoE8EiNS0_10empty_typeEbEEZZNS1_14partition_implILS5_8ELb0ES3_jPKiPS6_PKS6_NS0_5tupleIJPiS6_EEENSE_IJSB_SB_EEENS0_18inequality_wrapperIN6hipcub16HIPCUB_304000_NS8EqualityEEEPlJS6_EEE10hipError_tPvRmT3_T4_T5_T6_T7_T9_mT8_P12ihipStream_tbDpT10_ENKUlT_T0_E_clISt17integral_constantIbLb1EES17_EEDaS12_S13_EUlS12_E_NS1_11comp_targetILNS1_3genE4ELNS1_11target_archE910ELNS1_3gpuE8ELNS1_3repE0EEENS1_30default_config_static_selectorELNS0_4arch9wavefront6targetE1EEEvT1_, .Lfunc_end420-_ZN7rocprim17ROCPRIM_400000_NS6detail17trampoline_kernelINS0_14default_configENS1_25partition_config_selectorILNS1_17partition_subalgoE8EiNS0_10empty_typeEbEEZZNS1_14partition_implILS5_8ELb0ES3_jPKiPS6_PKS6_NS0_5tupleIJPiS6_EEENSE_IJSB_SB_EEENS0_18inequality_wrapperIN6hipcub16HIPCUB_304000_NS8EqualityEEEPlJS6_EEE10hipError_tPvRmT3_T4_T5_T6_T7_T9_mT8_P12ihipStream_tbDpT10_ENKUlT_T0_E_clISt17integral_constantIbLb1EES17_EEDaS12_S13_EUlS12_E_NS1_11comp_targetILNS1_3genE4ELNS1_11target_archE910ELNS1_3gpuE8ELNS1_3repE0EEENS1_30default_config_static_selectorELNS0_4arch9wavefront6targetE1EEEvT1_
                                        ; -- End function
	.section	.AMDGPU.csdata,"",@progbits
; Kernel info:
; codeLenInByte = 0
; NumSgprs: 6
; NumVgprs: 0
; NumAgprs: 0
; TotalNumVgprs: 0
; ScratchSize: 0
; MemoryBound: 0
; FloatMode: 240
; IeeeMode: 1
; LDSByteSize: 0 bytes/workgroup (compile time only)
; SGPRBlocks: 0
; VGPRBlocks: 0
; NumSGPRsForWavesPerEU: 6
; NumVGPRsForWavesPerEU: 1
; AccumOffset: 4
; Occupancy: 8
; WaveLimiterHint : 0
; COMPUTE_PGM_RSRC2:SCRATCH_EN: 0
; COMPUTE_PGM_RSRC2:USER_SGPR: 2
; COMPUTE_PGM_RSRC2:TRAP_HANDLER: 0
; COMPUTE_PGM_RSRC2:TGID_X_EN: 1
; COMPUTE_PGM_RSRC2:TGID_Y_EN: 0
; COMPUTE_PGM_RSRC2:TGID_Z_EN: 0
; COMPUTE_PGM_RSRC2:TIDIG_COMP_CNT: 0
; COMPUTE_PGM_RSRC3_GFX90A:ACCUM_OFFSET: 0
; COMPUTE_PGM_RSRC3_GFX90A:TG_SPLIT: 0
	.section	.text._ZN7rocprim17ROCPRIM_400000_NS6detail17trampoline_kernelINS0_14default_configENS1_25partition_config_selectorILNS1_17partition_subalgoE8EiNS0_10empty_typeEbEEZZNS1_14partition_implILS5_8ELb0ES3_jPKiPS6_PKS6_NS0_5tupleIJPiS6_EEENSE_IJSB_SB_EEENS0_18inequality_wrapperIN6hipcub16HIPCUB_304000_NS8EqualityEEEPlJS6_EEE10hipError_tPvRmT3_T4_T5_T6_T7_T9_mT8_P12ihipStream_tbDpT10_ENKUlT_T0_E_clISt17integral_constantIbLb1EES17_EEDaS12_S13_EUlS12_E_NS1_11comp_targetILNS1_3genE3ELNS1_11target_archE908ELNS1_3gpuE7ELNS1_3repE0EEENS1_30default_config_static_selectorELNS0_4arch9wavefront6targetE1EEEvT1_,"axG",@progbits,_ZN7rocprim17ROCPRIM_400000_NS6detail17trampoline_kernelINS0_14default_configENS1_25partition_config_selectorILNS1_17partition_subalgoE8EiNS0_10empty_typeEbEEZZNS1_14partition_implILS5_8ELb0ES3_jPKiPS6_PKS6_NS0_5tupleIJPiS6_EEENSE_IJSB_SB_EEENS0_18inequality_wrapperIN6hipcub16HIPCUB_304000_NS8EqualityEEEPlJS6_EEE10hipError_tPvRmT3_T4_T5_T6_T7_T9_mT8_P12ihipStream_tbDpT10_ENKUlT_T0_E_clISt17integral_constantIbLb1EES17_EEDaS12_S13_EUlS12_E_NS1_11comp_targetILNS1_3genE3ELNS1_11target_archE908ELNS1_3gpuE7ELNS1_3repE0EEENS1_30default_config_static_selectorELNS0_4arch9wavefront6targetE1EEEvT1_,comdat
	.protected	_ZN7rocprim17ROCPRIM_400000_NS6detail17trampoline_kernelINS0_14default_configENS1_25partition_config_selectorILNS1_17partition_subalgoE8EiNS0_10empty_typeEbEEZZNS1_14partition_implILS5_8ELb0ES3_jPKiPS6_PKS6_NS0_5tupleIJPiS6_EEENSE_IJSB_SB_EEENS0_18inequality_wrapperIN6hipcub16HIPCUB_304000_NS8EqualityEEEPlJS6_EEE10hipError_tPvRmT3_T4_T5_T6_T7_T9_mT8_P12ihipStream_tbDpT10_ENKUlT_T0_E_clISt17integral_constantIbLb1EES17_EEDaS12_S13_EUlS12_E_NS1_11comp_targetILNS1_3genE3ELNS1_11target_archE908ELNS1_3gpuE7ELNS1_3repE0EEENS1_30default_config_static_selectorELNS0_4arch9wavefront6targetE1EEEvT1_ ; -- Begin function _ZN7rocprim17ROCPRIM_400000_NS6detail17trampoline_kernelINS0_14default_configENS1_25partition_config_selectorILNS1_17partition_subalgoE8EiNS0_10empty_typeEbEEZZNS1_14partition_implILS5_8ELb0ES3_jPKiPS6_PKS6_NS0_5tupleIJPiS6_EEENSE_IJSB_SB_EEENS0_18inequality_wrapperIN6hipcub16HIPCUB_304000_NS8EqualityEEEPlJS6_EEE10hipError_tPvRmT3_T4_T5_T6_T7_T9_mT8_P12ihipStream_tbDpT10_ENKUlT_T0_E_clISt17integral_constantIbLb1EES17_EEDaS12_S13_EUlS12_E_NS1_11comp_targetILNS1_3genE3ELNS1_11target_archE908ELNS1_3gpuE7ELNS1_3repE0EEENS1_30default_config_static_selectorELNS0_4arch9wavefront6targetE1EEEvT1_
	.globl	_ZN7rocprim17ROCPRIM_400000_NS6detail17trampoline_kernelINS0_14default_configENS1_25partition_config_selectorILNS1_17partition_subalgoE8EiNS0_10empty_typeEbEEZZNS1_14partition_implILS5_8ELb0ES3_jPKiPS6_PKS6_NS0_5tupleIJPiS6_EEENSE_IJSB_SB_EEENS0_18inequality_wrapperIN6hipcub16HIPCUB_304000_NS8EqualityEEEPlJS6_EEE10hipError_tPvRmT3_T4_T5_T6_T7_T9_mT8_P12ihipStream_tbDpT10_ENKUlT_T0_E_clISt17integral_constantIbLb1EES17_EEDaS12_S13_EUlS12_E_NS1_11comp_targetILNS1_3genE3ELNS1_11target_archE908ELNS1_3gpuE7ELNS1_3repE0EEENS1_30default_config_static_selectorELNS0_4arch9wavefront6targetE1EEEvT1_
	.p2align	8
	.type	_ZN7rocprim17ROCPRIM_400000_NS6detail17trampoline_kernelINS0_14default_configENS1_25partition_config_selectorILNS1_17partition_subalgoE8EiNS0_10empty_typeEbEEZZNS1_14partition_implILS5_8ELb0ES3_jPKiPS6_PKS6_NS0_5tupleIJPiS6_EEENSE_IJSB_SB_EEENS0_18inequality_wrapperIN6hipcub16HIPCUB_304000_NS8EqualityEEEPlJS6_EEE10hipError_tPvRmT3_T4_T5_T6_T7_T9_mT8_P12ihipStream_tbDpT10_ENKUlT_T0_E_clISt17integral_constantIbLb1EES17_EEDaS12_S13_EUlS12_E_NS1_11comp_targetILNS1_3genE3ELNS1_11target_archE908ELNS1_3gpuE7ELNS1_3repE0EEENS1_30default_config_static_selectorELNS0_4arch9wavefront6targetE1EEEvT1_,@function
_ZN7rocprim17ROCPRIM_400000_NS6detail17trampoline_kernelINS0_14default_configENS1_25partition_config_selectorILNS1_17partition_subalgoE8EiNS0_10empty_typeEbEEZZNS1_14partition_implILS5_8ELb0ES3_jPKiPS6_PKS6_NS0_5tupleIJPiS6_EEENSE_IJSB_SB_EEENS0_18inequality_wrapperIN6hipcub16HIPCUB_304000_NS8EqualityEEEPlJS6_EEE10hipError_tPvRmT3_T4_T5_T6_T7_T9_mT8_P12ihipStream_tbDpT10_ENKUlT_T0_E_clISt17integral_constantIbLb1EES17_EEDaS12_S13_EUlS12_E_NS1_11comp_targetILNS1_3genE3ELNS1_11target_archE908ELNS1_3gpuE7ELNS1_3repE0EEENS1_30default_config_static_selectorELNS0_4arch9wavefront6targetE1EEEvT1_: ; @_ZN7rocprim17ROCPRIM_400000_NS6detail17trampoline_kernelINS0_14default_configENS1_25partition_config_selectorILNS1_17partition_subalgoE8EiNS0_10empty_typeEbEEZZNS1_14partition_implILS5_8ELb0ES3_jPKiPS6_PKS6_NS0_5tupleIJPiS6_EEENSE_IJSB_SB_EEENS0_18inequality_wrapperIN6hipcub16HIPCUB_304000_NS8EqualityEEEPlJS6_EEE10hipError_tPvRmT3_T4_T5_T6_T7_T9_mT8_P12ihipStream_tbDpT10_ENKUlT_T0_E_clISt17integral_constantIbLb1EES17_EEDaS12_S13_EUlS12_E_NS1_11comp_targetILNS1_3genE3ELNS1_11target_archE908ELNS1_3gpuE7ELNS1_3repE0EEENS1_30default_config_static_selectorELNS0_4arch9wavefront6targetE1EEEvT1_
; %bb.0:
	.section	.rodata,"a",@progbits
	.p2align	6, 0x0
	.amdhsa_kernel _ZN7rocprim17ROCPRIM_400000_NS6detail17trampoline_kernelINS0_14default_configENS1_25partition_config_selectorILNS1_17partition_subalgoE8EiNS0_10empty_typeEbEEZZNS1_14partition_implILS5_8ELb0ES3_jPKiPS6_PKS6_NS0_5tupleIJPiS6_EEENSE_IJSB_SB_EEENS0_18inequality_wrapperIN6hipcub16HIPCUB_304000_NS8EqualityEEEPlJS6_EEE10hipError_tPvRmT3_T4_T5_T6_T7_T9_mT8_P12ihipStream_tbDpT10_ENKUlT_T0_E_clISt17integral_constantIbLb1EES17_EEDaS12_S13_EUlS12_E_NS1_11comp_targetILNS1_3genE3ELNS1_11target_archE908ELNS1_3gpuE7ELNS1_3repE0EEENS1_30default_config_static_selectorELNS0_4arch9wavefront6targetE1EEEvT1_
		.amdhsa_group_segment_fixed_size 0
		.amdhsa_private_segment_fixed_size 0
		.amdhsa_kernarg_size 128
		.amdhsa_user_sgpr_count 2
		.amdhsa_user_sgpr_dispatch_ptr 0
		.amdhsa_user_sgpr_queue_ptr 0
		.amdhsa_user_sgpr_kernarg_segment_ptr 1
		.amdhsa_user_sgpr_dispatch_id 0
		.amdhsa_user_sgpr_kernarg_preload_length 0
		.amdhsa_user_sgpr_kernarg_preload_offset 0
		.amdhsa_user_sgpr_private_segment_size 0
		.amdhsa_uses_dynamic_stack 0
		.amdhsa_enable_private_segment 0
		.amdhsa_system_sgpr_workgroup_id_x 1
		.amdhsa_system_sgpr_workgroup_id_y 0
		.amdhsa_system_sgpr_workgroup_id_z 0
		.amdhsa_system_sgpr_workgroup_info 0
		.amdhsa_system_vgpr_workitem_id 0
		.amdhsa_next_free_vgpr 1
		.amdhsa_next_free_sgpr 0
		.amdhsa_accum_offset 4
		.amdhsa_reserve_vcc 0
		.amdhsa_float_round_mode_32 0
		.amdhsa_float_round_mode_16_64 0
		.amdhsa_float_denorm_mode_32 3
		.amdhsa_float_denorm_mode_16_64 3
		.amdhsa_dx10_clamp 1
		.amdhsa_ieee_mode 1
		.amdhsa_fp16_overflow 0
		.amdhsa_tg_split 0
		.amdhsa_exception_fp_ieee_invalid_op 0
		.amdhsa_exception_fp_denorm_src 0
		.amdhsa_exception_fp_ieee_div_zero 0
		.amdhsa_exception_fp_ieee_overflow 0
		.amdhsa_exception_fp_ieee_underflow 0
		.amdhsa_exception_fp_ieee_inexact 0
		.amdhsa_exception_int_div_zero 0
	.end_amdhsa_kernel
	.section	.text._ZN7rocprim17ROCPRIM_400000_NS6detail17trampoline_kernelINS0_14default_configENS1_25partition_config_selectorILNS1_17partition_subalgoE8EiNS0_10empty_typeEbEEZZNS1_14partition_implILS5_8ELb0ES3_jPKiPS6_PKS6_NS0_5tupleIJPiS6_EEENSE_IJSB_SB_EEENS0_18inequality_wrapperIN6hipcub16HIPCUB_304000_NS8EqualityEEEPlJS6_EEE10hipError_tPvRmT3_T4_T5_T6_T7_T9_mT8_P12ihipStream_tbDpT10_ENKUlT_T0_E_clISt17integral_constantIbLb1EES17_EEDaS12_S13_EUlS12_E_NS1_11comp_targetILNS1_3genE3ELNS1_11target_archE908ELNS1_3gpuE7ELNS1_3repE0EEENS1_30default_config_static_selectorELNS0_4arch9wavefront6targetE1EEEvT1_,"axG",@progbits,_ZN7rocprim17ROCPRIM_400000_NS6detail17trampoline_kernelINS0_14default_configENS1_25partition_config_selectorILNS1_17partition_subalgoE8EiNS0_10empty_typeEbEEZZNS1_14partition_implILS5_8ELb0ES3_jPKiPS6_PKS6_NS0_5tupleIJPiS6_EEENSE_IJSB_SB_EEENS0_18inequality_wrapperIN6hipcub16HIPCUB_304000_NS8EqualityEEEPlJS6_EEE10hipError_tPvRmT3_T4_T5_T6_T7_T9_mT8_P12ihipStream_tbDpT10_ENKUlT_T0_E_clISt17integral_constantIbLb1EES17_EEDaS12_S13_EUlS12_E_NS1_11comp_targetILNS1_3genE3ELNS1_11target_archE908ELNS1_3gpuE7ELNS1_3repE0EEENS1_30default_config_static_selectorELNS0_4arch9wavefront6targetE1EEEvT1_,comdat
.Lfunc_end421:
	.size	_ZN7rocprim17ROCPRIM_400000_NS6detail17trampoline_kernelINS0_14default_configENS1_25partition_config_selectorILNS1_17partition_subalgoE8EiNS0_10empty_typeEbEEZZNS1_14partition_implILS5_8ELb0ES3_jPKiPS6_PKS6_NS0_5tupleIJPiS6_EEENSE_IJSB_SB_EEENS0_18inequality_wrapperIN6hipcub16HIPCUB_304000_NS8EqualityEEEPlJS6_EEE10hipError_tPvRmT3_T4_T5_T6_T7_T9_mT8_P12ihipStream_tbDpT10_ENKUlT_T0_E_clISt17integral_constantIbLb1EES17_EEDaS12_S13_EUlS12_E_NS1_11comp_targetILNS1_3genE3ELNS1_11target_archE908ELNS1_3gpuE7ELNS1_3repE0EEENS1_30default_config_static_selectorELNS0_4arch9wavefront6targetE1EEEvT1_, .Lfunc_end421-_ZN7rocprim17ROCPRIM_400000_NS6detail17trampoline_kernelINS0_14default_configENS1_25partition_config_selectorILNS1_17partition_subalgoE8EiNS0_10empty_typeEbEEZZNS1_14partition_implILS5_8ELb0ES3_jPKiPS6_PKS6_NS0_5tupleIJPiS6_EEENSE_IJSB_SB_EEENS0_18inequality_wrapperIN6hipcub16HIPCUB_304000_NS8EqualityEEEPlJS6_EEE10hipError_tPvRmT3_T4_T5_T6_T7_T9_mT8_P12ihipStream_tbDpT10_ENKUlT_T0_E_clISt17integral_constantIbLb1EES17_EEDaS12_S13_EUlS12_E_NS1_11comp_targetILNS1_3genE3ELNS1_11target_archE908ELNS1_3gpuE7ELNS1_3repE0EEENS1_30default_config_static_selectorELNS0_4arch9wavefront6targetE1EEEvT1_
                                        ; -- End function
	.section	.AMDGPU.csdata,"",@progbits
; Kernel info:
; codeLenInByte = 0
; NumSgprs: 6
; NumVgprs: 0
; NumAgprs: 0
; TotalNumVgprs: 0
; ScratchSize: 0
; MemoryBound: 0
; FloatMode: 240
; IeeeMode: 1
; LDSByteSize: 0 bytes/workgroup (compile time only)
; SGPRBlocks: 0
; VGPRBlocks: 0
; NumSGPRsForWavesPerEU: 6
; NumVGPRsForWavesPerEU: 1
; AccumOffset: 4
; Occupancy: 8
; WaveLimiterHint : 0
; COMPUTE_PGM_RSRC2:SCRATCH_EN: 0
; COMPUTE_PGM_RSRC2:USER_SGPR: 2
; COMPUTE_PGM_RSRC2:TRAP_HANDLER: 0
; COMPUTE_PGM_RSRC2:TGID_X_EN: 1
; COMPUTE_PGM_RSRC2:TGID_Y_EN: 0
; COMPUTE_PGM_RSRC2:TGID_Z_EN: 0
; COMPUTE_PGM_RSRC2:TIDIG_COMP_CNT: 0
; COMPUTE_PGM_RSRC3_GFX90A:ACCUM_OFFSET: 0
; COMPUTE_PGM_RSRC3_GFX90A:TG_SPLIT: 0
	.section	.text._ZN7rocprim17ROCPRIM_400000_NS6detail17trampoline_kernelINS0_14default_configENS1_25partition_config_selectorILNS1_17partition_subalgoE8EiNS0_10empty_typeEbEEZZNS1_14partition_implILS5_8ELb0ES3_jPKiPS6_PKS6_NS0_5tupleIJPiS6_EEENSE_IJSB_SB_EEENS0_18inequality_wrapperIN6hipcub16HIPCUB_304000_NS8EqualityEEEPlJS6_EEE10hipError_tPvRmT3_T4_T5_T6_T7_T9_mT8_P12ihipStream_tbDpT10_ENKUlT_T0_E_clISt17integral_constantIbLb1EES17_EEDaS12_S13_EUlS12_E_NS1_11comp_targetILNS1_3genE2ELNS1_11target_archE906ELNS1_3gpuE6ELNS1_3repE0EEENS1_30default_config_static_selectorELNS0_4arch9wavefront6targetE1EEEvT1_,"axG",@progbits,_ZN7rocprim17ROCPRIM_400000_NS6detail17trampoline_kernelINS0_14default_configENS1_25partition_config_selectorILNS1_17partition_subalgoE8EiNS0_10empty_typeEbEEZZNS1_14partition_implILS5_8ELb0ES3_jPKiPS6_PKS6_NS0_5tupleIJPiS6_EEENSE_IJSB_SB_EEENS0_18inequality_wrapperIN6hipcub16HIPCUB_304000_NS8EqualityEEEPlJS6_EEE10hipError_tPvRmT3_T4_T5_T6_T7_T9_mT8_P12ihipStream_tbDpT10_ENKUlT_T0_E_clISt17integral_constantIbLb1EES17_EEDaS12_S13_EUlS12_E_NS1_11comp_targetILNS1_3genE2ELNS1_11target_archE906ELNS1_3gpuE6ELNS1_3repE0EEENS1_30default_config_static_selectorELNS0_4arch9wavefront6targetE1EEEvT1_,comdat
	.protected	_ZN7rocprim17ROCPRIM_400000_NS6detail17trampoline_kernelINS0_14default_configENS1_25partition_config_selectorILNS1_17partition_subalgoE8EiNS0_10empty_typeEbEEZZNS1_14partition_implILS5_8ELb0ES3_jPKiPS6_PKS6_NS0_5tupleIJPiS6_EEENSE_IJSB_SB_EEENS0_18inequality_wrapperIN6hipcub16HIPCUB_304000_NS8EqualityEEEPlJS6_EEE10hipError_tPvRmT3_T4_T5_T6_T7_T9_mT8_P12ihipStream_tbDpT10_ENKUlT_T0_E_clISt17integral_constantIbLb1EES17_EEDaS12_S13_EUlS12_E_NS1_11comp_targetILNS1_3genE2ELNS1_11target_archE906ELNS1_3gpuE6ELNS1_3repE0EEENS1_30default_config_static_selectorELNS0_4arch9wavefront6targetE1EEEvT1_ ; -- Begin function _ZN7rocprim17ROCPRIM_400000_NS6detail17trampoline_kernelINS0_14default_configENS1_25partition_config_selectorILNS1_17partition_subalgoE8EiNS0_10empty_typeEbEEZZNS1_14partition_implILS5_8ELb0ES3_jPKiPS6_PKS6_NS0_5tupleIJPiS6_EEENSE_IJSB_SB_EEENS0_18inequality_wrapperIN6hipcub16HIPCUB_304000_NS8EqualityEEEPlJS6_EEE10hipError_tPvRmT3_T4_T5_T6_T7_T9_mT8_P12ihipStream_tbDpT10_ENKUlT_T0_E_clISt17integral_constantIbLb1EES17_EEDaS12_S13_EUlS12_E_NS1_11comp_targetILNS1_3genE2ELNS1_11target_archE906ELNS1_3gpuE6ELNS1_3repE0EEENS1_30default_config_static_selectorELNS0_4arch9wavefront6targetE1EEEvT1_
	.globl	_ZN7rocprim17ROCPRIM_400000_NS6detail17trampoline_kernelINS0_14default_configENS1_25partition_config_selectorILNS1_17partition_subalgoE8EiNS0_10empty_typeEbEEZZNS1_14partition_implILS5_8ELb0ES3_jPKiPS6_PKS6_NS0_5tupleIJPiS6_EEENSE_IJSB_SB_EEENS0_18inequality_wrapperIN6hipcub16HIPCUB_304000_NS8EqualityEEEPlJS6_EEE10hipError_tPvRmT3_T4_T5_T6_T7_T9_mT8_P12ihipStream_tbDpT10_ENKUlT_T0_E_clISt17integral_constantIbLb1EES17_EEDaS12_S13_EUlS12_E_NS1_11comp_targetILNS1_3genE2ELNS1_11target_archE906ELNS1_3gpuE6ELNS1_3repE0EEENS1_30default_config_static_selectorELNS0_4arch9wavefront6targetE1EEEvT1_
	.p2align	8
	.type	_ZN7rocprim17ROCPRIM_400000_NS6detail17trampoline_kernelINS0_14default_configENS1_25partition_config_selectorILNS1_17partition_subalgoE8EiNS0_10empty_typeEbEEZZNS1_14partition_implILS5_8ELb0ES3_jPKiPS6_PKS6_NS0_5tupleIJPiS6_EEENSE_IJSB_SB_EEENS0_18inequality_wrapperIN6hipcub16HIPCUB_304000_NS8EqualityEEEPlJS6_EEE10hipError_tPvRmT3_T4_T5_T6_T7_T9_mT8_P12ihipStream_tbDpT10_ENKUlT_T0_E_clISt17integral_constantIbLb1EES17_EEDaS12_S13_EUlS12_E_NS1_11comp_targetILNS1_3genE2ELNS1_11target_archE906ELNS1_3gpuE6ELNS1_3repE0EEENS1_30default_config_static_selectorELNS0_4arch9wavefront6targetE1EEEvT1_,@function
_ZN7rocprim17ROCPRIM_400000_NS6detail17trampoline_kernelINS0_14default_configENS1_25partition_config_selectorILNS1_17partition_subalgoE8EiNS0_10empty_typeEbEEZZNS1_14partition_implILS5_8ELb0ES3_jPKiPS6_PKS6_NS0_5tupleIJPiS6_EEENSE_IJSB_SB_EEENS0_18inequality_wrapperIN6hipcub16HIPCUB_304000_NS8EqualityEEEPlJS6_EEE10hipError_tPvRmT3_T4_T5_T6_T7_T9_mT8_P12ihipStream_tbDpT10_ENKUlT_T0_E_clISt17integral_constantIbLb1EES17_EEDaS12_S13_EUlS12_E_NS1_11comp_targetILNS1_3genE2ELNS1_11target_archE906ELNS1_3gpuE6ELNS1_3repE0EEENS1_30default_config_static_selectorELNS0_4arch9wavefront6targetE1EEEvT1_: ; @_ZN7rocprim17ROCPRIM_400000_NS6detail17trampoline_kernelINS0_14default_configENS1_25partition_config_selectorILNS1_17partition_subalgoE8EiNS0_10empty_typeEbEEZZNS1_14partition_implILS5_8ELb0ES3_jPKiPS6_PKS6_NS0_5tupleIJPiS6_EEENSE_IJSB_SB_EEENS0_18inequality_wrapperIN6hipcub16HIPCUB_304000_NS8EqualityEEEPlJS6_EEE10hipError_tPvRmT3_T4_T5_T6_T7_T9_mT8_P12ihipStream_tbDpT10_ENKUlT_T0_E_clISt17integral_constantIbLb1EES17_EEDaS12_S13_EUlS12_E_NS1_11comp_targetILNS1_3genE2ELNS1_11target_archE906ELNS1_3gpuE6ELNS1_3repE0EEENS1_30default_config_static_selectorELNS0_4arch9wavefront6targetE1EEEvT1_
; %bb.0:
	.section	.rodata,"a",@progbits
	.p2align	6, 0x0
	.amdhsa_kernel _ZN7rocprim17ROCPRIM_400000_NS6detail17trampoline_kernelINS0_14default_configENS1_25partition_config_selectorILNS1_17partition_subalgoE8EiNS0_10empty_typeEbEEZZNS1_14partition_implILS5_8ELb0ES3_jPKiPS6_PKS6_NS0_5tupleIJPiS6_EEENSE_IJSB_SB_EEENS0_18inequality_wrapperIN6hipcub16HIPCUB_304000_NS8EqualityEEEPlJS6_EEE10hipError_tPvRmT3_T4_T5_T6_T7_T9_mT8_P12ihipStream_tbDpT10_ENKUlT_T0_E_clISt17integral_constantIbLb1EES17_EEDaS12_S13_EUlS12_E_NS1_11comp_targetILNS1_3genE2ELNS1_11target_archE906ELNS1_3gpuE6ELNS1_3repE0EEENS1_30default_config_static_selectorELNS0_4arch9wavefront6targetE1EEEvT1_
		.amdhsa_group_segment_fixed_size 0
		.amdhsa_private_segment_fixed_size 0
		.amdhsa_kernarg_size 128
		.amdhsa_user_sgpr_count 2
		.amdhsa_user_sgpr_dispatch_ptr 0
		.amdhsa_user_sgpr_queue_ptr 0
		.amdhsa_user_sgpr_kernarg_segment_ptr 1
		.amdhsa_user_sgpr_dispatch_id 0
		.amdhsa_user_sgpr_kernarg_preload_length 0
		.amdhsa_user_sgpr_kernarg_preload_offset 0
		.amdhsa_user_sgpr_private_segment_size 0
		.amdhsa_uses_dynamic_stack 0
		.amdhsa_enable_private_segment 0
		.amdhsa_system_sgpr_workgroup_id_x 1
		.amdhsa_system_sgpr_workgroup_id_y 0
		.amdhsa_system_sgpr_workgroup_id_z 0
		.amdhsa_system_sgpr_workgroup_info 0
		.amdhsa_system_vgpr_workitem_id 0
		.amdhsa_next_free_vgpr 1
		.amdhsa_next_free_sgpr 0
		.amdhsa_accum_offset 4
		.amdhsa_reserve_vcc 0
		.amdhsa_float_round_mode_32 0
		.amdhsa_float_round_mode_16_64 0
		.amdhsa_float_denorm_mode_32 3
		.amdhsa_float_denorm_mode_16_64 3
		.amdhsa_dx10_clamp 1
		.amdhsa_ieee_mode 1
		.amdhsa_fp16_overflow 0
		.amdhsa_tg_split 0
		.amdhsa_exception_fp_ieee_invalid_op 0
		.amdhsa_exception_fp_denorm_src 0
		.amdhsa_exception_fp_ieee_div_zero 0
		.amdhsa_exception_fp_ieee_overflow 0
		.amdhsa_exception_fp_ieee_underflow 0
		.amdhsa_exception_fp_ieee_inexact 0
		.amdhsa_exception_int_div_zero 0
	.end_amdhsa_kernel
	.section	.text._ZN7rocprim17ROCPRIM_400000_NS6detail17trampoline_kernelINS0_14default_configENS1_25partition_config_selectorILNS1_17partition_subalgoE8EiNS0_10empty_typeEbEEZZNS1_14partition_implILS5_8ELb0ES3_jPKiPS6_PKS6_NS0_5tupleIJPiS6_EEENSE_IJSB_SB_EEENS0_18inequality_wrapperIN6hipcub16HIPCUB_304000_NS8EqualityEEEPlJS6_EEE10hipError_tPvRmT3_T4_T5_T6_T7_T9_mT8_P12ihipStream_tbDpT10_ENKUlT_T0_E_clISt17integral_constantIbLb1EES17_EEDaS12_S13_EUlS12_E_NS1_11comp_targetILNS1_3genE2ELNS1_11target_archE906ELNS1_3gpuE6ELNS1_3repE0EEENS1_30default_config_static_selectorELNS0_4arch9wavefront6targetE1EEEvT1_,"axG",@progbits,_ZN7rocprim17ROCPRIM_400000_NS6detail17trampoline_kernelINS0_14default_configENS1_25partition_config_selectorILNS1_17partition_subalgoE8EiNS0_10empty_typeEbEEZZNS1_14partition_implILS5_8ELb0ES3_jPKiPS6_PKS6_NS0_5tupleIJPiS6_EEENSE_IJSB_SB_EEENS0_18inequality_wrapperIN6hipcub16HIPCUB_304000_NS8EqualityEEEPlJS6_EEE10hipError_tPvRmT3_T4_T5_T6_T7_T9_mT8_P12ihipStream_tbDpT10_ENKUlT_T0_E_clISt17integral_constantIbLb1EES17_EEDaS12_S13_EUlS12_E_NS1_11comp_targetILNS1_3genE2ELNS1_11target_archE906ELNS1_3gpuE6ELNS1_3repE0EEENS1_30default_config_static_selectorELNS0_4arch9wavefront6targetE1EEEvT1_,comdat
.Lfunc_end422:
	.size	_ZN7rocprim17ROCPRIM_400000_NS6detail17trampoline_kernelINS0_14default_configENS1_25partition_config_selectorILNS1_17partition_subalgoE8EiNS0_10empty_typeEbEEZZNS1_14partition_implILS5_8ELb0ES3_jPKiPS6_PKS6_NS0_5tupleIJPiS6_EEENSE_IJSB_SB_EEENS0_18inequality_wrapperIN6hipcub16HIPCUB_304000_NS8EqualityEEEPlJS6_EEE10hipError_tPvRmT3_T4_T5_T6_T7_T9_mT8_P12ihipStream_tbDpT10_ENKUlT_T0_E_clISt17integral_constantIbLb1EES17_EEDaS12_S13_EUlS12_E_NS1_11comp_targetILNS1_3genE2ELNS1_11target_archE906ELNS1_3gpuE6ELNS1_3repE0EEENS1_30default_config_static_selectorELNS0_4arch9wavefront6targetE1EEEvT1_, .Lfunc_end422-_ZN7rocprim17ROCPRIM_400000_NS6detail17trampoline_kernelINS0_14default_configENS1_25partition_config_selectorILNS1_17partition_subalgoE8EiNS0_10empty_typeEbEEZZNS1_14partition_implILS5_8ELb0ES3_jPKiPS6_PKS6_NS0_5tupleIJPiS6_EEENSE_IJSB_SB_EEENS0_18inequality_wrapperIN6hipcub16HIPCUB_304000_NS8EqualityEEEPlJS6_EEE10hipError_tPvRmT3_T4_T5_T6_T7_T9_mT8_P12ihipStream_tbDpT10_ENKUlT_T0_E_clISt17integral_constantIbLb1EES17_EEDaS12_S13_EUlS12_E_NS1_11comp_targetILNS1_3genE2ELNS1_11target_archE906ELNS1_3gpuE6ELNS1_3repE0EEENS1_30default_config_static_selectorELNS0_4arch9wavefront6targetE1EEEvT1_
                                        ; -- End function
	.section	.AMDGPU.csdata,"",@progbits
; Kernel info:
; codeLenInByte = 0
; NumSgprs: 6
; NumVgprs: 0
; NumAgprs: 0
; TotalNumVgprs: 0
; ScratchSize: 0
; MemoryBound: 0
; FloatMode: 240
; IeeeMode: 1
; LDSByteSize: 0 bytes/workgroup (compile time only)
; SGPRBlocks: 0
; VGPRBlocks: 0
; NumSGPRsForWavesPerEU: 6
; NumVGPRsForWavesPerEU: 1
; AccumOffset: 4
; Occupancy: 8
; WaveLimiterHint : 0
; COMPUTE_PGM_RSRC2:SCRATCH_EN: 0
; COMPUTE_PGM_RSRC2:USER_SGPR: 2
; COMPUTE_PGM_RSRC2:TRAP_HANDLER: 0
; COMPUTE_PGM_RSRC2:TGID_X_EN: 1
; COMPUTE_PGM_RSRC2:TGID_Y_EN: 0
; COMPUTE_PGM_RSRC2:TGID_Z_EN: 0
; COMPUTE_PGM_RSRC2:TIDIG_COMP_CNT: 0
; COMPUTE_PGM_RSRC3_GFX90A:ACCUM_OFFSET: 0
; COMPUTE_PGM_RSRC3_GFX90A:TG_SPLIT: 0
	.section	.text._ZN7rocprim17ROCPRIM_400000_NS6detail17trampoline_kernelINS0_14default_configENS1_25partition_config_selectorILNS1_17partition_subalgoE8EiNS0_10empty_typeEbEEZZNS1_14partition_implILS5_8ELb0ES3_jPKiPS6_PKS6_NS0_5tupleIJPiS6_EEENSE_IJSB_SB_EEENS0_18inequality_wrapperIN6hipcub16HIPCUB_304000_NS8EqualityEEEPlJS6_EEE10hipError_tPvRmT3_T4_T5_T6_T7_T9_mT8_P12ihipStream_tbDpT10_ENKUlT_T0_E_clISt17integral_constantIbLb1EES17_EEDaS12_S13_EUlS12_E_NS1_11comp_targetILNS1_3genE10ELNS1_11target_archE1200ELNS1_3gpuE4ELNS1_3repE0EEENS1_30default_config_static_selectorELNS0_4arch9wavefront6targetE1EEEvT1_,"axG",@progbits,_ZN7rocprim17ROCPRIM_400000_NS6detail17trampoline_kernelINS0_14default_configENS1_25partition_config_selectorILNS1_17partition_subalgoE8EiNS0_10empty_typeEbEEZZNS1_14partition_implILS5_8ELb0ES3_jPKiPS6_PKS6_NS0_5tupleIJPiS6_EEENSE_IJSB_SB_EEENS0_18inequality_wrapperIN6hipcub16HIPCUB_304000_NS8EqualityEEEPlJS6_EEE10hipError_tPvRmT3_T4_T5_T6_T7_T9_mT8_P12ihipStream_tbDpT10_ENKUlT_T0_E_clISt17integral_constantIbLb1EES17_EEDaS12_S13_EUlS12_E_NS1_11comp_targetILNS1_3genE10ELNS1_11target_archE1200ELNS1_3gpuE4ELNS1_3repE0EEENS1_30default_config_static_selectorELNS0_4arch9wavefront6targetE1EEEvT1_,comdat
	.protected	_ZN7rocprim17ROCPRIM_400000_NS6detail17trampoline_kernelINS0_14default_configENS1_25partition_config_selectorILNS1_17partition_subalgoE8EiNS0_10empty_typeEbEEZZNS1_14partition_implILS5_8ELb0ES3_jPKiPS6_PKS6_NS0_5tupleIJPiS6_EEENSE_IJSB_SB_EEENS0_18inequality_wrapperIN6hipcub16HIPCUB_304000_NS8EqualityEEEPlJS6_EEE10hipError_tPvRmT3_T4_T5_T6_T7_T9_mT8_P12ihipStream_tbDpT10_ENKUlT_T0_E_clISt17integral_constantIbLb1EES17_EEDaS12_S13_EUlS12_E_NS1_11comp_targetILNS1_3genE10ELNS1_11target_archE1200ELNS1_3gpuE4ELNS1_3repE0EEENS1_30default_config_static_selectorELNS0_4arch9wavefront6targetE1EEEvT1_ ; -- Begin function _ZN7rocprim17ROCPRIM_400000_NS6detail17trampoline_kernelINS0_14default_configENS1_25partition_config_selectorILNS1_17partition_subalgoE8EiNS0_10empty_typeEbEEZZNS1_14partition_implILS5_8ELb0ES3_jPKiPS6_PKS6_NS0_5tupleIJPiS6_EEENSE_IJSB_SB_EEENS0_18inequality_wrapperIN6hipcub16HIPCUB_304000_NS8EqualityEEEPlJS6_EEE10hipError_tPvRmT3_T4_T5_T6_T7_T9_mT8_P12ihipStream_tbDpT10_ENKUlT_T0_E_clISt17integral_constantIbLb1EES17_EEDaS12_S13_EUlS12_E_NS1_11comp_targetILNS1_3genE10ELNS1_11target_archE1200ELNS1_3gpuE4ELNS1_3repE0EEENS1_30default_config_static_selectorELNS0_4arch9wavefront6targetE1EEEvT1_
	.globl	_ZN7rocprim17ROCPRIM_400000_NS6detail17trampoline_kernelINS0_14default_configENS1_25partition_config_selectorILNS1_17partition_subalgoE8EiNS0_10empty_typeEbEEZZNS1_14partition_implILS5_8ELb0ES3_jPKiPS6_PKS6_NS0_5tupleIJPiS6_EEENSE_IJSB_SB_EEENS0_18inequality_wrapperIN6hipcub16HIPCUB_304000_NS8EqualityEEEPlJS6_EEE10hipError_tPvRmT3_T4_T5_T6_T7_T9_mT8_P12ihipStream_tbDpT10_ENKUlT_T0_E_clISt17integral_constantIbLb1EES17_EEDaS12_S13_EUlS12_E_NS1_11comp_targetILNS1_3genE10ELNS1_11target_archE1200ELNS1_3gpuE4ELNS1_3repE0EEENS1_30default_config_static_selectorELNS0_4arch9wavefront6targetE1EEEvT1_
	.p2align	8
	.type	_ZN7rocprim17ROCPRIM_400000_NS6detail17trampoline_kernelINS0_14default_configENS1_25partition_config_selectorILNS1_17partition_subalgoE8EiNS0_10empty_typeEbEEZZNS1_14partition_implILS5_8ELb0ES3_jPKiPS6_PKS6_NS0_5tupleIJPiS6_EEENSE_IJSB_SB_EEENS0_18inequality_wrapperIN6hipcub16HIPCUB_304000_NS8EqualityEEEPlJS6_EEE10hipError_tPvRmT3_T4_T5_T6_T7_T9_mT8_P12ihipStream_tbDpT10_ENKUlT_T0_E_clISt17integral_constantIbLb1EES17_EEDaS12_S13_EUlS12_E_NS1_11comp_targetILNS1_3genE10ELNS1_11target_archE1200ELNS1_3gpuE4ELNS1_3repE0EEENS1_30default_config_static_selectorELNS0_4arch9wavefront6targetE1EEEvT1_,@function
_ZN7rocprim17ROCPRIM_400000_NS6detail17trampoline_kernelINS0_14default_configENS1_25partition_config_selectorILNS1_17partition_subalgoE8EiNS0_10empty_typeEbEEZZNS1_14partition_implILS5_8ELb0ES3_jPKiPS6_PKS6_NS0_5tupleIJPiS6_EEENSE_IJSB_SB_EEENS0_18inequality_wrapperIN6hipcub16HIPCUB_304000_NS8EqualityEEEPlJS6_EEE10hipError_tPvRmT3_T4_T5_T6_T7_T9_mT8_P12ihipStream_tbDpT10_ENKUlT_T0_E_clISt17integral_constantIbLb1EES17_EEDaS12_S13_EUlS12_E_NS1_11comp_targetILNS1_3genE10ELNS1_11target_archE1200ELNS1_3gpuE4ELNS1_3repE0EEENS1_30default_config_static_selectorELNS0_4arch9wavefront6targetE1EEEvT1_: ; @_ZN7rocprim17ROCPRIM_400000_NS6detail17trampoline_kernelINS0_14default_configENS1_25partition_config_selectorILNS1_17partition_subalgoE8EiNS0_10empty_typeEbEEZZNS1_14partition_implILS5_8ELb0ES3_jPKiPS6_PKS6_NS0_5tupleIJPiS6_EEENSE_IJSB_SB_EEENS0_18inequality_wrapperIN6hipcub16HIPCUB_304000_NS8EqualityEEEPlJS6_EEE10hipError_tPvRmT3_T4_T5_T6_T7_T9_mT8_P12ihipStream_tbDpT10_ENKUlT_T0_E_clISt17integral_constantIbLb1EES17_EEDaS12_S13_EUlS12_E_NS1_11comp_targetILNS1_3genE10ELNS1_11target_archE1200ELNS1_3gpuE4ELNS1_3repE0EEENS1_30default_config_static_selectorELNS0_4arch9wavefront6targetE1EEEvT1_
; %bb.0:
	.section	.rodata,"a",@progbits
	.p2align	6, 0x0
	.amdhsa_kernel _ZN7rocprim17ROCPRIM_400000_NS6detail17trampoline_kernelINS0_14default_configENS1_25partition_config_selectorILNS1_17partition_subalgoE8EiNS0_10empty_typeEbEEZZNS1_14partition_implILS5_8ELb0ES3_jPKiPS6_PKS6_NS0_5tupleIJPiS6_EEENSE_IJSB_SB_EEENS0_18inequality_wrapperIN6hipcub16HIPCUB_304000_NS8EqualityEEEPlJS6_EEE10hipError_tPvRmT3_T4_T5_T6_T7_T9_mT8_P12ihipStream_tbDpT10_ENKUlT_T0_E_clISt17integral_constantIbLb1EES17_EEDaS12_S13_EUlS12_E_NS1_11comp_targetILNS1_3genE10ELNS1_11target_archE1200ELNS1_3gpuE4ELNS1_3repE0EEENS1_30default_config_static_selectorELNS0_4arch9wavefront6targetE1EEEvT1_
		.amdhsa_group_segment_fixed_size 0
		.amdhsa_private_segment_fixed_size 0
		.amdhsa_kernarg_size 128
		.amdhsa_user_sgpr_count 2
		.amdhsa_user_sgpr_dispatch_ptr 0
		.amdhsa_user_sgpr_queue_ptr 0
		.amdhsa_user_sgpr_kernarg_segment_ptr 1
		.amdhsa_user_sgpr_dispatch_id 0
		.amdhsa_user_sgpr_kernarg_preload_length 0
		.amdhsa_user_sgpr_kernarg_preload_offset 0
		.amdhsa_user_sgpr_private_segment_size 0
		.amdhsa_uses_dynamic_stack 0
		.amdhsa_enable_private_segment 0
		.amdhsa_system_sgpr_workgroup_id_x 1
		.amdhsa_system_sgpr_workgroup_id_y 0
		.amdhsa_system_sgpr_workgroup_id_z 0
		.amdhsa_system_sgpr_workgroup_info 0
		.amdhsa_system_vgpr_workitem_id 0
		.amdhsa_next_free_vgpr 1
		.amdhsa_next_free_sgpr 0
		.amdhsa_accum_offset 4
		.amdhsa_reserve_vcc 0
		.amdhsa_float_round_mode_32 0
		.amdhsa_float_round_mode_16_64 0
		.amdhsa_float_denorm_mode_32 3
		.amdhsa_float_denorm_mode_16_64 3
		.amdhsa_dx10_clamp 1
		.amdhsa_ieee_mode 1
		.amdhsa_fp16_overflow 0
		.amdhsa_tg_split 0
		.amdhsa_exception_fp_ieee_invalid_op 0
		.amdhsa_exception_fp_denorm_src 0
		.amdhsa_exception_fp_ieee_div_zero 0
		.amdhsa_exception_fp_ieee_overflow 0
		.amdhsa_exception_fp_ieee_underflow 0
		.amdhsa_exception_fp_ieee_inexact 0
		.amdhsa_exception_int_div_zero 0
	.end_amdhsa_kernel
	.section	.text._ZN7rocprim17ROCPRIM_400000_NS6detail17trampoline_kernelINS0_14default_configENS1_25partition_config_selectorILNS1_17partition_subalgoE8EiNS0_10empty_typeEbEEZZNS1_14partition_implILS5_8ELb0ES3_jPKiPS6_PKS6_NS0_5tupleIJPiS6_EEENSE_IJSB_SB_EEENS0_18inequality_wrapperIN6hipcub16HIPCUB_304000_NS8EqualityEEEPlJS6_EEE10hipError_tPvRmT3_T4_T5_T6_T7_T9_mT8_P12ihipStream_tbDpT10_ENKUlT_T0_E_clISt17integral_constantIbLb1EES17_EEDaS12_S13_EUlS12_E_NS1_11comp_targetILNS1_3genE10ELNS1_11target_archE1200ELNS1_3gpuE4ELNS1_3repE0EEENS1_30default_config_static_selectorELNS0_4arch9wavefront6targetE1EEEvT1_,"axG",@progbits,_ZN7rocprim17ROCPRIM_400000_NS6detail17trampoline_kernelINS0_14default_configENS1_25partition_config_selectorILNS1_17partition_subalgoE8EiNS0_10empty_typeEbEEZZNS1_14partition_implILS5_8ELb0ES3_jPKiPS6_PKS6_NS0_5tupleIJPiS6_EEENSE_IJSB_SB_EEENS0_18inequality_wrapperIN6hipcub16HIPCUB_304000_NS8EqualityEEEPlJS6_EEE10hipError_tPvRmT3_T4_T5_T6_T7_T9_mT8_P12ihipStream_tbDpT10_ENKUlT_T0_E_clISt17integral_constantIbLb1EES17_EEDaS12_S13_EUlS12_E_NS1_11comp_targetILNS1_3genE10ELNS1_11target_archE1200ELNS1_3gpuE4ELNS1_3repE0EEENS1_30default_config_static_selectorELNS0_4arch9wavefront6targetE1EEEvT1_,comdat
.Lfunc_end423:
	.size	_ZN7rocprim17ROCPRIM_400000_NS6detail17trampoline_kernelINS0_14default_configENS1_25partition_config_selectorILNS1_17partition_subalgoE8EiNS0_10empty_typeEbEEZZNS1_14partition_implILS5_8ELb0ES3_jPKiPS6_PKS6_NS0_5tupleIJPiS6_EEENSE_IJSB_SB_EEENS0_18inequality_wrapperIN6hipcub16HIPCUB_304000_NS8EqualityEEEPlJS6_EEE10hipError_tPvRmT3_T4_T5_T6_T7_T9_mT8_P12ihipStream_tbDpT10_ENKUlT_T0_E_clISt17integral_constantIbLb1EES17_EEDaS12_S13_EUlS12_E_NS1_11comp_targetILNS1_3genE10ELNS1_11target_archE1200ELNS1_3gpuE4ELNS1_3repE0EEENS1_30default_config_static_selectorELNS0_4arch9wavefront6targetE1EEEvT1_, .Lfunc_end423-_ZN7rocprim17ROCPRIM_400000_NS6detail17trampoline_kernelINS0_14default_configENS1_25partition_config_selectorILNS1_17partition_subalgoE8EiNS0_10empty_typeEbEEZZNS1_14partition_implILS5_8ELb0ES3_jPKiPS6_PKS6_NS0_5tupleIJPiS6_EEENSE_IJSB_SB_EEENS0_18inequality_wrapperIN6hipcub16HIPCUB_304000_NS8EqualityEEEPlJS6_EEE10hipError_tPvRmT3_T4_T5_T6_T7_T9_mT8_P12ihipStream_tbDpT10_ENKUlT_T0_E_clISt17integral_constantIbLb1EES17_EEDaS12_S13_EUlS12_E_NS1_11comp_targetILNS1_3genE10ELNS1_11target_archE1200ELNS1_3gpuE4ELNS1_3repE0EEENS1_30default_config_static_selectorELNS0_4arch9wavefront6targetE1EEEvT1_
                                        ; -- End function
	.section	.AMDGPU.csdata,"",@progbits
; Kernel info:
; codeLenInByte = 0
; NumSgprs: 6
; NumVgprs: 0
; NumAgprs: 0
; TotalNumVgprs: 0
; ScratchSize: 0
; MemoryBound: 0
; FloatMode: 240
; IeeeMode: 1
; LDSByteSize: 0 bytes/workgroup (compile time only)
; SGPRBlocks: 0
; VGPRBlocks: 0
; NumSGPRsForWavesPerEU: 6
; NumVGPRsForWavesPerEU: 1
; AccumOffset: 4
; Occupancy: 8
; WaveLimiterHint : 0
; COMPUTE_PGM_RSRC2:SCRATCH_EN: 0
; COMPUTE_PGM_RSRC2:USER_SGPR: 2
; COMPUTE_PGM_RSRC2:TRAP_HANDLER: 0
; COMPUTE_PGM_RSRC2:TGID_X_EN: 1
; COMPUTE_PGM_RSRC2:TGID_Y_EN: 0
; COMPUTE_PGM_RSRC2:TGID_Z_EN: 0
; COMPUTE_PGM_RSRC2:TIDIG_COMP_CNT: 0
; COMPUTE_PGM_RSRC3_GFX90A:ACCUM_OFFSET: 0
; COMPUTE_PGM_RSRC3_GFX90A:TG_SPLIT: 0
	.section	.text._ZN7rocprim17ROCPRIM_400000_NS6detail17trampoline_kernelINS0_14default_configENS1_25partition_config_selectorILNS1_17partition_subalgoE8EiNS0_10empty_typeEbEEZZNS1_14partition_implILS5_8ELb0ES3_jPKiPS6_PKS6_NS0_5tupleIJPiS6_EEENSE_IJSB_SB_EEENS0_18inequality_wrapperIN6hipcub16HIPCUB_304000_NS8EqualityEEEPlJS6_EEE10hipError_tPvRmT3_T4_T5_T6_T7_T9_mT8_P12ihipStream_tbDpT10_ENKUlT_T0_E_clISt17integral_constantIbLb1EES17_EEDaS12_S13_EUlS12_E_NS1_11comp_targetILNS1_3genE9ELNS1_11target_archE1100ELNS1_3gpuE3ELNS1_3repE0EEENS1_30default_config_static_selectorELNS0_4arch9wavefront6targetE1EEEvT1_,"axG",@progbits,_ZN7rocprim17ROCPRIM_400000_NS6detail17trampoline_kernelINS0_14default_configENS1_25partition_config_selectorILNS1_17partition_subalgoE8EiNS0_10empty_typeEbEEZZNS1_14partition_implILS5_8ELb0ES3_jPKiPS6_PKS6_NS0_5tupleIJPiS6_EEENSE_IJSB_SB_EEENS0_18inequality_wrapperIN6hipcub16HIPCUB_304000_NS8EqualityEEEPlJS6_EEE10hipError_tPvRmT3_T4_T5_T6_T7_T9_mT8_P12ihipStream_tbDpT10_ENKUlT_T0_E_clISt17integral_constantIbLb1EES17_EEDaS12_S13_EUlS12_E_NS1_11comp_targetILNS1_3genE9ELNS1_11target_archE1100ELNS1_3gpuE3ELNS1_3repE0EEENS1_30default_config_static_selectorELNS0_4arch9wavefront6targetE1EEEvT1_,comdat
	.protected	_ZN7rocprim17ROCPRIM_400000_NS6detail17trampoline_kernelINS0_14default_configENS1_25partition_config_selectorILNS1_17partition_subalgoE8EiNS0_10empty_typeEbEEZZNS1_14partition_implILS5_8ELb0ES3_jPKiPS6_PKS6_NS0_5tupleIJPiS6_EEENSE_IJSB_SB_EEENS0_18inequality_wrapperIN6hipcub16HIPCUB_304000_NS8EqualityEEEPlJS6_EEE10hipError_tPvRmT3_T4_T5_T6_T7_T9_mT8_P12ihipStream_tbDpT10_ENKUlT_T0_E_clISt17integral_constantIbLb1EES17_EEDaS12_S13_EUlS12_E_NS1_11comp_targetILNS1_3genE9ELNS1_11target_archE1100ELNS1_3gpuE3ELNS1_3repE0EEENS1_30default_config_static_selectorELNS0_4arch9wavefront6targetE1EEEvT1_ ; -- Begin function _ZN7rocprim17ROCPRIM_400000_NS6detail17trampoline_kernelINS0_14default_configENS1_25partition_config_selectorILNS1_17partition_subalgoE8EiNS0_10empty_typeEbEEZZNS1_14partition_implILS5_8ELb0ES3_jPKiPS6_PKS6_NS0_5tupleIJPiS6_EEENSE_IJSB_SB_EEENS0_18inequality_wrapperIN6hipcub16HIPCUB_304000_NS8EqualityEEEPlJS6_EEE10hipError_tPvRmT3_T4_T5_T6_T7_T9_mT8_P12ihipStream_tbDpT10_ENKUlT_T0_E_clISt17integral_constantIbLb1EES17_EEDaS12_S13_EUlS12_E_NS1_11comp_targetILNS1_3genE9ELNS1_11target_archE1100ELNS1_3gpuE3ELNS1_3repE0EEENS1_30default_config_static_selectorELNS0_4arch9wavefront6targetE1EEEvT1_
	.globl	_ZN7rocprim17ROCPRIM_400000_NS6detail17trampoline_kernelINS0_14default_configENS1_25partition_config_selectorILNS1_17partition_subalgoE8EiNS0_10empty_typeEbEEZZNS1_14partition_implILS5_8ELb0ES3_jPKiPS6_PKS6_NS0_5tupleIJPiS6_EEENSE_IJSB_SB_EEENS0_18inequality_wrapperIN6hipcub16HIPCUB_304000_NS8EqualityEEEPlJS6_EEE10hipError_tPvRmT3_T4_T5_T6_T7_T9_mT8_P12ihipStream_tbDpT10_ENKUlT_T0_E_clISt17integral_constantIbLb1EES17_EEDaS12_S13_EUlS12_E_NS1_11comp_targetILNS1_3genE9ELNS1_11target_archE1100ELNS1_3gpuE3ELNS1_3repE0EEENS1_30default_config_static_selectorELNS0_4arch9wavefront6targetE1EEEvT1_
	.p2align	8
	.type	_ZN7rocprim17ROCPRIM_400000_NS6detail17trampoline_kernelINS0_14default_configENS1_25partition_config_selectorILNS1_17partition_subalgoE8EiNS0_10empty_typeEbEEZZNS1_14partition_implILS5_8ELb0ES3_jPKiPS6_PKS6_NS0_5tupleIJPiS6_EEENSE_IJSB_SB_EEENS0_18inequality_wrapperIN6hipcub16HIPCUB_304000_NS8EqualityEEEPlJS6_EEE10hipError_tPvRmT3_T4_T5_T6_T7_T9_mT8_P12ihipStream_tbDpT10_ENKUlT_T0_E_clISt17integral_constantIbLb1EES17_EEDaS12_S13_EUlS12_E_NS1_11comp_targetILNS1_3genE9ELNS1_11target_archE1100ELNS1_3gpuE3ELNS1_3repE0EEENS1_30default_config_static_selectorELNS0_4arch9wavefront6targetE1EEEvT1_,@function
_ZN7rocprim17ROCPRIM_400000_NS6detail17trampoline_kernelINS0_14default_configENS1_25partition_config_selectorILNS1_17partition_subalgoE8EiNS0_10empty_typeEbEEZZNS1_14partition_implILS5_8ELb0ES3_jPKiPS6_PKS6_NS0_5tupleIJPiS6_EEENSE_IJSB_SB_EEENS0_18inequality_wrapperIN6hipcub16HIPCUB_304000_NS8EqualityEEEPlJS6_EEE10hipError_tPvRmT3_T4_T5_T6_T7_T9_mT8_P12ihipStream_tbDpT10_ENKUlT_T0_E_clISt17integral_constantIbLb1EES17_EEDaS12_S13_EUlS12_E_NS1_11comp_targetILNS1_3genE9ELNS1_11target_archE1100ELNS1_3gpuE3ELNS1_3repE0EEENS1_30default_config_static_selectorELNS0_4arch9wavefront6targetE1EEEvT1_: ; @_ZN7rocprim17ROCPRIM_400000_NS6detail17trampoline_kernelINS0_14default_configENS1_25partition_config_selectorILNS1_17partition_subalgoE8EiNS0_10empty_typeEbEEZZNS1_14partition_implILS5_8ELb0ES3_jPKiPS6_PKS6_NS0_5tupleIJPiS6_EEENSE_IJSB_SB_EEENS0_18inequality_wrapperIN6hipcub16HIPCUB_304000_NS8EqualityEEEPlJS6_EEE10hipError_tPvRmT3_T4_T5_T6_T7_T9_mT8_P12ihipStream_tbDpT10_ENKUlT_T0_E_clISt17integral_constantIbLb1EES17_EEDaS12_S13_EUlS12_E_NS1_11comp_targetILNS1_3genE9ELNS1_11target_archE1100ELNS1_3gpuE3ELNS1_3repE0EEENS1_30default_config_static_selectorELNS0_4arch9wavefront6targetE1EEEvT1_
; %bb.0:
	.section	.rodata,"a",@progbits
	.p2align	6, 0x0
	.amdhsa_kernel _ZN7rocprim17ROCPRIM_400000_NS6detail17trampoline_kernelINS0_14default_configENS1_25partition_config_selectorILNS1_17partition_subalgoE8EiNS0_10empty_typeEbEEZZNS1_14partition_implILS5_8ELb0ES3_jPKiPS6_PKS6_NS0_5tupleIJPiS6_EEENSE_IJSB_SB_EEENS0_18inequality_wrapperIN6hipcub16HIPCUB_304000_NS8EqualityEEEPlJS6_EEE10hipError_tPvRmT3_T4_T5_T6_T7_T9_mT8_P12ihipStream_tbDpT10_ENKUlT_T0_E_clISt17integral_constantIbLb1EES17_EEDaS12_S13_EUlS12_E_NS1_11comp_targetILNS1_3genE9ELNS1_11target_archE1100ELNS1_3gpuE3ELNS1_3repE0EEENS1_30default_config_static_selectorELNS0_4arch9wavefront6targetE1EEEvT1_
		.amdhsa_group_segment_fixed_size 0
		.amdhsa_private_segment_fixed_size 0
		.amdhsa_kernarg_size 128
		.amdhsa_user_sgpr_count 2
		.amdhsa_user_sgpr_dispatch_ptr 0
		.amdhsa_user_sgpr_queue_ptr 0
		.amdhsa_user_sgpr_kernarg_segment_ptr 1
		.amdhsa_user_sgpr_dispatch_id 0
		.amdhsa_user_sgpr_kernarg_preload_length 0
		.amdhsa_user_sgpr_kernarg_preload_offset 0
		.amdhsa_user_sgpr_private_segment_size 0
		.amdhsa_uses_dynamic_stack 0
		.amdhsa_enable_private_segment 0
		.amdhsa_system_sgpr_workgroup_id_x 1
		.amdhsa_system_sgpr_workgroup_id_y 0
		.amdhsa_system_sgpr_workgroup_id_z 0
		.amdhsa_system_sgpr_workgroup_info 0
		.amdhsa_system_vgpr_workitem_id 0
		.amdhsa_next_free_vgpr 1
		.amdhsa_next_free_sgpr 0
		.amdhsa_accum_offset 4
		.amdhsa_reserve_vcc 0
		.amdhsa_float_round_mode_32 0
		.amdhsa_float_round_mode_16_64 0
		.amdhsa_float_denorm_mode_32 3
		.amdhsa_float_denorm_mode_16_64 3
		.amdhsa_dx10_clamp 1
		.amdhsa_ieee_mode 1
		.amdhsa_fp16_overflow 0
		.amdhsa_tg_split 0
		.amdhsa_exception_fp_ieee_invalid_op 0
		.amdhsa_exception_fp_denorm_src 0
		.amdhsa_exception_fp_ieee_div_zero 0
		.amdhsa_exception_fp_ieee_overflow 0
		.amdhsa_exception_fp_ieee_underflow 0
		.amdhsa_exception_fp_ieee_inexact 0
		.amdhsa_exception_int_div_zero 0
	.end_amdhsa_kernel
	.section	.text._ZN7rocprim17ROCPRIM_400000_NS6detail17trampoline_kernelINS0_14default_configENS1_25partition_config_selectorILNS1_17partition_subalgoE8EiNS0_10empty_typeEbEEZZNS1_14partition_implILS5_8ELb0ES3_jPKiPS6_PKS6_NS0_5tupleIJPiS6_EEENSE_IJSB_SB_EEENS0_18inequality_wrapperIN6hipcub16HIPCUB_304000_NS8EqualityEEEPlJS6_EEE10hipError_tPvRmT3_T4_T5_T6_T7_T9_mT8_P12ihipStream_tbDpT10_ENKUlT_T0_E_clISt17integral_constantIbLb1EES17_EEDaS12_S13_EUlS12_E_NS1_11comp_targetILNS1_3genE9ELNS1_11target_archE1100ELNS1_3gpuE3ELNS1_3repE0EEENS1_30default_config_static_selectorELNS0_4arch9wavefront6targetE1EEEvT1_,"axG",@progbits,_ZN7rocprim17ROCPRIM_400000_NS6detail17trampoline_kernelINS0_14default_configENS1_25partition_config_selectorILNS1_17partition_subalgoE8EiNS0_10empty_typeEbEEZZNS1_14partition_implILS5_8ELb0ES3_jPKiPS6_PKS6_NS0_5tupleIJPiS6_EEENSE_IJSB_SB_EEENS0_18inequality_wrapperIN6hipcub16HIPCUB_304000_NS8EqualityEEEPlJS6_EEE10hipError_tPvRmT3_T4_T5_T6_T7_T9_mT8_P12ihipStream_tbDpT10_ENKUlT_T0_E_clISt17integral_constantIbLb1EES17_EEDaS12_S13_EUlS12_E_NS1_11comp_targetILNS1_3genE9ELNS1_11target_archE1100ELNS1_3gpuE3ELNS1_3repE0EEENS1_30default_config_static_selectorELNS0_4arch9wavefront6targetE1EEEvT1_,comdat
.Lfunc_end424:
	.size	_ZN7rocprim17ROCPRIM_400000_NS6detail17trampoline_kernelINS0_14default_configENS1_25partition_config_selectorILNS1_17partition_subalgoE8EiNS0_10empty_typeEbEEZZNS1_14partition_implILS5_8ELb0ES3_jPKiPS6_PKS6_NS0_5tupleIJPiS6_EEENSE_IJSB_SB_EEENS0_18inequality_wrapperIN6hipcub16HIPCUB_304000_NS8EqualityEEEPlJS6_EEE10hipError_tPvRmT3_T4_T5_T6_T7_T9_mT8_P12ihipStream_tbDpT10_ENKUlT_T0_E_clISt17integral_constantIbLb1EES17_EEDaS12_S13_EUlS12_E_NS1_11comp_targetILNS1_3genE9ELNS1_11target_archE1100ELNS1_3gpuE3ELNS1_3repE0EEENS1_30default_config_static_selectorELNS0_4arch9wavefront6targetE1EEEvT1_, .Lfunc_end424-_ZN7rocprim17ROCPRIM_400000_NS6detail17trampoline_kernelINS0_14default_configENS1_25partition_config_selectorILNS1_17partition_subalgoE8EiNS0_10empty_typeEbEEZZNS1_14partition_implILS5_8ELb0ES3_jPKiPS6_PKS6_NS0_5tupleIJPiS6_EEENSE_IJSB_SB_EEENS0_18inequality_wrapperIN6hipcub16HIPCUB_304000_NS8EqualityEEEPlJS6_EEE10hipError_tPvRmT3_T4_T5_T6_T7_T9_mT8_P12ihipStream_tbDpT10_ENKUlT_T0_E_clISt17integral_constantIbLb1EES17_EEDaS12_S13_EUlS12_E_NS1_11comp_targetILNS1_3genE9ELNS1_11target_archE1100ELNS1_3gpuE3ELNS1_3repE0EEENS1_30default_config_static_selectorELNS0_4arch9wavefront6targetE1EEEvT1_
                                        ; -- End function
	.section	.AMDGPU.csdata,"",@progbits
; Kernel info:
; codeLenInByte = 0
; NumSgprs: 6
; NumVgprs: 0
; NumAgprs: 0
; TotalNumVgprs: 0
; ScratchSize: 0
; MemoryBound: 0
; FloatMode: 240
; IeeeMode: 1
; LDSByteSize: 0 bytes/workgroup (compile time only)
; SGPRBlocks: 0
; VGPRBlocks: 0
; NumSGPRsForWavesPerEU: 6
; NumVGPRsForWavesPerEU: 1
; AccumOffset: 4
; Occupancy: 8
; WaveLimiterHint : 0
; COMPUTE_PGM_RSRC2:SCRATCH_EN: 0
; COMPUTE_PGM_RSRC2:USER_SGPR: 2
; COMPUTE_PGM_RSRC2:TRAP_HANDLER: 0
; COMPUTE_PGM_RSRC2:TGID_X_EN: 1
; COMPUTE_PGM_RSRC2:TGID_Y_EN: 0
; COMPUTE_PGM_RSRC2:TGID_Z_EN: 0
; COMPUTE_PGM_RSRC2:TIDIG_COMP_CNT: 0
; COMPUTE_PGM_RSRC3_GFX90A:ACCUM_OFFSET: 0
; COMPUTE_PGM_RSRC3_GFX90A:TG_SPLIT: 0
	.section	.text._ZN7rocprim17ROCPRIM_400000_NS6detail17trampoline_kernelINS0_14default_configENS1_25partition_config_selectorILNS1_17partition_subalgoE8EiNS0_10empty_typeEbEEZZNS1_14partition_implILS5_8ELb0ES3_jPKiPS6_PKS6_NS0_5tupleIJPiS6_EEENSE_IJSB_SB_EEENS0_18inequality_wrapperIN6hipcub16HIPCUB_304000_NS8EqualityEEEPlJS6_EEE10hipError_tPvRmT3_T4_T5_T6_T7_T9_mT8_P12ihipStream_tbDpT10_ENKUlT_T0_E_clISt17integral_constantIbLb1EES17_EEDaS12_S13_EUlS12_E_NS1_11comp_targetILNS1_3genE8ELNS1_11target_archE1030ELNS1_3gpuE2ELNS1_3repE0EEENS1_30default_config_static_selectorELNS0_4arch9wavefront6targetE1EEEvT1_,"axG",@progbits,_ZN7rocprim17ROCPRIM_400000_NS6detail17trampoline_kernelINS0_14default_configENS1_25partition_config_selectorILNS1_17partition_subalgoE8EiNS0_10empty_typeEbEEZZNS1_14partition_implILS5_8ELb0ES3_jPKiPS6_PKS6_NS0_5tupleIJPiS6_EEENSE_IJSB_SB_EEENS0_18inequality_wrapperIN6hipcub16HIPCUB_304000_NS8EqualityEEEPlJS6_EEE10hipError_tPvRmT3_T4_T5_T6_T7_T9_mT8_P12ihipStream_tbDpT10_ENKUlT_T0_E_clISt17integral_constantIbLb1EES17_EEDaS12_S13_EUlS12_E_NS1_11comp_targetILNS1_3genE8ELNS1_11target_archE1030ELNS1_3gpuE2ELNS1_3repE0EEENS1_30default_config_static_selectorELNS0_4arch9wavefront6targetE1EEEvT1_,comdat
	.protected	_ZN7rocprim17ROCPRIM_400000_NS6detail17trampoline_kernelINS0_14default_configENS1_25partition_config_selectorILNS1_17partition_subalgoE8EiNS0_10empty_typeEbEEZZNS1_14partition_implILS5_8ELb0ES3_jPKiPS6_PKS6_NS0_5tupleIJPiS6_EEENSE_IJSB_SB_EEENS0_18inequality_wrapperIN6hipcub16HIPCUB_304000_NS8EqualityEEEPlJS6_EEE10hipError_tPvRmT3_T4_T5_T6_T7_T9_mT8_P12ihipStream_tbDpT10_ENKUlT_T0_E_clISt17integral_constantIbLb1EES17_EEDaS12_S13_EUlS12_E_NS1_11comp_targetILNS1_3genE8ELNS1_11target_archE1030ELNS1_3gpuE2ELNS1_3repE0EEENS1_30default_config_static_selectorELNS0_4arch9wavefront6targetE1EEEvT1_ ; -- Begin function _ZN7rocprim17ROCPRIM_400000_NS6detail17trampoline_kernelINS0_14default_configENS1_25partition_config_selectorILNS1_17partition_subalgoE8EiNS0_10empty_typeEbEEZZNS1_14partition_implILS5_8ELb0ES3_jPKiPS6_PKS6_NS0_5tupleIJPiS6_EEENSE_IJSB_SB_EEENS0_18inequality_wrapperIN6hipcub16HIPCUB_304000_NS8EqualityEEEPlJS6_EEE10hipError_tPvRmT3_T4_T5_T6_T7_T9_mT8_P12ihipStream_tbDpT10_ENKUlT_T0_E_clISt17integral_constantIbLb1EES17_EEDaS12_S13_EUlS12_E_NS1_11comp_targetILNS1_3genE8ELNS1_11target_archE1030ELNS1_3gpuE2ELNS1_3repE0EEENS1_30default_config_static_selectorELNS0_4arch9wavefront6targetE1EEEvT1_
	.globl	_ZN7rocprim17ROCPRIM_400000_NS6detail17trampoline_kernelINS0_14default_configENS1_25partition_config_selectorILNS1_17partition_subalgoE8EiNS0_10empty_typeEbEEZZNS1_14partition_implILS5_8ELb0ES3_jPKiPS6_PKS6_NS0_5tupleIJPiS6_EEENSE_IJSB_SB_EEENS0_18inequality_wrapperIN6hipcub16HIPCUB_304000_NS8EqualityEEEPlJS6_EEE10hipError_tPvRmT3_T4_T5_T6_T7_T9_mT8_P12ihipStream_tbDpT10_ENKUlT_T0_E_clISt17integral_constantIbLb1EES17_EEDaS12_S13_EUlS12_E_NS1_11comp_targetILNS1_3genE8ELNS1_11target_archE1030ELNS1_3gpuE2ELNS1_3repE0EEENS1_30default_config_static_selectorELNS0_4arch9wavefront6targetE1EEEvT1_
	.p2align	8
	.type	_ZN7rocprim17ROCPRIM_400000_NS6detail17trampoline_kernelINS0_14default_configENS1_25partition_config_selectorILNS1_17partition_subalgoE8EiNS0_10empty_typeEbEEZZNS1_14partition_implILS5_8ELb0ES3_jPKiPS6_PKS6_NS0_5tupleIJPiS6_EEENSE_IJSB_SB_EEENS0_18inequality_wrapperIN6hipcub16HIPCUB_304000_NS8EqualityEEEPlJS6_EEE10hipError_tPvRmT3_T4_T5_T6_T7_T9_mT8_P12ihipStream_tbDpT10_ENKUlT_T0_E_clISt17integral_constantIbLb1EES17_EEDaS12_S13_EUlS12_E_NS1_11comp_targetILNS1_3genE8ELNS1_11target_archE1030ELNS1_3gpuE2ELNS1_3repE0EEENS1_30default_config_static_selectorELNS0_4arch9wavefront6targetE1EEEvT1_,@function
_ZN7rocprim17ROCPRIM_400000_NS6detail17trampoline_kernelINS0_14default_configENS1_25partition_config_selectorILNS1_17partition_subalgoE8EiNS0_10empty_typeEbEEZZNS1_14partition_implILS5_8ELb0ES3_jPKiPS6_PKS6_NS0_5tupleIJPiS6_EEENSE_IJSB_SB_EEENS0_18inequality_wrapperIN6hipcub16HIPCUB_304000_NS8EqualityEEEPlJS6_EEE10hipError_tPvRmT3_T4_T5_T6_T7_T9_mT8_P12ihipStream_tbDpT10_ENKUlT_T0_E_clISt17integral_constantIbLb1EES17_EEDaS12_S13_EUlS12_E_NS1_11comp_targetILNS1_3genE8ELNS1_11target_archE1030ELNS1_3gpuE2ELNS1_3repE0EEENS1_30default_config_static_selectorELNS0_4arch9wavefront6targetE1EEEvT1_: ; @_ZN7rocprim17ROCPRIM_400000_NS6detail17trampoline_kernelINS0_14default_configENS1_25partition_config_selectorILNS1_17partition_subalgoE8EiNS0_10empty_typeEbEEZZNS1_14partition_implILS5_8ELb0ES3_jPKiPS6_PKS6_NS0_5tupleIJPiS6_EEENSE_IJSB_SB_EEENS0_18inequality_wrapperIN6hipcub16HIPCUB_304000_NS8EqualityEEEPlJS6_EEE10hipError_tPvRmT3_T4_T5_T6_T7_T9_mT8_P12ihipStream_tbDpT10_ENKUlT_T0_E_clISt17integral_constantIbLb1EES17_EEDaS12_S13_EUlS12_E_NS1_11comp_targetILNS1_3genE8ELNS1_11target_archE1030ELNS1_3gpuE2ELNS1_3repE0EEENS1_30default_config_static_selectorELNS0_4arch9wavefront6targetE1EEEvT1_
; %bb.0:
	.section	.rodata,"a",@progbits
	.p2align	6, 0x0
	.amdhsa_kernel _ZN7rocprim17ROCPRIM_400000_NS6detail17trampoline_kernelINS0_14default_configENS1_25partition_config_selectorILNS1_17partition_subalgoE8EiNS0_10empty_typeEbEEZZNS1_14partition_implILS5_8ELb0ES3_jPKiPS6_PKS6_NS0_5tupleIJPiS6_EEENSE_IJSB_SB_EEENS0_18inequality_wrapperIN6hipcub16HIPCUB_304000_NS8EqualityEEEPlJS6_EEE10hipError_tPvRmT3_T4_T5_T6_T7_T9_mT8_P12ihipStream_tbDpT10_ENKUlT_T0_E_clISt17integral_constantIbLb1EES17_EEDaS12_S13_EUlS12_E_NS1_11comp_targetILNS1_3genE8ELNS1_11target_archE1030ELNS1_3gpuE2ELNS1_3repE0EEENS1_30default_config_static_selectorELNS0_4arch9wavefront6targetE1EEEvT1_
		.amdhsa_group_segment_fixed_size 0
		.amdhsa_private_segment_fixed_size 0
		.amdhsa_kernarg_size 128
		.amdhsa_user_sgpr_count 2
		.amdhsa_user_sgpr_dispatch_ptr 0
		.amdhsa_user_sgpr_queue_ptr 0
		.amdhsa_user_sgpr_kernarg_segment_ptr 1
		.amdhsa_user_sgpr_dispatch_id 0
		.amdhsa_user_sgpr_kernarg_preload_length 0
		.amdhsa_user_sgpr_kernarg_preload_offset 0
		.amdhsa_user_sgpr_private_segment_size 0
		.amdhsa_uses_dynamic_stack 0
		.amdhsa_enable_private_segment 0
		.amdhsa_system_sgpr_workgroup_id_x 1
		.amdhsa_system_sgpr_workgroup_id_y 0
		.amdhsa_system_sgpr_workgroup_id_z 0
		.amdhsa_system_sgpr_workgroup_info 0
		.amdhsa_system_vgpr_workitem_id 0
		.amdhsa_next_free_vgpr 1
		.amdhsa_next_free_sgpr 0
		.amdhsa_accum_offset 4
		.amdhsa_reserve_vcc 0
		.amdhsa_float_round_mode_32 0
		.amdhsa_float_round_mode_16_64 0
		.amdhsa_float_denorm_mode_32 3
		.amdhsa_float_denorm_mode_16_64 3
		.amdhsa_dx10_clamp 1
		.amdhsa_ieee_mode 1
		.amdhsa_fp16_overflow 0
		.amdhsa_tg_split 0
		.amdhsa_exception_fp_ieee_invalid_op 0
		.amdhsa_exception_fp_denorm_src 0
		.amdhsa_exception_fp_ieee_div_zero 0
		.amdhsa_exception_fp_ieee_overflow 0
		.amdhsa_exception_fp_ieee_underflow 0
		.amdhsa_exception_fp_ieee_inexact 0
		.amdhsa_exception_int_div_zero 0
	.end_amdhsa_kernel
	.section	.text._ZN7rocprim17ROCPRIM_400000_NS6detail17trampoline_kernelINS0_14default_configENS1_25partition_config_selectorILNS1_17partition_subalgoE8EiNS0_10empty_typeEbEEZZNS1_14partition_implILS5_8ELb0ES3_jPKiPS6_PKS6_NS0_5tupleIJPiS6_EEENSE_IJSB_SB_EEENS0_18inequality_wrapperIN6hipcub16HIPCUB_304000_NS8EqualityEEEPlJS6_EEE10hipError_tPvRmT3_T4_T5_T6_T7_T9_mT8_P12ihipStream_tbDpT10_ENKUlT_T0_E_clISt17integral_constantIbLb1EES17_EEDaS12_S13_EUlS12_E_NS1_11comp_targetILNS1_3genE8ELNS1_11target_archE1030ELNS1_3gpuE2ELNS1_3repE0EEENS1_30default_config_static_selectorELNS0_4arch9wavefront6targetE1EEEvT1_,"axG",@progbits,_ZN7rocprim17ROCPRIM_400000_NS6detail17trampoline_kernelINS0_14default_configENS1_25partition_config_selectorILNS1_17partition_subalgoE8EiNS0_10empty_typeEbEEZZNS1_14partition_implILS5_8ELb0ES3_jPKiPS6_PKS6_NS0_5tupleIJPiS6_EEENSE_IJSB_SB_EEENS0_18inequality_wrapperIN6hipcub16HIPCUB_304000_NS8EqualityEEEPlJS6_EEE10hipError_tPvRmT3_T4_T5_T6_T7_T9_mT8_P12ihipStream_tbDpT10_ENKUlT_T0_E_clISt17integral_constantIbLb1EES17_EEDaS12_S13_EUlS12_E_NS1_11comp_targetILNS1_3genE8ELNS1_11target_archE1030ELNS1_3gpuE2ELNS1_3repE0EEENS1_30default_config_static_selectorELNS0_4arch9wavefront6targetE1EEEvT1_,comdat
.Lfunc_end425:
	.size	_ZN7rocprim17ROCPRIM_400000_NS6detail17trampoline_kernelINS0_14default_configENS1_25partition_config_selectorILNS1_17partition_subalgoE8EiNS0_10empty_typeEbEEZZNS1_14partition_implILS5_8ELb0ES3_jPKiPS6_PKS6_NS0_5tupleIJPiS6_EEENSE_IJSB_SB_EEENS0_18inequality_wrapperIN6hipcub16HIPCUB_304000_NS8EqualityEEEPlJS6_EEE10hipError_tPvRmT3_T4_T5_T6_T7_T9_mT8_P12ihipStream_tbDpT10_ENKUlT_T0_E_clISt17integral_constantIbLb1EES17_EEDaS12_S13_EUlS12_E_NS1_11comp_targetILNS1_3genE8ELNS1_11target_archE1030ELNS1_3gpuE2ELNS1_3repE0EEENS1_30default_config_static_selectorELNS0_4arch9wavefront6targetE1EEEvT1_, .Lfunc_end425-_ZN7rocprim17ROCPRIM_400000_NS6detail17trampoline_kernelINS0_14default_configENS1_25partition_config_selectorILNS1_17partition_subalgoE8EiNS0_10empty_typeEbEEZZNS1_14partition_implILS5_8ELb0ES3_jPKiPS6_PKS6_NS0_5tupleIJPiS6_EEENSE_IJSB_SB_EEENS0_18inequality_wrapperIN6hipcub16HIPCUB_304000_NS8EqualityEEEPlJS6_EEE10hipError_tPvRmT3_T4_T5_T6_T7_T9_mT8_P12ihipStream_tbDpT10_ENKUlT_T0_E_clISt17integral_constantIbLb1EES17_EEDaS12_S13_EUlS12_E_NS1_11comp_targetILNS1_3genE8ELNS1_11target_archE1030ELNS1_3gpuE2ELNS1_3repE0EEENS1_30default_config_static_selectorELNS0_4arch9wavefront6targetE1EEEvT1_
                                        ; -- End function
	.section	.AMDGPU.csdata,"",@progbits
; Kernel info:
; codeLenInByte = 0
; NumSgprs: 6
; NumVgprs: 0
; NumAgprs: 0
; TotalNumVgprs: 0
; ScratchSize: 0
; MemoryBound: 0
; FloatMode: 240
; IeeeMode: 1
; LDSByteSize: 0 bytes/workgroup (compile time only)
; SGPRBlocks: 0
; VGPRBlocks: 0
; NumSGPRsForWavesPerEU: 6
; NumVGPRsForWavesPerEU: 1
; AccumOffset: 4
; Occupancy: 8
; WaveLimiterHint : 0
; COMPUTE_PGM_RSRC2:SCRATCH_EN: 0
; COMPUTE_PGM_RSRC2:USER_SGPR: 2
; COMPUTE_PGM_RSRC2:TRAP_HANDLER: 0
; COMPUTE_PGM_RSRC2:TGID_X_EN: 1
; COMPUTE_PGM_RSRC2:TGID_Y_EN: 0
; COMPUTE_PGM_RSRC2:TGID_Z_EN: 0
; COMPUTE_PGM_RSRC2:TIDIG_COMP_CNT: 0
; COMPUTE_PGM_RSRC3_GFX90A:ACCUM_OFFSET: 0
; COMPUTE_PGM_RSRC3_GFX90A:TG_SPLIT: 0
	.section	.text._ZN7rocprim17ROCPRIM_400000_NS6detail17trampoline_kernelINS0_14default_configENS1_25partition_config_selectorILNS1_17partition_subalgoE8EiNS0_10empty_typeEbEEZZNS1_14partition_implILS5_8ELb0ES3_jPKiPS6_PKS6_NS0_5tupleIJPiS6_EEENSE_IJSB_SB_EEENS0_18inequality_wrapperIN6hipcub16HIPCUB_304000_NS8EqualityEEEPlJS6_EEE10hipError_tPvRmT3_T4_T5_T6_T7_T9_mT8_P12ihipStream_tbDpT10_ENKUlT_T0_E_clISt17integral_constantIbLb1EES16_IbLb0EEEEDaS12_S13_EUlS12_E_NS1_11comp_targetILNS1_3genE0ELNS1_11target_archE4294967295ELNS1_3gpuE0ELNS1_3repE0EEENS1_30default_config_static_selectorELNS0_4arch9wavefront6targetE1EEEvT1_,"axG",@progbits,_ZN7rocprim17ROCPRIM_400000_NS6detail17trampoline_kernelINS0_14default_configENS1_25partition_config_selectorILNS1_17partition_subalgoE8EiNS0_10empty_typeEbEEZZNS1_14partition_implILS5_8ELb0ES3_jPKiPS6_PKS6_NS0_5tupleIJPiS6_EEENSE_IJSB_SB_EEENS0_18inequality_wrapperIN6hipcub16HIPCUB_304000_NS8EqualityEEEPlJS6_EEE10hipError_tPvRmT3_T4_T5_T6_T7_T9_mT8_P12ihipStream_tbDpT10_ENKUlT_T0_E_clISt17integral_constantIbLb1EES16_IbLb0EEEEDaS12_S13_EUlS12_E_NS1_11comp_targetILNS1_3genE0ELNS1_11target_archE4294967295ELNS1_3gpuE0ELNS1_3repE0EEENS1_30default_config_static_selectorELNS0_4arch9wavefront6targetE1EEEvT1_,comdat
	.protected	_ZN7rocprim17ROCPRIM_400000_NS6detail17trampoline_kernelINS0_14default_configENS1_25partition_config_selectorILNS1_17partition_subalgoE8EiNS0_10empty_typeEbEEZZNS1_14partition_implILS5_8ELb0ES3_jPKiPS6_PKS6_NS0_5tupleIJPiS6_EEENSE_IJSB_SB_EEENS0_18inequality_wrapperIN6hipcub16HIPCUB_304000_NS8EqualityEEEPlJS6_EEE10hipError_tPvRmT3_T4_T5_T6_T7_T9_mT8_P12ihipStream_tbDpT10_ENKUlT_T0_E_clISt17integral_constantIbLb1EES16_IbLb0EEEEDaS12_S13_EUlS12_E_NS1_11comp_targetILNS1_3genE0ELNS1_11target_archE4294967295ELNS1_3gpuE0ELNS1_3repE0EEENS1_30default_config_static_selectorELNS0_4arch9wavefront6targetE1EEEvT1_ ; -- Begin function _ZN7rocprim17ROCPRIM_400000_NS6detail17trampoline_kernelINS0_14default_configENS1_25partition_config_selectorILNS1_17partition_subalgoE8EiNS0_10empty_typeEbEEZZNS1_14partition_implILS5_8ELb0ES3_jPKiPS6_PKS6_NS0_5tupleIJPiS6_EEENSE_IJSB_SB_EEENS0_18inequality_wrapperIN6hipcub16HIPCUB_304000_NS8EqualityEEEPlJS6_EEE10hipError_tPvRmT3_T4_T5_T6_T7_T9_mT8_P12ihipStream_tbDpT10_ENKUlT_T0_E_clISt17integral_constantIbLb1EES16_IbLb0EEEEDaS12_S13_EUlS12_E_NS1_11comp_targetILNS1_3genE0ELNS1_11target_archE4294967295ELNS1_3gpuE0ELNS1_3repE0EEENS1_30default_config_static_selectorELNS0_4arch9wavefront6targetE1EEEvT1_
	.globl	_ZN7rocprim17ROCPRIM_400000_NS6detail17trampoline_kernelINS0_14default_configENS1_25partition_config_selectorILNS1_17partition_subalgoE8EiNS0_10empty_typeEbEEZZNS1_14partition_implILS5_8ELb0ES3_jPKiPS6_PKS6_NS0_5tupleIJPiS6_EEENSE_IJSB_SB_EEENS0_18inequality_wrapperIN6hipcub16HIPCUB_304000_NS8EqualityEEEPlJS6_EEE10hipError_tPvRmT3_T4_T5_T6_T7_T9_mT8_P12ihipStream_tbDpT10_ENKUlT_T0_E_clISt17integral_constantIbLb1EES16_IbLb0EEEEDaS12_S13_EUlS12_E_NS1_11comp_targetILNS1_3genE0ELNS1_11target_archE4294967295ELNS1_3gpuE0ELNS1_3repE0EEENS1_30default_config_static_selectorELNS0_4arch9wavefront6targetE1EEEvT1_
	.p2align	8
	.type	_ZN7rocprim17ROCPRIM_400000_NS6detail17trampoline_kernelINS0_14default_configENS1_25partition_config_selectorILNS1_17partition_subalgoE8EiNS0_10empty_typeEbEEZZNS1_14partition_implILS5_8ELb0ES3_jPKiPS6_PKS6_NS0_5tupleIJPiS6_EEENSE_IJSB_SB_EEENS0_18inequality_wrapperIN6hipcub16HIPCUB_304000_NS8EqualityEEEPlJS6_EEE10hipError_tPvRmT3_T4_T5_T6_T7_T9_mT8_P12ihipStream_tbDpT10_ENKUlT_T0_E_clISt17integral_constantIbLb1EES16_IbLb0EEEEDaS12_S13_EUlS12_E_NS1_11comp_targetILNS1_3genE0ELNS1_11target_archE4294967295ELNS1_3gpuE0ELNS1_3repE0EEENS1_30default_config_static_selectorELNS0_4arch9wavefront6targetE1EEEvT1_,@function
_ZN7rocprim17ROCPRIM_400000_NS6detail17trampoline_kernelINS0_14default_configENS1_25partition_config_selectorILNS1_17partition_subalgoE8EiNS0_10empty_typeEbEEZZNS1_14partition_implILS5_8ELb0ES3_jPKiPS6_PKS6_NS0_5tupleIJPiS6_EEENSE_IJSB_SB_EEENS0_18inequality_wrapperIN6hipcub16HIPCUB_304000_NS8EqualityEEEPlJS6_EEE10hipError_tPvRmT3_T4_T5_T6_T7_T9_mT8_P12ihipStream_tbDpT10_ENKUlT_T0_E_clISt17integral_constantIbLb1EES16_IbLb0EEEEDaS12_S13_EUlS12_E_NS1_11comp_targetILNS1_3genE0ELNS1_11target_archE4294967295ELNS1_3gpuE0ELNS1_3repE0EEENS1_30default_config_static_selectorELNS0_4arch9wavefront6targetE1EEEvT1_: ; @_ZN7rocprim17ROCPRIM_400000_NS6detail17trampoline_kernelINS0_14default_configENS1_25partition_config_selectorILNS1_17partition_subalgoE8EiNS0_10empty_typeEbEEZZNS1_14partition_implILS5_8ELb0ES3_jPKiPS6_PKS6_NS0_5tupleIJPiS6_EEENSE_IJSB_SB_EEENS0_18inequality_wrapperIN6hipcub16HIPCUB_304000_NS8EqualityEEEPlJS6_EEE10hipError_tPvRmT3_T4_T5_T6_T7_T9_mT8_P12ihipStream_tbDpT10_ENKUlT_T0_E_clISt17integral_constantIbLb1EES16_IbLb0EEEEDaS12_S13_EUlS12_E_NS1_11comp_targetILNS1_3genE0ELNS1_11target_archE4294967295ELNS1_3gpuE0ELNS1_3repE0EEENS1_30default_config_static_selectorELNS0_4arch9wavefront6targetE1EEEvT1_
; %bb.0:
	.section	.rodata,"a",@progbits
	.p2align	6, 0x0
	.amdhsa_kernel _ZN7rocprim17ROCPRIM_400000_NS6detail17trampoline_kernelINS0_14default_configENS1_25partition_config_selectorILNS1_17partition_subalgoE8EiNS0_10empty_typeEbEEZZNS1_14partition_implILS5_8ELb0ES3_jPKiPS6_PKS6_NS0_5tupleIJPiS6_EEENSE_IJSB_SB_EEENS0_18inequality_wrapperIN6hipcub16HIPCUB_304000_NS8EqualityEEEPlJS6_EEE10hipError_tPvRmT3_T4_T5_T6_T7_T9_mT8_P12ihipStream_tbDpT10_ENKUlT_T0_E_clISt17integral_constantIbLb1EES16_IbLb0EEEEDaS12_S13_EUlS12_E_NS1_11comp_targetILNS1_3genE0ELNS1_11target_archE4294967295ELNS1_3gpuE0ELNS1_3repE0EEENS1_30default_config_static_selectorELNS0_4arch9wavefront6targetE1EEEvT1_
		.amdhsa_group_segment_fixed_size 0
		.amdhsa_private_segment_fixed_size 0
		.amdhsa_kernarg_size 112
		.amdhsa_user_sgpr_count 2
		.amdhsa_user_sgpr_dispatch_ptr 0
		.amdhsa_user_sgpr_queue_ptr 0
		.amdhsa_user_sgpr_kernarg_segment_ptr 1
		.amdhsa_user_sgpr_dispatch_id 0
		.amdhsa_user_sgpr_kernarg_preload_length 0
		.amdhsa_user_sgpr_kernarg_preload_offset 0
		.amdhsa_user_sgpr_private_segment_size 0
		.amdhsa_uses_dynamic_stack 0
		.amdhsa_enable_private_segment 0
		.amdhsa_system_sgpr_workgroup_id_x 1
		.amdhsa_system_sgpr_workgroup_id_y 0
		.amdhsa_system_sgpr_workgroup_id_z 0
		.amdhsa_system_sgpr_workgroup_info 0
		.amdhsa_system_vgpr_workitem_id 0
		.amdhsa_next_free_vgpr 1
		.amdhsa_next_free_sgpr 0
		.amdhsa_accum_offset 4
		.amdhsa_reserve_vcc 0
		.amdhsa_float_round_mode_32 0
		.amdhsa_float_round_mode_16_64 0
		.amdhsa_float_denorm_mode_32 3
		.amdhsa_float_denorm_mode_16_64 3
		.amdhsa_dx10_clamp 1
		.amdhsa_ieee_mode 1
		.amdhsa_fp16_overflow 0
		.amdhsa_tg_split 0
		.amdhsa_exception_fp_ieee_invalid_op 0
		.amdhsa_exception_fp_denorm_src 0
		.amdhsa_exception_fp_ieee_div_zero 0
		.amdhsa_exception_fp_ieee_overflow 0
		.amdhsa_exception_fp_ieee_underflow 0
		.amdhsa_exception_fp_ieee_inexact 0
		.amdhsa_exception_int_div_zero 0
	.end_amdhsa_kernel
	.section	.text._ZN7rocprim17ROCPRIM_400000_NS6detail17trampoline_kernelINS0_14default_configENS1_25partition_config_selectorILNS1_17partition_subalgoE8EiNS0_10empty_typeEbEEZZNS1_14partition_implILS5_8ELb0ES3_jPKiPS6_PKS6_NS0_5tupleIJPiS6_EEENSE_IJSB_SB_EEENS0_18inequality_wrapperIN6hipcub16HIPCUB_304000_NS8EqualityEEEPlJS6_EEE10hipError_tPvRmT3_T4_T5_T6_T7_T9_mT8_P12ihipStream_tbDpT10_ENKUlT_T0_E_clISt17integral_constantIbLb1EES16_IbLb0EEEEDaS12_S13_EUlS12_E_NS1_11comp_targetILNS1_3genE0ELNS1_11target_archE4294967295ELNS1_3gpuE0ELNS1_3repE0EEENS1_30default_config_static_selectorELNS0_4arch9wavefront6targetE1EEEvT1_,"axG",@progbits,_ZN7rocprim17ROCPRIM_400000_NS6detail17trampoline_kernelINS0_14default_configENS1_25partition_config_selectorILNS1_17partition_subalgoE8EiNS0_10empty_typeEbEEZZNS1_14partition_implILS5_8ELb0ES3_jPKiPS6_PKS6_NS0_5tupleIJPiS6_EEENSE_IJSB_SB_EEENS0_18inequality_wrapperIN6hipcub16HIPCUB_304000_NS8EqualityEEEPlJS6_EEE10hipError_tPvRmT3_T4_T5_T6_T7_T9_mT8_P12ihipStream_tbDpT10_ENKUlT_T0_E_clISt17integral_constantIbLb1EES16_IbLb0EEEEDaS12_S13_EUlS12_E_NS1_11comp_targetILNS1_3genE0ELNS1_11target_archE4294967295ELNS1_3gpuE0ELNS1_3repE0EEENS1_30default_config_static_selectorELNS0_4arch9wavefront6targetE1EEEvT1_,comdat
.Lfunc_end426:
	.size	_ZN7rocprim17ROCPRIM_400000_NS6detail17trampoline_kernelINS0_14default_configENS1_25partition_config_selectorILNS1_17partition_subalgoE8EiNS0_10empty_typeEbEEZZNS1_14partition_implILS5_8ELb0ES3_jPKiPS6_PKS6_NS0_5tupleIJPiS6_EEENSE_IJSB_SB_EEENS0_18inequality_wrapperIN6hipcub16HIPCUB_304000_NS8EqualityEEEPlJS6_EEE10hipError_tPvRmT3_T4_T5_T6_T7_T9_mT8_P12ihipStream_tbDpT10_ENKUlT_T0_E_clISt17integral_constantIbLb1EES16_IbLb0EEEEDaS12_S13_EUlS12_E_NS1_11comp_targetILNS1_3genE0ELNS1_11target_archE4294967295ELNS1_3gpuE0ELNS1_3repE0EEENS1_30default_config_static_selectorELNS0_4arch9wavefront6targetE1EEEvT1_, .Lfunc_end426-_ZN7rocprim17ROCPRIM_400000_NS6detail17trampoline_kernelINS0_14default_configENS1_25partition_config_selectorILNS1_17partition_subalgoE8EiNS0_10empty_typeEbEEZZNS1_14partition_implILS5_8ELb0ES3_jPKiPS6_PKS6_NS0_5tupleIJPiS6_EEENSE_IJSB_SB_EEENS0_18inequality_wrapperIN6hipcub16HIPCUB_304000_NS8EqualityEEEPlJS6_EEE10hipError_tPvRmT3_T4_T5_T6_T7_T9_mT8_P12ihipStream_tbDpT10_ENKUlT_T0_E_clISt17integral_constantIbLb1EES16_IbLb0EEEEDaS12_S13_EUlS12_E_NS1_11comp_targetILNS1_3genE0ELNS1_11target_archE4294967295ELNS1_3gpuE0ELNS1_3repE0EEENS1_30default_config_static_selectorELNS0_4arch9wavefront6targetE1EEEvT1_
                                        ; -- End function
	.section	.AMDGPU.csdata,"",@progbits
; Kernel info:
; codeLenInByte = 0
; NumSgprs: 6
; NumVgprs: 0
; NumAgprs: 0
; TotalNumVgprs: 0
; ScratchSize: 0
; MemoryBound: 0
; FloatMode: 240
; IeeeMode: 1
; LDSByteSize: 0 bytes/workgroup (compile time only)
; SGPRBlocks: 0
; VGPRBlocks: 0
; NumSGPRsForWavesPerEU: 6
; NumVGPRsForWavesPerEU: 1
; AccumOffset: 4
; Occupancy: 8
; WaveLimiterHint : 0
; COMPUTE_PGM_RSRC2:SCRATCH_EN: 0
; COMPUTE_PGM_RSRC2:USER_SGPR: 2
; COMPUTE_PGM_RSRC2:TRAP_HANDLER: 0
; COMPUTE_PGM_RSRC2:TGID_X_EN: 1
; COMPUTE_PGM_RSRC2:TGID_Y_EN: 0
; COMPUTE_PGM_RSRC2:TGID_Z_EN: 0
; COMPUTE_PGM_RSRC2:TIDIG_COMP_CNT: 0
; COMPUTE_PGM_RSRC3_GFX90A:ACCUM_OFFSET: 0
; COMPUTE_PGM_RSRC3_GFX90A:TG_SPLIT: 0
	.section	.text._ZN7rocprim17ROCPRIM_400000_NS6detail17trampoline_kernelINS0_14default_configENS1_25partition_config_selectorILNS1_17partition_subalgoE8EiNS0_10empty_typeEbEEZZNS1_14partition_implILS5_8ELb0ES3_jPKiPS6_PKS6_NS0_5tupleIJPiS6_EEENSE_IJSB_SB_EEENS0_18inequality_wrapperIN6hipcub16HIPCUB_304000_NS8EqualityEEEPlJS6_EEE10hipError_tPvRmT3_T4_T5_T6_T7_T9_mT8_P12ihipStream_tbDpT10_ENKUlT_T0_E_clISt17integral_constantIbLb1EES16_IbLb0EEEEDaS12_S13_EUlS12_E_NS1_11comp_targetILNS1_3genE5ELNS1_11target_archE942ELNS1_3gpuE9ELNS1_3repE0EEENS1_30default_config_static_selectorELNS0_4arch9wavefront6targetE1EEEvT1_,"axG",@progbits,_ZN7rocprim17ROCPRIM_400000_NS6detail17trampoline_kernelINS0_14default_configENS1_25partition_config_selectorILNS1_17partition_subalgoE8EiNS0_10empty_typeEbEEZZNS1_14partition_implILS5_8ELb0ES3_jPKiPS6_PKS6_NS0_5tupleIJPiS6_EEENSE_IJSB_SB_EEENS0_18inequality_wrapperIN6hipcub16HIPCUB_304000_NS8EqualityEEEPlJS6_EEE10hipError_tPvRmT3_T4_T5_T6_T7_T9_mT8_P12ihipStream_tbDpT10_ENKUlT_T0_E_clISt17integral_constantIbLb1EES16_IbLb0EEEEDaS12_S13_EUlS12_E_NS1_11comp_targetILNS1_3genE5ELNS1_11target_archE942ELNS1_3gpuE9ELNS1_3repE0EEENS1_30default_config_static_selectorELNS0_4arch9wavefront6targetE1EEEvT1_,comdat
	.protected	_ZN7rocprim17ROCPRIM_400000_NS6detail17trampoline_kernelINS0_14default_configENS1_25partition_config_selectorILNS1_17partition_subalgoE8EiNS0_10empty_typeEbEEZZNS1_14partition_implILS5_8ELb0ES3_jPKiPS6_PKS6_NS0_5tupleIJPiS6_EEENSE_IJSB_SB_EEENS0_18inequality_wrapperIN6hipcub16HIPCUB_304000_NS8EqualityEEEPlJS6_EEE10hipError_tPvRmT3_T4_T5_T6_T7_T9_mT8_P12ihipStream_tbDpT10_ENKUlT_T0_E_clISt17integral_constantIbLb1EES16_IbLb0EEEEDaS12_S13_EUlS12_E_NS1_11comp_targetILNS1_3genE5ELNS1_11target_archE942ELNS1_3gpuE9ELNS1_3repE0EEENS1_30default_config_static_selectorELNS0_4arch9wavefront6targetE1EEEvT1_ ; -- Begin function _ZN7rocprim17ROCPRIM_400000_NS6detail17trampoline_kernelINS0_14default_configENS1_25partition_config_selectorILNS1_17partition_subalgoE8EiNS0_10empty_typeEbEEZZNS1_14partition_implILS5_8ELb0ES3_jPKiPS6_PKS6_NS0_5tupleIJPiS6_EEENSE_IJSB_SB_EEENS0_18inequality_wrapperIN6hipcub16HIPCUB_304000_NS8EqualityEEEPlJS6_EEE10hipError_tPvRmT3_T4_T5_T6_T7_T9_mT8_P12ihipStream_tbDpT10_ENKUlT_T0_E_clISt17integral_constantIbLb1EES16_IbLb0EEEEDaS12_S13_EUlS12_E_NS1_11comp_targetILNS1_3genE5ELNS1_11target_archE942ELNS1_3gpuE9ELNS1_3repE0EEENS1_30default_config_static_selectorELNS0_4arch9wavefront6targetE1EEEvT1_
	.globl	_ZN7rocprim17ROCPRIM_400000_NS6detail17trampoline_kernelINS0_14default_configENS1_25partition_config_selectorILNS1_17partition_subalgoE8EiNS0_10empty_typeEbEEZZNS1_14partition_implILS5_8ELb0ES3_jPKiPS6_PKS6_NS0_5tupleIJPiS6_EEENSE_IJSB_SB_EEENS0_18inequality_wrapperIN6hipcub16HIPCUB_304000_NS8EqualityEEEPlJS6_EEE10hipError_tPvRmT3_T4_T5_T6_T7_T9_mT8_P12ihipStream_tbDpT10_ENKUlT_T0_E_clISt17integral_constantIbLb1EES16_IbLb0EEEEDaS12_S13_EUlS12_E_NS1_11comp_targetILNS1_3genE5ELNS1_11target_archE942ELNS1_3gpuE9ELNS1_3repE0EEENS1_30default_config_static_selectorELNS0_4arch9wavefront6targetE1EEEvT1_
	.p2align	8
	.type	_ZN7rocprim17ROCPRIM_400000_NS6detail17trampoline_kernelINS0_14default_configENS1_25partition_config_selectorILNS1_17partition_subalgoE8EiNS0_10empty_typeEbEEZZNS1_14partition_implILS5_8ELb0ES3_jPKiPS6_PKS6_NS0_5tupleIJPiS6_EEENSE_IJSB_SB_EEENS0_18inequality_wrapperIN6hipcub16HIPCUB_304000_NS8EqualityEEEPlJS6_EEE10hipError_tPvRmT3_T4_T5_T6_T7_T9_mT8_P12ihipStream_tbDpT10_ENKUlT_T0_E_clISt17integral_constantIbLb1EES16_IbLb0EEEEDaS12_S13_EUlS12_E_NS1_11comp_targetILNS1_3genE5ELNS1_11target_archE942ELNS1_3gpuE9ELNS1_3repE0EEENS1_30default_config_static_selectorELNS0_4arch9wavefront6targetE1EEEvT1_,@function
_ZN7rocprim17ROCPRIM_400000_NS6detail17trampoline_kernelINS0_14default_configENS1_25partition_config_selectorILNS1_17partition_subalgoE8EiNS0_10empty_typeEbEEZZNS1_14partition_implILS5_8ELb0ES3_jPKiPS6_PKS6_NS0_5tupleIJPiS6_EEENSE_IJSB_SB_EEENS0_18inequality_wrapperIN6hipcub16HIPCUB_304000_NS8EqualityEEEPlJS6_EEE10hipError_tPvRmT3_T4_T5_T6_T7_T9_mT8_P12ihipStream_tbDpT10_ENKUlT_T0_E_clISt17integral_constantIbLb1EES16_IbLb0EEEEDaS12_S13_EUlS12_E_NS1_11comp_targetILNS1_3genE5ELNS1_11target_archE942ELNS1_3gpuE9ELNS1_3repE0EEENS1_30default_config_static_selectorELNS0_4arch9wavefront6targetE1EEEvT1_: ; @_ZN7rocprim17ROCPRIM_400000_NS6detail17trampoline_kernelINS0_14default_configENS1_25partition_config_selectorILNS1_17partition_subalgoE8EiNS0_10empty_typeEbEEZZNS1_14partition_implILS5_8ELb0ES3_jPKiPS6_PKS6_NS0_5tupleIJPiS6_EEENSE_IJSB_SB_EEENS0_18inequality_wrapperIN6hipcub16HIPCUB_304000_NS8EqualityEEEPlJS6_EEE10hipError_tPvRmT3_T4_T5_T6_T7_T9_mT8_P12ihipStream_tbDpT10_ENKUlT_T0_E_clISt17integral_constantIbLb1EES16_IbLb0EEEEDaS12_S13_EUlS12_E_NS1_11comp_targetILNS1_3genE5ELNS1_11target_archE942ELNS1_3gpuE9ELNS1_3repE0EEENS1_30default_config_static_selectorELNS0_4arch9wavefront6targetE1EEEvT1_
; %bb.0:
	s_load_dwordx2 s[8:9], s[0:1], 0x50
	s_load_dwordx4 s[4:7], s[0:1], 0x8
	s_load_dwordx4 s[36:39], s[0:1], 0x40
	s_load_dword s3, s[0:1], 0x68
	s_waitcnt lgkmcnt(0)
	v_mov_b32_e32 v3, s9
	s_lshl_b64 s[10:11], s[6:7], 2
	s_add_u32 s10, s4, s10
	s_mul_i32 s9, s3, 0x1e00
	s_addc_u32 s11, s5, s11
	s_add_i32 s12, s3, -1
	s_add_i32 s3, s9, s6
	s_sub_i32 s3, s8, s3
	v_mov_b32_e32 v2, s8
	s_add_u32 s8, s6, s9
	s_addc_u32 s9, s7, 0
	s_cmp_eq_u32 s2, s12
	s_load_dwordx2 s[34:35], s[38:39], 0x0
	v_cmp_ge_u64_e32 vcc, s[8:9], v[2:3]
	s_cselect_b64 s[38:39], -1, 0
	s_mul_i32 s4, s2, 0x1e00
	s_mov_b32 s5, 0
	s_and_b64 s[42:43], s[38:39], vcc
	s_xor_b64 s[40:41], s[42:43], -1
	s_lshl_b64 s[4:5], s[4:5], 2
	s_add_u32 s4, s10, s4
	s_mov_b64 s[8:9], -1
	s_addc_u32 s5, s11, s5
	s_and_b64 vcc, exec, s[40:41]
	s_cbranch_vccz .LBB427_2
; %bb.1:
	v_lshlrev_b32_e32 v2, 2, v0
	v_mov_b32_e32 v3, 0
	v_lshl_add_u64 v[4:5], s[4:5], 0, v[2:3]
	v_add_co_u32_e32 v6, vcc, 0x1000, v4
	global_load_dword v1, v2, s[4:5]
	global_load_dword v3, v2, s[4:5] offset:2048
	v_addc_co_u32_e32 v7, vcc, 0, v5, vcc
	v_add_co_u32_e32 v8, vcc, 0x2000, v4
	s_mov_b64 s[8:9], 0
	s_nop 0
	v_addc_co_u32_e32 v9, vcc, 0, v5, vcc
	v_add_co_u32_e32 v10, vcc, 0x3000, v4
	s_nop 1
	v_addc_co_u32_e32 v11, vcc, 0, v5, vcc
	v_add_co_u32_e32 v12, vcc, 0x4000, v4
	s_nop 1
	v_addc_co_u32_e32 v13, vcc, 0, v5, vcc
	global_load_dword v14, v[6:7], off
	global_load_dword v15, v[6:7], off offset:2048
	global_load_dword v16, v[8:9], off
	global_load_dword v17, v[8:9], off offset:2048
	;; [unrolled: 2-line block ×4, first 2 shown]
	v_add_co_u32_e32 v6, vcc, 0x5000, v4
	s_nop 1
	v_addc_co_u32_e32 v7, vcc, 0, v5, vcc
	v_add_co_u32_e32 v8, vcc, 0x6000, v4
	s_nop 1
	v_addc_co_u32_e32 v9, vcc, 0, v5, vcc
	global_load_dword v10, v[6:7], off
	global_load_dword v11, v[6:7], off offset:2048
	global_load_dword v12, v[8:9], off
	global_load_dword v13, v[8:9], off offset:2048
	v_add_co_u32_e32 v4, vcc, 0x7000, v4
	s_nop 1
	v_addc_co_u32_e32 v5, vcc, 0, v5, vcc
	global_load_dword v4, v[4:5], off
	s_waitcnt vmcnt(13)
	ds_write2st64_b32 v2, v1, v3 offset1:8
	s_waitcnt vmcnt(11)
	ds_write2st64_b32 v2, v14, v15 offset0:16 offset1:24
	s_waitcnt vmcnt(9)
	ds_write2st64_b32 v2, v16, v17 offset0:32 offset1:40
	;; [unrolled: 2-line block ×6, first 2 shown]
	s_waitcnt vmcnt(0)
	ds_write_b32 v2, v4 offset:28672
	s_waitcnt lgkmcnt(0)
	s_barrier
.LBB427_2:
	s_andn2_b64 vcc, exec, s[8:9]
	s_addk_i32 s3, 0x1e00
	s_cbranch_vccnz .LBB427_34
; %bb.3:
	v_cmp_gt_u32_e32 vcc, s3, v0
                                        ; implicit-def: $vgpr2_vgpr3_vgpr4_vgpr5_vgpr6_vgpr7_vgpr8_vgpr9_vgpr10_vgpr11_vgpr12_vgpr13_vgpr14_vgpr15_vgpr16_vgpr17
	s_and_saveexec_b64 s[8:9], vcc
	s_cbranch_execz .LBB427_5
; %bb.4:
	v_lshlrev_b32_e32 v1, 2, v0
	global_load_dword v2, v1, s[4:5]
.LBB427_5:
	s_or_b64 exec, exec, s[8:9]
	v_or_b32_e32 v1, 0x200, v0
	v_cmp_gt_u32_e32 vcc, s3, v1
	s_and_saveexec_b64 s[8:9], vcc
	s_cbranch_execz .LBB427_7
; %bb.6:
	v_lshlrev_b32_e32 v1, 2, v0
	global_load_dword v3, v1, s[4:5] offset:2048
.LBB427_7:
	s_or_b64 exec, exec, s[8:9]
	v_or_b32_e32 v1, 0x400, v0
	v_cmp_gt_u32_e32 vcc, s3, v1
	s_and_saveexec_b64 s[8:9], vcc
	s_cbranch_execz .LBB427_9
; %bb.8:
	v_lshlrev_b32_e32 v1, 2, v1
	global_load_dword v4, v1, s[4:5]
.LBB427_9:
	s_or_b64 exec, exec, s[8:9]
	v_or_b32_e32 v1, 0x600, v0
	v_cmp_gt_u32_e32 vcc, s3, v1
	s_and_saveexec_b64 s[8:9], vcc
	s_cbranch_execz .LBB427_11
; %bb.10:
	v_lshlrev_b32_e32 v1, 2, v1
	global_load_dword v5, v1, s[4:5]
.LBB427_11:
	;; [unrolled: 9-line block ×13, first 2 shown]
	s_or_b64 exec, exec, s[8:9]
	v_lshlrev_b32_e32 v1, 2, v0
	s_waitcnt vmcnt(0)
	ds_write2st64_b32 v1, v2, v3 offset1:8
	ds_write2st64_b32 v1, v4, v5 offset0:16 offset1:24
	ds_write2st64_b32 v1, v6, v7 offset0:32 offset1:40
	;; [unrolled: 1-line block ×6, first 2 shown]
	ds_write_b32 v1, v16 offset:28672
	s_waitcnt lgkmcnt(0)
	s_barrier
.LBB427_34:
	v_mul_u32_u24_e32 v10, 15, v0
	v_lshlrev_b32_e32 v17, 2, v10
	s_waitcnt lgkmcnt(0)
	ds_read2_b32 v[30:31], v17 offset1:1
	ds_read2_b32 v[28:29], v17 offset0:2 offset1:3
	ds_read2_b32 v[26:27], v17 offset0:4 offset1:5
	;; [unrolled: 1-line block ×6, first 2 shown]
	ds_read_b32 v1, v17 offset:56
	s_cmp_lg_u32 s2, 0
	s_cselect_b64 s[44:45], -1, 0
	s_cmp_lg_u64 s[6:7], 0
	s_cselect_b64 s[6:7], -1, 0
	s_or_b64 s[6:7], s[44:45], s[6:7]
	v_mad_u32_u24 v15, v0, 15, 1
	v_mad_u32_u24 v11, v0, 15, 2
	;; [unrolled: 1-line block ×14, first 2 shown]
	s_mov_b64 s[46:47], 0
	s_and_b64 vcc, exec, s[6:7]
	s_waitcnt lgkmcnt(0)
	s_barrier
	s_cbranch_vccz .LBB427_39
; %bb.35:
	s_add_u32 s4, s4, -4
	s_addc_u32 s5, s5, -1
	s_load_dword s8, s[4:5], 0x0
	v_lshlrev_b32_e32 v32, 2, v0
	s_and_b64 vcc, exec, s[40:41]
	ds_write_b32 v32, v1
	s_cbranch_vccz .LBB427_41
; %bb.36:
	v_cmp_ne_u32_e32 vcc, 0, v0
	s_waitcnt lgkmcnt(0)
	v_mov_b32_e32 v33, s8
	s_barrier
	s_and_saveexec_b64 s[4:5], vcc
	s_cbranch_execz .LBB427_38
; %bb.37:
	v_add_u32_e32 v33, -4, v32
	ds_read_b32 v33, v33
.LBB427_38:
	s_or_b64 exec, exec, s[4:5]
	v_cmp_ne_u32_e32 vcc, v19, v1
	s_waitcnt lgkmcnt(0)
	v_cmp_ne_u32_e64 s[4:5], v33, v30
	v_cndmask_b32_e64 v35, 0, 1, vcc
	v_cmp_ne_u32_e32 vcc, v18, v19
	s_nop 1
	v_cndmask_b32_e64 v36, 0, 1, vcc
	v_cmp_ne_u32_e32 vcc, v21, v18
	s_nop 1
	;; [unrolled: 3-line block ×13, first 2 shown]
	v_cndmask_b32_e64 v48, 0, 1, vcc
	s_branch .LBB427_45
.LBB427_39:
                                        ; implicit-def: $sgpr4_sgpr5
                                        ; implicit-def: $vgpr35
                                        ; implicit-def: $vgpr36
                                        ; implicit-def: $vgpr37
                                        ; implicit-def: $vgpr38
                                        ; implicit-def: $vgpr39
                                        ; implicit-def: $vgpr40
                                        ; implicit-def: $vgpr41
                                        ; implicit-def: $vgpr42
                                        ; implicit-def: $vgpr48
                                        ; implicit-def: $vgpr47
                                        ; implicit-def: $vgpr46
                                        ; implicit-def: $vgpr45
                                        ; implicit-def: $vgpr44
                                        ; implicit-def: $vgpr43
	s_branch .LBB427_46
.LBB427_40:
                                        ; implicit-def: $sgpr8
	s_branch .LBB427_54
.LBB427_41:
                                        ; implicit-def: $sgpr4_sgpr5
                                        ; implicit-def: $vgpr35
                                        ; implicit-def: $vgpr36
                                        ; implicit-def: $vgpr37
                                        ; implicit-def: $vgpr38
                                        ; implicit-def: $vgpr39
                                        ; implicit-def: $vgpr40
                                        ; implicit-def: $vgpr41
                                        ; implicit-def: $vgpr42
                                        ; implicit-def: $vgpr48
                                        ; implicit-def: $vgpr47
                                        ; implicit-def: $vgpr46
                                        ; implicit-def: $vgpr45
                                        ; implicit-def: $vgpr44
                                        ; implicit-def: $vgpr43
	s_cbranch_execz .LBB427_45
; %bb.42:
	v_cmp_ne_u32_e32 vcc, 0, v0
	s_waitcnt lgkmcnt(0)
	v_mov_b32_e32 v33, s8
	s_barrier
	s_and_saveexec_b64 s[4:5], vcc
	s_cbranch_execz .LBB427_44
; %bb.43:
	v_add_u32_e32 v32, -4, v32
	ds_read_b32 v33, v32
.LBB427_44:
	s_or_b64 exec, exec, s[4:5]
	v_cmp_gt_u32_e32 vcc, s3, v2
	v_cmp_ne_u32_e64 s[4:5], v19, v1
	s_and_b64 s[4:5], vcc, s[4:5]
	v_cmp_gt_u32_e32 vcc, s3, v5
	v_cndmask_b32_e64 v35, 0, 1, s[4:5]
	v_cmp_ne_u32_e64 s[4:5], v18, v19
	s_and_b64 s[4:5], vcc, s[4:5]
	v_cmp_gt_u32_e32 vcc, s3, v4
	v_cndmask_b32_e64 v36, 0, 1, s[4:5]
	v_cmp_ne_u32_e64 s[4:5], v21, v18
	s_and_b64 s[4:5], vcc, s[4:5]
	v_cmp_gt_u32_e32 vcc, s3, v9
	v_cndmask_b32_e64 v37, 0, 1, s[4:5]
	v_cmp_ne_u32_e64 s[4:5], v20, v21
	s_and_b64 s[4:5], vcc, s[4:5]
	v_cmp_gt_u32_e32 vcc, s3, v8
	v_cndmask_b32_e64 v38, 0, 1, s[4:5]
	v_cmp_ne_u32_e64 s[4:5], v23, v20
	s_and_b64 s[4:5], vcc, s[4:5]
	v_cmp_gt_u32_e32 vcc, s3, v14
	v_cndmask_b32_e64 v39, 0, 1, s[4:5]
	v_cmp_ne_u32_e64 s[4:5], v22, v23
	s_and_b64 s[4:5], vcc, s[4:5]
	v_cmp_gt_u32_e32 vcc, s3, v13
	v_cndmask_b32_e64 v40, 0, 1, s[4:5]
	v_cmp_ne_u32_e64 s[4:5], v25, v22
	s_and_b64 s[4:5], vcc, s[4:5]
	v_cmp_gt_u32_e32 vcc, s3, v16
	v_cndmask_b32_e64 v41, 0, 1, s[4:5]
	v_cmp_ne_u32_e64 s[4:5], v24, v25
	s_and_b64 s[4:5], vcc, s[4:5]
	v_cmp_gt_u32_e32 vcc, s3, v3
	v_cndmask_b32_e64 v42, 0, 1, s[4:5]
	v_cmp_ne_u32_e64 s[4:5], v27, v24
	s_and_b64 s[4:5], vcc, s[4:5]
	v_cmp_gt_u32_e32 vcc, s3, v7
	v_cndmask_b32_e64 v43, 0, 1, s[4:5]
	v_cmp_ne_u32_e64 s[4:5], v26, v27
	s_and_b64 s[4:5], vcc, s[4:5]
	v_cmp_gt_u32_e32 vcc, s3, v6
	v_cndmask_b32_e64 v44, 0, 1, s[4:5]
	v_cmp_ne_u32_e64 s[4:5], v29, v26
	s_and_b64 s[4:5], vcc, s[4:5]
	v_cmp_gt_u32_e32 vcc, s3, v12
	v_cndmask_b32_e64 v45, 0, 1, s[4:5]
	v_cmp_ne_u32_e64 s[4:5], v28, v29
	s_and_b64 s[4:5], vcc, s[4:5]
	v_cmp_gt_u32_e32 vcc, s3, v11
	v_cndmask_b32_e64 v46, 0, 1, s[4:5]
	v_cmp_ne_u32_e64 s[4:5], v31, v28
	s_and_b64 s[4:5], vcc, s[4:5]
	v_cmp_gt_u32_e32 vcc, s3, v15
	v_cndmask_b32_e64 v47, 0, 1, s[4:5]
	v_cmp_ne_u32_e64 s[4:5], v30, v31
	s_and_b64 s[4:5], vcc, s[4:5]
	v_cmp_gt_u32_e32 vcc, s3, v10
	v_cndmask_b32_e64 v48, 0, 1, s[4:5]
	s_waitcnt lgkmcnt(0)
	v_cmp_ne_u32_e64 s[4:5], v33, v30
	s_and_b64 s[4:5], vcc, s[4:5]
.LBB427_45:
	s_mov_b64 s[46:47], -1
	s_cbranch_execnz .LBB427_40
.LBB427_46:
	s_movk_i32 s4, 0xffc8
	v_mad_i32_i24 v17, v0, s4, v17
	s_and_b64 vcc, exec, s[40:41]
	v_cmp_ne_u32_e64 s[30:31], v19, v1
	v_cmp_ne_u32_e64 s[4:5], v18, v19
	;; [unrolled: 1-line block ×3, first 2 shown]
	s_waitcnt lgkmcnt(0)
	v_cmp_ne_u32_e64 s[8:9], v20, v21
	v_cmp_ne_u32_e64 s[10:11], v23, v20
	;; [unrolled: 1-line block ×11, first 2 shown]
	ds_write_b32 v17, v1
	s_cbranch_vccz .LBB427_50
; %bb.47:
	v_cndmask_b32_e64 v35, 0, 1, s[30:31]
	v_cndmask_b32_e64 v36, 0, 1, s[4:5]
	;; [unrolled: 1-line block ×14, first 2 shown]
	v_cmp_ne_u32_e32 vcc, 0, v0
	s_waitcnt lgkmcnt(0)
	s_barrier
	s_waitcnt lgkmcnt(0)
                                        ; implicit-def: $sgpr4_sgpr5
	s_and_saveexec_b64 s[6:7], vcc
	s_xor_b64 s[6:7], exec, s[6:7]
	s_cbranch_execz .LBB427_49
; %bb.48:
	v_add_u32_e32 v32, -4, v17
	ds_read_b32 v32, v32
	s_or_b64 s[46:47], s[46:47], exec
	s_waitcnt lgkmcnt(0)
	v_cmp_ne_u32_e32 vcc, v32, v30
	s_and_b64 s[4:5], vcc, exec
.LBB427_49:
	s_or_b64 exec, exec, s[6:7]
	s_mov_b32 s8, 1
	s_branch .LBB427_54
.LBB427_50:
                                        ; implicit-def: $sgpr4_sgpr5
                                        ; implicit-def: $vgpr35
                                        ; implicit-def: $vgpr36
                                        ; implicit-def: $vgpr37
                                        ; implicit-def: $vgpr38
                                        ; implicit-def: $vgpr39
                                        ; implicit-def: $vgpr40
                                        ; implicit-def: $vgpr41
                                        ; implicit-def: $vgpr42
                                        ; implicit-def: $vgpr48
                                        ; implicit-def: $vgpr47
                                        ; implicit-def: $vgpr46
                                        ; implicit-def: $vgpr45
                                        ; implicit-def: $vgpr44
                                        ; implicit-def: $vgpr43
                                        ; implicit-def: $sgpr8
	s_cbranch_execz .LBB427_54
; %bb.51:
	v_cmp_gt_u32_e32 vcc, s3, v2
	v_cmp_ne_u32_e64 s[4:5], v19, v1
	s_and_b64 s[4:5], vcc, s[4:5]
	v_cmp_gt_u32_e32 vcc, s3, v5
	v_cndmask_b32_e64 v35, 0, 1, s[4:5]
	v_cmp_ne_u32_e64 s[4:5], v18, v19
	s_and_b64 s[4:5], vcc, s[4:5]
	v_cmp_gt_u32_e32 vcc, s3, v4
	v_cndmask_b32_e64 v36, 0, 1, s[4:5]
	;; [unrolled: 4-line block ×13, first 2 shown]
	v_cmp_ne_u32_e64 s[4:5], v30, v31
	s_and_b64 s[4:5], vcc, s[4:5]
	v_cmp_ne_u32_e32 vcc, 0, v0
	v_cndmask_b32_e64 v48, 0, 1, s[4:5]
	s_waitcnt lgkmcnt(0)
	s_barrier
	s_waitcnt lgkmcnt(0)
                                        ; implicit-def: $sgpr4_sgpr5
	s_and_saveexec_b64 s[6:7], vcc
	s_cbranch_execz .LBB427_53
; %bb.52:
	v_add_u32_e32 v17, -4, v17
	ds_read_b32 v17, v17
	v_cmp_gt_u32_e32 vcc, s3, v10
	s_or_b64 s[46:47], s[46:47], exec
	s_waitcnt lgkmcnt(0)
	v_cmp_ne_u32_e64 s[4:5], v17, v30
	s_and_b64 s[4:5], vcc, s[4:5]
	s_and_b64 s[4:5], s[4:5], exec
.LBB427_53:
	s_or_b64 exec, exec, s[6:7]
	s_mov_b32 s8, 1
.LBB427_54:
	s_waitcnt lgkmcnt(0)
	v_mov_b32_e32 v49, s8
	s_and_saveexec_b64 s[6:7], s[46:47]
; %bb.55:
	v_cndmask_b32_e64 v49, 0, 1, s[4:5]
; %bb.56:
	s_or_b64 exec, exec, s[6:7]
	s_load_dwordx2 s[20:21], s[0:1], 0x60
	s_andn2_b64 vcc, exec, s[42:43]
	s_cbranch_vccnz .LBB427_58
; %bb.57:
	v_cmp_gt_u32_e32 vcc, s3, v10
	s_nop 1
	v_cndmask_b32_e32 v49, 0, v49, vcc
	v_cmp_gt_u32_e32 vcc, s3, v15
	s_nop 1
	v_cndmask_b32_e32 v48, 0, v48, vcc
	;; [unrolled: 3-line block ×15, first 2 shown]
.LBB427_58:
	v_and_b32_e32 v54, 0xff, v45
	v_and_b32_e32 v55, 0xff, v44
	;; [unrolled: 1-line block ×5, first 2 shown]
	v_add3_u32 v3, v55, v56, v54
	v_and_b32_e32 v50, 0xff, v49
	v_and_b32_e32 v51, 0xff, v48
	v_add3_u32 v3, v3, v53, v52
	v_and_b32_e32 v57, 0xff, v42
	v_and_b32_e32 v58, 0xff, v41
	;; [unrolled: 3-line block ×5, first 2 shown]
	v_add3_u32 v3, v3, v61, v62
	v_add3_u32 v66, v3, v63, v2
	v_mbcnt_lo_u32_b32 v2, -1, 0
	v_mbcnt_hi_u32_b32 v64, -1, v2
	v_and_b32_e32 v2, 15, v64
	v_cmp_eq_u32_e64 s[14:15], 0, v2
	v_cmp_lt_u32_e64 s[12:13], 1, v2
	v_cmp_lt_u32_e64 s[10:11], 3, v2
	;; [unrolled: 1-line block ×3, first 2 shown]
	v_and_b32_e32 v2, 16, v64
	v_cmp_eq_u32_e64 s[6:7], 0, v2
	v_or_b32_e32 v2, 63, v0
	v_cmp_lt_u32_e64 s[18:19], 31, v64
	v_lshrrev_b32_e32 v65, 6, v0
	v_cmp_eq_u32_e64 s[4:5], v2, v0
	s_and_b64 vcc, exec, s[44:45]
	s_waitcnt lgkmcnt(0)
	s_barrier
	s_cbranch_vccz .LBB427_89
; %bb.59:
	v_mov_b32_dpp v2, v66 row_shr:1 row_mask:0xf bank_mask:0xf
	v_cndmask_b32_e64 v2, v2, 0, s[14:15]
	v_add_u32_e32 v2, v2, v66
	s_nop 1
	v_mov_b32_dpp v3, v2 row_shr:2 row_mask:0xf bank_mask:0xf
	v_cndmask_b32_e64 v3, 0, v3, s[12:13]
	v_add_u32_e32 v2, v2, v3
	s_nop 1
	;; [unrolled: 4-line block ×4, first 2 shown]
	v_mov_b32_dpp v3, v2 row_bcast:15 row_mask:0xf bank_mask:0xf
	v_cndmask_b32_e64 v3, v3, 0, s[6:7]
	v_add_u32_e32 v2, v2, v3
	s_nop 1
	v_mov_b32_dpp v3, v2 row_bcast:31 row_mask:0xf bank_mask:0xf
	v_cndmask_b32_e64 v3, 0, v3, s[18:19]
	v_add_u32_e32 v2, v2, v3
	s_and_saveexec_b64 s[16:17], s[4:5]
	s_cbranch_execz .LBB427_61
; %bb.60:
	v_lshlrev_b32_e32 v3, 2, v65
	ds_write_b32 v3, v2
.LBB427_61:
	s_or_b64 exec, exec, s[16:17]
	v_cmp_gt_u32_e32 vcc, 8, v0
	s_waitcnt lgkmcnt(0)
	s_barrier
	s_and_saveexec_b64 s[16:17], vcc
	s_cbranch_execz .LBB427_63
; %bb.62:
	v_lshlrev_b32_e32 v3, 2, v0
	ds_read_b32 v4, v3
	v_and_b32_e32 v5, 7, v64
	v_cmp_ne_u32_e32 vcc, 0, v5
	s_waitcnt lgkmcnt(0)
	v_mov_b32_dpp v6, v4 row_shr:1 row_mask:0xf bank_mask:0xf
	v_cndmask_b32_e32 v6, 0, v6, vcc
	v_add_u32_e32 v4, v6, v4
	v_cmp_lt_u32_e32 vcc, 1, v5
	s_nop 0
	v_mov_b32_dpp v6, v4 row_shr:2 row_mask:0xf bank_mask:0xf
	v_cndmask_b32_e32 v6, 0, v6, vcc
	v_add_u32_e32 v4, v4, v6
	v_cmp_lt_u32_e32 vcc, 3, v5
	s_nop 0
	v_mov_b32_dpp v6, v4 row_shr:4 row_mask:0xf bank_mask:0xf
	v_cndmask_b32_e32 v5, 0, v6, vcc
	v_add_u32_e32 v4, v4, v5
	ds_write_b32 v3, v4
.LBB427_63:
	s_or_b64 exec, exec, s[16:17]
	v_cmp_gt_u32_e32 vcc, 64, v0
	v_cmp_lt_u32_e64 s[16:17], 63, v0
	s_waitcnt lgkmcnt(0)
	s_barrier
	s_waitcnt lgkmcnt(0)
                                        ; implicit-def: $vgpr12
	s_and_saveexec_b64 s[22:23], s[16:17]
	s_cbranch_execz .LBB427_65
; %bb.64:
	v_lshl_add_u32 v3, v65, 2, -4
	ds_read_b32 v12, v3
	s_waitcnt lgkmcnt(0)
	v_add_u32_e32 v2, v12, v2
.LBB427_65:
	s_or_b64 exec, exec, s[22:23]
	v_add_u32_e32 v3, -1, v64
	v_and_b32_e32 v4, 64, v64
	v_cmp_lt_i32_e64 s[16:17], v3, v4
	s_nop 1
	v_cndmask_b32_e64 v3, v3, v64, s[16:17]
	v_lshlrev_b32_e32 v3, 2, v3
	ds_bpermute_b32 v13, v3, v2
	v_cmp_eq_u32_e64 s[16:17], 0, v64
	s_and_saveexec_b64 s[22:23], vcc
	s_cbranch_execz .LBB427_88
; %bb.66:
	v_mov_b32_e32 v11, 0
	ds_read_b32 v2, v11 offset:28
	s_and_saveexec_b64 s[24:25], s[16:17]
	s_cbranch_execz .LBB427_68
; %bb.67:
	s_add_i32 s26, s2, 64
	s_mov_b32 s27, 0
	s_lshl_b64 s[26:27], s[26:27], 3
	s_add_u32 s26, s20, s26
	v_mov_b32_e32 v3, 1
	s_addc_u32 s27, s21, s27
	s_waitcnt lgkmcnt(0)
	global_store_dwordx2 v11, v[2:3], s[26:27] sc1
.LBB427_68:
	s_or_b64 exec, exec, s[24:25]
	v_xad_u32 v4, v64, -1, s2
	v_add_u32_e32 v10, 64, v4
	v_lshl_add_u64 v[6:7], v[10:11], 3, s[20:21]
	global_load_dwordx2 v[8:9], v[6:7], off sc1
	s_waitcnt vmcnt(0)
	v_cmp_eq_u16_sdwa s[26:27], v9, v11 src0_sel:BYTE_0 src1_sel:DWORD
	s_and_saveexec_b64 s[24:25], s[26:27]
	s_cbranch_execz .LBB427_74
; %bb.69:
	s_mov_b32 s3, 1
	s_mov_b64 s[26:27], 0
	v_mov_b32_e32 v3, 0
.LBB427_70:                             ; =>This Loop Header: Depth=1
                                        ;     Child Loop BB427_71 Depth 2
	s_max_u32 s28, s3, 1
.LBB427_71:                             ;   Parent Loop BB427_70 Depth=1
                                        ; =>  This Inner Loop Header: Depth=2
	s_add_i32 s28, s28, -1
	s_cmp_eq_u32 s28, 0
	s_sleep 1
	s_cbranch_scc0 .LBB427_71
; %bb.72:                               ;   in Loop: Header=BB427_70 Depth=1
	global_load_dwordx2 v[8:9], v[6:7], off sc1
	s_cmp_lt_u32 s3, 32
	s_cselect_b64 s[28:29], -1, 0
	s_cmp_lg_u64 s[28:29], 0
	s_addc_u32 s3, s3, 0
	s_waitcnt vmcnt(0)
	v_cmp_ne_u16_sdwa s[28:29], v9, v3 src0_sel:BYTE_0 src1_sel:DWORD
	s_or_b64 s[26:27], s[28:29], s[26:27]
	s_andn2_b64 exec, exec, s[26:27]
	s_cbranch_execnz .LBB427_70
; %bb.73:
	s_or_b64 exec, exec, s[26:27]
.LBB427_74:
	s_or_b64 exec, exec, s[24:25]
	v_and_b32_e32 v15, 63, v64
	v_mov_b32_e32 v14, 2
	v_cmp_ne_u32_e32 vcc, 63, v15
	v_cmp_eq_u16_sdwa s[24:25], v9, v14 src0_sel:BYTE_0 src1_sel:DWORD
	v_lshlrev_b64 v[6:7], v64, -1
	v_addc_co_u32_e32 v10, vcc, 0, v64, vcc
	v_and_b32_e32 v3, s25, v7
	v_lshlrev_b32_e32 v16, 2, v10
	v_or_b32_e32 v3, 0x80000000, v3
	ds_bpermute_b32 v10, v16, v8
	v_and_b32_e32 v5, s24, v6
	v_ffbl_b32_e32 v3, v3
	v_add_u32_e32 v3, 32, v3
	v_ffbl_b32_e32 v5, v5
	v_min_u32_e32 v3, v5, v3
	v_cmp_lt_u32_e32 vcc, v15, v3
	v_add_u32_e32 v32, 2, v15
	v_add_u32_e32 v34, 4, v15
	s_waitcnt lgkmcnt(0)
	v_cndmask_b32_e32 v5, 0, v10, vcc
	v_cmp_gt_u32_e32 vcc, 62, v15
	v_add_u32_e32 v5, v5, v8
	v_add_u32_e32 v68, 8, v15
	v_cndmask_b32_e64 v8, 0, 1, vcc
	v_lshlrev_b32_e32 v8, 1, v8
	v_add_lshl_u32 v17, v8, v64, 2
	ds_bpermute_b32 v8, v17, v5
	v_cmp_le_u32_e32 vcc, v32, v3
	v_add_u32_e32 v70, 16, v15
	v_add_u32_e32 v72, 32, v15
	s_waitcnt lgkmcnt(0)
	v_cndmask_b32_e32 v8, 0, v8, vcc
	v_cmp_gt_u32_e32 vcc, 60, v15
	v_add_u32_e32 v5, v5, v8
	s_nop 0
	v_cndmask_b32_e64 v8, 0, 1, vcc
	v_lshlrev_b32_e32 v8, 2, v8
	v_add_lshl_u32 v33, v8, v64, 2
	ds_bpermute_b32 v8, v33, v5
	v_cmp_le_u32_e32 vcc, v34, v3
	s_waitcnt lgkmcnt(0)
	s_nop 0
	v_cndmask_b32_e32 v8, 0, v8, vcc
	v_cmp_gt_u32_e32 vcc, 56, v15
	v_add_u32_e32 v5, v5, v8
	s_nop 0
	v_cndmask_b32_e64 v8, 0, 1, vcc
	v_lshlrev_b32_e32 v8, 3, v8
	v_add_lshl_u32 v67, v8, v64, 2
	ds_bpermute_b32 v8, v67, v5
	v_cmp_le_u32_e32 vcc, v68, v3
	s_waitcnt lgkmcnt(0)
	s_nop 0
	;; [unrolled: 11-line block ×4, first 2 shown]
	v_cndmask_b32_e32 v3, 0, v8, vcc
	v_add_u32_e32 v8, v5, v3
	v_mov_b32_e32 v5, 0
	s_branch .LBB427_76
.LBB427_75:                             ;   in Loop: Header=BB427_76 Depth=1
	s_or_b64 exec, exec, s[24:25]
	v_cmp_eq_u16_sdwa s[24:25], v9, v14 src0_sel:BYTE_0 src1_sel:DWORD
	ds_bpermute_b32 v73, v16, v8
	v_subrev_u32_e32 v4, 64, v4
	v_and_b32_e32 v10, s25, v7
	v_or_b32_e32 v10, 0x80000000, v10
	v_and_b32_e32 v11, s24, v6
	v_ffbl_b32_e32 v10, v10
	v_add_u32_e32 v10, 32, v10
	v_ffbl_b32_e32 v11, v11
	v_min_u32_e32 v10, v11, v10
	v_cmp_lt_u32_e32 vcc, v15, v10
	s_waitcnt lgkmcnt(0)
	s_nop 0
	v_cndmask_b32_e32 v11, 0, v73, vcc
	v_add_u32_e32 v8, v11, v8
	ds_bpermute_b32 v11, v17, v8
	v_cmp_le_u32_e32 vcc, v32, v10
	s_waitcnt lgkmcnt(0)
	s_nop 0
	v_cndmask_b32_e32 v11, 0, v11, vcc
	v_add_u32_e32 v8, v8, v11
	ds_bpermute_b32 v11, v33, v8
	v_cmp_le_u32_e32 vcc, v34, v10
	;; [unrolled: 6-line block ×5, first 2 shown]
	s_waitcnt lgkmcnt(0)
	s_nop 0
	v_cndmask_b32_e32 v10, 0, v11, vcc
	v_add3_u32 v8, v10, v3, v8
.LBB427_76:                             ; =>This Loop Header: Depth=1
                                        ;     Child Loop BB427_79 Depth 2
                                        ;       Child Loop BB427_80 Depth 3
	v_cmp_ne_u16_sdwa s[24:25], v9, v14 src0_sel:BYTE_0 src1_sel:DWORD
	s_nop 1
	v_cndmask_b32_e64 v3, 0, 1, s[24:25]
	;;#ASMSTART
	;;#ASMEND
	s_nop 0
	v_cmp_ne_u32_e32 vcc, 0, v3
	s_cmp_lg_u64 vcc, exec
	v_mov_b32_e32 v3, v8
	s_cbranch_scc1 .LBB427_83
; %bb.77:                               ;   in Loop: Header=BB427_76 Depth=1
	v_lshl_add_u64 v[10:11], v[4:5], 3, s[20:21]
	global_load_dwordx2 v[8:9], v[10:11], off sc1
	s_waitcnt vmcnt(0)
	v_cmp_eq_u16_sdwa s[26:27], v9, v5 src0_sel:BYTE_0 src1_sel:DWORD
	s_and_saveexec_b64 s[24:25], s[26:27]
	s_cbranch_execz .LBB427_75
; %bb.78:                               ;   in Loop: Header=BB427_76 Depth=1
	s_mov_b32 s3, 1
	s_mov_b64 s[26:27], 0
.LBB427_79:                             ;   Parent Loop BB427_76 Depth=1
                                        ; =>  This Loop Header: Depth=2
                                        ;       Child Loop BB427_80 Depth 3
	s_max_u32 s28, s3, 1
.LBB427_80:                             ;   Parent Loop BB427_76 Depth=1
                                        ;     Parent Loop BB427_79 Depth=2
                                        ; =>    This Inner Loop Header: Depth=3
	s_add_i32 s28, s28, -1
	s_cmp_eq_u32 s28, 0
	s_sleep 1
	s_cbranch_scc0 .LBB427_80
; %bb.81:                               ;   in Loop: Header=BB427_79 Depth=2
	global_load_dwordx2 v[8:9], v[10:11], off sc1
	s_cmp_lt_u32 s3, 32
	s_cselect_b64 s[28:29], -1, 0
	s_cmp_lg_u64 s[28:29], 0
	s_addc_u32 s3, s3, 0
	s_waitcnt vmcnt(0)
	v_cmp_ne_u16_sdwa s[28:29], v9, v5 src0_sel:BYTE_0 src1_sel:DWORD
	s_or_b64 s[26:27], s[28:29], s[26:27]
	s_andn2_b64 exec, exec, s[26:27]
	s_cbranch_execnz .LBB427_79
; %bb.82:                               ;   in Loop: Header=BB427_76 Depth=1
	s_or_b64 exec, exec, s[26:27]
	s_branch .LBB427_75
.LBB427_83:                             ;   in Loop: Header=BB427_76 Depth=1
                                        ; implicit-def: $vgpr8
                                        ; implicit-def: $vgpr9
	s_cbranch_execz .LBB427_76
; %bb.84:
	s_and_saveexec_b64 s[24:25], s[16:17]
	s_cbranch_execz .LBB427_86
; %bb.85:
	s_add_i32 s2, s2, 64
	s_mov_b32 s3, 0
	s_lshl_b64 s[2:3], s[2:3], 3
	s_add_u32 s2, s20, s2
	v_add_u32_e32 v4, v3, v2
	v_mov_b32_e32 v5, 2
	s_addc_u32 s3, s21, s3
	v_mov_b32_e32 v6, 0
	global_store_dwordx2 v6, v[4:5], s[2:3] sc1
	ds_write_b64 v6, v[2:3] offset:30720
.LBB427_86:
	s_or_b64 exec, exec, s[24:25]
	v_cmp_eq_u32_e32 vcc, 0, v0
	s_and_b64 exec, exec, vcc
	s_cbranch_execz .LBB427_88
; %bb.87:
	v_mov_b32_e32 v2, 0
	ds_write_b32 v2, v3 offset:28
.LBB427_88:
	s_or_b64 exec, exec, s[22:23]
	v_mov_b32_e32 v14, 0
	s_waitcnt lgkmcnt(0)
	s_barrier
	ds_read_b32 v2, v14 offset:28
	v_cndmask_b32_e64 v3, v13, v12, s[16:17]
	v_cmp_ne_u32_e32 vcc, 0, v0
	s_waitcnt lgkmcnt(0)
	s_barrier
	v_cndmask_b32_e32 v3, 0, v3, vcc
	v_add_u32_e32 v2, v2, v3
	v_add_u32_e32 v3, v2, v50
	;; [unrolled: 1-line block ×10, first 2 shown]
	ds_read_b64 v[32:33], v14 offset:30720
	v_add_u32_e32 v12, v11, v59
	v_add_u32_e32 v13, v12, v60
	v_add_u32_e32 v14, v13, v61
	v_add_u32_e32 v15, v14, v62
	v_add_u32_e32 v16, v15, v63
	s_waitcnt lgkmcnt(0)
	v_mov_b32_e32 v34, v33
	s_load_dwordx2 s[2:3], s[0:1], 0x28
	s_branch .LBB427_99
.LBB427_89:
                                        ; implicit-def: $vgpr34
                                        ; implicit-def: $vgpr32
                                        ; implicit-def: $vgpr2_vgpr3_vgpr4_vgpr5_vgpr6_vgpr7_vgpr8_vgpr9_vgpr10_vgpr11_vgpr12_vgpr13_vgpr14_vgpr15_vgpr16_vgpr17
	s_load_dwordx2 s[2:3], s[0:1], 0x28
	s_cbranch_execz .LBB427_99
; %bb.90:
	v_mov_b32_dpp v2, v66 row_shr:1 row_mask:0xf bank_mask:0xf
	v_cndmask_b32_e64 v2, v2, 0, s[14:15]
	v_add_u32_e32 v2, v2, v66
	s_nop 1
	v_mov_b32_dpp v3, v2 row_shr:2 row_mask:0xf bank_mask:0xf
	v_cndmask_b32_e64 v3, 0, v3, s[12:13]
	v_add_u32_e32 v2, v2, v3
	s_nop 1
	;; [unrolled: 4-line block ×4, first 2 shown]
	v_mov_b32_dpp v3, v2 row_bcast:15 row_mask:0xf bank_mask:0xf
	v_cndmask_b32_e64 v3, v3, 0, s[6:7]
	v_add_u32_e32 v2, v2, v3
	s_nop 1
	v_mov_b32_dpp v3, v2 row_bcast:31 row_mask:0xf bank_mask:0xf
	v_cndmask_b32_e64 v3, 0, v3, s[18:19]
	v_add_u32_e32 v2, v2, v3
	s_and_saveexec_b64 s[0:1], s[4:5]
	s_cbranch_execz .LBB427_92
; %bb.91:
	v_lshlrev_b32_e32 v3, 2, v65
	ds_write_b32 v3, v2
.LBB427_92:
	s_or_b64 exec, exec, s[0:1]
	v_cmp_gt_u32_e32 vcc, 8, v0
	s_waitcnt lgkmcnt(0)
	s_barrier
	s_and_saveexec_b64 s[0:1], vcc
	s_cbranch_execz .LBB427_94
; %bb.93:
	v_lshlrev_b32_e32 v3, 2, v0
	ds_read_b32 v4, v3
	v_and_b32_e32 v5, 7, v64
	v_cmp_ne_u32_e32 vcc, 0, v5
	s_waitcnt lgkmcnt(0)
	v_mov_b32_dpp v6, v4 row_shr:1 row_mask:0xf bank_mask:0xf
	v_cndmask_b32_e32 v6, 0, v6, vcc
	v_add_u32_e32 v4, v6, v4
	v_cmp_lt_u32_e32 vcc, 1, v5
	s_nop 0
	v_mov_b32_dpp v6, v4 row_shr:2 row_mask:0xf bank_mask:0xf
	v_cndmask_b32_e32 v6, 0, v6, vcc
	v_add_u32_e32 v4, v4, v6
	v_cmp_lt_u32_e32 vcc, 3, v5
	s_nop 0
	v_mov_b32_dpp v6, v4 row_shr:4 row_mask:0xf bank_mask:0xf
	v_cndmask_b32_e32 v5, 0, v6, vcc
	v_add_u32_e32 v4, v4, v5
	ds_write_b32 v3, v4
.LBB427_94:
	s_or_b64 exec, exec, s[0:1]
	v_cmp_lt_u32_e32 vcc, 63, v0
	v_mov_b32_e32 v4, 0
	v_mov_b32_e32 v3, 0
	s_waitcnt lgkmcnt(0)
	s_barrier
	s_and_saveexec_b64 s[0:1], vcc
	s_cbranch_execz .LBB427_96
; %bb.95:
	v_lshl_add_u32 v3, v65, 2, -4
	ds_read_b32 v3, v3
.LBB427_96:
	s_or_b64 exec, exec, s[0:1]
	v_add_u32_e32 v5, -1, v64
	v_and_b32_e32 v6, 64, v64
	v_cmp_lt_i32_e32 vcc, v5, v6
	s_waitcnt lgkmcnt(0)
	v_add_u32_e32 v2, v3, v2
	ds_read_b32 v32, v4 offset:28
	v_cndmask_b32_e32 v5, v5, v64, vcc
	v_lshlrev_b32_e32 v5, 2, v5
	ds_bpermute_b32 v2, v5, v2
	v_cmp_eq_u32_e32 vcc, 0, v0
	s_and_saveexec_b64 s[0:1], vcc
	s_cbranch_execz .LBB427_98
; %bb.97:
	v_mov_b32_e32 v4, 0
	v_mov_b32_e32 v33, 2
	s_waitcnt lgkmcnt(1)
	global_store_dwordx2 v4, v[32:33], s[20:21] offset:512 sc1
.LBB427_98:
	s_or_b64 exec, exec, s[0:1]
	v_cmp_eq_u32_e64 s[0:1], 0, v64
	v_mov_b32_e32 v34, 0
	s_waitcnt lgkmcnt(0)
	v_cndmask_b32_e64 v2, v2, v3, s[0:1]
	v_cndmask_b32_e64 v2, v2, 0, vcc
	v_add_u32_e32 v3, v2, v50
	v_add_u32_e32 v4, v3, v51
	;; [unrolled: 1-line block ×14, first 2 shown]
	s_barrier
.LBB427_99:
	s_movk_i32 s0, 0x201
	v_cmp_gt_u32_e32 vcc, s0, v32
	s_mov_b64 s[0:1], -1
	s_cbranch_vccnz .LBB427_103
; %bb.100:
	s_and_b64 vcc, exec, s[0:1]
	s_cbranch_vccnz .LBB427_149
.LBB427_101:
	v_cmp_eq_u32_e32 vcc, 0, v0
	s_and_b64 s[0:1], vcc, s[38:39]
	s_waitcnt lgkmcnt(0)
	s_and_saveexec_b64 s[2:3], s[0:1]
	s_cbranch_execnz .LBB427_193
.LBB427_102:
	s_endpgm
.LBB427_103:
	v_add_u32_e32 v17, v34, v32
	s_lshl_b64 s[0:1], s[34:35], 2
	s_waitcnt lgkmcnt(0)
	s_add_u32 s0, s2, s0
	v_cmp_lt_u32_e32 vcc, v2, v17
	s_addc_u32 s1, s3, s1
	s_or_b64 s[6:7], s[40:41], vcc
	s_and_saveexec_b64 s[4:5], s[6:7]
	s_cbranch_execz .LBB427_106
; %bb.104:
	v_and_b32_e32 v33, 1, v49
	v_cmp_eq_u32_e32 vcc, 1, v33
	s_and_b64 exec, exec, vcc
	s_cbranch_execz .LBB427_106
; %bb.105:
	v_mov_b32_e32 v51, 0
	v_mov_b32_e32 v50, v2
	v_lshl_add_u64 v[50:51], v[50:51], 2, s[0:1]
	global_store_dword v[50:51], v30, off
.LBB427_106:
	s_or_b64 exec, exec, s[4:5]
	v_cmp_lt_u32_e32 vcc, v3, v17
	s_or_b64 s[6:7], s[40:41], vcc
	s_and_saveexec_b64 s[4:5], s[6:7]
	s_cbranch_execz .LBB427_109
; %bb.107:
	v_and_b32_e32 v33, 1, v48
	v_cmp_eq_u32_e32 vcc, 1, v33
	s_and_b64 exec, exec, vcc
	s_cbranch_execz .LBB427_109
; %bb.108:
	v_mov_b32_e32 v51, 0
	v_mov_b32_e32 v50, v3
	v_lshl_add_u64 v[50:51], v[50:51], 2, s[0:1]
	global_store_dword v[50:51], v31, off
.LBB427_109:
	s_or_b64 exec, exec, s[4:5]
	v_cmp_lt_u32_e32 vcc, v4, v17
	;; [unrolled: 16-line block ×14, first 2 shown]
	s_or_b64 s[6:7], s[40:41], vcc
	s_and_saveexec_b64 s[4:5], s[6:7]
	s_cbranch_execz .LBB427_148
; %bb.146:
	v_and_b32_e32 v17, 1, v35
	v_cmp_eq_u32_e32 vcc, 1, v17
	s_and_b64 exec, exec, vcc
	s_cbranch_execz .LBB427_148
; %bb.147:
	v_mov_b32_e32 v17, 0
	v_lshl_add_u64 v[50:51], v[16:17], 2, s[0:1]
	global_store_dword v[50:51], v1, off
.LBB427_148:
	s_or_b64 exec, exec, s[4:5]
	s_branch .LBB427_101
.LBB427_149:
	v_and_b32_e32 v17, 1, v49
	v_cmp_eq_u32_e32 vcc, 1, v17
	s_and_saveexec_b64 s[0:1], vcc
	s_cbranch_execz .LBB427_151
; %bb.150:
	v_sub_u32_e32 v2, v2, v34
	v_lshlrev_b32_e32 v2, 2, v2
	ds_write_b32 v2, v30
.LBB427_151:
	s_or_b64 exec, exec, s[0:1]
	v_and_b32_e32 v2, 1, v48
	v_cmp_eq_u32_e32 vcc, 1, v2
	s_and_saveexec_b64 s[0:1], vcc
	s_cbranch_execz .LBB427_153
; %bb.152:
	v_sub_u32_e32 v2, v3, v34
	v_lshlrev_b32_e32 v2, 2, v2
	ds_write_b32 v2, v31
.LBB427_153:
	s_or_b64 exec, exec, s[0:1]
	;; [unrolled: 10-line block ×15, first 2 shown]
	v_cmp_lt_u32_e32 vcc, v0, v32
	s_waitcnt lgkmcnt(0)
	s_barrier
	s_and_saveexec_b64 s[0:1], vcc
	s_cbranch_execz .LBB427_192
; %bb.180:
	s_lshl_b64 s[4:5], s[34:35], 2
	v_mov_b32_e32 v35, 0
	s_add_u32 s2, s2, s4
	s_addc_u32 s3, s3, s5
	v_lshlrev_b64 v[2:3], 2, v[34:35]
	v_lshl_add_u64 v[2:3], s[2:3], 0, v[2:3]
	v_xad_u32 v1, v0, -1, v32
	s_movk_i32 s2, 0x1ff
	v_cmp_lt_u32_e32 vcc, s2, v1
	s_mov_b64 s[4:5], -1
	v_mov_b32_e32 v4, v0
	s_and_saveexec_b64 s[2:3], vcc
	s_cbranch_execz .LBB427_189
; %bb.181:
	v_lshrrev_b32_e32 v8, 9, v1
	v_add_u32_e32 v4, -1, v8
	v_or_b32_e32 v1, 0x200, v0
	v_lshrrev_b32_e32 v5, 1, v4
	v_add_u32_e32 v10, 1, v5
	v_cmp_lt_u32_e32 vcc, 13, v4
	v_lshlrev_b32_e32 v9, 2, v0
	v_mov_b64_e32 v[4:5], v[0:1]
	s_and_saveexec_b64 s[4:5], vcc
	s_cbranch_execz .LBB427_185
; %bb.182:
	v_and_b32_e32 v11, -8, v10
	s_mov_b32 s8, 0
	s_mov_b64 s[6:7], 0
	v_mov_b32_e32 v7, 0
	v_mov_b32_e32 v12, v9
	v_mov_b64_e32 v[4:5], v[0:1]
.LBB427_183:                            ; =>This Inner Loop Header: Depth=1
	ds_read2st64_b32 v[14:15], v12 offset1:8
	v_mov_b32_e32 v6, v4
	ds_read2st64_b32 v[26:27], v12 offset0:48 offset1:56
	v_lshl_add_u64 v[48:49], v[6:7], 2, v[2:3]
	v_mov_b32_e32 v6, v5
	ds_read2st64_b32 v[18:19], v12 offset0:16 offset1:24
	ds_read2st64_b32 v[30:31], v12 offset0:64 offset1:72
	v_lshl_add_u64 v[50:51], v[6:7], 2, v[2:3]
	v_add_u32_e32 v6, 0x400, v4
	ds_read2st64_b32 v[38:39], v12 offset0:80 offset1:88
	v_lshl_add_u64 v[52:53], v[6:7], 2, v[2:3]
	v_add_u32_e32 v6, 0x800, v4
	v_add_u32_e32 v16, 0x400, v5
	v_mov_b32_e32 v17, v7
	v_add_u32_e32 v20, 0x800, v5
	ds_read2st64_b32 v[22:23], v12 offset0:32 offset1:40
	v_mov_b32_e32 v21, v7
	ds_read2st64_b32 v[42:43], v12 offset0:96 offset1:104
	v_lshl_add_u64 v[54:55], v[6:7], 2, v[2:3]
	v_add_u32_e32 v6, 0xc00, v4
	v_add_u32_e32 v24, 0xc00, v5
	v_mov_b32_e32 v25, v7
	ds_read2st64_b32 v[46:47], v12 offset0:112 offset1:120
	v_lshl_add_u64 v[16:17], v[16:17], 2, v[2:3]
	v_lshl_add_u64 v[20:21], v[20:21], 2, v[2:3]
	s_waitcnt lgkmcnt(7)
	global_store_dword v[48:49], v14, off
	global_store_dword v[50:51], v15, off
	s_waitcnt lgkmcnt(5)
	global_store_dword v[52:53], v18, off
	global_store_dword v[16:17], v19, off
	;; [unrolled: 3-line block ×3, first 2 shown]
	v_lshl_add_u64 v[14:15], v[6:7], 2, v[2:3]
	v_add_u32_e32 v6, 0x1000, v4
	v_add_u32_e32 v28, 0x1000, v5
	v_mov_b32_e32 v29, v7
	v_lshl_add_u64 v[24:25], v[24:25], 2, v[2:3]
	global_store_dword v[14:15], v26, off
	global_store_dword v[24:25], v27, off
	v_lshl_add_u64 v[14:15], v[6:7], 2, v[2:3]
	v_add_u32_e32 v6, 0x1400, v4
	v_add_u32_e32 v36, 0x1400, v5
	v_mov_b32_e32 v37, v7
	v_add_u32_e32 v11, -8, v11
	v_lshl_add_u64 v[28:29], v[28:29], 2, v[2:3]
	global_store_dword v[14:15], v30, off
	global_store_dword v[28:29], v31, off
	v_lshl_add_u64 v[14:15], v[6:7], 2, v[2:3]
	v_add_u32_e32 v6, 0x1800, v4
	v_add_u32_e32 v40, 0x1800, v5
	v_mov_b32_e32 v41, v7
	s_add_i32 s8, s8, 16
	v_lshl_add_u64 v[36:37], v[36:37], 2, v[2:3]
	v_cmp_eq_u32_e32 vcc, 0, v11
	global_store_dword v[14:15], v38, off
	global_store_dword v[36:37], v39, off
	v_lshl_add_u64 v[14:15], v[6:7], 2, v[2:3]
	v_add_u32_e32 v6, 0x1c00, v4
	v_add_u32_e32 v44, 0x1c00, v5
	v_mov_b32_e32 v45, v7
	v_add_u32_e32 v12, 0x8000, v12
	v_lshl_add_u64 v[40:41], v[40:41], 2, v[2:3]
	v_add_u32_e32 v5, 0x2000, v5
	v_mov_b32_e32 v35, s8
	s_or_b64 s[6:7], vcc, s[6:7]
	v_add_u32_e32 v4, 0x2000, v4
	s_waitcnt lgkmcnt(1)
	global_store_dword v[14:15], v42, off
	global_store_dword v[40:41], v43, off
	v_lshl_add_u64 v[14:15], v[6:7], 2, v[2:3]
	v_lshl_add_u64 v[44:45], v[44:45], 2, v[2:3]
	s_waitcnt lgkmcnt(0)
	global_store_dword v[14:15], v46, off
	global_store_dword v[44:45], v47, off
	s_andn2_b64 exec, exec, s[6:7]
	s_cbranch_execnz .LBB427_183
; %bb.184:
	s_or_b64 exec, exec, s[6:7]
.LBB427_185:
	s_or_b64 exec, exec, s[4:5]
	v_and_b32_e32 v1, 7, v10
	v_cmp_ne_u32_e32 vcc, 0, v1
	s_and_saveexec_b64 s[4:5], vcc
	s_cbranch_execz .LBB427_188
; %bb.186:
	v_lshl_or_b32 v9, v35, 11, v9
	s_mov_b64 s[6:7], 0
	v_mov_b32_e32 v7, 0
.LBB427_187:                            ; =>This Inner Loop Header: Depth=1
	ds_read2st64_b32 v[10:11], v9 offset1:8
	v_add_u32_e32 v1, -1, v1
	v_mov_b32_e32 v6, v4
	v_cmp_eq_u32_e32 vcc, 0, v1
	v_add_u32_e32 v4, 0x400, v4
	v_add_u32_e32 v9, 0x1000, v9
	v_lshl_add_u64 v[12:13], v[6:7], 2, v[2:3]
	v_mov_b32_e32 v6, v5
	v_add_u32_e32 v5, 0x400, v5
	s_or_b64 s[6:7], vcc, s[6:7]
	v_lshl_add_u64 v[14:15], v[6:7], 2, v[2:3]
	s_waitcnt lgkmcnt(0)
	global_store_dword v[12:13], v10, off
	global_store_dword v[14:15], v11, off
	s_andn2_b64 exec, exec, s[6:7]
	s_cbranch_execnz .LBB427_187
.LBB427_188:
	s_or_b64 exec, exec, s[4:5]
	v_add_u32_e32 v1, 1, v8
	v_and_b32_e32 v5, 0xfffffe, v1
	v_cmp_ne_u32_e32 vcc, v1, v5
	v_lshl_or_b32 v4, v5, 9, v0
	s_orn2_b64 s[4:5], vcc, exec
.LBB427_189:
	s_or_b64 exec, exec, s[2:3]
	s_and_b64 exec, exec, s[4:5]
	s_cbranch_execz .LBB427_192
; %bb.190:
	v_lshlrev_b32_e32 v1, 2, v4
	s_mov_b64 s[2:3], 0
	v_mov_b32_e32 v5, 0
.LBB427_191:                            ; =>This Inner Loop Header: Depth=1
	ds_read_b32 v8, v1
	v_lshl_add_u64 v[6:7], v[4:5], 2, v[2:3]
	v_add_u32_e32 v4, 0x200, v4
	v_cmp_ge_u32_e32 vcc, v4, v32
	v_add_u32_e32 v1, 0x800, v1
	s_or_b64 s[2:3], vcc, s[2:3]
	s_waitcnt lgkmcnt(0)
	global_store_dword v[6:7], v8, off
	s_andn2_b64 exec, exec, s[2:3]
	s_cbranch_execnz .LBB427_191
.LBB427_192:
	s_or_b64 exec, exec, s[0:1]
	v_cmp_eq_u32_e32 vcc, 0, v0
	s_and_b64 s[0:1], vcc, s[38:39]
	s_and_saveexec_b64 s[2:3], s[0:1]
	s_cbranch_execz .LBB427_102
.LBB427_193:
	v_mov_b32_e32 v33, 0
	v_lshl_add_u64 v[0:1], s[34:35], 0, v[32:33]
	v_mov_b32_e32 v35, v33
	v_lshl_add_u64 v[0:1], v[0:1], 0, v[34:35]
	global_store_dwordx2 v33, v[0:1], s[36:37]
	s_endpgm
	.section	.rodata,"a",@progbits
	.p2align	6, 0x0
	.amdhsa_kernel _ZN7rocprim17ROCPRIM_400000_NS6detail17trampoline_kernelINS0_14default_configENS1_25partition_config_selectorILNS1_17partition_subalgoE8EiNS0_10empty_typeEbEEZZNS1_14partition_implILS5_8ELb0ES3_jPKiPS6_PKS6_NS0_5tupleIJPiS6_EEENSE_IJSB_SB_EEENS0_18inequality_wrapperIN6hipcub16HIPCUB_304000_NS8EqualityEEEPlJS6_EEE10hipError_tPvRmT3_T4_T5_T6_T7_T9_mT8_P12ihipStream_tbDpT10_ENKUlT_T0_E_clISt17integral_constantIbLb1EES16_IbLb0EEEEDaS12_S13_EUlS12_E_NS1_11comp_targetILNS1_3genE5ELNS1_11target_archE942ELNS1_3gpuE9ELNS1_3repE0EEENS1_30default_config_static_selectorELNS0_4arch9wavefront6targetE1EEEvT1_
		.amdhsa_group_segment_fixed_size 30728
		.amdhsa_private_segment_fixed_size 0
		.amdhsa_kernarg_size 112
		.amdhsa_user_sgpr_count 2
		.amdhsa_user_sgpr_dispatch_ptr 0
		.amdhsa_user_sgpr_queue_ptr 0
		.amdhsa_user_sgpr_kernarg_segment_ptr 1
		.amdhsa_user_sgpr_dispatch_id 0
		.amdhsa_user_sgpr_kernarg_preload_length 0
		.amdhsa_user_sgpr_kernarg_preload_offset 0
		.amdhsa_user_sgpr_private_segment_size 0
		.amdhsa_uses_dynamic_stack 0
		.amdhsa_enable_private_segment 0
		.amdhsa_system_sgpr_workgroup_id_x 1
		.amdhsa_system_sgpr_workgroup_id_y 0
		.amdhsa_system_sgpr_workgroup_id_z 0
		.amdhsa_system_sgpr_workgroup_info 0
		.amdhsa_system_vgpr_workitem_id 0
		.amdhsa_next_free_vgpr 74
		.amdhsa_next_free_sgpr 48
		.amdhsa_accum_offset 76
		.amdhsa_reserve_vcc 1
		.amdhsa_float_round_mode_32 0
		.amdhsa_float_round_mode_16_64 0
		.amdhsa_float_denorm_mode_32 3
		.amdhsa_float_denorm_mode_16_64 3
		.amdhsa_dx10_clamp 1
		.amdhsa_ieee_mode 1
		.amdhsa_fp16_overflow 0
		.amdhsa_tg_split 0
		.amdhsa_exception_fp_ieee_invalid_op 0
		.amdhsa_exception_fp_denorm_src 0
		.amdhsa_exception_fp_ieee_div_zero 0
		.amdhsa_exception_fp_ieee_overflow 0
		.amdhsa_exception_fp_ieee_underflow 0
		.amdhsa_exception_fp_ieee_inexact 0
		.amdhsa_exception_int_div_zero 0
	.end_amdhsa_kernel
	.section	.text._ZN7rocprim17ROCPRIM_400000_NS6detail17trampoline_kernelINS0_14default_configENS1_25partition_config_selectorILNS1_17partition_subalgoE8EiNS0_10empty_typeEbEEZZNS1_14partition_implILS5_8ELb0ES3_jPKiPS6_PKS6_NS0_5tupleIJPiS6_EEENSE_IJSB_SB_EEENS0_18inequality_wrapperIN6hipcub16HIPCUB_304000_NS8EqualityEEEPlJS6_EEE10hipError_tPvRmT3_T4_T5_T6_T7_T9_mT8_P12ihipStream_tbDpT10_ENKUlT_T0_E_clISt17integral_constantIbLb1EES16_IbLb0EEEEDaS12_S13_EUlS12_E_NS1_11comp_targetILNS1_3genE5ELNS1_11target_archE942ELNS1_3gpuE9ELNS1_3repE0EEENS1_30default_config_static_selectorELNS0_4arch9wavefront6targetE1EEEvT1_,"axG",@progbits,_ZN7rocprim17ROCPRIM_400000_NS6detail17trampoline_kernelINS0_14default_configENS1_25partition_config_selectorILNS1_17partition_subalgoE8EiNS0_10empty_typeEbEEZZNS1_14partition_implILS5_8ELb0ES3_jPKiPS6_PKS6_NS0_5tupleIJPiS6_EEENSE_IJSB_SB_EEENS0_18inequality_wrapperIN6hipcub16HIPCUB_304000_NS8EqualityEEEPlJS6_EEE10hipError_tPvRmT3_T4_T5_T6_T7_T9_mT8_P12ihipStream_tbDpT10_ENKUlT_T0_E_clISt17integral_constantIbLb1EES16_IbLb0EEEEDaS12_S13_EUlS12_E_NS1_11comp_targetILNS1_3genE5ELNS1_11target_archE942ELNS1_3gpuE9ELNS1_3repE0EEENS1_30default_config_static_selectorELNS0_4arch9wavefront6targetE1EEEvT1_,comdat
.Lfunc_end427:
	.size	_ZN7rocprim17ROCPRIM_400000_NS6detail17trampoline_kernelINS0_14default_configENS1_25partition_config_selectorILNS1_17partition_subalgoE8EiNS0_10empty_typeEbEEZZNS1_14partition_implILS5_8ELb0ES3_jPKiPS6_PKS6_NS0_5tupleIJPiS6_EEENSE_IJSB_SB_EEENS0_18inequality_wrapperIN6hipcub16HIPCUB_304000_NS8EqualityEEEPlJS6_EEE10hipError_tPvRmT3_T4_T5_T6_T7_T9_mT8_P12ihipStream_tbDpT10_ENKUlT_T0_E_clISt17integral_constantIbLb1EES16_IbLb0EEEEDaS12_S13_EUlS12_E_NS1_11comp_targetILNS1_3genE5ELNS1_11target_archE942ELNS1_3gpuE9ELNS1_3repE0EEENS1_30default_config_static_selectorELNS0_4arch9wavefront6targetE1EEEvT1_, .Lfunc_end427-_ZN7rocprim17ROCPRIM_400000_NS6detail17trampoline_kernelINS0_14default_configENS1_25partition_config_selectorILNS1_17partition_subalgoE8EiNS0_10empty_typeEbEEZZNS1_14partition_implILS5_8ELb0ES3_jPKiPS6_PKS6_NS0_5tupleIJPiS6_EEENSE_IJSB_SB_EEENS0_18inequality_wrapperIN6hipcub16HIPCUB_304000_NS8EqualityEEEPlJS6_EEE10hipError_tPvRmT3_T4_T5_T6_T7_T9_mT8_P12ihipStream_tbDpT10_ENKUlT_T0_E_clISt17integral_constantIbLb1EES16_IbLb0EEEEDaS12_S13_EUlS12_E_NS1_11comp_targetILNS1_3genE5ELNS1_11target_archE942ELNS1_3gpuE9ELNS1_3repE0EEENS1_30default_config_static_selectorELNS0_4arch9wavefront6targetE1EEEvT1_
                                        ; -- End function
	.section	.AMDGPU.csdata,"",@progbits
; Kernel info:
; codeLenInByte = 7932
; NumSgprs: 54
; NumVgprs: 74
; NumAgprs: 0
; TotalNumVgprs: 74
; ScratchSize: 0
; MemoryBound: 0
; FloatMode: 240
; IeeeMode: 1
; LDSByteSize: 30728 bytes/workgroup (compile time only)
; SGPRBlocks: 6
; VGPRBlocks: 9
; NumSGPRsForWavesPerEU: 54
; NumVGPRsForWavesPerEU: 74
; AccumOffset: 76
; Occupancy: 4
; WaveLimiterHint : 1
; COMPUTE_PGM_RSRC2:SCRATCH_EN: 0
; COMPUTE_PGM_RSRC2:USER_SGPR: 2
; COMPUTE_PGM_RSRC2:TRAP_HANDLER: 0
; COMPUTE_PGM_RSRC2:TGID_X_EN: 1
; COMPUTE_PGM_RSRC2:TGID_Y_EN: 0
; COMPUTE_PGM_RSRC2:TGID_Z_EN: 0
; COMPUTE_PGM_RSRC2:TIDIG_COMP_CNT: 0
; COMPUTE_PGM_RSRC3_GFX90A:ACCUM_OFFSET: 18
; COMPUTE_PGM_RSRC3_GFX90A:TG_SPLIT: 0
	.section	.text._ZN7rocprim17ROCPRIM_400000_NS6detail17trampoline_kernelINS0_14default_configENS1_25partition_config_selectorILNS1_17partition_subalgoE8EiNS0_10empty_typeEbEEZZNS1_14partition_implILS5_8ELb0ES3_jPKiPS6_PKS6_NS0_5tupleIJPiS6_EEENSE_IJSB_SB_EEENS0_18inequality_wrapperIN6hipcub16HIPCUB_304000_NS8EqualityEEEPlJS6_EEE10hipError_tPvRmT3_T4_T5_T6_T7_T9_mT8_P12ihipStream_tbDpT10_ENKUlT_T0_E_clISt17integral_constantIbLb1EES16_IbLb0EEEEDaS12_S13_EUlS12_E_NS1_11comp_targetILNS1_3genE4ELNS1_11target_archE910ELNS1_3gpuE8ELNS1_3repE0EEENS1_30default_config_static_selectorELNS0_4arch9wavefront6targetE1EEEvT1_,"axG",@progbits,_ZN7rocprim17ROCPRIM_400000_NS6detail17trampoline_kernelINS0_14default_configENS1_25partition_config_selectorILNS1_17partition_subalgoE8EiNS0_10empty_typeEbEEZZNS1_14partition_implILS5_8ELb0ES3_jPKiPS6_PKS6_NS0_5tupleIJPiS6_EEENSE_IJSB_SB_EEENS0_18inequality_wrapperIN6hipcub16HIPCUB_304000_NS8EqualityEEEPlJS6_EEE10hipError_tPvRmT3_T4_T5_T6_T7_T9_mT8_P12ihipStream_tbDpT10_ENKUlT_T0_E_clISt17integral_constantIbLb1EES16_IbLb0EEEEDaS12_S13_EUlS12_E_NS1_11comp_targetILNS1_3genE4ELNS1_11target_archE910ELNS1_3gpuE8ELNS1_3repE0EEENS1_30default_config_static_selectorELNS0_4arch9wavefront6targetE1EEEvT1_,comdat
	.protected	_ZN7rocprim17ROCPRIM_400000_NS6detail17trampoline_kernelINS0_14default_configENS1_25partition_config_selectorILNS1_17partition_subalgoE8EiNS0_10empty_typeEbEEZZNS1_14partition_implILS5_8ELb0ES3_jPKiPS6_PKS6_NS0_5tupleIJPiS6_EEENSE_IJSB_SB_EEENS0_18inequality_wrapperIN6hipcub16HIPCUB_304000_NS8EqualityEEEPlJS6_EEE10hipError_tPvRmT3_T4_T5_T6_T7_T9_mT8_P12ihipStream_tbDpT10_ENKUlT_T0_E_clISt17integral_constantIbLb1EES16_IbLb0EEEEDaS12_S13_EUlS12_E_NS1_11comp_targetILNS1_3genE4ELNS1_11target_archE910ELNS1_3gpuE8ELNS1_3repE0EEENS1_30default_config_static_selectorELNS0_4arch9wavefront6targetE1EEEvT1_ ; -- Begin function _ZN7rocprim17ROCPRIM_400000_NS6detail17trampoline_kernelINS0_14default_configENS1_25partition_config_selectorILNS1_17partition_subalgoE8EiNS0_10empty_typeEbEEZZNS1_14partition_implILS5_8ELb0ES3_jPKiPS6_PKS6_NS0_5tupleIJPiS6_EEENSE_IJSB_SB_EEENS0_18inequality_wrapperIN6hipcub16HIPCUB_304000_NS8EqualityEEEPlJS6_EEE10hipError_tPvRmT3_T4_T5_T6_T7_T9_mT8_P12ihipStream_tbDpT10_ENKUlT_T0_E_clISt17integral_constantIbLb1EES16_IbLb0EEEEDaS12_S13_EUlS12_E_NS1_11comp_targetILNS1_3genE4ELNS1_11target_archE910ELNS1_3gpuE8ELNS1_3repE0EEENS1_30default_config_static_selectorELNS0_4arch9wavefront6targetE1EEEvT1_
	.globl	_ZN7rocprim17ROCPRIM_400000_NS6detail17trampoline_kernelINS0_14default_configENS1_25partition_config_selectorILNS1_17partition_subalgoE8EiNS0_10empty_typeEbEEZZNS1_14partition_implILS5_8ELb0ES3_jPKiPS6_PKS6_NS0_5tupleIJPiS6_EEENSE_IJSB_SB_EEENS0_18inequality_wrapperIN6hipcub16HIPCUB_304000_NS8EqualityEEEPlJS6_EEE10hipError_tPvRmT3_T4_T5_T6_T7_T9_mT8_P12ihipStream_tbDpT10_ENKUlT_T0_E_clISt17integral_constantIbLb1EES16_IbLb0EEEEDaS12_S13_EUlS12_E_NS1_11comp_targetILNS1_3genE4ELNS1_11target_archE910ELNS1_3gpuE8ELNS1_3repE0EEENS1_30default_config_static_selectorELNS0_4arch9wavefront6targetE1EEEvT1_
	.p2align	8
	.type	_ZN7rocprim17ROCPRIM_400000_NS6detail17trampoline_kernelINS0_14default_configENS1_25partition_config_selectorILNS1_17partition_subalgoE8EiNS0_10empty_typeEbEEZZNS1_14partition_implILS5_8ELb0ES3_jPKiPS6_PKS6_NS0_5tupleIJPiS6_EEENSE_IJSB_SB_EEENS0_18inequality_wrapperIN6hipcub16HIPCUB_304000_NS8EqualityEEEPlJS6_EEE10hipError_tPvRmT3_T4_T5_T6_T7_T9_mT8_P12ihipStream_tbDpT10_ENKUlT_T0_E_clISt17integral_constantIbLb1EES16_IbLb0EEEEDaS12_S13_EUlS12_E_NS1_11comp_targetILNS1_3genE4ELNS1_11target_archE910ELNS1_3gpuE8ELNS1_3repE0EEENS1_30default_config_static_selectorELNS0_4arch9wavefront6targetE1EEEvT1_,@function
_ZN7rocprim17ROCPRIM_400000_NS6detail17trampoline_kernelINS0_14default_configENS1_25partition_config_selectorILNS1_17partition_subalgoE8EiNS0_10empty_typeEbEEZZNS1_14partition_implILS5_8ELb0ES3_jPKiPS6_PKS6_NS0_5tupleIJPiS6_EEENSE_IJSB_SB_EEENS0_18inequality_wrapperIN6hipcub16HIPCUB_304000_NS8EqualityEEEPlJS6_EEE10hipError_tPvRmT3_T4_T5_T6_T7_T9_mT8_P12ihipStream_tbDpT10_ENKUlT_T0_E_clISt17integral_constantIbLb1EES16_IbLb0EEEEDaS12_S13_EUlS12_E_NS1_11comp_targetILNS1_3genE4ELNS1_11target_archE910ELNS1_3gpuE8ELNS1_3repE0EEENS1_30default_config_static_selectorELNS0_4arch9wavefront6targetE1EEEvT1_: ; @_ZN7rocprim17ROCPRIM_400000_NS6detail17trampoline_kernelINS0_14default_configENS1_25partition_config_selectorILNS1_17partition_subalgoE8EiNS0_10empty_typeEbEEZZNS1_14partition_implILS5_8ELb0ES3_jPKiPS6_PKS6_NS0_5tupleIJPiS6_EEENSE_IJSB_SB_EEENS0_18inequality_wrapperIN6hipcub16HIPCUB_304000_NS8EqualityEEEPlJS6_EEE10hipError_tPvRmT3_T4_T5_T6_T7_T9_mT8_P12ihipStream_tbDpT10_ENKUlT_T0_E_clISt17integral_constantIbLb1EES16_IbLb0EEEEDaS12_S13_EUlS12_E_NS1_11comp_targetILNS1_3genE4ELNS1_11target_archE910ELNS1_3gpuE8ELNS1_3repE0EEENS1_30default_config_static_selectorELNS0_4arch9wavefront6targetE1EEEvT1_
; %bb.0:
	.section	.rodata,"a",@progbits
	.p2align	6, 0x0
	.amdhsa_kernel _ZN7rocprim17ROCPRIM_400000_NS6detail17trampoline_kernelINS0_14default_configENS1_25partition_config_selectorILNS1_17partition_subalgoE8EiNS0_10empty_typeEbEEZZNS1_14partition_implILS5_8ELb0ES3_jPKiPS6_PKS6_NS0_5tupleIJPiS6_EEENSE_IJSB_SB_EEENS0_18inequality_wrapperIN6hipcub16HIPCUB_304000_NS8EqualityEEEPlJS6_EEE10hipError_tPvRmT3_T4_T5_T6_T7_T9_mT8_P12ihipStream_tbDpT10_ENKUlT_T0_E_clISt17integral_constantIbLb1EES16_IbLb0EEEEDaS12_S13_EUlS12_E_NS1_11comp_targetILNS1_3genE4ELNS1_11target_archE910ELNS1_3gpuE8ELNS1_3repE0EEENS1_30default_config_static_selectorELNS0_4arch9wavefront6targetE1EEEvT1_
		.amdhsa_group_segment_fixed_size 0
		.amdhsa_private_segment_fixed_size 0
		.amdhsa_kernarg_size 112
		.amdhsa_user_sgpr_count 2
		.amdhsa_user_sgpr_dispatch_ptr 0
		.amdhsa_user_sgpr_queue_ptr 0
		.amdhsa_user_sgpr_kernarg_segment_ptr 1
		.amdhsa_user_sgpr_dispatch_id 0
		.amdhsa_user_sgpr_kernarg_preload_length 0
		.amdhsa_user_sgpr_kernarg_preload_offset 0
		.amdhsa_user_sgpr_private_segment_size 0
		.amdhsa_uses_dynamic_stack 0
		.amdhsa_enable_private_segment 0
		.amdhsa_system_sgpr_workgroup_id_x 1
		.amdhsa_system_sgpr_workgroup_id_y 0
		.amdhsa_system_sgpr_workgroup_id_z 0
		.amdhsa_system_sgpr_workgroup_info 0
		.amdhsa_system_vgpr_workitem_id 0
		.amdhsa_next_free_vgpr 1
		.amdhsa_next_free_sgpr 0
		.amdhsa_accum_offset 4
		.amdhsa_reserve_vcc 0
		.amdhsa_float_round_mode_32 0
		.amdhsa_float_round_mode_16_64 0
		.amdhsa_float_denorm_mode_32 3
		.amdhsa_float_denorm_mode_16_64 3
		.amdhsa_dx10_clamp 1
		.amdhsa_ieee_mode 1
		.amdhsa_fp16_overflow 0
		.amdhsa_tg_split 0
		.amdhsa_exception_fp_ieee_invalid_op 0
		.amdhsa_exception_fp_denorm_src 0
		.amdhsa_exception_fp_ieee_div_zero 0
		.amdhsa_exception_fp_ieee_overflow 0
		.amdhsa_exception_fp_ieee_underflow 0
		.amdhsa_exception_fp_ieee_inexact 0
		.amdhsa_exception_int_div_zero 0
	.end_amdhsa_kernel
	.section	.text._ZN7rocprim17ROCPRIM_400000_NS6detail17trampoline_kernelINS0_14default_configENS1_25partition_config_selectorILNS1_17partition_subalgoE8EiNS0_10empty_typeEbEEZZNS1_14partition_implILS5_8ELb0ES3_jPKiPS6_PKS6_NS0_5tupleIJPiS6_EEENSE_IJSB_SB_EEENS0_18inequality_wrapperIN6hipcub16HIPCUB_304000_NS8EqualityEEEPlJS6_EEE10hipError_tPvRmT3_T4_T5_T6_T7_T9_mT8_P12ihipStream_tbDpT10_ENKUlT_T0_E_clISt17integral_constantIbLb1EES16_IbLb0EEEEDaS12_S13_EUlS12_E_NS1_11comp_targetILNS1_3genE4ELNS1_11target_archE910ELNS1_3gpuE8ELNS1_3repE0EEENS1_30default_config_static_selectorELNS0_4arch9wavefront6targetE1EEEvT1_,"axG",@progbits,_ZN7rocprim17ROCPRIM_400000_NS6detail17trampoline_kernelINS0_14default_configENS1_25partition_config_selectorILNS1_17partition_subalgoE8EiNS0_10empty_typeEbEEZZNS1_14partition_implILS5_8ELb0ES3_jPKiPS6_PKS6_NS0_5tupleIJPiS6_EEENSE_IJSB_SB_EEENS0_18inequality_wrapperIN6hipcub16HIPCUB_304000_NS8EqualityEEEPlJS6_EEE10hipError_tPvRmT3_T4_T5_T6_T7_T9_mT8_P12ihipStream_tbDpT10_ENKUlT_T0_E_clISt17integral_constantIbLb1EES16_IbLb0EEEEDaS12_S13_EUlS12_E_NS1_11comp_targetILNS1_3genE4ELNS1_11target_archE910ELNS1_3gpuE8ELNS1_3repE0EEENS1_30default_config_static_selectorELNS0_4arch9wavefront6targetE1EEEvT1_,comdat
.Lfunc_end428:
	.size	_ZN7rocprim17ROCPRIM_400000_NS6detail17trampoline_kernelINS0_14default_configENS1_25partition_config_selectorILNS1_17partition_subalgoE8EiNS0_10empty_typeEbEEZZNS1_14partition_implILS5_8ELb0ES3_jPKiPS6_PKS6_NS0_5tupleIJPiS6_EEENSE_IJSB_SB_EEENS0_18inequality_wrapperIN6hipcub16HIPCUB_304000_NS8EqualityEEEPlJS6_EEE10hipError_tPvRmT3_T4_T5_T6_T7_T9_mT8_P12ihipStream_tbDpT10_ENKUlT_T0_E_clISt17integral_constantIbLb1EES16_IbLb0EEEEDaS12_S13_EUlS12_E_NS1_11comp_targetILNS1_3genE4ELNS1_11target_archE910ELNS1_3gpuE8ELNS1_3repE0EEENS1_30default_config_static_selectorELNS0_4arch9wavefront6targetE1EEEvT1_, .Lfunc_end428-_ZN7rocprim17ROCPRIM_400000_NS6detail17trampoline_kernelINS0_14default_configENS1_25partition_config_selectorILNS1_17partition_subalgoE8EiNS0_10empty_typeEbEEZZNS1_14partition_implILS5_8ELb0ES3_jPKiPS6_PKS6_NS0_5tupleIJPiS6_EEENSE_IJSB_SB_EEENS0_18inequality_wrapperIN6hipcub16HIPCUB_304000_NS8EqualityEEEPlJS6_EEE10hipError_tPvRmT3_T4_T5_T6_T7_T9_mT8_P12ihipStream_tbDpT10_ENKUlT_T0_E_clISt17integral_constantIbLb1EES16_IbLb0EEEEDaS12_S13_EUlS12_E_NS1_11comp_targetILNS1_3genE4ELNS1_11target_archE910ELNS1_3gpuE8ELNS1_3repE0EEENS1_30default_config_static_selectorELNS0_4arch9wavefront6targetE1EEEvT1_
                                        ; -- End function
	.section	.AMDGPU.csdata,"",@progbits
; Kernel info:
; codeLenInByte = 0
; NumSgprs: 6
; NumVgprs: 0
; NumAgprs: 0
; TotalNumVgprs: 0
; ScratchSize: 0
; MemoryBound: 0
; FloatMode: 240
; IeeeMode: 1
; LDSByteSize: 0 bytes/workgroup (compile time only)
; SGPRBlocks: 0
; VGPRBlocks: 0
; NumSGPRsForWavesPerEU: 6
; NumVGPRsForWavesPerEU: 1
; AccumOffset: 4
; Occupancy: 8
; WaveLimiterHint : 0
; COMPUTE_PGM_RSRC2:SCRATCH_EN: 0
; COMPUTE_PGM_RSRC2:USER_SGPR: 2
; COMPUTE_PGM_RSRC2:TRAP_HANDLER: 0
; COMPUTE_PGM_RSRC2:TGID_X_EN: 1
; COMPUTE_PGM_RSRC2:TGID_Y_EN: 0
; COMPUTE_PGM_RSRC2:TGID_Z_EN: 0
; COMPUTE_PGM_RSRC2:TIDIG_COMP_CNT: 0
; COMPUTE_PGM_RSRC3_GFX90A:ACCUM_OFFSET: 0
; COMPUTE_PGM_RSRC3_GFX90A:TG_SPLIT: 0
	.section	.text._ZN7rocprim17ROCPRIM_400000_NS6detail17trampoline_kernelINS0_14default_configENS1_25partition_config_selectorILNS1_17partition_subalgoE8EiNS0_10empty_typeEbEEZZNS1_14partition_implILS5_8ELb0ES3_jPKiPS6_PKS6_NS0_5tupleIJPiS6_EEENSE_IJSB_SB_EEENS0_18inequality_wrapperIN6hipcub16HIPCUB_304000_NS8EqualityEEEPlJS6_EEE10hipError_tPvRmT3_T4_T5_T6_T7_T9_mT8_P12ihipStream_tbDpT10_ENKUlT_T0_E_clISt17integral_constantIbLb1EES16_IbLb0EEEEDaS12_S13_EUlS12_E_NS1_11comp_targetILNS1_3genE3ELNS1_11target_archE908ELNS1_3gpuE7ELNS1_3repE0EEENS1_30default_config_static_selectorELNS0_4arch9wavefront6targetE1EEEvT1_,"axG",@progbits,_ZN7rocprim17ROCPRIM_400000_NS6detail17trampoline_kernelINS0_14default_configENS1_25partition_config_selectorILNS1_17partition_subalgoE8EiNS0_10empty_typeEbEEZZNS1_14partition_implILS5_8ELb0ES3_jPKiPS6_PKS6_NS0_5tupleIJPiS6_EEENSE_IJSB_SB_EEENS0_18inequality_wrapperIN6hipcub16HIPCUB_304000_NS8EqualityEEEPlJS6_EEE10hipError_tPvRmT3_T4_T5_T6_T7_T9_mT8_P12ihipStream_tbDpT10_ENKUlT_T0_E_clISt17integral_constantIbLb1EES16_IbLb0EEEEDaS12_S13_EUlS12_E_NS1_11comp_targetILNS1_3genE3ELNS1_11target_archE908ELNS1_3gpuE7ELNS1_3repE0EEENS1_30default_config_static_selectorELNS0_4arch9wavefront6targetE1EEEvT1_,comdat
	.protected	_ZN7rocprim17ROCPRIM_400000_NS6detail17trampoline_kernelINS0_14default_configENS1_25partition_config_selectorILNS1_17partition_subalgoE8EiNS0_10empty_typeEbEEZZNS1_14partition_implILS5_8ELb0ES3_jPKiPS6_PKS6_NS0_5tupleIJPiS6_EEENSE_IJSB_SB_EEENS0_18inequality_wrapperIN6hipcub16HIPCUB_304000_NS8EqualityEEEPlJS6_EEE10hipError_tPvRmT3_T4_T5_T6_T7_T9_mT8_P12ihipStream_tbDpT10_ENKUlT_T0_E_clISt17integral_constantIbLb1EES16_IbLb0EEEEDaS12_S13_EUlS12_E_NS1_11comp_targetILNS1_3genE3ELNS1_11target_archE908ELNS1_3gpuE7ELNS1_3repE0EEENS1_30default_config_static_selectorELNS0_4arch9wavefront6targetE1EEEvT1_ ; -- Begin function _ZN7rocprim17ROCPRIM_400000_NS6detail17trampoline_kernelINS0_14default_configENS1_25partition_config_selectorILNS1_17partition_subalgoE8EiNS0_10empty_typeEbEEZZNS1_14partition_implILS5_8ELb0ES3_jPKiPS6_PKS6_NS0_5tupleIJPiS6_EEENSE_IJSB_SB_EEENS0_18inequality_wrapperIN6hipcub16HIPCUB_304000_NS8EqualityEEEPlJS6_EEE10hipError_tPvRmT3_T4_T5_T6_T7_T9_mT8_P12ihipStream_tbDpT10_ENKUlT_T0_E_clISt17integral_constantIbLb1EES16_IbLb0EEEEDaS12_S13_EUlS12_E_NS1_11comp_targetILNS1_3genE3ELNS1_11target_archE908ELNS1_3gpuE7ELNS1_3repE0EEENS1_30default_config_static_selectorELNS0_4arch9wavefront6targetE1EEEvT1_
	.globl	_ZN7rocprim17ROCPRIM_400000_NS6detail17trampoline_kernelINS0_14default_configENS1_25partition_config_selectorILNS1_17partition_subalgoE8EiNS0_10empty_typeEbEEZZNS1_14partition_implILS5_8ELb0ES3_jPKiPS6_PKS6_NS0_5tupleIJPiS6_EEENSE_IJSB_SB_EEENS0_18inequality_wrapperIN6hipcub16HIPCUB_304000_NS8EqualityEEEPlJS6_EEE10hipError_tPvRmT3_T4_T5_T6_T7_T9_mT8_P12ihipStream_tbDpT10_ENKUlT_T0_E_clISt17integral_constantIbLb1EES16_IbLb0EEEEDaS12_S13_EUlS12_E_NS1_11comp_targetILNS1_3genE3ELNS1_11target_archE908ELNS1_3gpuE7ELNS1_3repE0EEENS1_30default_config_static_selectorELNS0_4arch9wavefront6targetE1EEEvT1_
	.p2align	8
	.type	_ZN7rocprim17ROCPRIM_400000_NS6detail17trampoline_kernelINS0_14default_configENS1_25partition_config_selectorILNS1_17partition_subalgoE8EiNS0_10empty_typeEbEEZZNS1_14partition_implILS5_8ELb0ES3_jPKiPS6_PKS6_NS0_5tupleIJPiS6_EEENSE_IJSB_SB_EEENS0_18inequality_wrapperIN6hipcub16HIPCUB_304000_NS8EqualityEEEPlJS6_EEE10hipError_tPvRmT3_T4_T5_T6_T7_T9_mT8_P12ihipStream_tbDpT10_ENKUlT_T0_E_clISt17integral_constantIbLb1EES16_IbLb0EEEEDaS12_S13_EUlS12_E_NS1_11comp_targetILNS1_3genE3ELNS1_11target_archE908ELNS1_3gpuE7ELNS1_3repE0EEENS1_30default_config_static_selectorELNS0_4arch9wavefront6targetE1EEEvT1_,@function
_ZN7rocprim17ROCPRIM_400000_NS6detail17trampoline_kernelINS0_14default_configENS1_25partition_config_selectorILNS1_17partition_subalgoE8EiNS0_10empty_typeEbEEZZNS1_14partition_implILS5_8ELb0ES3_jPKiPS6_PKS6_NS0_5tupleIJPiS6_EEENSE_IJSB_SB_EEENS0_18inequality_wrapperIN6hipcub16HIPCUB_304000_NS8EqualityEEEPlJS6_EEE10hipError_tPvRmT3_T4_T5_T6_T7_T9_mT8_P12ihipStream_tbDpT10_ENKUlT_T0_E_clISt17integral_constantIbLb1EES16_IbLb0EEEEDaS12_S13_EUlS12_E_NS1_11comp_targetILNS1_3genE3ELNS1_11target_archE908ELNS1_3gpuE7ELNS1_3repE0EEENS1_30default_config_static_selectorELNS0_4arch9wavefront6targetE1EEEvT1_: ; @_ZN7rocprim17ROCPRIM_400000_NS6detail17trampoline_kernelINS0_14default_configENS1_25partition_config_selectorILNS1_17partition_subalgoE8EiNS0_10empty_typeEbEEZZNS1_14partition_implILS5_8ELb0ES3_jPKiPS6_PKS6_NS0_5tupleIJPiS6_EEENSE_IJSB_SB_EEENS0_18inequality_wrapperIN6hipcub16HIPCUB_304000_NS8EqualityEEEPlJS6_EEE10hipError_tPvRmT3_T4_T5_T6_T7_T9_mT8_P12ihipStream_tbDpT10_ENKUlT_T0_E_clISt17integral_constantIbLb1EES16_IbLb0EEEEDaS12_S13_EUlS12_E_NS1_11comp_targetILNS1_3genE3ELNS1_11target_archE908ELNS1_3gpuE7ELNS1_3repE0EEENS1_30default_config_static_selectorELNS0_4arch9wavefront6targetE1EEEvT1_
; %bb.0:
	.section	.rodata,"a",@progbits
	.p2align	6, 0x0
	.amdhsa_kernel _ZN7rocprim17ROCPRIM_400000_NS6detail17trampoline_kernelINS0_14default_configENS1_25partition_config_selectorILNS1_17partition_subalgoE8EiNS0_10empty_typeEbEEZZNS1_14partition_implILS5_8ELb0ES3_jPKiPS6_PKS6_NS0_5tupleIJPiS6_EEENSE_IJSB_SB_EEENS0_18inequality_wrapperIN6hipcub16HIPCUB_304000_NS8EqualityEEEPlJS6_EEE10hipError_tPvRmT3_T4_T5_T6_T7_T9_mT8_P12ihipStream_tbDpT10_ENKUlT_T0_E_clISt17integral_constantIbLb1EES16_IbLb0EEEEDaS12_S13_EUlS12_E_NS1_11comp_targetILNS1_3genE3ELNS1_11target_archE908ELNS1_3gpuE7ELNS1_3repE0EEENS1_30default_config_static_selectorELNS0_4arch9wavefront6targetE1EEEvT1_
		.amdhsa_group_segment_fixed_size 0
		.amdhsa_private_segment_fixed_size 0
		.amdhsa_kernarg_size 112
		.amdhsa_user_sgpr_count 2
		.amdhsa_user_sgpr_dispatch_ptr 0
		.amdhsa_user_sgpr_queue_ptr 0
		.amdhsa_user_sgpr_kernarg_segment_ptr 1
		.amdhsa_user_sgpr_dispatch_id 0
		.amdhsa_user_sgpr_kernarg_preload_length 0
		.amdhsa_user_sgpr_kernarg_preload_offset 0
		.amdhsa_user_sgpr_private_segment_size 0
		.amdhsa_uses_dynamic_stack 0
		.amdhsa_enable_private_segment 0
		.amdhsa_system_sgpr_workgroup_id_x 1
		.amdhsa_system_sgpr_workgroup_id_y 0
		.amdhsa_system_sgpr_workgroup_id_z 0
		.amdhsa_system_sgpr_workgroup_info 0
		.amdhsa_system_vgpr_workitem_id 0
		.amdhsa_next_free_vgpr 1
		.amdhsa_next_free_sgpr 0
		.amdhsa_accum_offset 4
		.amdhsa_reserve_vcc 0
		.amdhsa_float_round_mode_32 0
		.amdhsa_float_round_mode_16_64 0
		.amdhsa_float_denorm_mode_32 3
		.amdhsa_float_denorm_mode_16_64 3
		.amdhsa_dx10_clamp 1
		.amdhsa_ieee_mode 1
		.amdhsa_fp16_overflow 0
		.amdhsa_tg_split 0
		.amdhsa_exception_fp_ieee_invalid_op 0
		.amdhsa_exception_fp_denorm_src 0
		.amdhsa_exception_fp_ieee_div_zero 0
		.amdhsa_exception_fp_ieee_overflow 0
		.amdhsa_exception_fp_ieee_underflow 0
		.amdhsa_exception_fp_ieee_inexact 0
		.amdhsa_exception_int_div_zero 0
	.end_amdhsa_kernel
	.section	.text._ZN7rocprim17ROCPRIM_400000_NS6detail17trampoline_kernelINS0_14default_configENS1_25partition_config_selectorILNS1_17partition_subalgoE8EiNS0_10empty_typeEbEEZZNS1_14partition_implILS5_8ELb0ES3_jPKiPS6_PKS6_NS0_5tupleIJPiS6_EEENSE_IJSB_SB_EEENS0_18inequality_wrapperIN6hipcub16HIPCUB_304000_NS8EqualityEEEPlJS6_EEE10hipError_tPvRmT3_T4_T5_T6_T7_T9_mT8_P12ihipStream_tbDpT10_ENKUlT_T0_E_clISt17integral_constantIbLb1EES16_IbLb0EEEEDaS12_S13_EUlS12_E_NS1_11comp_targetILNS1_3genE3ELNS1_11target_archE908ELNS1_3gpuE7ELNS1_3repE0EEENS1_30default_config_static_selectorELNS0_4arch9wavefront6targetE1EEEvT1_,"axG",@progbits,_ZN7rocprim17ROCPRIM_400000_NS6detail17trampoline_kernelINS0_14default_configENS1_25partition_config_selectorILNS1_17partition_subalgoE8EiNS0_10empty_typeEbEEZZNS1_14partition_implILS5_8ELb0ES3_jPKiPS6_PKS6_NS0_5tupleIJPiS6_EEENSE_IJSB_SB_EEENS0_18inequality_wrapperIN6hipcub16HIPCUB_304000_NS8EqualityEEEPlJS6_EEE10hipError_tPvRmT3_T4_T5_T6_T7_T9_mT8_P12ihipStream_tbDpT10_ENKUlT_T0_E_clISt17integral_constantIbLb1EES16_IbLb0EEEEDaS12_S13_EUlS12_E_NS1_11comp_targetILNS1_3genE3ELNS1_11target_archE908ELNS1_3gpuE7ELNS1_3repE0EEENS1_30default_config_static_selectorELNS0_4arch9wavefront6targetE1EEEvT1_,comdat
.Lfunc_end429:
	.size	_ZN7rocprim17ROCPRIM_400000_NS6detail17trampoline_kernelINS0_14default_configENS1_25partition_config_selectorILNS1_17partition_subalgoE8EiNS0_10empty_typeEbEEZZNS1_14partition_implILS5_8ELb0ES3_jPKiPS6_PKS6_NS0_5tupleIJPiS6_EEENSE_IJSB_SB_EEENS0_18inequality_wrapperIN6hipcub16HIPCUB_304000_NS8EqualityEEEPlJS6_EEE10hipError_tPvRmT3_T4_T5_T6_T7_T9_mT8_P12ihipStream_tbDpT10_ENKUlT_T0_E_clISt17integral_constantIbLb1EES16_IbLb0EEEEDaS12_S13_EUlS12_E_NS1_11comp_targetILNS1_3genE3ELNS1_11target_archE908ELNS1_3gpuE7ELNS1_3repE0EEENS1_30default_config_static_selectorELNS0_4arch9wavefront6targetE1EEEvT1_, .Lfunc_end429-_ZN7rocprim17ROCPRIM_400000_NS6detail17trampoline_kernelINS0_14default_configENS1_25partition_config_selectorILNS1_17partition_subalgoE8EiNS0_10empty_typeEbEEZZNS1_14partition_implILS5_8ELb0ES3_jPKiPS6_PKS6_NS0_5tupleIJPiS6_EEENSE_IJSB_SB_EEENS0_18inequality_wrapperIN6hipcub16HIPCUB_304000_NS8EqualityEEEPlJS6_EEE10hipError_tPvRmT3_T4_T5_T6_T7_T9_mT8_P12ihipStream_tbDpT10_ENKUlT_T0_E_clISt17integral_constantIbLb1EES16_IbLb0EEEEDaS12_S13_EUlS12_E_NS1_11comp_targetILNS1_3genE3ELNS1_11target_archE908ELNS1_3gpuE7ELNS1_3repE0EEENS1_30default_config_static_selectorELNS0_4arch9wavefront6targetE1EEEvT1_
                                        ; -- End function
	.section	.AMDGPU.csdata,"",@progbits
; Kernel info:
; codeLenInByte = 0
; NumSgprs: 6
; NumVgprs: 0
; NumAgprs: 0
; TotalNumVgprs: 0
; ScratchSize: 0
; MemoryBound: 0
; FloatMode: 240
; IeeeMode: 1
; LDSByteSize: 0 bytes/workgroup (compile time only)
; SGPRBlocks: 0
; VGPRBlocks: 0
; NumSGPRsForWavesPerEU: 6
; NumVGPRsForWavesPerEU: 1
; AccumOffset: 4
; Occupancy: 8
; WaveLimiterHint : 0
; COMPUTE_PGM_RSRC2:SCRATCH_EN: 0
; COMPUTE_PGM_RSRC2:USER_SGPR: 2
; COMPUTE_PGM_RSRC2:TRAP_HANDLER: 0
; COMPUTE_PGM_RSRC2:TGID_X_EN: 1
; COMPUTE_PGM_RSRC2:TGID_Y_EN: 0
; COMPUTE_PGM_RSRC2:TGID_Z_EN: 0
; COMPUTE_PGM_RSRC2:TIDIG_COMP_CNT: 0
; COMPUTE_PGM_RSRC3_GFX90A:ACCUM_OFFSET: 0
; COMPUTE_PGM_RSRC3_GFX90A:TG_SPLIT: 0
	.section	.text._ZN7rocprim17ROCPRIM_400000_NS6detail17trampoline_kernelINS0_14default_configENS1_25partition_config_selectorILNS1_17partition_subalgoE8EiNS0_10empty_typeEbEEZZNS1_14partition_implILS5_8ELb0ES3_jPKiPS6_PKS6_NS0_5tupleIJPiS6_EEENSE_IJSB_SB_EEENS0_18inequality_wrapperIN6hipcub16HIPCUB_304000_NS8EqualityEEEPlJS6_EEE10hipError_tPvRmT3_T4_T5_T6_T7_T9_mT8_P12ihipStream_tbDpT10_ENKUlT_T0_E_clISt17integral_constantIbLb1EES16_IbLb0EEEEDaS12_S13_EUlS12_E_NS1_11comp_targetILNS1_3genE2ELNS1_11target_archE906ELNS1_3gpuE6ELNS1_3repE0EEENS1_30default_config_static_selectorELNS0_4arch9wavefront6targetE1EEEvT1_,"axG",@progbits,_ZN7rocprim17ROCPRIM_400000_NS6detail17trampoline_kernelINS0_14default_configENS1_25partition_config_selectorILNS1_17partition_subalgoE8EiNS0_10empty_typeEbEEZZNS1_14partition_implILS5_8ELb0ES3_jPKiPS6_PKS6_NS0_5tupleIJPiS6_EEENSE_IJSB_SB_EEENS0_18inequality_wrapperIN6hipcub16HIPCUB_304000_NS8EqualityEEEPlJS6_EEE10hipError_tPvRmT3_T4_T5_T6_T7_T9_mT8_P12ihipStream_tbDpT10_ENKUlT_T0_E_clISt17integral_constantIbLb1EES16_IbLb0EEEEDaS12_S13_EUlS12_E_NS1_11comp_targetILNS1_3genE2ELNS1_11target_archE906ELNS1_3gpuE6ELNS1_3repE0EEENS1_30default_config_static_selectorELNS0_4arch9wavefront6targetE1EEEvT1_,comdat
	.protected	_ZN7rocprim17ROCPRIM_400000_NS6detail17trampoline_kernelINS0_14default_configENS1_25partition_config_selectorILNS1_17partition_subalgoE8EiNS0_10empty_typeEbEEZZNS1_14partition_implILS5_8ELb0ES3_jPKiPS6_PKS6_NS0_5tupleIJPiS6_EEENSE_IJSB_SB_EEENS0_18inequality_wrapperIN6hipcub16HIPCUB_304000_NS8EqualityEEEPlJS6_EEE10hipError_tPvRmT3_T4_T5_T6_T7_T9_mT8_P12ihipStream_tbDpT10_ENKUlT_T0_E_clISt17integral_constantIbLb1EES16_IbLb0EEEEDaS12_S13_EUlS12_E_NS1_11comp_targetILNS1_3genE2ELNS1_11target_archE906ELNS1_3gpuE6ELNS1_3repE0EEENS1_30default_config_static_selectorELNS0_4arch9wavefront6targetE1EEEvT1_ ; -- Begin function _ZN7rocprim17ROCPRIM_400000_NS6detail17trampoline_kernelINS0_14default_configENS1_25partition_config_selectorILNS1_17partition_subalgoE8EiNS0_10empty_typeEbEEZZNS1_14partition_implILS5_8ELb0ES3_jPKiPS6_PKS6_NS0_5tupleIJPiS6_EEENSE_IJSB_SB_EEENS0_18inequality_wrapperIN6hipcub16HIPCUB_304000_NS8EqualityEEEPlJS6_EEE10hipError_tPvRmT3_T4_T5_T6_T7_T9_mT8_P12ihipStream_tbDpT10_ENKUlT_T0_E_clISt17integral_constantIbLb1EES16_IbLb0EEEEDaS12_S13_EUlS12_E_NS1_11comp_targetILNS1_3genE2ELNS1_11target_archE906ELNS1_3gpuE6ELNS1_3repE0EEENS1_30default_config_static_selectorELNS0_4arch9wavefront6targetE1EEEvT1_
	.globl	_ZN7rocprim17ROCPRIM_400000_NS6detail17trampoline_kernelINS0_14default_configENS1_25partition_config_selectorILNS1_17partition_subalgoE8EiNS0_10empty_typeEbEEZZNS1_14partition_implILS5_8ELb0ES3_jPKiPS6_PKS6_NS0_5tupleIJPiS6_EEENSE_IJSB_SB_EEENS0_18inequality_wrapperIN6hipcub16HIPCUB_304000_NS8EqualityEEEPlJS6_EEE10hipError_tPvRmT3_T4_T5_T6_T7_T9_mT8_P12ihipStream_tbDpT10_ENKUlT_T0_E_clISt17integral_constantIbLb1EES16_IbLb0EEEEDaS12_S13_EUlS12_E_NS1_11comp_targetILNS1_3genE2ELNS1_11target_archE906ELNS1_3gpuE6ELNS1_3repE0EEENS1_30default_config_static_selectorELNS0_4arch9wavefront6targetE1EEEvT1_
	.p2align	8
	.type	_ZN7rocprim17ROCPRIM_400000_NS6detail17trampoline_kernelINS0_14default_configENS1_25partition_config_selectorILNS1_17partition_subalgoE8EiNS0_10empty_typeEbEEZZNS1_14partition_implILS5_8ELb0ES3_jPKiPS6_PKS6_NS0_5tupleIJPiS6_EEENSE_IJSB_SB_EEENS0_18inequality_wrapperIN6hipcub16HIPCUB_304000_NS8EqualityEEEPlJS6_EEE10hipError_tPvRmT3_T4_T5_T6_T7_T9_mT8_P12ihipStream_tbDpT10_ENKUlT_T0_E_clISt17integral_constantIbLb1EES16_IbLb0EEEEDaS12_S13_EUlS12_E_NS1_11comp_targetILNS1_3genE2ELNS1_11target_archE906ELNS1_3gpuE6ELNS1_3repE0EEENS1_30default_config_static_selectorELNS0_4arch9wavefront6targetE1EEEvT1_,@function
_ZN7rocprim17ROCPRIM_400000_NS6detail17trampoline_kernelINS0_14default_configENS1_25partition_config_selectorILNS1_17partition_subalgoE8EiNS0_10empty_typeEbEEZZNS1_14partition_implILS5_8ELb0ES3_jPKiPS6_PKS6_NS0_5tupleIJPiS6_EEENSE_IJSB_SB_EEENS0_18inequality_wrapperIN6hipcub16HIPCUB_304000_NS8EqualityEEEPlJS6_EEE10hipError_tPvRmT3_T4_T5_T6_T7_T9_mT8_P12ihipStream_tbDpT10_ENKUlT_T0_E_clISt17integral_constantIbLb1EES16_IbLb0EEEEDaS12_S13_EUlS12_E_NS1_11comp_targetILNS1_3genE2ELNS1_11target_archE906ELNS1_3gpuE6ELNS1_3repE0EEENS1_30default_config_static_selectorELNS0_4arch9wavefront6targetE1EEEvT1_: ; @_ZN7rocprim17ROCPRIM_400000_NS6detail17trampoline_kernelINS0_14default_configENS1_25partition_config_selectorILNS1_17partition_subalgoE8EiNS0_10empty_typeEbEEZZNS1_14partition_implILS5_8ELb0ES3_jPKiPS6_PKS6_NS0_5tupleIJPiS6_EEENSE_IJSB_SB_EEENS0_18inequality_wrapperIN6hipcub16HIPCUB_304000_NS8EqualityEEEPlJS6_EEE10hipError_tPvRmT3_T4_T5_T6_T7_T9_mT8_P12ihipStream_tbDpT10_ENKUlT_T0_E_clISt17integral_constantIbLb1EES16_IbLb0EEEEDaS12_S13_EUlS12_E_NS1_11comp_targetILNS1_3genE2ELNS1_11target_archE906ELNS1_3gpuE6ELNS1_3repE0EEENS1_30default_config_static_selectorELNS0_4arch9wavefront6targetE1EEEvT1_
; %bb.0:
	.section	.rodata,"a",@progbits
	.p2align	6, 0x0
	.amdhsa_kernel _ZN7rocprim17ROCPRIM_400000_NS6detail17trampoline_kernelINS0_14default_configENS1_25partition_config_selectorILNS1_17partition_subalgoE8EiNS0_10empty_typeEbEEZZNS1_14partition_implILS5_8ELb0ES3_jPKiPS6_PKS6_NS0_5tupleIJPiS6_EEENSE_IJSB_SB_EEENS0_18inequality_wrapperIN6hipcub16HIPCUB_304000_NS8EqualityEEEPlJS6_EEE10hipError_tPvRmT3_T4_T5_T6_T7_T9_mT8_P12ihipStream_tbDpT10_ENKUlT_T0_E_clISt17integral_constantIbLb1EES16_IbLb0EEEEDaS12_S13_EUlS12_E_NS1_11comp_targetILNS1_3genE2ELNS1_11target_archE906ELNS1_3gpuE6ELNS1_3repE0EEENS1_30default_config_static_selectorELNS0_4arch9wavefront6targetE1EEEvT1_
		.amdhsa_group_segment_fixed_size 0
		.amdhsa_private_segment_fixed_size 0
		.amdhsa_kernarg_size 112
		.amdhsa_user_sgpr_count 2
		.amdhsa_user_sgpr_dispatch_ptr 0
		.amdhsa_user_sgpr_queue_ptr 0
		.amdhsa_user_sgpr_kernarg_segment_ptr 1
		.amdhsa_user_sgpr_dispatch_id 0
		.amdhsa_user_sgpr_kernarg_preload_length 0
		.amdhsa_user_sgpr_kernarg_preload_offset 0
		.amdhsa_user_sgpr_private_segment_size 0
		.amdhsa_uses_dynamic_stack 0
		.amdhsa_enable_private_segment 0
		.amdhsa_system_sgpr_workgroup_id_x 1
		.amdhsa_system_sgpr_workgroup_id_y 0
		.amdhsa_system_sgpr_workgroup_id_z 0
		.amdhsa_system_sgpr_workgroup_info 0
		.amdhsa_system_vgpr_workitem_id 0
		.amdhsa_next_free_vgpr 1
		.amdhsa_next_free_sgpr 0
		.amdhsa_accum_offset 4
		.amdhsa_reserve_vcc 0
		.amdhsa_float_round_mode_32 0
		.amdhsa_float_round_mode_16_64 0
		.amdhsa_float_denorm_mode_32 3
		.amdhsa_float_denorm_mode_16_64 3
		.amdhsa_dx10_clamp 1
		.amdhsa_ieee_mode 1
		.amdhsa_fp16_overflow 0
		.amdhsa_tg_split 0
		.amdhsa_exception_fp_ieee_invalid_op 0
		.amdhsa_exception_fp_denorm_src 0
		.amdhsa_exception_fp_ieee_div_zero 0
		.amdhsa_exception_fp_ieee_overflow 0
		.amdhsa_exception_fp_ieee_underflow 0
		.amdhsa_exception_fp_ieee_inexact 0
		.amdhsa_exception_int_div_zero 0
	.end_amdhsa_kernel
	.section	.text._ZN7rocprim17ROCPRIM_400000_NS6detail17trampoline_kernelINS0_14default_configENS1_25partition_config_selectorILNS1_17partition_subalgoE8EiNS0_10empty_typeEbEEZZNS1_14partition_implILS5_8ELb0ES3_jPKiPS6_PKS6_NS0_5tupleIJPiS6_EEENSE_IJSB_SB_EEENS0_18inequality_wrapperIN6hipcub16HIPCUB_304000_NS8EqualityEEEPlJS6_EEE10hipError_tPvRmT3_T4_T5_T6_T7_T9_mT8_P12ihipStream_tbDpT10_ENKUlT_T0_E_clISt17integral_constantIbLb1EES16_IbLb0EEEEDaS12_S13_EUlS12_E_NS1_11comp_targetILNS1_3genE2ELNS1_11target_archE906ELNS1_3gpuE6ELNS1_3repE0EEENS1_30default_config_static_selectorELNS0_4arch9wavefront6targetE1EEEvT1_,"axG",@progbits,_ZN7rocprim17ROCPRIM_400000_NS6detail17trampoline_kernelINS0_14default_configENS1_25partition_config_selectorILNS1_17partition_subalgoE8EiNS0_10empty_typeEbEEZZNS1_14partition_implILS5_8ELb0ES3_jPKiPS6_PKS6_NS0_5tupleIJPiS6_EEENSE_IJSB_SB_EEENS0_18inequality_wrapperIN6hipcub16HIPCUB_304000_NS8EqualityEEEPlJS6_EEE10hipError_tPvRmT3_T4_T5_T6_T7_T9_mT8_P12ihipStream_tbDpT10_ENKUlT_T0_E_clISt17integral_constantIbLb1EES16_IbLb0EEEEDaS12_S13_EUlS12_E_NS1_11comp_targetILNS1_3genE2ELNS1_11target_archE906ELNS1_3gpuE6ELNS1_3repE0EEENS1_30default_config_static_selectorELNS0_4arch9wavefront6targetE1EEEvT1_,comdat
.Lfunc_end430:
	.size	_ZN7rocprim17ROCPRIM_400000_NS6detail17trampoline_kernelINS0_14default_configENS1_25partition_config_selectorILNS1_17partition_subalgoE8EiNS0_10empty_typeEbEEZZNS1_14partition_implILS5_8ELb0ES3_jPKiPS6_PKS6_NS0_5tupleIJPiS6_EEENSE_IJSB_SB_EEENS0_18inequality_wrapperIN6hipcub16HIPCUB_304000_NS8EqualityEEEPlJS6_EEE10hipError_tPvRmT3_T4_T5_T6_T7_T9_mT8_P12ihipStream_tbDpT10_ENKUlT_T0_E_clISt17integral_constantIbLb1EES16_IbLb0EEEEDaS12_S13_EUlS12_E_NS1_11comp_targetILNS1_3genE2ELNS1_11target_archE906ELNS1_3gpuE6ELNS1_3repE0EEENS1_30default_config_static_selectorELNS0_4arch9wavefront6targetE1EEEvT1_, .Lfunc_end430-_ZN7rocprim17ROCPRIM_400000_NS6detail17trampoline_kernelINS0_14default_configENS1_25partition_config_selectorILNS1_17partition_subalgoE8EiNS0_10empty_typeEbEEZZNS1_14partition_implILS5_8ELb0ES3_jPKiPS6_PKS6_NS0_5tupleIJPiS6_EEENSE_IJSB_SB_EEENS0_18inequality_wrapperIN6hipcub16HIPCUB_304000_NS8EqualityEEEPlJS6_EEE10hipError_tPvRmT3_T4_T5_T6_T7_T9_mT8_P12ihipStream_tbDpT10_ENKUlT_T0_E_clISt17integral_constantIbLb1EES16_IbLb0EEEEDaS12_S13_EUlS12_E_NS1_11comp_targetILNS1_3genE2ELNS1_11target_archE906ELNS1_3gpuE6ELNS1_3repE0EEENS1_30default_config_static_selectorELNS0_4arch9wavefront6targetE1EEEvT1_
                                        ; -- End function
	.section	.AMDGPU.csdata,"",@progbits
; Kernel info:
; codeLenInByte = 0
; NumSgprs: 6
; NumVgprs: 0
; NumAgprs: 0
; TotalNumVgprs: 0
; ScratchSize: 0
; MemoryBound: 0
; FloatMode: 240
; IeeeMode: 1
; LDSByteSize: 0 bytes/workgroup (compile time only)
; SGPRBlocks: 0
; VGPRBlocks: 0
; NumSGPRsForWavesPerEU: 6
; NumVGPRsForWavesPerEU: 1
; AccumOffset: 4
; Occupancy: 8
; WaveLimiterHint : 0
; COMPUTE_PGM_RSRC2:SCRATCH_EN: 0
; COMPUTE_PGM_RSRC2:USER_SGPR: 2
; COMPUTE_PGM_RSRC2:TRAP_HANDLER: 0
; COMPUTE_PGM_RSRC2:TGID_X_EN: 1
; COMPUTE_PGM_RSRC2:TGID_Y_EN: 0
; COMPUTE_PGM_RSRC2:TGID_Z_EN: 0
; COMPUTE_PGM_RSRC2:TIDIG_COMP_CNT: 0
; COMPUTE_PGM_RSRC3_GFX90A:ACCUM_OFFSET: 0
; COMPUTE_PGM_RSRC3_GFX90A:TG_SPLIT: 0
	.section	.text._ZN7rocprim17ROCPRIM_400000_NS6detail17trampoline_kernelINS0_14default_configENS1_25partition_config_selectorILNS1_17partition_subalgoE8EiNS0_10empty_typeEbEEZZNS1_14partition_implILS5_8ELb0ES3_jPKiPS6_PKS6_NS0_5tupleIJPiS6_EEENSE_IJSB_SB_EEENS0_18inequality_wrapperIN6hipcub16HIPCUB_304000_NS8EqualityEEEPlJS6_EEE10hipError_tPvRmT3_T4_T5_T6_T7_T9_mT8_P12ihipStream_tbDpT10_ENKUlT_T0_E_clISt17integral_constantIbLb1EES16_IbLb0EEEEDaS12_S13_EUlS12_E_NS1_11comp_targetILNS1_3genE10ELNS1_11target_archE1200ELNS1_3gpuE4ELNS1_3repE0EEENS1_30default_config_static_selectorELNS0_4arch9wavefront6targetE1EEEvT1_,"axG",@progbits,_ZN7rocprim17ROCPRIM_400000_NS6detail17trampoline_kernelINS0_14default_configENS1_25partition_config_selectorILNS1_17partition_subalgoE8EiNS0_10empty_typeEbEEZZNS1_14partition_implILS5_8ELb0ES3_jPKiPS6_PKS6_NS0_5tupleIJPiS6_EEENSE_IJSB_SB_EEENS0_18inequality_wrapperIN6hipcub16HIPCUB_304000_NS8EqualityEEEPlJS6_EEE10hipError_tPvRmT3_T4_T5_T6_T7_T9_mT8_P12ihipStream_tbDpT10_ENKUlT_T0_E_clISt17integral_constantIbLb1EES16_IbLb0EEEEDaS12_S13_EUlS12_E_NS1_11comp_targetILNS1_3genE10ELNS1_11target_archE1200ELNS1_3gpuE4ELNS1_3repE0EEENS1_30default_config_static_selectorELNS0_4arch9wavefront6targetE1EEEvT1_,comdat
	.protected	_ZN7rocprim17ROCPRIM_400000_NS6detail17trampoline_kernelINS0_14default_configENS1_25partition_config_selectorILNS1_17partition_subalgoE8EiNS0_10empty_typeEbEEZZNS1_14partition_implILS5_8ELb0ES3_jPKiPS6_PKS6_NS0_5tupleIJPiS6_EEENSE_IJSB_SB_EEENS0_18inequality_wrapperIN6hipcub16HIPCUB_304000_NS8EqualityEEEPlJS6_EEE10hipError_tPvRmT3_T4_T5_T6_T7_T9_mT8_P12ihipStream_tbDpT10_ENKUlT_T0_E_clISt17integral_constantIbLb1EES16_IbLb0EEEEDaS12_S13_EUlS12_E_NS1_11comp_targetILNS1_3genE10ELNS1_11target_archE1200ELNS1_3gpuE4ELNS1_3repE0EEENS1_30default_config_static_selectorELNS0_4arch9wavefront6targetE1EEEvT1_ ; -- Begin function _ZN7rocprim17ROCPRIM_400000_NS6detail17trampoline_kernelINS0_14default_configENS1_25partition_config_selectorILNS1_17partition_subalgoE8EiNS0_10empty_typeEbEEZZNS1_14partition_implILS5_8ELb0ES3_jPKiPS6_PKS6_NS0_5tupleIJPiS6_EEENSE_IJSB_SB_EEENS0_18inequality_wrapperIN6hipcub16HIPCUB_304000_NS8EqualityEEEPlJS6_EEE10hipError_tPvRmT3_T4_T5_T6_T7_T9_mT8_P12ihipStream_tbDpT10_ENKUlT_T0_E_clISt17integral_constantIbLb1EES16_IbLb0EEEEDaS12_S13_EUlS12_E_NS1_11comp_targetILNS1_3genE10ELNS1_11target_archE1200ELNS1_3gpuE4ELNS1_3repE0EEENS1_30default_config_static_selectorELNS0_4arch9wavefront6targetE1EEEvT1_
	.globl	_ZN7rocprim17ROCPRIM_400000_NS6detail17trampoline_kernelINS0_14default_configENS1_25partition_config_selectorILNS1_17partition_subalgoE8EiNS0_10empty_typeEbEEZZNS1_14partition_implILS5_8ELb0ES3_jPKiPS6_PKS6_NS0_5tupleIJPiS6_EEENSE_IJSB_SB_EEENS0_18inequality_wrapperIN6hipcub16HIPCUB_304000_NS8EqualityEEEPlJS6_EEE10hipError_tPvRmT3_T4_T5_T6_T7_T9_mT8_P12ihipStream_tbDpT10_ENKUlT_T0_E_clISt17integral_constantIbLb1EES16_IbLb0EEEEDaS12_S13_EUlS12_E_NS1_11comp_targetILNS1_3genE10ELNS1_11target_archE1200ELNS1_3gpuE4ELNS1_3repE0EEENS1_30default_config_static_selectorELNS0_4arch9wavefront6targetE1EEEvT1_
	.p2align	8
	.type	_ZN7rocprim17ROCPRIM_400000_NS6detail17trampoline_kernelINS0_14default_configENS1_25partition_config_selectorILNS1_17partition_subalgoE8EiNS0_10empty_typeEbEEZZNS1_14partition_implILS5_8ELb0ES3_jPKiPS6_PKS6_NS0_5tupleIJPiS6_EEENSE_IJSB_SB_EEENS0_18inequality_wrapperIN6hipcub16HIPCUB_304000_NS8EqualityEEEPlJS6_EEE10hipError_tPvRmT3_T4_T5_T6_T7_T9_mT8_P12ihipStream_tbDpT10_ENKUlT_T0_E_clISt17integral_constantIbLb1EES16_IbLb0EEEEDaS12_S13_EUlS12_E_NS1_11comp_targetILNS1_3genE10ELNS1_11target_archE1200ELNS1_3gpuE4ELNS1_3repE0EEENS1_30default_config_static_selectorELNS0_4arch9wavefront6targetE1EEEvT1_,@function
_ZN7rocprim17ROCPRIM_400000_NS6detail17trampoline_kernelINS0_14default_configENS1_25partition_config_selectorILNS1_17partition_subalgoE8EiNS0_10empty_typeEbEEZZNS1_14partition_implILS5_8ELb0ES3_jPKiPS6_PKS6_NS0_5tupleIJPiS6_EEENSE_IJSB_SB_EEENS0_18inequality_wrapperIN6hipcub16HIPCUB_304000_NS8EqualityEEEPlJS6_EEE10hipError_tPvRmT3_T4_T5_T6_T7_T9_mT8_P12ihipStream_tbDpT10_ENKUlT_T0_E_clISt17integral_constantIbLb1EES16_IbLb0EEEEDaS12_S13_EUlS12_E_NS1_11comp_targetILNS1_3genE10ELNS1_11target_archE1200ELNS1_3gpuE4ELNS1_3repE0EEENS1_30default_config_static_selectorELNS0_4arch9wavefront6targetE1EEEvT1_: ; @_ZN7rocprim17ROCPRIM_400000_NS6detail17trampoline_kernelINS0_14default_configENS1_25partition_config_selectorILNS1_17partition_subalgoE8EiNS0_10empty_typeEbEEZZNS1_14partition_implILS5_8ELb0ES3_jPKiPS6_PKS6_NS0_5tupleIJPiS6_EEENSE_IJSB_SB_EEENS0_18inequality_wrapperIN6hipcub16HIPCUB_304000_NS8EqualityEEEPlJS6_EEE10hipError_tPvRmT3_T4_T5_T6_T7_T9_mT8_P12ihipStream_tbDpT10_ENKUlT_T0_E_clISt17integral_constantIbLb1EES16_IbLb0EEEEDaS12_S13_EUlS12_E_NS1_11comp_targetILNS1_3genE10ELNS1_11target_archE1200ELNS1_3gpuE4ELNS1_3repE0EEENS1_30default_config_static_selectorELNS0_4arch9wavefront6targetE1EEEvT1_
; %bb.0:
	.section	.rodata,"a",@progbits
	.p2align	6, 0x0
	.amdhsa_kernel _ZN7rocprim17ROCPRIM_400000_NS6detail17trampoline_kernelINS0_14default_configENS1_25partition_config_selectorILNS1_17partition_subalgoE8EiNS0_10empty_typeEbEEZZNS1_14partition_implILS5_8ELb0ES3_jPKiPS6_PKS6_NS0_5tupleIJPiS6_EEENSE_IJSB_SB_EEENS0_18inequality_wrapperIN6hipcub16HIPCUB_304000_NS8EqualityEEEPlJS6_EEE10hipError_tPvRmT3_T4_T5_T6_T7_T9_mT8_P12ihipStream_tbDpT10_ENKUlT_T0_E_clISt17integral_constantIbLb1EES16_IbLb0EEEEDaS12_S13_EUlS12_E_NS1_11comp_targetILNS1_3genE10ELNS1_11target_archE1200ELNS1_3gpuE4ELNS1_3repE0EEENS1_30default_config_static_selectorELNS0_4arch9wavefront6targetE1EEEvT1_
		.amdhsa_group_segment_fixed_size 0
		.amdhsa_private_segment_fixed_size 0
		.amdhsa_kernarg_size 112
		.amdhsa_user_sgpr_count 2
		.amdhsa_user_sgpr_dispatch_ptr 0
		.amdhsa_user_sgpr_queue_ptr 0
		.amdhsa_user_sgpr_kernarg_segment_ptr 1
		.amdhsa_user_sgpr_dispatch_id 0
		.amdhsa_user_sgpr_kernarg_preload_length 0
		.amdhsa_user_sgpr_kernarg_preload_offset 0
		.amdhsa_user_sgpr_private_segment_size 0
		.amdhsa_uses_dynamic_stack 0
		.amdhsa_enable_private_segment 0
		.amdhsa_system_sgpr_workgroup_id_x 1
		.amdhsa_system_sgpr_workgroup_id_y 0
		.amdhsa_system_sgpr_workgroup_id_z 0
		.amdhsa_system_sgpr_workgroup_info 0
		.amdhsa_system_vgpr_workitem_id 0
		.amdhsa_next_free_vgpr 1
		.amdhsa_next_free_sgpr 0
		.amdhsa_accum_offset 4
		.amdhsa_reserve_vcc 0
		.amdhsa_float_round_mode_32 0
		.amdhsa_float_round_mode_16_64 0
		.amdhsa_float_denorm_mode_32 3
		.amdhsa_float_denorm_mode_16_64 3
		.amdhsa_dx10_clamp 1
		.amdhsa_ieee_mode 1
		.amdhsa_fp16_overflow 0
		.amdhsa_tg_split 0
		.amdhsa_exception_fp_ieee_invalid_op 0
		.amdhsa_exception_fp_denorm_src 0
		.amdhsa_exception_fp_ieee_div_zero 0
		.amdhsa_exception_fp_ieee_overflow 0
		.amdhsa_exception_fp_ieee_underflow 0
		.amdhsa_exception_fp_ieee_inexact 0
		.amdhsa_exception_int_div_zero 0
	.end_amdhsa_kernel
	.section	.text._ZN7rocprim17ROCPRIM_400000_NS6detail17trampoline_kernelINS0_14default_configENS1_25partition_config_selectorILNS1_17partition_subalgoE8EiNS0_10empty_typeEbEEZZNS1_14partition_implILS5_8ELb0ES3_jPKiPS6_PKS6_NS0_5tupleIJPiS6_EEENSE_IJSB_SB_EEENS0_18inequality_wrapperIN6hipcub16HIPCUB_304000_NS8EqualityEEEPlJS6_EEE10hipError_tPvRmT3_T4_T5_T6_T7_T9_mT8_P12ihipStream_tbDpT10_ENKUlT_T0_E_clISt17integral_constantIbLb1EES16_IbLb0EEEEDaS12_S13_EUlS12_E_NS1_11comp_targetILNS1_3genE10ELNS1_11target_archE1200ELNS1_3gpuE4ELNS1_3repE0EEENS1_30default_config_static_selectorELNS0_4arch9wavefront6targetE1EEEvT1_,"axG",@progbits,_ZN7rocprim17ROCPRIM_400000_NS6detail17trampoline_kernelINS0_14default_configENS1_25partition_config_selectorILNS1_17partition_subalgoE8EiNS0_10empty_typeEbEEZZNS1_14partition_implILS5_8ELb0ES3_jPKiPS6_PKS6_NS0_5tupleIJPiS6_EEENSE_IJSB_SB_EEENS0_18inequality_wrapperIN6hipcub16HIPCUB_304000_NS8EqualityEEEPlJS6_EEE10hipError_tPvRmT3_T4_T5_T6_T7_T9_mT8_P12ihipStream_tbDpT10_ENKUlT_T0_E_clISt17integral_constantIbLb1EES16_IbLb0EEEEDaS12_S13_EUlS12_E_NS1_11comp_targetILNS1_3genE10ELNS1_11target_archE1200ELNS1_3gpuE4ELNS1_3repE0EEENS1_30default_config_static_selectorELNS0_4arch9wavefront6targetE1EEEvT1_,comdat
.Lfunc_end431:
	.size	_ZN7rocprim17ROCPRIM_400000_NS6detail17trampoline_kernelINS0_14default_configENS1_25partition_config_selectorILNS1_17partition_subalgoE8EiNS0_10empty_typeEbEEZZNS1_14partition_implILS5_8ELb0ES3_jPKiPS6_PKS6_NS0_5tupleIJPiS6_EEENSE_IJSB_SB_EEENS0_18inequality_wrapperIN6hipcub16HIPCUB_304000_NS8EqualityEEEPlJS6_EEE10hipError_tPvRmT3_T4_T5_T6_T7_T9_mT8_P12ihipStream_tbDpT10_ENKUlT_T0_E_clISt17integral_constantIbLb1EES16_IbLb0EEEEDaS12_S13_EUlS12_E_NS1_11comp_targetILNS1_3genE10ELNS1_11target_archE1200ELNS1_3gpuE4ELNS1_3repE0EEENS1_30default_config_static_selectorELNS0_4arch9wavefront6targetE1EEEvT1_, .Lfunc_end431-_ZN7rocprim17ROCPRIM_400000_NS6detail17trampoline_kernelINS0_14default_configENS1_25partition_config_selectorILNS1_17partition_subalgoE8EiNS0_10empty_typeEbEEZZNS1_14partition_implILS5_8ELb0ES3_jPKiPS6_PKS6_NS0_5tupleIJPiS6_EEENSE_IJSB_SB_EEENS0_18inequality_wrapperIN6hipcub16HIPCUB_304000_NS8EqualityEEEPlJS6_EEE10hipError_tPvRmT3_T4_T5_T6_T7_T9_mT8_P12ihipStream_tbDpT10_ENKUlT_T0_E_clISt17integral_constantIbLb1EES16_IbLb0EEEEDaS12_S13_EUlS12_E_NS1_11comp_targetILNS1_3genE10ELNS1_11target_archE1200ELNS1_3gpuE4ELNS1_3repE0EEENS1_30default_config_static_selectorELNS0_4arch9wavefront6targetE1EEEvT1_
                                        ; -- End function
	.section	.AMDGPU.csdata,"",@progbits
; Kernel info:
; codeLenInByte = 0
; NumSgprs: 6
; NumVgprs: 0
; NumAgprs: 0
; TotalNumVgprs: 0
; ScratchSize: 0
; MemoryBound: 0
; FloatMode: 240
; IeeeMode: 1
; LDSByteSize: 0 bytes/workgroup (compile time only)
; SGPRBlocks: 0
; VGPRBlocks: 0
; NumSGPRsForWavesPerEU: 6
; NumVGPRsForWavesPerEU: 1
; AccumOffset: 4
; Occupancy: 8
; WaveLimiterHint : 0
; COMPUTE_PGM_RSRC2:SCRATCH_EN: 0
; COMPUTE_PGM_RSRC2:USER_SGPR: 2
; COMPUTE_PGM_RSRC2:TRAP_HANDLER: 0
; COMPUTE_PGM_RSRC2:TGID_X_EN: 1
; COMPUTE_PGM_RSRC2:TGID_Y_EN: 0
; COMPUTE_PGM_RSRC2:TGID_Z_EN: 0
; COMPUTE_PGM_RSRC2:TIDIG_COMP_CNT: 0
; COMPUTE_PGM_RSRC3_GFX90A:ACCUM_OFFSET: 0
; COMPUTE_PGM_RSRC3_GFX90A:TG_SPLIT: 0
	.section	.text._ZN7rocprim17ROCPRIM_400000_NS6detail17trampoline_kernelINS0_14default_configENS1_25partition_config_selectorILNS1_17partition_subalgoE8EiNS0_10empty_typeEbEEZZNS1_14partition_implILS5_8ELb0ES3_jPKiPS6_PKS6_NS0_5tupleIJPiS6_EEENSE_IJSB_SB_EEENS0_18inequality_wrapperIN6hipcub16HIPCUB_304000_NS8EqualityEEEPlJS6_EEE10hipError_tPvRmT3_T4_T5_T6_T7_T9_mT8_P12ihipStream_tbDpT10_ENKUlT_T0_E_clISt17integral_constantIbLb1EES16_IbLb0EEEEDaS12_S13_EUlS12_E_NS1_11comp_targetILNS1_3genE9ELNS1_11target_archE1100ELNS1_3gpuE3ELNS1_3repE0EEENS1_30default_config_static_selectorELNS0_4arch9wavefront6targetE1EEEvT1_,"axG",@progbits,_ZN7rocprim17ROCPRIM_400000_NS6detail17trampoline_kernelINS0_14default_configENS1_25partition_config_selectorILNS1_17partition_subalgoE8EiNS0_10empty_typeEbEEZZNS1_14partition_implILS5_8ELb0ES3_jPKiPS6_PKS6_NS0_5tupleIJPiS6_EEENSE_IJSB_SB_EEENS0_18inequality_wrapperIN6hipcub16HIPCUB_304000_NS8EqualityEEEPlJS6_EEE10hipError_tPvRmT3_T4_T5_T6_T7_T9_mT8_P12ihipStream_tbDpT10_ENKUlT_T0_E_clISt17integral_constantIbLb1EES16_IbLb0EEEEDaS12_S13_EUlS12_E_NS1_11comp_targetILNS1_3genE9ELNS1_11target_archE1100ELNS1_3gpuE3ELNS1_3repE0EEENS1_30default_config_static_selectorELNS0_4arch9wavefront6targetE1EEEvT1_,comdat
	.protected	_ZN7rocprim17ROCPRIM_400000_NS6detail17trampoline_kernelINS0_14default_configENS1_25partition_config_selectorILNS1_17partition_subalgoE8EiNS0_10empty_typeEbEEZZNS1_14partition_implILS5_8ELb0ES3_jPKiPS6_PKS6_NS0_5tupleIJPiS6_EEENSE_IJSB_SB_EEENS0_18inequality_wrapperIN6hipcub16HIPCUB_304000_NS8EqualityEEEPlJS6_EEE10hipError_tPvRmT3_T4_T5_T6_T7_T9_mT8_P12ihipStream_tbDpT10_ENKUlT_T0_E_clISt17integral_constantIbLb1EES16_IbLb0EEEEDaS12_S13_EUlS12_E_NS1_11comp_targetILNS1_3genE9ELNS1_11target_archE1100ELNS1_3gpuE3ELNS1_3repE0EEENS1_30default_config_static_selectorELNS0_4arch9wavefront6targetE1EEEvT1_ ; -- Begin function _ZN7rocprim17ROCPRIM_400000_NS6detail17trampoline_kernelINS0_14default_configENS1_25partition_config_selectorILNS1_17partition_subalgoE8EiNS0_10empty_typeEbEEZZNS1_14partition_implILS5_8ELb0ES3_jPKiPS6_PKS6_NS0_5tupleIJPiS6_EEENSE_IJSB_SB_EEENS0_18inequality_wrapperIN6hipcub16HIPCUB_304000_NS8EqualityEEEPlJS6_EEE10hipError_tPvRmT3_T4_T5_T6_T7_T9_mT8_P12ihipStream_tbDpT10_ENKUlT_T0_E_clISt17integral_constantIbLb1EES16_IbLb0EEEEDaS12_S13_EUlS12_E_NS1_11comp_targetILNS1_3genE9ELNS1_11target_archE1100ELNS1_3gpuE3ELNS1_3repE0EEENS1_30default_config_static_selectorELNS0_4arch9wavefront6targetE1EEEvT1_
	.globl	_ZN7rocprim17ROCPRIM_400000_NS6detail17trampoline_kernelINS0_14default_configENS1_25partition_config_selectorILNS1_17partition_subalgoE8EiNS0_10empty_typeEbEEZZNS1_14partition_implILS5_8ELb0ES3_jPKiPS6_PKS6_NS0_5tupleIJPiS6_EEENSE_IJSB_SB_EEENS0_18inequality_wrapperIN6hipcub16HIPCUB_304000_NS8EqualityEEEPlJS6_EEE10hipError_tPvRmT3_T4_T5_T6_T7_T9_mT8_P12ihipStream_tbDpT10_ENKUlT_T0_E_clISt17integral_constantIbLb1EES16_IbLb0EEEEDaS12_S13_EUlS12_E_NS1_11comp_targetILNS1_3genE9ELNS1_11target_archE1100ELNS1_3gpuE3ELNS1_3repE0EEENS1_30default_config_static_selectorELNS0_4arch9wavefront6targetE1EEEvT1_
	.p2align	8
	.type	_ZN7rocprim17ROCPRIM_400000_NS6detail17trampoline_kernelINS0_14default_configENS1_25partition_config_selectorILNS1_17partition_subalgoE8EiNS0_10empty_typeEbEEZZNS1_14partition_implILS5_8ELb0ES3_jPKiPS6_PKS6_NS0_5tupleIJPiS6_EEENSE_IJSB_SB_EEENS0_18inequality_wrapperIN6hipcub16HIPCUB_304000_NS8EqualityEEEPlJS6_EEE10hipError_tPvRmT3_T4_T5_T6_T7_T9_mT8_P12ihipStream_tbDpT10_ENKUlT_T0_E_clISt17integral_constantIbLb1EES16_IbLb0EEEEDaS12_S13_EUlS12_E_NS1_11comp_targetILNS1_3genE9ELNS1_11target_archE1100ELNS1_3gpuE3ELNS1_3repE0EEENS1_30default_config_static_selectorELNS0_4arch9wavefront6targetE1EEEvT1_,@function
_ZN7rocprim17ROCPRIM_400000_NS6detail17trampoline_kernelINS0_14default_configENS1_25partition_config_selectorILNS1_17partition_subalgoE8EiNS0_10empty_typeEbEEZZNS1_14partition_implILS5_8ELb0ES3_jPKiPS6_PKS6_NS0_5tupleIJPiS6_EEENSE_IJSB_SB_EEENS0_18inequality_wrapperIN6hipcub16HIPCUB_304000_NS8EqualityEEEPlJS6_EEE10hipError_tPvRmT3_T4_T5_T6_T7_T9_mT8_P12ihipStream_tbDpT10_ENKUlT_T0_E_clISt17integral_constantIbLb1EES16_IbLb0EEEEDaS12_S13_EUlS12_E_NS1_11comp_targetILNS1_3genE9ELNS1_11target_archE1100ELNS1_3gpuE3ELNS1_3repE0EEENS1_30default_config_static_selectorELNS0_4arch9wavefront6targetE1EEEvT1_: ; @_ZN7rocprim17ROCPRIM_400000_NS6detail17trampoline_kernelINS0_14default_configENS1_25partition_config_selectorILNS1_17partition_subalgoE8EiNS0_10empty_typeEbEEZZNS1_14partition_implILS5_8ELb0ES3_jPKiPS6_PKS6_NS0_5tupleIJPiS6_EEENSE_IJSB_SB_EEENS0_18inequality_wrapperIN6hipcub16HIPCUB_304000_NS8EqualityEEEPlJS6_EEE10hipError_tPvRmT3_T4_T5_T6_T7_T9_mT8_P12ihipStream_tbDpT10_ENKUlT_T0_E_clISt17integral_constantIbLb1EES16_IbLb0EEEEDaS12_S13_EUlS12_E_NS1_11comp_targetILNS1_3genE9ELNS1_11target_archE1100ELNS1_3gpuE3ELNS1_3repE0EEENS1_30default_config_static_selectorELNS0_4arch9wavefront6targetE1EEEvT1_
; %bb.0:
	.section	.rodata,"a",@progbits
	.p2align	6, 0x0
	.amdhsa_kernel _ZN7rocprim17ROCPRIM_400000_NS6detail17trampoline_kernelINS0_14default_configENS1_25partition_config_selectorILNS1_17partition_subalgoE8EiNS0_10empty_typeEbEEZZNS1_14partition_implILS5_8ELb0ES3_jPKiPS6_PKS6_NS0_5tupleIJPiS6_EEENSE_IJSB_SB_EEENS0_18inequality_wrapperIN6hipcub16HIPCUB_304000_NS8EqualityEEEPlJS6_EEE10hipError_tPvRmT3_T4_T5_T6_T7_T9_mT8_P12ihipStream_tbDpT10_ENKUlT_T0_E_clISt17integral_constantIbLb1EES16_IbLb0EEEEDaS12_S13_EUlS12_E_NS1_11comp_targetILNS1_3genE9ELNS1_11target_archE1100ELNS1_3gpuE3ELNS1_3repE0EEENS1_30default_config_static_selectorELNS0_4arch9wavefront6targetE1EEEvT1_
		.amdhsa_group_segment_fixed_size 0
		.amdhsa_private_segment_fixed_size 0
		.amdhsa_kernarg_size 112
		.amdhsa_user_sgpr_count 2
		.amdhsa_user_sgpr_dispatch_ptr 0
		.amdhsa_user_sgpr_queue_ptr 0
		.amdhsa_user_sgpr_kernarg_segment_ptr 1
		.amdhsa_user_sgpr_dispatch_id 0
		.amdhsa_user_sgpr_kernarg_preload_length 0
		.amdhsa_user_sgpr_kernarg_preload_offset 0
		.amdhsa_user_sgpr_private_segment_size 0
		.amdhsa_uses_dynamic_stack 0
		.amdhsa_enable_private_segment 0
		.amdhsa_system_sgpr_workgroup_id_x 1
		.amdhsa_system_sgpr_workgroup_id_y 0
		.amdhsa_system_sgpr_workgroup_id_z 0
		.amdhsa_system_sgpr_workgroup_info 0
		.amdhsa_system_vgpr_workitem_id 0
		.amdhsa_next_free_vgpr 1
		.amdhsa_next_free_sgpr 0
		.amdhsa_accum_offset 4
		.amdhsa_reserve_vcc 0
		.amdhsa_float_round_mode_32 0
		.amdhsa_float_round_mode_16_64 0
		.amdhsa_float_denorm_mode_32 3
		.amdhsa_float_denorm_mode_16_64 3
		.amdhsa_dx10_clamp 1
		.amdhsa_ieee_mode 1
		.amdhsa_fp16_overflow 0
		.amdhsa_tg_split 0
		.amdhsa_exception_fp_ieee_invalid_op 0
		.amdhsa_exception_fp_denorm_src 0
		.amdhsa_exception_fp_ieee_div_zero 0
		.amdhsa_exception_fp_ieee_overflow 0
		.amdhsa_exception_fp_ieee_underflow 0
		.amdhsa_exception_fp_ieee_inexact 0
		.amdhsa_exception_int_div_zero 0
	.end_amdhsa_kernel
	.section	.text._ZN7rocprim17ROCPRIM_400000_NS6detail17trampoline_kernelINS0_14default_configENS1_25partition_config_selectorILNS1_17partition_subalgoE8EiNS0_10empty_typeEbEEZZNS1_14partition_implILS5_8ELb0ES3_jPKiPS6_PKS6_NS0_5tupleIJPiS6_EEENSE_IJSB_SB_EEENS0_18inequality_wrapperIN6hipcub16HIPCUB_304000_NS8EqualityEEEPlJS6_EEE10hipError_tPvRmT3_T4_T5_T6_T7_T9_mT8_P12ihipStream_tbDpT10_ENKUlT_T0_E_clISt17integral_constantIbLb1EES16_IbLb0EEEEDaS12_S13_EUlS12_E_NS1_11comp_targetILNS1_3genE9ELNS1_11target_archE1100ELNS1_3gpuE3ELNS1_3repE0EEENS1_30default_config_static_selectorELNS0_4arch9wavefront6targetE1EEEvT1_,"axG",@progbits,_ZN7rocprim17ROCPRIM_400000_NS6detail17trampoline_kernelINS0_14default_configENS1_25partition_config_selectorILNS1_17partition_subalgoE8EiNS0_10empty_typeEbEEZZNS1_14partition_implILS5_8ELb0ES3_jPKiPS6_PKS6_NS0_5tupleIJPiS6_EEENSE_IJSB_SB_EEENS0_18inequality_wrapperIN6hipcub16HIPCUB_304000_NS8EqualityEEEPlJS6_EEE10hipError_tPvRmT3_T4_T5_T6_T7_T9_mT8_P12ihipStream_tbDpT10_ENKUlT_T0_E_clISt17integral_constantIbLb1EES16_IbLb0EEEEDaS12_S13_EUlS12_E_NS1_11comp_targetILNS1_3genE9ELNS1_11target_archE1100ELNS1_3gpuE3ELNS1_3repE0EEENS1_30default_config_static_selectorELNS0_4arch9wavefront6targetE1EEEvT1_,comdat
.Lfunc_end432:
	.size	_ZN7rocprim17ROCPRIM_400000_NS6detail17trampoline_kernelINS0_14default_configENS1_25partition_config_selectorILNS1_17partition_subalgoE8EiNS0_10empty_typeEbEEZZNS1_14partition_implILS5_8ELb0ES3_jPKiPS6_PKS6_NS0_5tupleIJPiS6_EEENSE_IJSB_SB_EEENS0_18inequality_wrapperIN6hipcub16HIPCUB_304000_NS8EqualityEEEPlJS6_EEE10hipError_tPvRmT3_T4_T5_T6_T7_T9_mT8_P12ihipStream_tbDpT10_ENKUlT_T0_E_clISt17integral_constantIbLb1EES16_IbLb0EEEEDaS12_S13_EUlS12_E_NS1_11comp_targetILNS1_3genE9ELNS1_11target_archE1100ELNS1_3gpuE3ELNS1_3repE0EEENS1_30default_config_static_selectorELNS0_4arch9wavefront6targetE1EEEvT1_, .Lfunc_end432-_ZN7rocprim17ROCPRIM_400000_NS6detail17trampoline_kernelINS0_14default_configENS1_25partition_config_selectorILNS1_17partition_subalgoE8EiNS0_10empty_typeEbEEZZNS1_14partition_implILS5_8ELb0ES3_jPKiPS6_PKS6_NS0_5tupleIJPiS6_EEENSE_IJSB_SB_EEENS0_18inequality_wrapperIN6hipcub16HIPCUB_304000_NS8EqualityEEEPlJS6_EEE10hipError_tPvRmT3_T4_T5_T6_T7_T9_mT8_P12ihipStream_tbDpT10_ENKUlT_T0_E_clISt17integral_constantIbLb1EES16_IbLb0EEEEDaS12_S13_EUlS12_E_NS1_11comp_targetILNS1_3genE9ELNS1_11target_archE1100ELNS1_3gpuE3ELNS1_3repE0EEENS1_30default_config_static_selectorELNS0_4arch9wavefront6targetE1EEEvT1_
                                        ; -- End function
	.section	.AMDGPU.csdata,"",@progbits
; Kernel info:
; codeLenInByte = 0
; NumSgprs: 6
; NumVgprs: 0
; NumAgprs: 0
; TotalNumVgprs: 0
; ScratchSize: 0
; MemoryBound: 0
; FloatMode: 240
; IeeeMode: 1
; LDSByteSize: 0 bytes/workgroup (compile time only)
; SGPRBlocks: 0
; VGPRBlocks: 0
; NumSGPRsForWavesPerEU: 6
; NumVGPRsForWavesPerEU: 1
; AccumOffset: 4
; Occupancy: 8
; WaveLimiterHint : 0
; COMPUTE_PGM_RSRC2:SCRATCH_EN: 0
; COMPUTE_PGM_RSRC2:USER_SGPR: 2
; COMPUTE_PGM_RSRC2:TRAP_HANDLER: 0
; COMPUTE_PGM_RSRC2:TGID_X_EN: 1
; COMPUTE_PGM_RSRC2:TGID_Y_EN: 0
; COMPUTE_PGM_RSRC2:TGID_Z_EN: 0
; COMPUTE_PGM_RSRC2:TIDIG_COMP_CNT: 0
; COMPUTE_PGM_RSRC3_GFX90A:ACCUM_OFFSET: 0
; COMPUTE_PGM_RSRC3_GFX90A:TG_SPLIT: 0
	.section	.text._ZN7rocprim17ROCPRIM_400000_NS6detail17trampoline_kernelINS0_14default_configENS1_25partition_config_selectorILNS1_17partition_subalgoE8EiNS0_10empty_typeEbEEZZNS1_14partition_implILS5_8ELb0ES3_jPKiPS6_PKS6_NS0_5tupleIJPiS6_EEENSE_IJSB_SB_EEENS0_18inequality_wrapperIN6hipcub16HIPCUB_304000_NS8EqualityEEEPlJS6_EEE10hipError_tPvRmT3_T4_T5_T6_T7_T9_mT8_P12ihipStream_tbDpT10_ENKUlT_T0_E_clISt17integral_constantIbLb1EES16_IbLb0EEEEDaS12_S13_EUlS12_E_NS1_11comp_targetILNS1_3genE8ELNS1_11target_archE1030ELNS1_3gpuE2ELNS1_3repE0EEENS1_30default_config_static_selectorELNS0_4arch9wavefront6targetE1EEEvT1_,"axG",@progbits,_ZN7rocprim17ROCPRIM_400000_NS6detail17trampoline_kernelINS0_14default_configENS1_25partition_config_selectorILNS1_17partition_subalgoE8EiNS0_10empty_typeEbEEZZNS1_14partition_implILS5_8ELb0ES3_jPKiPS6_PKS6_NS0_5tupleIJPiS6_EEENSE_IJSB_SB_EEENS0_18inequality_wrapperIN6hipcub16HIPCUB_304000_NS8EqualityEEEPlJS6_EEE10hipError_tPvRmT3_T4_T5_T6_T7_T9_mT8_P12ihipStream_tbDpT10_ENKUlT_T0_E_clISt17integral_constantIbLb1EES16_IbLb0EEEEDaS12_S13_EUlS12_E_NS1_11comp_targetILNS1_3genE8ELNS1_11target_archE1030ELNS1_3gpuE2ELNS1_3repE0EEENS1_30default_config_static_selectorELNS0_4arch9wavefront6targetE1EEEvT1_,comdat
	.protected	_ZN7rocprim17ROCPRIM_400000_NS6detail17trampoline_kernelINS0_14default_configENS1_25partition_config_selectorILNS1_17partition_subalgoE8EiNS0_10empty_typeEbEEZZNS1_14partition_implILS5_8ELb0ES3_jPKiPS6_PKS6_NS0_5tupleIJPiS6_EEENSE_IJSB_SB_EEENS0_18inequality_wrapperIN6hipcub16HIPCUB_304000_NS8EqualityEEEPlJS6_EEE10hipError_tPvRmT3_T4_T5_T6_T7_T9_mT8_P12ihipStream_tbDpT10_ENKUlT_T0_E_clISt17integral_constantIbLb1EES16_IbLb0EEEEDaS12_S13_EUlS12_E_NS1_11comp_targetILNS1_3genE8ELNS1_11target_archE1030ELNS1_3gpuE2ELNS1_3repE0EEENS1_30default_config_static_selectorELNS0_4arch9wavefront6targetE1EEEvT1_ ; -- Begin function _ZN7rocprim17ROCPRIM_400000_NS6detail17trampoline_kernelINS0_14default_configENS1_25partition_config_selectorILNS1_17partition_subalgoE8EiNS0_10empty_typeEbEEZZNS1_14partition_implILS5_8ELb0ES3_jPKiPS6_PKS6_NS0_5tupleIJPiS6_EEENSE_IJSB_SB_EEENS0_18inequality_wrapperIN6hipcub16HIPCUB_304000_NS8EqualityEEEPlJS6_EEE10hipError_tPvRmT3_T4_T5_T6_T7_T9_mT8_P12ihipStream_tbDpT10_ENKUlT_T0_E_clISt17integral_constantIbLb1EES16_IbLb0EEEEDaS12_S13_EUlS12_E_NS1_11comp_targetILNS1_3genE8ELNS1_11target_archE1030ELNS1_3gpuE2ELNS1_3repE0EEENS1_30default_config_static_selectorELNS0_4arch9wavefront6targetE1EEEvT1_
	.globl	_ZN7rocprim17ROCPRIM_400000_NS6detail17trampoline_kernelINS0_14default_configENS1_25partition_config_selectorILNS1_17partition_subalgoE8EiNS0_10empty_typeEbEEZZNS1_14partition_implILS5_8ELb0ES3_jPKiPS6_PKS6_NS0_5tupleIJPiS6_EEENSE_IJSB_SB_EEENS0_18inequality_wrapperIN6hipcub16HIPCUB_304000_NS8EqualityEEEPlJS6_EEE10hipError_tPvRmT3_T4_T5_T6_T7_T9_mT8_P12ihipStream_tbDpT10_ENKUlT_T0_E_clISt17integral_constantIbLb1EES16_IbLb0EEEEDaS12_S13_EUlS12_E_NS1_11comp_targetILNS1_3genE8ELNS1_11target_archE1030ELNS1_3gpuE2ELNS1_3repE0EEENS1_30default_config_static_selectorELNS0_4arch9wavefront6targetE1EEEvT1_
	.p2align	8
	.type	_ZN7rocprim17ROCPRIM_400000_NS6detail17trampoline_kernelINS0_14default_configENS1_25partition_config_selectorILNS1_17partition_subalgoE8EiNS0_10empty_typeEbEEZZNS1_14partition_implILS5_8ELb0ES3_jPKiPS6_PKS6_NS0_5tupleIJPiS6_EEENSE_IJSB_SB_EEENS0_18inequality_wrapperIN6hipcub16HIPCUB_304000_NS8EqualityEEEPlJS6_EEE10hipError_tPvRmT3_T4_T5_T6_T7_T9_mT8_P12ihipStream_tbDpT10_ENKUlT_T0_E_clISt17integral_constantIbLb1EES16_IbLb0EEEEDaS12_S13_EUlS12_E_NS1_11comp_targetILNS1_3genE8ELNS1_11target_archE1030ELNS1_3gpuE2ELNS1_3repE0EEENS1_30default_config_static_selectorELNS0_4arch9wavefront6targetE1EEEvT1_,@function
_ZN7rocprim17ROCPRIM_400000_NS6detail17trampoline_kernelINS0_14default_configENS1_25partition_config_selectorILNS1_17partition_subalgoE8EiNS0_10empty_typeEbEEZZNS1_14partition_implILS5_8ELb0ES3_jPKiPS6_PKS6_NS0_5tupleIJPiS6_EEENSE_IJSB_SB_EEENS0_18inequality_wrapperIN6hipcub16HIPCUB_304000_NS8EqualityEEEPlJS6_EEE10hipError_tPvRmT3_T4_T5_T6_T7_T9_mT8_P12ihipStream_tbDpT10_ENKUlT_T0_E_clISt17integral_constantIbLb1EES16_IbLb0EEEEDaS12_S13_EUlS12_E_NS1_11comp_targetILNS1_3genE8ELNS1_11target_archE1030ELNS1_3gpuE2ELNS1_3repE0EEENS1_30default_config_static_selectorELNS0_4arch9wavefront6targetE1EEEvT1_: ; @_ZN7rocprim17ROCPRIM_400000_NS6detail17trampoline_kernelINS0_14default_configENS1_25partition_config_selectorILNS1_17partition_subalgoE8EiNS0_10empty_typeEbEEZZNS1_14partition_implILS5_8ELb0ES3_jPKiPS6_PKS6_NS0_5tupleIJPiS6_EEENSE_IJSB_SB_EEENS0_18inequality_wrapperIN6hipcub16HIPCUB_304000_NS8EqualityEEEPlJS6_EEE10hipError_tPvRmT3_T4_T5_T6_T7_T9_mT8_P12ihipStream_tbDpT10_ENKUlT_T0_E_clISt17integral_constantIbLb1EES16_IbLb0EEEEDaS12_S13_EUlS12_E_NS1_11comp_targetILNS1_3genE8ELNS1_11target_archE1030ELNS1_3gpuE2ELNS1_3repE0EEENS1_30default_config_static_selectorELNS0_4arch9wavefront6targetE1EEEvT1_
; %bb.0:
	.section	.rodata,"a",@progbits
	.p2align	6, 0x0
	.amdhsa_kernel _ZN7rocprim17ROCPRIM_400000_NS6detail17trampoline_kernelINS0_14default_configENS1_25partition_config_selectorILNS1_17partition_subalgoE8EiNS0_10empty_typeEbEEZZNS1_14partition_implILS5_8ELb0ES3_jPKiPS6_PKS6_NS0_5tupleIJPiS6_EEENSE_IJSB_SB_EEENS0_18inequality_wrapperIN6hipcub16HIPCUB_304000_NS8EqualityEEEPlJS6_EEE10hipError_tPvRmT3_T4_T5_T6_T7_T9_mT8_P12ihipStream_tbDpT10_ENKUlT_T0_E_clISt17integral_constantIbLb1EES16_IbLb0EEEEDaS12_S13_EUlS12_E_NS1_11comp_targetILNS1_3genE8ELNS1_11target_archE1030ELNS1_3gpuE2ELNS1_3repE0EEENS1_30default_config_static_selectorELNS0_4arch9wavefront6targetE1EEEvT1_
		.amdhsa_group_segment_fixed_size 0
		.amdhsa_private_segment_fixed_size 0
		.amdhsa_kernarg_size 112
		.amdhsa_user_sgpr_count 2
		.amdhsa_user_sgpr_dispatch_ptr 0
		.amdhsa_user_sgpr_queue_ptr 0
		.amdhsa_user_sgpr_kernarg_segment_ptr 1
		.amdhsa_user_sgpr_dispatch_id 0
		.amdhsa_user_sgpr_kernarg_preload_length 0
		.amdhsa_user_sgpr_kernarg_preload_offset 0
		.amdhsa_user_sgpr_private_segment_size 0
		.amdhsa_uses_dynamic_stack 0
		.amdhsa_enable_private_segment 0
		.amdhsa_system_sgpr_workgroup_id_x 1
		.amdhsa_system_sgpr_workgroup_id_y 0
		.amdhsa_system_sgpr_workgroup_id_z 0
		.amdhsa_system_sgpr_workgroup_info 0
		.amdhsa_system_vgpr_workitem_id 0
		.amdhsa_next_free_vgpr 1
		.amdhsa_next_free_sgpr 0
		.amdhsa_accum_offset 4
		.amdhsa_reserve_vcc 0
		.amdhsa_float_round_mode_32 0
		.amdhsa_float_round_mode_16_64 0
		.amdhsa_float_denorm_mode_32 3
		.amdhsa_float_denorm_mode_16_64 3
		.amdhsa_dx10_clamp 1
		.amdhsa_ieee_mode 1
		.amdhsa_fp16_overflow 0
		.amdhsa_tg_split 0
		.amdhsa_exception_fp_ieee_invalid_op 0
		.amdhsa_exception_fp_denorm_src 0
		.amdhsa_exception_fp_ieee_div_zero 0
		.amdhsa_exception_fp_ieee_overflow 0
		.amdhsa_exception_fp_ieee_underflow 0
		.amdhsa_exception_fp_ieee_inexact 0
		.amdhsa_exception_int_div_zero 0
	.end_amdhsa_kernel
	.section	.text._ZN7rocprim17ROCPRIM_400000_NS6detail17trampoline_kernelINS0_14default_configENS1_25partition_config_selectorILNS1_17partition_subalgoE8EiNS0_10empty_typeEbEEZZNS1_14partition_implILS5_8ELb0ES3_jPKiPS6_PKS6_NS0_5tupleIJPiS6_EEENSE_IJSB_SB_EEENS0_18inequality_wrapperIN6hipcub16HIPCUB_304000_NS8EqualityEEEPlJS6_EEE10hipError_tPvRmT3_T4_T5_T6_T7_T9_mT8_P12ihipStream_tbDpT10_ENKUlT_T0_E_clISt17integral_constantIbLb1EES16_IbLb0EEEEDaS12_S13_EUlS12_E_NS1_11comp_targetILNS1_3genE8ELNS1_11target_archE1030ELNS1_3gpuE2ELNS1_3repE0EEENS1_30default_config_static_selectorELNS0_4arch9wavefront6targetE1EEEvT1_,"axG",@progbits,_ZN7rocprim17ROCPRIM_400000_NS6detail17trampoline_kernelINS0_14default_configENS1_25partition_config_selectorILNS1_17partition_subalgoE8EiNS0_10empty_typeEbEEZZNS1_14partition_implILS5_8ELb0ES3_jPKiPS6_PKS6_NS0_5tupleIJPiS6_EEENSE_IJSB_SB_EEENS0_18inequality_wrapperIN6hipcub16HIPCUB_304000_NS8EqualityEEEPlJS6_EEE10hipError_tPvRmT3_T4_T5_T6_T7_T9_mT8_P12ihipStream_tbDpT10_ENKUlT_T0_E_clISt17integral_constantIbLb1EES16_IbLb0EEEEDaS12_S13_EUlS12_E_NS1_11comp_targetILNS1_3genE8ELNS1_11target_archE1030ELNS1_3gpuE2ELNS1_3repE0EEENS1_30default_config_static_selectorELNS0_4arch9wavefront6targetE1EEEvT1_,comdat
.Lfunc_end433:
	.size	_ZN7rocprim17ROCPRIM_400000_NS6detail17trampoline_kernelINS0_14default_configENS1_25partition_config_selectorILNS1_17partition_subalgoE8EiNS0_10empty_typeEbEEZZNS1_14partition_implILS5_8ELb0ES3_jPKiPS6_PKS6_NS0_5tupleIJPiS6_EEENSE_IJSB_SB_EEENS0_18inequality_wrapperIN6hipcub16HIPCUB_304000_NS8EqualityEEEPlJS6_EEE10hipError_tPvRmT3_T4_T5_T6_T7_T9_mT8_P12ihipStream_tbDpT10_ENKUlT_T0_E_clISt17integral_constantIbLb1EES16_IbLb0EEEEDaS12_S13_EUlS12_E_NS1_11comp_targetILNS1_3genE8ELNS1_11target_archE1030ELNS1_3gpuE2ELNS1_3repE0EEENS1_30default_config_static_selectorELNS0_4arch9wavefront6targetE1EEEvT1_, .Lfunc_end433-_ZN7rocprim17ROCPRIM_400000_NS6detail17trampoline_kernelINS0_14default_configENS1_25partition_config_selectorILNS1_17partition_subalgoE8EiNS0_10empty_typeEbEEZZNS1_14partition_implILS5_8ELb0ES3_jPKiPS6_PKS6_NS0_5tupleIJPiS6_EEENSE_IJSB_SB_EEENS0_18inequality_wrapperIN6hipcub16HIPCUB_304000_NS8EqualityEEEPlJS6_EEE10hipError_tPvRmT3_T4_T5_T6_T7_T9_mT8_P12ihipStream_tbDpT10_ENKUlT_T0_E_clISt17integral_constantIbLb1EES16_IbLb0EEEEDaS12_S13_EUlS12_E_NS1_11comp_targetILNS1_3genE8ELNS1_11target_archE1030ELNS1_3gpuE2ELNS1_3repE0EEENS1_30default_config_static_selectorELNS0_4arch9wavefront6targetE1EEEvT1_
                                        ; -- End function
	.section	.AMDGPU.csdata,"",@progbits
; Kernel info:
; codeLenInByte = 0
; NumSgprs: 6
; NumVgprs: 0
; NumAgprs: 0
; TotalNumVgprs: 0
; ScratchSize: 0
; MemoryBound: 0
; FloatMode: 240
; IeeeMode: 1
; LDSByteSize: 0 bytes/workgroup (compile time only)
; SGPRBlocks: 0
; VGPRBlocks: 0
; NumSGPRsForWavesPerEU: 6
; NumVGPRsForWavesPerEU: 1
; AccumOffset: 4
; Occupancy: 8
; WaveLimiterHint : 0
; COMPUTE_PGM_RSRC2:SCRATCH_EN: 0
; COMPUTE_PGM_RSRC2:USER_SGPR: 2
; COMPUTE_PGM_RSRC2:TRAP_HANDLER: 0
; COMPUTE_PGM_RSRC2:TGID_X_EN: 1
; COMPUTE_PGM_RSRC2:TGID_Y_EN: 0
; COMPUTE_PGM_RSRC2:TGID_Z_EN: 0
; COMPUTE_PGM_RSRC2:TIDIG_COMP_CNT: 0
; COMPUTE_PGM_RSRC3_GFX90A:ACCUM_OFFSET: 0
; COMPUTE_PGM_RSRC3_GFX90A:TG_SPLIT: 0
	.section	.text._ZN7rocprim17ROCPRIM_400000_NS6detail17trampoline_kernelINS0_14default_configENS1_25partition_config_selectorILNS1_17partition_subalgoE8EiNS0_10empty_typeEbEEZZNS1_14partition_implILS5_8ELb0ES3_jPKiPS6_PKS6_NS0_5tupleIJPiS6_EEENSE_IJSB_SB_EEENS0_18inequality_wrapperIN6hipcub16HIPCUB_304000_NS8EqualityEEEPlJS6_EEE10hipError_tPvRmT3_T4_T5_T6_T7_T9_mT8_P12ihipStream_tbDpT10_ENKUlT_T0_E_clISt17integral_constantIbLb0EES16_IbLb1EEEEDaS12_S13_EUlS12_E_NS1_11comp_targetILNS1_3genE0ELNS1_11target_archE4294967295ELNS1_3gpuE0ELNS1_3repE0EEENS1_30default_config_static_selectorELNS0_4arch9wavefront6targetE1EEEvT1_,"axG",@progbits,_ZN7rocprim17ROCPRIM_400000_NS6detail17trampoline_kernelINS0_14default_configENS1_25partition_config_selectorILNS1_17partition_subalgoE8EiNS0_10empty_typeEbEEZZNS1_14partition_implILS5_8ELb0ES3_jPKiPS6_PKS6_NS0_5tupleIJPiS6_EEENSE_IJSB_SB_EEENS0_18inequality_wrapperIN6hipcub16HIPCUB_304000_NS8EqualityEEEPlJS6_EEE10hipError_tPvRmT3_T4_T5_T6_T7_T9_mT8_P12ihipStream_tbDpT10_ENKUlT_T0_E_clISt17integral_constantIbLb0EES16_IbLb1EEEEDaS12_S13_EUlS12_E_NS1_11comp_targetILNS1_3genE0ELNS1_11target_archE4294967295ELNS1_3gpuE0ELNS1_3repE0EEENS1_30default_config_static_selectorELNS0_4arch9wavefront6targetE1EEEvT1_,comdat
	.protected	_ZN7rocprim17ROCPRIM_400000_NS6detail17trampoline_kernelINS0_14default_configENS1_25partition_config_selectorILNS1_17partition_subalgoE8EiNS0_10empty_typeEbEEZZNS1_14partition_implILS5_8ELb0ES3_jPKiPS6_PKS6_NS0_5tupleIJPiS6_EEENSE_IJSB_SB_EEENS0_18inequality_wrapperIN6hipcub16HIPCUB_304000_NS8EqualityEEEPlJS6_EEE10hipError_tPvRmT3_T4_T5_T6_T7_T9_mT8_P12ihipStream_tbDpT10_ENKUlT_T0_E_clISt17integral_constantIbLb0EES16_IbLb1EEEEDaS12_S13_EUlS12_E_NS1_11comp_targetILNS1_3genE0ELNS1_11target_archE4294967295ELNS1_3gpuE0ELNS1_3repE0EEENS1_30default_config_static_selectorELNS0_4arch9wavefront6targetE1EEEvT1_ ; -- Begin function _ZN7rocprim17ROCPRIM_400000_NS6detail17trampoline_kernelINS0_14default_configENS1_25partition_config_selectorILNS1_17partition_subalgoE8EiNS0_10empty_typeEbEEZZNS1_14partition_implILS5_8ELb0ES3_jPKiPS6_PKS6_NS0_5tupleIJPiS6_EEENSE_IJSB_SB_EEENS0_18inequality_wrapperIN6hipcub16HIPCUB_304000_NS8EqualityEEEPlJS6_EEE10hipError_tPvRmT3_T4_T5_T6_T7_T9_mT8_P12ihipStream_tbDpT10_ENKUlT_T0_E_clISt17integral_constantIbLb0EES16_IbLb1EEEEDaS12_S13_EUlS12_E_NS1_11comp_targetILNS1_3genE0ELNS1_11target_archE4294967295ELNS1_3gpuE0ELNS1_3repE0EEENS1_30default_config_static_selectorELNS0_4arch9wavefront6targetE1EEEvT1_
	.globl	_ZN7rocprim17ROCPRIM_400000_NS6detail17trampoline_kernelINS0_14default_configENS1_25partition_config_selectorILNS1_17partition_subalgoE8EiNS0_10empty_typeEbEEZZNS1_14partition_implILS5_8ELb0ES3_jPKiPS6_PKS6_NS0_5tupleIJPiS6_EEENSE_IJSB_SB_EEENS0_18inequality_wrapperIN6hipcub16HIPCUB_304000_NS8EqualityEEEPlJS6_EEE10hipError_tPvRmT3_T4_T5_T6_T7_T9_mT8_P12ihipStream_tbDpT10_ENKUlT_T0_E_clISt17integral_constantIbLb0EES16_IbLb1EEEEDaS12_S13_EUlS12_E_NS1_11comp_targetILNS1_3genE0ELNS1_11target_archE4294967295ELNS1_3gpuE0ELNS1_3repE0EEENS1_30default_config_static_selectorELNS0_4arch9wavefront6targetE1EEEvT1_
	.p2align	8
	.type	_ZN7rocprim17ROCPRIM_400000_NS6detail17trampoline_kernelINS0_14default_configENS1_25partition_config_selectorILNS1_17partition_subalgoE8EiNS0_10empty_typeEbEEZZNS1_14partition_implILS5_8ELb0ES3_jPKiPS6_PKS6_NS0_5tupleIJPiS6_EEENSE_IJSB_SB_EEENS0_18inequality_wrapperIN6hipcub16HIPCUB_304000_NS8EqualityEEEPlJS6_EEE10hipError_tPvRmT3_T4_T5_T6_T7_T9_mT8_P12ihipStream_tbDpT10_ENKUlT_T0_E_clISt17integral_constantIbLb0EES16_IbLb1EEEEDaS12_S13_EUlS12_E_NS1_11comp_targetILNS1_3genE0ELNS1_11target_archE4294967295ELNS1_3gpuE0ELNS1_3repE0EEENS1_30default_config_static_selectorELNS0_4arch9wavefront6targetE1EEEvT1_,@function
_ZN7rocprim17ROCPRIM_400000_NS6detail17trampoline_kernelINS0_14default_configENS1_25partition_config_selectorILNS1_17partition_subalgoE8EiNS0_10empty_typeEbEEZZNS1_14partition_implILS5_8ELb0ES3_jPKiPS6_PKS6_NS0_5tupleIJPiS6_EEENSE_IJSB_SB_EEENS0_18inequality_wrapperIN6hipcub16HIPCUB_304000_NS8EqualityEEEPlJS6_EEE10hipError_tPvRmT3_T4_T5_T6_T7_T9_mT8_P12ihipStream_tbDpT10_ENKUlT_T0_E_clISt17integral_constantIbLb0EES16_IbLb1EEEEDaS12_S13_EUlS12_E_NS1_11comp_targetILNS1_3genE0ELNS1_11target_archE4294967295ELNS1_3gpuE0ELNS1_3repE0EEENS1_30default_config_static_selectorELNS0_4arch9wavefront6targetE1EEEvT1_: ; @_ZN7rocprim17ROCPRIM_400000_NS6detail17trampoline_kernelINS0_14default_configENS1_25partition_config_selectorILNS1_17partition_subalgoE8EiNS0_10empty_typeEbEEZZNS1_14partition_implILS5_8ELb0ES3_jPKiPS6_PKS6_NS0_5tupleIJPiS6_EEENSE_IJSB_SB_EEENS0_18inequality_wrapperIN6hipcub16HIPCUB_304000_NS8EqualityEEEPlJS6_EEE10hipError_tPvRmT3_T4_T5_T6_T7_T9_mT8_P12ihipStream_tbDpT10_ENKUlT_T0_E_clISt17integral_constantIbLb0EES16_IbLb1EEEEDaS12_S13_EUlS12_E_NS1_11comp_targetILNS1_3genE0ELNS1_11target_archE4294967295ELNS1_3gpuE0ELNS1_3repE0EEENS1_30default_config_static_selectorELNS0_4arch9wavefront6targetE1EEEvT1_
; %bb.0:
	.section	.rodata,"a",@progbits
	.p2align	6, 0x0
	.amdhsa_kernel _ZN7rocprim17ROCPRIM_400000_NS6detail17trampoline_kernelINS0_14default_configENS1_25partition_config_selectorILNS1_17partition_subalgoE8EiNS0_10empty_typeEbEEZZNS1_14partition_implILS5_8ELb0ES3_jPKiPS6_PKS6_NS0_5tupleIJPiS6_EEENSE_IJSB_SB_EEENS0_18inequality_wrapperIN6hipcub16HIPCUB_304000_NS8EqualityEEEPlJS6_EEE10hipError_tPvRmT3_T4_T5_T6_T7_T9_mT8_P12ihipStream_tbDpT10_ENKUlT_T0_E_clISt17integral_constantIbLb0EES16_IbLb1EEEEDaS12_S13_EUlS12_E_NS1_11comp_targetILNS1_3genE0ELNS1_11target_archE4294967295ELNS1_3gpuE0ELNS1_3repE0EEENS1_30default_config_static_selectorELNS0_4arch9wavefront6targetE1EEEvT1_
		.amdhsa_group_segment_fixed_size 0
		.amdhsa_private_segment_fixed_size 0
		.amdhsa_kernarg_size 128
		.amdhsa_user_sgpr_count 2
		.amdhsa_user_sgpr_dispatch_ptr 0
		.amdhsa_user_sgpr_queue_ptr 0
		.amdhsa_user_sgpr_kernarg_segment_ptr 1
		.amdhsa_user_sgpr_dispatch_id 0
		.amdhsa_user_sgpr_kernarg_preload_length 0
		.amdhsa_user_sgpr_kernarg_preload_offset 0
		.amdhsa_user_sgpr_private_segment_size 0
		.amdhsa_uses_dynamic_stack 0
		.amdhsa_enable_private_segment 0
		.amdhsa_system_sgpr_workgroup_id_x 1
		.amdhsa_system_sgpr_workgroup_id_y 0
		.amdhsa_system_sgpr_workgroup_id_z 0
		.amdhsa_system_sgpr_workgroup_info 0
		.amdhsa_system_vgpr_workitem_id 0
		.amdhsa_next_free_vgpr 1
		.amdhsa_next_free_sgpr 0
		.amdhsa_accum_offset 4
		.amdhsa_reserve_vcc 0
		.amdhsa_float_round_mode_32 0
		.amdhsa_float_round_mode_16_64 0
		.amdhsa_float_denorm_mode_32 3
		.amdhsa_float_denorm_mode_16_64 3
		.amdhsa_dx10_clamp 1
		.amdhsa_ieee_mode 1
		.amdhsa_fp16_overflow 0
		.amdhsa_tg_split 0
		.amdhsa_exception_fp_ieee_invalid_op 0
		.amdhsa_exception_fp_denorm_src 0
		.amdhsa_exception_fp_ieee_div_zero 0
		.amdhsa_exception_fp_ieee_overflow 0
		.amdhsa_exception_fp_ieee_underflow 0
		.amdhsa_exception_fp_ieee_inexact 0
		.amdhsa_exception_int_div_zero 0
	.end_amdhsa_kernel
	.section	.text._ZN7rocprim17ROCPRIM_400000_NS6detail17trampoline_kernelINS0_14default_configENS1_25partition_config_selectorILNS1_17partition_subalgoE8EiNS0_10empty_typeEbEEZZNS1_14partition_implILS5_8ELb0ES3_jPKiPS6_PKS6_NS0_5tupleIJPiS6_EEENSE_IJSB_SB_EEENS0_18inequality_wrapperIN6hipcub16HIPCUB_304000_NS8EqualityEEEPlJS6_EEE10hipError_tPvRmT3_T4_T5_T6_T7_T9_mT8_P12ihipStream_tbDpT10_ENKUlT_T0_E_clISt17integral_constantIbLb0EES16_IbLb1EEEEDaS12_S13_EUlS12_E_NS1_11comp_targetILNS1_3genE0ELNS1_11target_archE4294967295ELNS1_3gpuE0ELNS1_3repE0EEENS1_30default_config_static_selectorELNS0_4arch9wavefront6targetE1EEEvT1_,"axG",@progbits,_ZN7rocprim17ROCPRIM_400000_NS6detail17trampoline_kernelINS0_14default_configENS1_25partition_config_selectorILNS1_17partition_subalgoE8EiNS0_10empty_typeEbEEZZNS1_14partition_implILS5_8ELb0ES3_jPKiPS6_PKS6_NS0_5tupleIJPiS6_EEENSE_IJSB_SB_EEENS0_18inequality_wrapperIN6hipcub16HIPCUB_304000_NS8EqualityEEEPlJS6_EEE10hipError_tPvRmT3_T4_T5_T6_T7_T9_mT8_P12ihipStream_tbDpT10_ENKUlT_T0_E_clISt17integral_constantIbLb0EES16_IbLb1EEEEDaS12_S13_EUlS12_E_NS1_11comp_targetILNS1_3genE0ELNS1_11target_archE4294967295ELNS1_3gpuE0ELNS1_3repE0EEENS1_30default_config_static_selectorELNS0_4arch9wavefront6targetE1EEEvT1_,comdat
.Lfunc_end434:
	.size	_ZN7rocprim17ROCPRIM_400000_NS6detail17trampoline_kernelINS0_14default_configENS1_25partition_config_selectorILNS1_17partition_subalgoE8EiNS0_10empty_typeEbEEZZNS1_14partition_implILS5_8ELb0ES3_jPKiPS6_PKS6_NS0_5tupleIJPiS6_EEENSE_IJSB_SB_EEENS0_18inequality_wrapperIN6hipcub16HIPCUB_304000_NS8EqualityEEEPlJS6_EEE10hipError_tPvRmT3_T4_T5_T6_T7_T9_mT8_P12ihipStream_tbDpT10_ENKUlT_T0_E_clISt17integral_constantIbLb0EES16_IbLb1EEEEDaS12_S13_EUlS12_E_NS1_11comp_targetILNS1_3genE0ELNS1_11target_archE4294967295ELNS1_3gpuE0ELNS1_3repE0EEENS1_30default_config_static_selectorELNS0_4arch9wavefront6targetE1EEEvT1_, .Lfunc_end434-_ZN7rocprim17ROCPRIM_400000_NS6detail17trampoline_kernelINS0_14default_configENS1_25partition_config_selectorILNS1_17partition_subalgoE8EiNS0_10empty_typeEbEEZZNS1_14partition_implILS5_8ELb0ES3_jPKiPS6_PKS6_NS0_5tupleIJPiS6_EEENSE_IJSB_SB_EEENS0_18inequality_wrapperIN6hipcub16HIPCUB_304000_NS8EqualityEEEPlJS6_EEE10hipError_tPvRmT3_T4_T5_T6_T7_T9_mT8_P12ihipStream_tbDpT10_ENKUlT_T0_E_clISt17integral_constantIbLb0EES16_IbLb1EEEEDaS12_S13_EUlS12_E_NS1_11comp_targetILNS1_3genE0ELNS1_11target_archE4294967295ELNS1_3gpuE0ELNS1_3repE0EEENS1_30default_config_static_selectorELNS0_4arch9wavefront6targetE1EEEvT1_
                                        ; -- End function
	.section	.AMDGPU.csdata,"",@progbits
; Kernel info:
; codeLenInByte = 0
; NumSgprs: 6
; NumVgprs: 0
; NumAgprs: 0
; TotalNumVgprs: 0
; ScratchSize: 0
; MemoryBound: 0
; FloatMode: 240
; IeeeMode: 1
; LDSByteSize: 0 bytes/workgroup (compile time only)
; SGPRBlocks: 0
; VGPRBlocks: 0
; NumSGPRsForWavesPerEU: 6
; NumVGPRsForWavesPerEU: 1
; AccumOffset: 4
; Occupancy: 8
; WaveLimiterHint : 0
; COMPUTE_PGM_RSRC2:SCRATCH_EN: 0
; COMPUTE_PGM_RSRC2:USER_SGPR: 2
; COMPUTE_PGM_RSRC2:TRAP_HANDLER: 0
; COMPUTE_PGM_RSRC2:TGID_X_EN: 1
; COMPUTE_PGM_RSRC2:TGID_Y_EN: 0
; COMPUTE_PGM_RSRC2:TGID_Z_EN: 0
; COMPUTE_PGM_RSRC2:TIDIG_COMP_CNT: 0
; COMPUTE_PGM_RSRC3_GFX90A:ACCUM_OFFSET: 0
; COMPUTE_PGM_RSRC3_GFX90A:TG_SPLIT: 0
	.section	.text._ZN7rocprim17ROCPRIM_400000_NS6detail17trampoline_kernelINS0_14default_configENS1_25partition_config_selectorILNS1_17partition_subalgoE8EiNS0_10empty_typeEbEEZZNS1_14partition_implILS5_8ELb0ES3_jPKiPS6_PKS6_NS0_5tupleIJPiS6_EEENSE_IJSB_SB_EEENS0_18inequality_wrapperIN6hipcub16HIPCUB_304000_NS8EqualityEEEPlJS6_EEE10hipError_tPvRmT3_T4_T5_T6_T7_T9_mT8_P12ihipStream_tbDpT10_ENKUlT_T0_E_clISt17integral_constantIbLb0EES16_IbLb1EEEEDaS12_S13_EUlS12_E_NS1_11comp_targetILNS1_3genE5ELNS1_11target_archE942ELNS1_3gpuE9ELNS1_3repE0EEENS1_30default_config_static_selectorELNS0_4arch9wavefront6targetE1EEEvT1_,"axG",@progbits,_ZN7rocprim17ROCPRIM_400000_NS6detail17trampoline_kernelINS0_14default_configENS1_25partition_config_selectorILNS1_17partition_subalgoE8EiNS0_10empty_typeEbEEZZNS1_14partition_implILS5_8ELb0ES3_jPKiPS6_PKS6_NS0_5tupleIJPiS6_EEENSE_IJSB_SB_EEENS0_18inequality_wrapperIN6hipcub16HIPCUB_304000_NS8EqualityEEEPlJS6_EEE10hipError_tPvRmT3_T4_T5_T6_T7_T9_mT8_P12ihipStream_tbDpT10_ENKUlT_T0_E_clISt17integral_constantIbLb0EES16_IbLb1EEEEDaS12_S13_EUlS12_E_NS1_11comp_targetILNS1_3genE5ELNS1_11target_archE942ELNS1_3gpuE9ELNS1_3repE0EEENS1_30default_config_static_selectorELNS0_4arch9wavefront6targetE1EEEvT1_,comdat
	.protected	_ZN7rocprim17ROCPRIM_400000_NS6detail17trampoline_kernelINS0_14default_configENS1_25partition_config_selectorILNS1_17partition_subalgoE8EiNS0_10empty_typeEbEEZZNS1_14partition_implILS5_8ELb0ES3_jPKiPS6_PKS6_NS0_5tupleIJPiS6_EEENSE_IJSB_SB_EEENS0_18inequality_wrapperIN6hipcub16HIPCUB_304000_NS8EqualityEEEPlJS6_EEE10hipError_tPvRmT3_T4_T5_T6_T7_T9_mT8_P12ihipStream_tbDpT10_ENKUlT_T0_E_clISt17integral_constantIbLb0EES16_IbLb1EEEEDaS12_S13_EUlS12_E_NS1_11comp_targetILNS1_3genE5ELNS1_11target_archE942ELNS1_3gpuE9ELNS1_3repE0EEENS1_30default_config_static_selectorELNS0_4arch9wavefront6targetE1EEEvT1_ ; -- Begin function _ZN7rocprim17ROCPRIM_400000_NS6detail17trampoline_kernelINS0_14default_configENS1_25partition_config_selectorILNS1_17partition_subalgoE8EiNS0_10empty_typeEbEEZZNS1_14partition_implILS5_8ELb0ES3_jPKiPS6_PKS6_NS0_5tupleIJPiS6_EEENSE_IJSB_SB_EEENS0_18inequality_wrapperIN6hipcub16HIPCUB_304000_NS8EqualityEEEPlJS6_EEE10hipError_tPvRmT3_T4_T5_T6_T7_T9_mT8_P12ihipStream_tbDpT10_ENKUlT_T0_E_clISt17integral_constantIbLb0EES16_IbLb1EEEEDaS12_S13_EUlS12_E_NS1_11comp_targetILNS1_3genE5ELNS1_11target_archE942ELNS1_3gpuE9ELNS1_3repE0EEENS1_30default_config_static_selectorELNS0_4arch9wavefront6targetE1EEEvT1_
	.globl	_ZN7rocprim17ROCPRIM_400000_NS6detail17trampoline_kernelINS0_14default_configENS1_25partition_config_selectorILNS1_17partition_subalgoE8EiNS0_10empty_typeEbEEZZNS1_14partition_implILS5_8ELb0ES3_jPKiPS6_PKS6_NS0_5tupleIJPiS6_EEENSE_IJSB_SB_EEENS0_18inequality_wrapperIN6hipcub16HIPCUB_304000_NS8EqualityEEEPlJS6_EEE10hipError_tPvRmT3_T4_T5_T6_T7_T9_mT8_P12ihipStream_tbDpT10_ENKUlT_T0_E_clISt17integral_constantIbLb0EES16_IbLb1EEEEDaS12_S13_EUlS12_E_NS1_11comp_targetILNS1_3genE5ELNS1_11target_archE942ELNS1_3gpuE9ELNS1_3repE0EEENS1_30default_config_static_selectorELNS0_4arch9wavefront6targetE1EEEvT1_
	.p2align	8
	.type	_ZN7rocprim17ROCPRIM_400000_NS6detail17trampoline_kernelINS0_14default_configENS1_25partition_config_selectorILNS1_17partition_subalgoE8EiNS0_10empty_typeEbEEZZNS1_14partition_implILS5_8ELb0ES3_jPKiPS6_PKS6_NS0_5tupleIJPiS6_EEENSE_IJSB_SB_EEENS0_18inequality_wrapperIN6hipcub16HIPCUB_304000_NS8EqualityEEEPlJS6_EEE10hipError_tPvRmT3_T4_T5_T6_T7_T9_mT8_P12ihipStream_tbDpT10_ENKUlT_T0_E_clISt17integral_constantIbLb0EES16_IbLb1EEEEDaS12_S13_EUlS12_E_NS1_11comp_targetILNS1_3genE5ELNS1_11target_archE942ELNS1_3gpuE9ELNS1_3repE0EEENS1_30default_config_static_selectorELNS0_4arch9wavefront6targetE1EEEvT1_,@function
_ZN7rocprim17ROCPRIM_400000_NS6detail17trampoline_kernelINS0_14default_configENS1_25partition_config_selectorILNS1_17partition_subalgoE8EiNS0_10empty_typeEbEEZZNS1_14partition_implILS5_8ELb0ES3_jPKiPS6_PKS6_NS0_5tupleIJPiS6_EEENSE_IJSB_SB_EEENS0_18inequality_wrapperIN6hipcub16HIPCUB_304000_NS8EqualityEEEPlJS6_EEE10hipError_tPvRmT3_T4_T5_T6_T7_T9_mT8_P12ihipStream_tbDpT10_ENKUlT_T0_E_clISt17integral_constantIbLb0EES16_IbLb1EEEEDaS12_S13_EUlS12_E_NS1_11comp_targetILNS1_3genE5ELNS1_11target_archE942ELNS1_3gpuE9ELNS1_3repE0EEENS1_30default_config_static_selectorELNS0_4arch9wavefront6targetE1EEEvT1_: ; @_ZN7rocprim17ROCPRIM_400000_NS6detail17trampoline_kernelINS0_14default_configENS1_25partition_config_selectorILNS1_17partition_subalgoE8EiNS0_10empty_typeEbEEZZNS1_14partition_implILS5_8ELb0ES3_jPKiPS6_PKS6_NS0_5tupleIJPiS6_EEENSE_IJSB_SB_EEENS0_18inequality_wrapperIN6hipcub16HIPCUB_304000_NS8EqualityEEEPlJS6_EEE10hipError_tPvRmT3_T4_T5_T6_T7_T9_mT8_P12ihipStream_tbDpT10_ENKUlT_T0_E_clISt17integral_constantIbLb0EES16_IbLb1EEEEDaS12_S13_EUlS12_E_NS1_11comp_targetILNS1_3genE5ELNS1_11target_archE942ELNS1_3gpuE9ELNS1_3repE0EEENS1_30default_config_static_selectorELNS0_4arch9wavefront6targetE1EEEvT1_
; %bb.0:
	s_load_dwordx4 s[36:39], s[0:1], 0x40
	s_load_dwordx2 s[8:9], s[0:1], 0x50
	s_load_dwordx2 s[42:43], s[0:1], 0x60
	v_cmp_ne_u32_e64 s[2:3], 0, v0
	v_cmp_eq_u32_e64 s[18:19], 0, v0
	s_and_saveexec_b64 s[4:5], s[18:19]
	s_cbranch_execz .LBB435_4
; %bb.1:
	s_mov_b64 s[10:11], exec
	v_mbcnt_lo_u32_b32 v1, s10, 0
	v_mbcnt_hi_u32_b32 v1, s11, v1
	v_cmp_eq_u32_e32 vcc, 0, v1
                                        ; implicit-def: $vgpr2
	s_and_saveexec_b64 s[6:7], vcc
	s_cbranch_execz .LBB435_3
; %bb.2:
	s_load_dwordx2 s[12:13], s[0:1], 0x70
	s_bcnt1_i32_b64 s10, s[10:11]
	v_mov_b32_e32 v2, 0
	v_mov_b32_e32 v3, s10
	s_waitcnt lgkmcnt(0)
	global_atomic_add v2, v2, v3, s[12:13] sc0
.LBB435_3:
	s_or_b64 exec, exec, s[6:7]
	s_waitcnt vmcnt(0)
	v_readfirstlane_b32 s6, v2
	v_mov_b32_e32 v2, 0
	s_nop 0
	v_add_u32_e32 v1, s6, v1
	ds_write_b32 v2, v1
.LBB435_4:
	s_or_b64 exec, exec, s[4:5]
	v_mov_b32_e32 v3, 0
	s_load_dwordx4 s[4:7], s[0:1], 0x8
	s_load_dwordx2 s[40:41], s[0:1], 0x28
	s_load_dword s10, s[0:1], 0x68
	s_waitcnt lgkmcnt(0)
	s_barrier
	ds_read_b32 v1, v3
	s_waitcnt lgkmcnt(0)
	s_barrier
	global_load_dwordx2 v[18:19], v3, s[38:39]
	s_lshl_b64 s[0:1], s[6:7], 2
	s_add_u32 s4, s4, s0
	s_movk_i32 s0, 0x1e00
	v_mul_lo_u32 v2, v1, s0
	s_mul_i32 s0, s10, 0x1e00
	s_addc_u32 s5, s5, s1
	s_add_i32 s1, s0, s6
	v_mov_b32_e32 v5, s9
	s_add_i32 s9, s10, -1
	s_sub_i32 s50, s8, s1
	s_add_u32 s0, s6, s0
	v_readfirstlane_b32 s33, v1
	s_addc_u32 s1, s7, 0
	v_mov_b32_e32 v4, s8
	s_cmp_eq_u32 s33, s9
	v_cmp_ge_u64_e32 vcc, s[0:1], v[4:5]
	s_cselect_b64 s[34:35], -1, 0
	s_and_b64 s[44:45], vcc, s[34:35]
	s_xor_b64 s[38:39], s[44:45], -1
	v_lshlrev_b64 v[4:5], 2, v[2:3]
	s_mov_b64 s[0:1], -1
	v_lshl_add_u64 v[34:35], s[4:5], 0, v[4:5]
	s_and_b64 vcc, exec, s[38:39]
	s_cbranch_vccz .LBB435_6
; %bb.5:
	v_lshlrev_b32_e32 v2, 2, v0
	v_lshl_add_u64 v[4:5], v[34:35], 0, v[2:3]
	v_add_co_u32_e32 v6, vcc, 0x1000, v4
	v_readfirstlane_b32 s0, v34
	s_nop 0
	v_addc_co_u32_e32 v7, vcc, 0, v5, vcc
	v_add_co_u32_e32 v8, vcc, 0x2000, v4
	v_readfirstlane_b32 s1, v35
	s_nop 0
	v_addc_co_u32_e32 v9, vcc, 0, v5, vcc
	v_add_co_u32_e32 v10, vcc, 0x3000, v4
	s_nop 1
	global_load_dword v1, v2, s[0:1]
	global_load_dword v3, v2, s[0:1] offset:2048
	v_addc_co_u32_e32 v11, vcc, 0, v5, vcc
	v_add_co_u32_e32 v12, vcc, 0x4000, v4
	s_mov_b64 s[0:1], 0
	s_nop 0
	v_addc_co_u32_e32 v13, vcc, 0, v5, vcc
	global_load_dword v14, v[6:7], off
	global_load_dword v15, v[6:7], off offset:2048
	global_load_dword v16, v[8:9], off
	global_load_dword v17, v[8:9], off offset:2048
	global_load_dword v20, v[10:11], off
	global_load_dword v21, v[10:11], off offset:2048
	global_load_dword v22, v[12:13], off
	global_load_dword v23, v[12:13], off offset:2048
	v_add_co_u32_e32 v6, vcc, 0x5000, v4
	s_nop 1
	v_addc_co_u32_e32 v7, vcc, 0, v5, vcc
	v_add_co_u32_e32 v8, vcc, 0x6000, v4
	s_nop 1
	v_addc_co_u32_e32 v9, vcc, 0, v5, vcc
	global_load_dword v10, v[6:7], off
	global_load_dword v11, v[6:7], off offset:2048
	global_load_dword v12, v[8:9], off
	global_load_dword v13, v[8:9], off offset:2048
	v_add_co_u32_e32 v4, vcc, 0x7000, v4
	s_nop 1
	v_addc_co_u32_e32 v5, vcc, 0, v5, vcc
	global_load_dword v4, v[4:5], off
	s_waitcnt vmcnt(13)
	ds_write2st64_b32 v2, v1, v3 offset1:8
	s_waitcnt vmcnt(11)
	ds_write2st64_b32 v2, v14, v15 offset0:16 offset1:24
	s_waitcnt vmcnt(9)
	ds_write2st64_b32 v2, v16, v17 offset0:32 offset1:40
	;; [unrolled: 2-line block ×6, first 2 shown]
	s_waitcnt vmcnt(0)
	ds_write_b32 v2, v4 offset:28672
	s_waitcnt lgkmcnt(0)
	s_barrier
.LBB435_6:
	s_andn2_b64 vcc, exec, s[0:1]
	s_addk_i32 s50, 0x1e00
	s_cbranch_vccnz .LBB435_38
; %bb.7:
	v_cmp_gt_u32_e32 vcc, s50, v0
                                        ; implicit-def: $vgpr2_vgpr3_vgpr4_vgpr5_vgpr6_vgpr7_vgpr8_vgpr9_vgpr10_vgpr11_vgpr12_vgpr13_vgpr14_vgpr15_vgpr16_vgpr17
	s_and_saveexec_b64 s[0:1], vcc
	s_cbranch_execz .LBB435_9
; %bb.8:
	v_lshlrev_b32_e32 v1, 2, v0
	v_readfirstlane_b32 s4, v34
	v_readfirstlane_b32 s5, v35
	s_nop 4
	global_load_dword v2, v1, s[4:5]
.LBB435_9:
	s_or_b64 exec, exec, s[0:1]
	v_or_b32_e32 v1, 0x200, v0
	v_cmp_gt_u32_e32 vcc, s50, v1
	s_and_saveexec_b64 s[0:1], vcc
	s_cbranch_execz .LBB435_11
; %bb.10:
	v_lshlrev_b32_e32 v1, 2, v0
	v_readfirstlane_b32 s4, v34
	v_readfirstlane_b32 s5, v35
	s_nop 4
	global_load_dword v3, v1, s[4:5] offset:2048
.LBB435_11:
	s_or_b64 exec, exec, s[0:1]
	v_or_b32_e32 v1, 0x400, v0
	v_cmp_gt_u32_e32 vcc, s50, v1
	s_and_saveexec_b64 s[0:1], vcc
	s_cbranch_execz .LBB435_13
; %bb.12:
	v_lshlrev_b32_e32 v1, 2, v1
	v_readfirstlane_b32 s4, v34
	v_readfirstlane_b32 s5, v35
	s_nop 4
	global_load_dword v4, v1, s[4:5]
.LBB435_13:
	s_or_b64 exec, exec, s[0:1]
	v_or_b32_e32 v1, 0x600, v0
	v_cmp_gt_u32_e32 vcc, s50, v1
	s_and_saveexec_b64 s[0:1], vcc
	s_cbranch_execz .LBB435_15
; %bb.14:
	v_lshlrev_b32_e32 v1, 2, v1
	v_readfirstlane_b32 s4, v34
	v_readfirstlane_b32 s5, v35
	s_nop 4
	global_load_dword v5, v1, s[4:5]
.LBB435_15:
	;; [unrolled: 12-line block ×13, first 2 shown]
	s_or_b64 exec, exec, s[0:1]
	v_lshlrev_b32_e32 v1, 2, v0
	s_waitcnt vmcnt(0)
	ds_write2st64_b32 v1, v2, v3 offset1:8
	ds_write2st64_b32 v1, v4, v5 offset0:16 offset1:24
	ds_write2st64_b32 v1, v6, v7 offset0:32 offset1:40
	;; [unrolled: 1-line block ×6, first 2 shown]
	ds_write_b32 v1, v16 offset:28672
	s_waitcnt lgkmcnt(0)
	s_barrier
.LBB435_38:
	v_mul_u32_u24_e32 v10, 15, v0
	v_lshlrev_b32_e32 v17, 2, v10
	ds_read2_b32 v[32:33], v17 offset1:1
	ds_read2_b32 v[30:31], v17 offset0:2 offset1:3
	ds_read2_b32 v[28:29], v17 offset0:4 offset1:5
	;; [unrolled: 1-line block ×6, first 2 shown]
	ds_read_b32 v1, v17 offset:56
	s_cmp_lg_u32 s33, 0
	s_cselect_b64 s[46:47], -1, 0
	s_cmp_lg_u64 s[6:7], 0
	s_cselect_b64 s[0:1], -1, 0
	s_or_b64 s[0:1], s[0:1], s[46:47]
	v_mad_u32_u24 v15, v0, 15, 1
	v_mad_u32_u24 v11, v0, 15, 2
	;; [unrolled: 1-line block ×14, first 2 shown]
	s_mov_b64 s[48:49], 0
	s_and_b64 vcc, exec, s[0:1]
	s_waitcnt lgkmcnt(0)
	s_barrier
	s_cbranch_vccz .LBB435_43
; %bb.39:
	global_load_dword v34, v[34:35], off offset:-4
	v_lshlrev_b32_e32 v35, 2, v0
	s_and_b64 vcc, exec, s[38:39]
	ds_write_b32 v35, v1
	s_cbranch_vccz .LBB435_45
; %bb.40:
	s_waitcnt vmcnt(0)
	v_mov_b32_e32 v36, v34
	s_waitcnt lgkmcnt(0)
	s_barrier
	s_and_saveexec_b64 s[0:1], s[2:3]
	s_cbranch_execz .LBB435_42
; %bb.41:
	v_add_u32_e32 v36, -4, v35
	ds_read_b32 v36, v36
.LBB435_42:
	s_or_b64 exec, exec, s[0:1]
	v_cmp_ne_u32_e32 vcc, v21, v1
	s_waitcnt lgkmcnt(0)
	v_cmp_ne_u32_e64 s[0:1], v36, v32
	v_cndmask_b32_e64 v37, 0, 1, vcc
	v_cmp_ne_u32_e32 vcc, v20, v21
	s_nop 1
	v_cndmask_b32_e64 v40, 0, 1, vcc
	v_cmp_ne_u32_e32 vcc, v23, v20
	s_nop 1
	;; [unrolled: 3-line block ×13, first 2 shown]
	v_cndmask_b32_e64 v52, 0, 1, vcc
	s_branch .LBB435_49
.LBB435_43:
                                        ; implicit-def: $sgpr0_sgpr1
                                        ; implicit-def: $vgpr37
                                        ; implicit-def: $vgpr40
                                        ; implicit-def: $vgpr41
                                        ; implicit-def: $vgpr42
                                        ; implicit-def: $vgpr43
                                        ; implicit-def: $vgpr44
                                        ; implicit-def: $vgpr45
                                        ; implicit-def: $vgpr46
                                        ; implicit-def: $vgpr52
                                        ; implicit-def: $vgpr51
                                        ; implicit-def: $vgpr50
                                        ; implicit-def: $vgpr49
                                        ; implicit-def: $vgpr48
                                        ; implicit-def: $vgpr47
	s_branch .LBB435_50
.LBB435_44:
                                        ; implicit-def: $sgpr6
	s_branch .LBB435_58
.LBB435_45:
                                        ; implicit-def: $sgpr0_sgpr1
                                        ; implicit-def: $vgpr37
                                        ; implicit-def: $vgpr40
                                        ; implicit-def: $vgpr41
                                        ; implicit-def: $vgpr42
                                        ; implicit-def: $vgpr43
                                        ; implicit-def: $vgpr44
                                        ; implicit-def: $vgpr45
                                        ; implicit-def: $vgpr46
                                        ; implicit-def: $vgpr52
                                        ; implicit-def: $vgpr51
                                        ; implicit-def: $vgpr50
                                        ; implicit-def: $vgpr49
                                        ; implicit-def: $vgpr48
                                        ; implicit-def: $vgpr47
	s_cbranch_execz .LBB435_49
; %bb.46:
	s_waitcnt lgkmcnt(0)
	s_barrier
	s_and_saveexec_b64 s[0:1], s[2:3]
	s_cbranch_execz .LBB435_48
; %bb.47:
	s_waitcnt vmcnt(0)
	v_add_u32_e32 v34, -4, v35
	ds_read_b32 v34, v34
.LBB435_48:
	s_or_b64 exec, exec, s[0:1]
	v_cmp_gt_u32_e32 vcc, s50, v2
	v_cmp_ne_u32_e64 s[0:1], v21, v1
	s_and_b64 s[0:1], vcc, s[0:1]
	v_cmp_gt_u32_e32 vcc, s50, v5
	v_cndmask_b32_e64 v37, 0, 1, s[0:1]
	v_cmp_ne_u32_e64 s[0:1], v20, v21
	s_and_b64 s[0:1], vcc, s[0:1]
	v_cmp_gt_u32_e32 vcc, s50, v4
	v_cndmask_b32_e64 v40, 0, 1, s[0:1]
	;; [unrolled: 4-line block ×14, first 2 shown]
	s_waitcnt vmcnt(0) lgkmcnt(0)
	v_cmp_ne_u32_e64 s[0:1], v34, v32
	s_and_b64 s[0:1], vcc, s[0:1]
.LBB435_49:
	s_mov_b64 s[48:49], -1
	s_cbranch_execnz .LBB435_44
.LBB435_50:
	s_movk_i32 s0, 0xffc8
	v_mad_i32_i24 v17, v0, s0, v17
	s_and_b64 vcc, exec, s[38:39]
	v_cmp_ne_u32_e64 s[0:1], v21, v1
	v_cmp_ne_u32_e64 s[4:5], v20, v21
	;; [unrolled: 1-line block ×14, first 2 shown]
	ds_write_b32 v17, v1
	s_cbranch_vccz .LBB435_54
; %bb.51:
	v_cndmask_b32_e64 v37, 0, 1, s[0:1]
	v_cndmask_b32_e64 v40, 0, 1, s[4:5]
	;; [unrolled: 1-line block ×14, first 2 shown]
	s_waitcnt lgkmcnt(0)
	s_barrier
	s_waitcnt lgkmcnt(0)
                                        ; implicit-def: $sgpr0_sgpr1
	s_and_saveexec_b64 s[4:5], s[2:3]
	s_xor_b64 s[4:5], exec, s[4:5]
	s_cbranch_execz .LBB435_53
; %bb.52:
	s_waitcnt vmcnt(0)
	v_add_u32_e32 v34, -4, v17
	ds_read_b32 v34, v34
	s_or_b64 s[48:49], s[48:49], exec
	s_waitcnt lgkmcnt(0)
	v_cmp_ne_u32_e32 vcc, v34, v32
	s_and_b64 s[0:1], vcc, exec
.LBB435_53:
	s_or_b64 exec, exec, s[4:5]
	s_mov_b32 s6, 1
	s_branch .LBB435_58
.LBB435_54:
                                        ; implicit-def: $sgpr0_sgpr1
                                        ; implicit-def: $vgpr37
                                        ; implicit-def: $vgpr40
                                        ; implicit-def: $vgpr41
                                        ; implicit-def: $vgpr42
                                        ; implicit-def: $vgpr43
                                        ; implicit-def: $vgpr44
                                        ; implicit-def: $vgpr45
                                        ; implicit-def: $vgpr46
                                        ; implicit-def: $vgpr52
                                        ; implicit-def: $vgpr51
                                        ; implicit-def: $vgpr50
                                        ; implicit-def: $vgpr49
                                        ; implicit-def: $vgpr48
                                        ; implicit-def: $vgpr47
                                        ; implicit-def: $sgpr6
	s_cbranch_execz .LBB435_58
; %bb.55:
	v_cmp_gt_u32_e32 vcc, s50, v2
	v_cmp_ne_u32_e64 s[0:1], v21, v1
	s_and_b64 s[0:1], vcc, s[0:1]
	v_cmp_gt_u32_e32 vcc, s50, v5
	v_cndmask_b32_e64 v37, 0, 1, s[0:1]
	v_cmp_ne_u32_e64 s[0:1], v20, v21
	s_and_b64 s[0:1], vcc, s[0:1]
	v_cmp_gt_u32_e32 vcc, s50, v4
	v_cndmask_b32_e64 v40, 0, 1, s[0:1]
	;; [unrolled: 4-line block ×13, first 2 shown]
	v_cmp_ne_u32_e64 s[0:1], v32, v33
	s_and_b64 s[0:1], vcc, s[0:1]
	s_waitcnt lgkmcnt(0)
	v_cndmask_b32_e64 v52, 0, 1, s[0:1]
	s_barrier
	s_waitcnt lgkmcnt(0)
                                        ; implicit-def: $sgpr0_sgpr1
	s_and_saveexec_b64 s[4:5], s[2:3]
	s_cbranch_execz .LBB435_57
; %bb.56:
	v_add_u32_e32 v17, -4, v17
	ds_read_b32 v17, v17
	v_cmp_gt_u32_e32 vcc, s50, v10
	s_or_b64 s[48:49], s[48:49], exec
	s_waitcnt lgkmcnt(0)
	v_cmp_ne_u32_e64 s[0:1], v17, v32
	s_and_b64 s[0:1], vcc, s[0:1]
	s_and_b64 s[0:1], s[0:1], exec
.LBB435_57:
	s_or_b64 exec, exec, s[4:5]
	s_mov_b32 s6, 1
.LBB435_58:
	v_mov_b32_e32 v53, s6
	s_and_saveexec_b64 s[2:3], s[48:49]
; %bb.59:
	v_cndmask_b32_e64 v53, 0, 1, s[0:1]
; %bb.60:
	s_or_b64 exec, exec, s[2:3]
	s_andn2_b64 vcc, exec, s[44:45]
	s_cbranch_vccnz .LBB435_62
; %bb.61:
	v_cmp_gt_u32_e32 vcc, s50, v10
	s_nop 1
	v_cndmask_b32_e32 v53, 0, v53, vcc
	v_cmp_gt_u32_e32 vcc, s50, v15
	s_nop 1
	v_cndmask_b32_e32 v52, 0, v52, vcc
	;; [unrolled: 3-line block ×15, first 2 shown]
.LBB435_62:
	v_and_b32_e32 v56, 0xff, v49
	v_and_b32_e32 v57, 0xff, v48
	;; [unrolled: 1-line block ×5, first 2 shown]
	v_add3_u32 v3, v57, v58, v56
	v_and_b32_e32 v38, 0xff, v53
	v_and_b32_e32 v39, 0xff, v52
	v_add3_u32 v3, v3, v55, v54
	v_and_b32_e32 v59, 0xff, v46
	v_and_b32_e32 v60, 0xff, v45
	;; [unrolled: 3-line block ×5, first 2 shown]
	v_add3_u32 v3, v3, v63, v64
	v_add3_u32 v68, v3, v65, v2
	v_mbcnt_lo_u32_b32 v2, -1, 0
	v_mbcnt_hi_u32_b32 v66, -1, v2
	v_and_b32_e32 v2, 15, v66
	v_cmp_eq_u32_e64 s[14:15], 0, v2
	v_cmp_lt_u32_e64 s[12:13], 1, v2
	v_cmp_lt_u32_e64 s[10:11], 3, v2
	;; [unrolled: 1-line block ×3, first 2 shown]
	v_and_b32_e32 v2, 16, v66
	v_cmp_eq_u32_e64 s[6:7], 0, v2
	v_or_b32_e32 v2, 63, v0
	v_cmp_lt_u32_e64 s[2:3], 31, v66
	v_lshrrev_b32_e32 v67, 6, v0
	v_cmp_eq_u32_e64 s[4:5], v2, v0
	s_and_b64 vcc, exec, s[46:47]
	s_waitcnt lgkmcnt(0)
	s_barrier
	s_cbranch_vccz .LBB435_89
; %bb.63:
	v_mov_b32_dpp v2, v68 row_shr:1 row_mask:0xf bank_mask:0xf
	v_cndmask_b32_e64 v2, v2, 0, s[14:15]
	v_add_u32_e32 v2, v2, v68
	s_nop 1
	v_mov_b32_dpp v3, v2 row_shr:2 row_mask:0xf bank_mask:0xf
	v_cndmask_b32_e64 v3, 0, v3, s[12:13]
	v_add_u32_e32 v2, v2, v3
	s_nop 1
	;; [unrolled: 4-line block ×4, first 2 shown]
	v_mov_b32_dpp v3, v2 row_bcast:15 row_mask:0xf bank_mask:0xf
	v_cndmask_b32_e64 v3, v3, 0, s[6:7]
	v_add_u32_e32 v2, v2, v3
	s_nop 1
	v_mov_b32_dpp v3, v2 row_bcast:31 row_mask:0xf bank_mask:0xf
	v_cndmask_b32_e64 v3, 0, v3, s[2:3]
	v_add_u32_e32 v2, v2, v3
	s_and_saveexec_b64 s[0:1], s[4:5]
	s_cbranch_execz .LBB435_65
; %bb.64:
	v_lshlrev_b32_e32 v3, 2, v67
	ds_write_b32 v3, v2
.LBB435_65:
	s_or_b64 exec, exec, s[0:1]
	v_cmp_gt_u32_e32 vcc, 8, v0
	s_waitcnt lgkmcnt(0)
	s_barrier
	s_and_saveexec_b64 s[0:1], vcc
	s_cbranch_execz .LBB435_67
; %bb.66:
	v_lshlrev_b32_e32 v3, 2, v0
	ds_read_b32 v4, v3
	v_and_b32_e32 v5, 7, v66
	v_cmp_ne_u32_e32 vcc, 0, v5
	s_waitcnt lgkmcnt(0)
	v_mov_b32_dpp v6, v4 row_shr:1 row_mask:0xf bank_mask:0xf
	v_cndmask_b32_e32 v6, 0, v6, vcc
	v_add_u32_e32 v4, v6, v4
	v_cmp_lt_u32_e32 vcc, 1, v5
	s_nop 0
	v_mov_b32_dpp v6, v4 row_shr:2 row_mask:0xf bank_mask:0xf
	v_cndmask_b32_e32 v6, 0, v6, vcc
	v_add_u32_e32 v4, v4, v6
	v_cmp_lt_u32_e32 vcc, 3, v5
	s_nop 0
	v_mov_b32_dpp v6, v4 row_shr:4 row_mask:0xf bank_mask:0xf
	v_cndmask_b32_e32 v5, 0, v6, vcc
	v_add_u32_e32 v4, v4, v5
	ds_write_b32 v3, v4
.LBB435_67:
	s_or_b64 exec, exec, s[0:1]
	v_cmp_gt_u32_e32 vcc, 64, v0
	v_cmp_lt_u32_e64 s[0:1], 63, v0
	s_waitcnt lgkmcnt(0)
	s_barrier
	s_waitcnt lgkmcnt(0)
                                        ; implicit-def: $vgpr12
	s_and_saveexec_b64 s[16:17], s[0:1]
	s_cbranch_execz .LBB435_69
; %bb.68:
	v_lshl_add_u32 v3, v67, 2, -4
	ds_read_b32 v12, v3
	s_waitcnt lgkmcnt(0)
	v_add_u32_e32 v2, v12, v2
.LBB435_69:
	s_or_b64 exec, exec, s[16:17]
	v_add_u32_e32 v3, -1, v66
	v_and_b32_e32 v4, 64, v66
	v_cmp_lt_i32_e64 s[0:1], v3, v4
	v_cmp_eq_u32_e64 s[16:17], 0, v66
	s_nop 0
	v_cndmask_b32_e64 v3, v3, v66, s[0:1]
	v_lshlrev_b32_e32 v3, 2, v3
	ds_bpermute_b32 v13, v3, v2
	s_and_saveexec_b64 s[0:1], vcc
	s_cbranch_execz .LBB435_88
; %bb.70:
	v_mov_b32_e32 v9, 0
	ds_read_b32 v2, v9 offset:28
	s_and_saveexec_b64 s[20:21], s[16:17]
	s_cbranch_execz .LBB435_72
; %bb.71:
	s_add_i32 s22, s33, 64
	s_mov_b32 s23, 0
	s_lshl_b64 s[22:23], s[22:23], 3
	s_add_u32 s22, s42, s22
	v_mov_b32_e32 v3, 1
	s_addc_u32 s23, s43, s23
	s_waitcnt lgkmcnt(0)
	global_store_dwordx2 v9, v[2:3], s[22:23] sc1
.LBB435_72:
	s_or_b64 exec, exec, s[20:21]
	v_xad_u32 v4, v66, -1, s33
	v_add_u32_e32 v8, 64, v4
	v_lshl_add_u64 v[10:11], v[8:9], 3, s[42:43]
	global_load_dwordx2 v[6:7], v[10:11], off sc1
	s_waitcnt vmcnt(0)
	v_cmp_eq_u16_sdwa s[22:23], v7, v9 src0_sel:BYTE_0 src1_sel:DWORD
	s_and_saveexec_b64 s[20:21], s[22:23]
	s_cbranch_execz .LBB435_76
; %bb.73:
	s_mov_b64 s[22:23], 0
	v_mov_b32_e32 v3, 0
.LBB435_74:                             ; =>This Inner Loop Header: Depth=1
	global_load_dwordx2 v[6:7], v[10:11], off sc1
	s_waitcnt vmcnt(0)
	v_cmp_ne_u16_sdwa s[24:25], v7, v3 src0_sel:BYTE_0 src1_sel:DWORD
	s_or_b64 s[22:23], s[24:25], s[22:23]
	s_andn2_b64 exec, exec, s[22:23]
	s_cbranch_execnz .LBB435_74
; %bb.75:
	s_or_b64 exec, exec, s[22:23]
.LBB435_76:
	s_or_b64 exec, exec, s[20:21]
	v_and_b32_e32 v15, 63, v66
	v_mov_b32_e32 v14, 2
	v_cmp_ne_u32_e32 vcc, 63, v15
	v_cmp_eq_u16_sdwa s[20:21], v7, v14 src0_sel:BYTE_0 src1_sel:DWORD
	v_lshlrev_b64 v[8:9], v66, -1
	v_addc_co_u32_e32 v10, vcc, 0, v66, vcc
	v_and_b32_e32 v3, s21, v9
	v_lshlrev_b32_e32 v16, 2, v10
	v_or_b32_e32 v3, 0x80000000, v3
	ds_bpermute_b32 v10, v16, v6
	v_and_b32_e32 v5, s20, v8
	v_ffbl_b32_e32 v3, v3
	v_add_u32_e32 v3, 32, v3
	v_ffbl_b32_e32 v5, v5
	v_min_u32_e32 v3, v5, v3
	v_cmp_lt_u32_e32 vcc, v15, v3
	v_add_u32_e32 v34, 2, v15
	v_add_u32_e32 v36, 4, v15
	s_waitcnt lgkmcnt(0)
	v_cndmask_b32_e32 v5, 0, v10, vcc
	v_cmp_gt_u32_e32 vcc, 62, v15
	v_add_u32_e32 v5, v5, v6
	v_add_u32_e32 v70, 8, v15
	v_cndmask_b32_e64 v6, 0, 1, vcc
	v_lshlrev_b32_e32 v6, 1, v6
	v_add_lshl_u32 v17, v6, v66, 2
	ds_bpermute_b32 v6, v17, v5
	v_cmp_le_u32_e32 vcc, v34, v3
	v_add_u32_e32 v72, 16, v15
	v_add_u32_e32 v74, 32, v15
	s_waitcnt lgkmcnt(0)
	v_cndmask_b32_e32 v6, 0, v6, vcc
	v_cmp_gt_u32_e32 vcc, 60, v15
	v_add_u32_e32 v5, v5, v6
	s_nop 0
	v_cndmask_b32_e64 v6, 0, 1, vcc
	v_lshlrev_b32_e32 v6, 2, v6
	v_add_lshl_u32 v35, v6, v66, 2
	ds_bpermute_b32 v6, v35, v5
	v_cmp_le_u32_e32 vcc, v36, v3
	s_waitcnt lgkmcnt(0)
	s_nop 0
	v_cndmask_b32_e32 v6, 0, v6, vcc
	v_cmp_gt_u32_e32 vcc, 56, v15
	v_add_u32_e32 v5, v5, v6
	s_nop 0
	v_cndmask_b32_e64 v6, 0, 1, vcc
	v_lshlrev_b32_e32 v6, 3, v6
	v_add_lshl_u32 v69, v6, v66, 2
	ds_bpermute_b32 v6, v69, v5
	v_cmp_le_u32_e32 vcc, v70, v3
	s_waitcnt lgkmcnt(0)
	s_nop 0
	;; [unrolled: 11-line block ×4, first 2 shown]
	v_cndmask_b32_e32 v3, 0, v6, vcc
	v_add_u32_e32 v6, v5, v3
	v_mov_b32_e32 v5, 0
	s_branch .LBB435_78
.LBB435_77:                             ;   in Loop: Header=BB435_78 Depth=1
	s_or_b64 exec, exec, s[20:21]
	v_cmp_eq_u16_sdwa s[20:21], v7, v14 src0_sel:BYTE_0 src1_sel:DWORD
	ds_bpermute_b32 v75, v16, v6
	v_subrev_u32_e32 v4, 64, v4
	v_and_b32_e32 v10, s21, v9
	v_or_b32_e32 v10, 0x80000000, v10
	v_and_b32_e32 v11, s20, v8
	v_ffbl_b32_e32 v10, v10
	v_add_u32_e32 v10, 32, v10
	v_ffbl_b32_e32 v11, v11
	v_min_u32_e32 v10, v11, v10
	v_cmp_lt_u32_e32 vcc, v15, v10
	s_waitcnt lgkmcnt(0)
	s_nop 0
	v_cndmask_b32_e32 v11, 0, v75, vcc
	v_add_u32_e32 v6, v11, v6
	ds_bpermute_b32 v11, v17, v6
	v_cmp_le_u32_e32 vcc, v34, v10
	s_waitcnt lgkmcnt(0)
	s_nop 0
	v_cndmask_b32_e32 v11, 0, v11, vcc
	v_add_u32_e32 v6, v6, v11
	ds_bpermute_b32 v11, v35, v6
	v_cmp_le_u32_e32 vcc, v36, v10
	;; [unrolled: 6-line block ×5, first 2 shown]
	s_waitcnt lgkmcnt(0)
	s_nop 0
	v_cndmask_b32_e32 v10, 0, v11, vcc
	v_add3_u32 v6, v10, v3, v6
.LBB435_78:                             ; =>This Loop Header: Depth=1
                                        ;     Child Loop BB435_81 Depth 2
	v_cmp_ne_u16_sdwa s[20:21], v7, v14 src0_sel:BYTE_0 src1_sel:DWORD
	s_nop 1
	v_cndmask_b32_e64 v3, 0, 1, s[20:21]
	;;#ASMSTART
	;;#ASMEND
	s_nop 0
	v_cmp_ne_u32_e32 vcc, 0, v3
	s_cmp_lg_u64 vcc, exec
	v_mov_b32_e32 v3, v6
	s_cbranch_scc1 .LBB435_83
; %bb.79:                               ;   in Loop: Header=BB435_78 Depth=1
	v_lshl_add_u64 v[10:11], v[4:5], 3, s[42:43]
	global_load_dwordx2 v[6:7], v[10:11], off sc1
	s_waitcnt vmcnt(0)
	v_cmp_eq_u16_sdwa s[22:23], v7, v5 src0_sel:BYTE_0 src1_sel:DWORD
	s_and_saveexec_b64 s[20:21], s[22:23]
	s_cbranch_execz .LBB435_77
; %bb.80:                               ;   in Loop: Header=BB435_78 Depth=1
	s_mov_b64 s[22:23], 0
.LBB435_81:                             ;   Parent Loop BB435_78 Depth=1
                                        ; =>  This Inner Loop Header: Depth=2
	global_load_dwordx2 v[6:7], v[10:11], off sc1
	s_waitcnt vmcnt(0)
	v_cmp_ne_u16_sdwa s[24:25], v7, v5 src0_sel:BYTE_0 src1_sel:DWORD
	s_or_b64 s[22:23], s[24:25], s[22:23]
	s_andn2_b64 exec, exec, s[22:23]
	s_cbranch_execnz .LBB435_81
; %bb.82:                               ;   in Loop: Header=BB435_78 Depth=1
	s_or_b64 exec, exec, s[22:23]
	s_branch .LBB435_77
.LBB435_83:                             ;   in Loop: Header=BB435_78 Depth=1
                                        ; implicit-def: $vgpr6
                                        ; implicit-def: $vgpr7
	s_cbranch_execz .LBB435_78
; %bb.84:
	s_and_saveexec_b64 s[20:21], s[16:17]
	s_cbranch_execz .LBB435_86
; %bb.85:
	s_add_i32 s22, s33, 64
	s_mov_b32 s23, 0
	s_lshl_b64 s[22:23], s[22:23], 3
	s_add_u32 s22, s42, s22
	v_add_u32_e32 v4, v3, v2
	v_mov_b32_e32 v5, 2
	s_addc_u32 s23, s43, s23
	v_mov_b32_e32 v6, 0
	global_store_dwordx2 v6, v[4:5], s[22:23] sc1
	ds_write_b64 v6, v[2:3] offset:30720
.LBB435_86:
	s_or_b64 exec, exec, s[20:21]
	s_and_b64 exec, exec, s[18:19]
	s_cbranch_execz .LBB435_88
; %bb.87:
	v_mov_b32_e32 v2, 0
	ds_write_b32 v2, v3 offset:28
.LBB435_88:
	s_or_b64 exec, exec, s[0:1]
	v_mov_b32_e32 v14, 0
	s_waitcnt lgkmcnt(0)
	s_barrier
	ds_read_b32 v2, v14 offset:28
	v_cndmask_b32_e64 v3, v13, v12, s[16:17]
	v_cndmask_b32_e64 v3, v3, 0, s[18:19]
	s_waitcnt lgkmcnt(0)
	s_barrier
	v_add_u32_e32 v2, v2, v3
	v_add_u32_e32 v3, v2, v38
	;; [unrolled: 1-line block ×10, first 2 shown]
	s_waitcnt vmcnt(0)
	ds_read_b64 v[34:35], v14 offset:30720
	v_add_u32_e32 v12, v11, v61
	v_add_u32_e32 v13, v12, v62
	;; [unrolled: 1-line block ×5, first 2 shown]
	s_waitcnt lgkmcnt(0)
	v_mov_b32_e32 v36, v35
	s_branch .LBB435_99
.LBB435_89:
                                        ; implicit-def: $vgpr36
                                        ; implicit-def: $vgpr34
                                        ; implicit-def: $vgpr2_vgpr3_vgpr4_vgpr5_vgpr6_vgpr7_vgpr8_vgpr9_vgpr10_vgpr11_vgpr12_vgpr13_vgpr14_vgpr15_vgpr16_vgpr17
	s_cbranch_execz .LBB435_99
; %bb.90:
	s_nop 0
	v_mov_b32_dpp v2, v68 row_shr:1 row_mask:0xf bank_mask:0xf
	v_cndmask_b32_e64 v2, v2, 0, s[14:15]
	v_add_u32_e32 v2, v2, v68
	s_nop 1
	v_mov_b32_dpp v3, v2 row_shr:2 row_mask:0xf bank_mask:0xf
	v_cndmask_b32_e64 v3, 0, v3, s[12:13]
	v_add_u32_e32 v2, v2, v3
	;; [unrolled: 4-line block ×4, first 2 shown]
	s_nop 1
	v_mov_b32_dpp v3, v2 row_bcast:15 row_mask:0xf bank_mask:0xf
	v_cndmask_b32_e64 v3, v3, 0, s[6:7]
	v_add_u32_e32 v2, v2, v3
	s_nop 1
	v_mov_b32_dpp v3, v2 row_bcast:31 row_mask:0xf bank_mask:0xf
	v_cndmask_b32_e64 v3, 0, v3, s[2:3]
	v_add_u32_e32 v2, v2, v3
	s_and_saveexec_b64 s[0:1], s[4:5]
	s_cbranch_execz .LBB435_92
; %bb.91:
	v_lshlrev_b32_e32 v3, 2, v67
	ds_write_b32 v3, v2
.LBB435_92:
	s_or_b64 exec, exec, s[0:1]
	v_cmp_gt_u32_e32 vcc, 8, v0
	s_waitcnt lgkmcnt(0)
	s_barrier
	s_and_saveexec_b64 s[0:1], vcc
	s_cbranch_execz .LBB435_94
; %bb.93:
	v_lshlrev_b32_e32 v3, 2, v0
	ds_read_b32 v4, v3
	v_and_b32_e32 v5, 7, v66
	v_cmp_ne_u32_e32 vcc, 0, v5
	s_waitcnt lgkmcnt(0)
	v_mov_b32_dpp v6, v4 row_shr:1 row_mask:0xf bank_mask:0xf
	v_cndmask_b32_e32 v6, 0, v6, vcc
	v_add_u32_e32 v4, v6, v4
	v_cmp_lt_u32_e32 vcc, 1, v5
	s_nop 0
	v_mov_b32_dpp v6, v4 row_shr:2 row_mask:0xf bank_mask:0xf
	v_cndmask_b32_e32 v6, 0, v6, vcc
	v_add_u32_e32 v4, v4, v6
	v_cmp_lt_u32_e32 vcc, 3, v5
	s_nop 0
	v_mov_b32_dpp v6, v4 row_shr:4 row_mask:0xf bank_mask:0xf
	v_cndmask_b32_e32 v5, 0, v6, vcc
	v_add_u32_e32 v4, v4, v5
	ds_write_b32 v3, v4
.LBB435_94:
	s_or_b64 exec, exec, s[0:1]
	v_cmp_lt_u32_e32 vcc, 63, v0
	v_mov_b32_e32 v4, 0
	v_mov_b32_e32 v3, 0
	s_waitcnt lgkmcnt(0)
	s_barrier
	s_and_saveexec_b64 s[0:1], vcc
	s_cbranch_execz .LBB435_96
; %bb.95:
	v_lshl_add_u32 v3, v67, 2, -4
	ds_read_b32 v3, v3
.LBB435_96:
	s_or_b64 exec, exec, s[0:1]
	v_add_u32_e32 v5, -1, v66
	v_and_b32_e32 v6, 64, v66
	v_cmp_lt_i32_e32 vcc, v5, v6
	s_waitcnt lgkmcnt(0)
	v_add_u32_e32 v2, v3, v2
	s_waitcnt vmcnt(0)
	ds_read_b32 v34, v4 offset:28
	v_cndmask_b32_e32 v5, v5, v66, vcc
	v_lshlrev_b32_e32 v5, 2, v5
	ds_bpermute_b32 v2, v5, v2
	s_and_saveexec_b64 s[0:1], s[18:19]
	s_cbranch_execz .LBB435_98
; %bb.97:
	v_mov_b32_e32 v4, 0
	v_mov_b32_e32 v35, 2
	s_waitcnt lgkmcnt(1)
	global_store_dwordx2 v4, v[34:35], s[42:43] offset:512 sc1
.LBB435_98:
	s_or_b64 exec, exec, s[0:1]
	v_cmp_eq_u32_e32 vcc, 0, v66
	v_mov_b32_e32 v36, 0
	s_waitcnt lgkmcnt(0)
	v_cndmask_b32_e32 v2, v2, v3, vcc
	v_cndmask_b32_e64 v2, v2, 0, s[18:19]
	v_add_u32_e32 v3, v2, v38
	v_add_u32_e32 v4, v3, v39
	;; [unrolled: 1-line block ×14, first 2 shown]
	s_barrier
.LBB435_99:
	s_movk_i32 s0, 0x201
	s_waitcnt vmcnt(0)
	v_cmp_gt_u32_e32 vcc, s0, v34
	s_mov_b64 s[0:1], -1
	s_cbranch_vccnz .LBB435_103
; %bb.100:
	s_and_b64 vcc, exec, s[0:1]
	s_cbranch_vccnz .LBB435_149
.LBB435_101:
	s_and_b64 s[0:1], s[18:19], s[34:35]
	s_and_saveexec_b64 s[2:3], s[0:1]
	s_cbranch_execnz .LBB435_193
.LBB435_102:
	s_endpgm
.LBB435_103:
	v_add_u32_e32 v17, v36, v34
	v_lshlrev_b64 v[38:39], 2, v[18:19]
	v_cmp_lt_u32_e32 vcc, v2, v17
	v_lshl_add_u64 v[38:39], s[40:41], 0, v[38:39]
	s_or_b64 s[2:3], s[38:39], vcc
	s_and_saveexec_b64 s[0:1], s[2:3]
	s_cbranch_execz .LBB435_106
; %bb.104:
	v_and_b32_e32 v35, 1, v53
	v_cmp_eq_u32_e32 vcc, 1, v35
	s_and_b64 exec, exec, vcc
	s_cbranch_execz .LBB435_106
; %bb.105:
	v_mov_b32_e32 v55, 0
	v_mov_b32_e32 v54, v2
	v_lshl_add_u64 v[54:55], v[54:55], 2, v[38:39]
	global_store_dword v[54:55], v32, off
.LBB435_106:
	s_or_b64 exec, exec, s[0:1]
	v_cmp_lt_u32_e32 vcc, v3, v17
	s_or_b64 s[2:3], s[38:39], vcc
	s_and_saveexec_b64 s[0:1], s[2:3]
	s_cbranch_execz .LBB435_109
; %bb.107:
	v_and_b32_e32 v35, 1, v52
	v_cmp_eq_u32_e32 vcc, 1, v35
	s_and_b64 exec, exec, vcc
	s_cbranch_execz .LBB435_109
; %bb.108:
	v_mov_b32_e32 v55, 0
	v_mov_b32_e32 v54, v3
	v_lshl_add_u64 v[54:55], v[54:55], 2, v[38:39]
	global_store_dword v[54:55], v33, off
.LBB435_109:
	s_or_b64 exec, exec, s[0:1]
	v_cmp_lt_u32_e32 vcc, v4, v17
	;; [unrolled: 16-line block ×14, first 2 shown]
	s_or_b64 s[2:3], s[38:39], vcc
	s_and_saveexec_b64 s[0:1], s[2:3]
	s_cbranch_execz .LBB435_148
; %bb.146:
	v_and_b32_e32 v17, 1, v37
	v_cmp_eq_u32_e32 vcc, 1, v17
	s_and_b64 exec, exec, vcc
	s_cbranch_execz .LBB435_148
; %bb.147:
	v_mov_b32_e32 v17, 0
	v_lshl_add_u64 v[38:39], v[16:17], 2, v[38:39]
	global_store_dword v[38:39], v1, off
.LBB435_148:
	s_or_b64 exec, exec, s[0:1]
	s_branch .LBB435_101
.LBB435_149:
	v_and_b32_e32 v17, 1, v53
	v_cmp_eq_u32_e32 vcc, 1, v17
	s_and_saveexec_b64 s[0:1], vcc
	s_cbranch_execz .LBB435_151
; %bb.150:
	v_sub_u32_e32 v2, v2, v36
	v_lshlrev_b32_e32 v2, 2, v2
	ds_write_b32 v2, v32
.LBB435_151:
	s_or_b64 exec, exec, s[0:1]
	v_and_b32_e32 v2, 1, v52
	v_cmp_eq_u32_e32 vcc, 1, v2
	s_and_saveexec_b64 s[0:1], vcc
	s_cbranch_execz .LBB435_153
; %bb.152:
	v_sub_u32_e32 v2, v3, v36
	v_lshlrev_b32_e32 v2, 2, v2
	ds_write_b32 v2, v33
.LBB435_153:
	s_or_b64 exec, exec, s[0:1]
	;; [unrolled: 10-line block ×15, first 2 shown]
	v_cmp_lt_u32_e32 vcc, v0, v34
	s_waitcnt lgkmcnt(0)
	s_barrier
	s_and_saveexec_b64 s[0:1], vcc
	s_cbranch_execz .LBB435_192
; %bb.180:
	v_mov_b32_e32 v37, 0
	v_lshlrev_b64 v[2:3], 2, v[18:19]
	v_lshl_add_u64 v[2:3], s[40:41], 0, v[2:3]
	v_lshlrev_b64 v[4:5], 2, v[36:37]
	v_xad_u32 v1, v0, -1, v34
	s_movk_i32 s2, 0x1ff
	v_lshl_add_u64 v[2:3], v[2:3], 0, v[4:5]
	v_cmp_lt_u32_e32 vcc, s2, v1
	s_mov_b64 s[4:5], -1
	s_and_saveexec_b64 s[2:3], vcc
	s_cbranch_execz .LBB435_189
; %bb.181:
	v_lshrrev_b32_e32 v8, 9, v1
	v_add_u32_e32 v4, -1, v8
	v_or_b32_e32 v1, 0x200, v0
	v_lshrrev_b32_e32 v5, 1, v4
	v_add_u32_e32 v10, 1, v5
	v_cmp_lt_u32_e32 vcc, 13, v4
	v_lshlrev_b32_e32 v9, 2, v0
	v_mov_b64_e32 v[4:5], v[0:1]
	s_and_saveexec_b64 s[4:5], vcc
	s_cbranch_execz .LBB435_185
; %bb.182:
	v_and_b32_e32 v11, -8, v10
	s_mov_b32 s8, 0
	s_mov_b64 s[6:7], 0
	v_mov_b32_e32 v7, 0
	v_mov_b32_e32 v12, v9
	v_mov_b64_e32 v[4:5], v[0:1]
.LBB435_183:                            ; =>This Inner Loop Header: Depth=1
	ds_read2st64_b32 v[14:15], v12 offset1:8
	v_mov_b32_e32 v6, v4
	ds_read2st64_b32 v[28:29], v12 offset0:48 offset1:56
	v_lshl_add_u64 v[50:51], v[6:7], 2, v[2:3]
	v_mov_b32_e32 v6, v5
	ds_read2st64_b32 v[20:21], v12 offset0:16 offset1:24
	ds_read2st64_b32 v[32:33], v12 offset0:64 offset1:72
	v_lshl_add_u64 v[52:53], v[6:7], 2, v[2:3]
	v_add_u32_e32 v6, 0x400, v4
	ds_read2st64_b32 v[40:41], v12 offset0:80 offset1:88
	v_lshl_add_u64 v[54:55], v[6:7], 2, v[2:3]
	v_add_u32_e32 v6, 0x800, v4
	v_add_u32_e32 v16, 0x400, v5
	v_mov_b32_e32 v17, v7
	v_add_u32_e32 v22, 0x800, v5
	ds_read2st64_b32 v[24:25], v12 offset0:32 offset1:40
	v_mov_b32_e32 v23, v7
	ds_read2st64_b32 v[44:45], v12 offset0:96 offset1:104
	v_lshl_add_u64 v[56:57], v[6:7], 2, v[2:3]
	v_add_u32_e32 v6, 0xc00, v4
	v_add_u32_e32 v26, 0xc00, v5
	v_mov_b32_e32 v27, v7
	ds_read2st64_b32 v[48:49], v12 offset0:112 offset1:120
	v_lshl_add_u64 v[16:17], v[16:17], 2, v[2:3]
	v_lshl_add_u64 v[22:23], v[22:23], 2, v[2:3]
	s_waitcnt lgkmcnt(7)
	global_store_dword v[50:51], v14, off
	global_store_dword v[52:53], v15, off
	s_waitcnt lgkmcnt(5)
	global_store_dword v[54:55], v20, off
	global_store_dword v[16:17], v21, off
	;; [unrolled: 3-line block ×3, first 2 shown]
	v_lshl_add_u64 v[14:15], v[6:7], 2, v[2:3]
	v_add_u32_e32 v6, 0x1000, v4
	v_add_u32_e32 v30, 0x1000, v5
	v_mov_b32_e32 v31, v7
	v_lshl_add_u64 v[26:27], v[26:27], 2, v[2:3]
	global_store_dword v[14:15], v28, off
	global_store_dword v[26:27], v29, off
	v_lshl_add_u64 v[14:15], v[6:7], 2, v[2:3]
	v_add_u32_e32 v6, 0x1400, v4
	v_add_u32_e32 v38, 0x1400, v5
	v_mov_b32_e32 v39, v7
	v_add_u32_e32 v11, -8, v11
	v_lshl_add_u64 v[30:31], v[30:31], 2, v[2:3]
	global_store_dword v[14:15], v32, off
	global_store_dword v[30:31], v33, off
	v_lshl_add_u64 v[14:15], v[6:7], 2, v[2:3]
	v_add_u32_e32 v6, 0x1800, v4
	v_add_u32_e32 v42, 0x1800, v5
	v_mov_b32_e32 v43, v7
	s_add_i32 s8, s8, 16
	v_lshl_add_u64 v[38:39], v[38:39], 2, v[2:3]
	v_cmp_eq_u32_e32 vcc, 0, v11
	global_store_dword v[14:15], v40, off
	global_store_dword v[38:39], v41, off
	v_lshl_add_u64 v[14:15], v[6:7], 2, v[2:3]
	v_add_u32_e32 v6, 0x1c00, v4
	v_add_u32_e32 v46, 0x1c00, v5
	v_mov_b32_e32 v47, v7
	v_add_u32_e32 v12, 0x8000, v12
	v_lshl_add_u64 v[42:43], v[42:43], 2, v[2:3]
	v_add_u32_e32 v5, 0x2000, v5
	v_mov_b32_e32 v37, s8
	s_or_b64 s[6:7], vcc, s[6:7]
	v_add_u32_e32 v4, 0x2000, v4
	s_waitcnt lgkmcnt(1)
	global_store_dword v[14:15], v44, off
	global_store_dword v[42:43], v45, off
	v_lshl_add_u64 v[14:15], v[6:7], 2, v[2:3]
	v_lshl_add_u64 v[46:47], v[46:47], 2, v[2:3]
	s_waitcnt lgkmcnt(0)
	global_store_dword v[14:15], v48, off
	global_store_dword v[46:47], v49, off
	s_andn2_b64 exec, exec, s[6:7]
	s_cbranch_execnz .LBB435_183
; %bb.184:
	s_or_b64 exec, exec, s[6:7]
.LBB435_185:
	s_or_b64 exec, exec, s[4:5]
	v_and_b32_e32 v1, 7, v10
	v_cmp_ne_u32_e32 vcc, 0, v1
	s_and_saveexec_b64 s[4:5], vcc
	s_cbranch_execz .LBB435_188
; %bb.186:
	v_lshl_or_b32 v9, v37, 11, v9
	s_mov_b64 s[6:7], 0
	v_mov_b32_e32 v7, 0
.LBB435_187:                            ; =>This Inner Loop Header: Depth=1
	ds_read2st64_b32 v[10:11], v9 offset1:8
	v_add_u32_e32 v1, -1, v1
	v_mov_b32_e32 v6, v4
	v_cmp_eq_u32_e32 vcc, 0, v1
	v_add_u32_e32 v4, 0x400, v4
	v_add_u32_e32 v9, 0x1000, v9
	v_lshl_add_u64 v[12:13], v[6:7], 2, v[2:3]
	v_mov_b32_e32 v6, v5
	v_add_u32_e32 v5, 0x400, v5
	s_or_b64 s[6:7], vcc, s[6:7]
	v_lshl_add_u64 v[14:15], v[6:7], 2, v[2:3]
	s_waitcnt lgkmcnt(0)
	global_store_dword v[12:13], v10, off
	global_store_dword v[14:15], v11, off
	s_andn2_b64 exec, exec, s[6:7]
	s_cbranch_execnz .LBB435_187
.LBB435_188:
	s_or_b64 exec, exec, s[4:5]
	v_add_u32_e32 v1, 1, v8
	v_and_b32_e32 v4, 0xfffffe, v1
	v_cmp_ne_u32_e32 vcc, v1, v4
	v_lshl_or_b32 v0, v4, 9, v0
	s_orn2_b64 s[4:5], vcc, exec
.LBB435_189:
	s_or_b64 exec, exec, s[2:3]
	s_and_b64 exec, exec, s[4:5]
	s_cbranch_execz .LBB435_192
; %bb.190:
	v_lshlrev_b32_e32 v4, 2, v0
	s_mov_b64 s[2:3], 0
	v_mov_b32_e32 v1, 0
.LBB435_191:                            ; =>This Inner Loop Header: Depth=1
	ds_read_b32 v5, v4
	v_lshl_add_u64 v[6:7], v[0:1], 2, v[2:3]
	v_add_u32_e32 v0, 0x200, v0
	v_cmp_ge_u32_e32 vcc, v0, v34
	v_add_u32_e32 v4, 0x800, v4
	s_or_b64 s[2:3], vcc, s[2:3]
	s_waitcnt lgkmcnt(0)
	global_store_dword v[6:7], v5, off
	s_andn2_b64 exec, exec, s[2:3]
	s_cbranch_execnz .LBB435_191
.LBB435_192:
	s_or_b64 exec, exec, s[0:1]
	s_and_b64 s[0:1], s[18:19], s[34:35]
	s_and_saveexec_b64 s[2:3], s[0:1]
	s_cbranch_execz .LBB435_102
.LBB435_193:
	v_mov_b32_e32 v35, 0
	v_lshl_add_u64 v[0:1], v[18:19], 0, v[34:35]
	v_mov_b32_e32 v37, v35
	v_lshl_add_u64 v[0:1], v[0:1], 0, v[36:37]
	global_store_dwordx2 v35, v[0:1], s[36:37]
	s_endpgm
	.section	.rodata,"a",@progbits
	.p2align	6, 0x0
	.amdhsa_kernel _ZN7rocprim17ROCPRIM_400000_NS6detail17trampoline_kernelINS0_14default_configENS1_25partition_config_selectorILNS1_17partition_subalgoE8EiNS0_10empty_typeEbEEZZNS1_14partition_implILS5_8ELb0ES3_jPKiPS6_PKS6_NS0_5tupleIJPiS6_EEENSE_IJSB_SB_EEENS0_18inequality_wrapperIN6hipcub16HIPCUB_304000_NS8EqualityEEEPlJS6_EEE10hipError_tPvRmT3_T4_T5_T6_T7_T9_mT8_P12ihipStream_tbDpT10_ENKUlT_T0_E_clISt17integral_constantIbLb0EES16_IbLb1EEEEDaS12_S13_EUlS12_E_NS1_11comp_targetILNS1_3genE5ELNS1_11target_archE942ELNS1_3gpuE9ELNS1_3repE0EEENS1_30default_config_static_selectorELNS0_4arch9wavefront6targetE1EEEvT1_
		.amdhsa_group_segment_fixed_size 30728
		.amdhsa_private_segment_fixed_size 0
		.amdhsa_kernarg_size 128
		.amdhsa_user_sgpr_count 2
		.amdhsa_user_sgpr_dispatch_ptr 0
		.amdhsa_user_sgpr_queue_ptr 0
		.amdhsa_user_sgpr_kernarg_segment_ptr 1
		.amdhsa_user_sgpr_dispatch_id 0
		.amdhsa_user_sgpr_kernarg_preload_length 0
		.amdhsa_user_sgpr_kernarg_preload_offset 0
		.amdhsa_user_sgpr_private_segment_size 0
		.amdhsa_uses_dynamic_stack 0
		.amdhsa_enable_private_segment 0
		.amdhsa_system_sgpr_workgroup_id_x 1
		.amdhsa_system_sgpr_workgroup_id_y 0
		.amdhsa_system_sgpr_workgroup_id_z 0
		.amdhsa_system_sgpr_workgroup_info 0
		.amdhsa_system_vgpr_workitem_id 0
		.amdhsa_next_free_vgpr 76
		.amdhsa_next_free_sgpr 51
		.amdhsa_accum_offset 76
		.amdhsa_reserve_vcc 1
		.amdhsa_float_round_mode_32 0
		.amdhsa_float_round_mode_16_64 0
		.amdhsa_float_denorm_mode_32 3
		.amdhsa_float_denorm_mode_16_64 3
		.amdhsa_dx10_clamp 1
		.amdhsa_ieee_mode 1
		.amdhsa_fp16_overflow 0
		.amdhsa_tg_split 0
		.amdhsa_exception_fp_ieee_invalid_op 0
		.amdhsa_exception_fp_denorm_src 0
		.amdhsa_exception_fp_ieee_div_zero 0
		.amdhsa_exception_fp_ieee_overflow 0
		.amdhsa_exception_fp_ieee_underflow 0
		.amdhsa_exception_fp_ieee_inexact 0
		.amdhsa_exception_int_div_zero 0
	.end_amdhsa_kernel
	.section	.text._ZN7rocprim17ROCPRIM_400000_NS6detail17trampoline_kernelINS0_14default_configENS1_25partition_config_selectorILNS1_17partition_subalgoE8EiNS0_10empty_typeEbEEZZNS1_14partition_implILS5_8ELb0ES3_jPKiPS6_PKS6_NS0_5tupleIJPiS6_EEENSE_IJSB_SB_EEENS0_18inequality_wrapperIN6hipcub16HIPCUB_304000_NS8EqualityEEEPlJS6_EEE10hipError_tPvRmT3_T4_T5_T6_T7_T9_mT8_P12ihipStream_tbDpT10_ENKUlT_T0_E_clISt17integral_constantIbLb0EES16_IbLb1EEEEDaS12_S13_EUlS12_E_NS1_11comp_targetILNS1_3genE5ELNS1_11target_archE942ELNS1_3gpuE9ELNS1_3repE0EEENS1_30default_config_static_selectorELNS0_4arch9wavefront6targetE1EEEvT1_,"axG",@progbits,_ZN7rocprim17ROCPRIM_400000_NS6detail17trampoline_kernelINS0_14default_configENS1_25partition_config_selectorILNS1_17partition_subalgoE8EiNS0_10empty_typeEbEEZZNS1_14partition_implILS5_8ELb0ES3_jPKiPS6_PKS6_NS0_5tupleIJPiS6_EEENSE_IJSB_SB_EEENS0_18inequality_wrapperIN6hipcub16HIPCUB_304000_NS8EqualityEEEPlJS6_EEE10hipError_tPvRmT3_T4_T5_T6_T7_T9_mT8_P12ihipStream_tbDpT10_ENKUlT_T0_E_clISt17integral_constantIbLb0EES16_IbLb1EEEEDaS12_S13_EUlS12_E_NS1_11comp_targetILNS1_3genE5ELNS1_11target_archE942ELNS1_3gpuE9ELNS1_3repE0EEENS1_30default_config_static_selectorELNS0_4arch9wavefront6targetE1EEEvT1_,comdat
.Lfunc_end435:
	.size	_ZN7rocprim17ROCPRIM_400000_NS6detail17trampoline_kernelINS0_14default_configENS1_25partition_config_selectorILNS1_17partition_subalgoE8EiNS0_10empty_typeEbEEZZNS1_14partition_implILS5_8ELb0ES3_jPKiPS6_PKS6_NS0_5tupleIJPiS6_EEENSE_IJSB_SB_EEENS0_18inequality_wrapperIN6hipcub16HIPCUB_304000_NS8EqualityEEEPlJS6_EEE10hipError_tPvRmT3_T4_T5_T6_T7_T9_mT8_P12ihipStream_tbDpT10_ENKUlT_T0_E_clISt17integral_constantIbLb0EES16_IbLb1EEEEDaS12_S13_EUlS12_E_NS1_11comp_targetILNS1_3genE5ELNS1_11target_archE942ELNS1_3gpuE9ELNS1_3repE0EEENS1_30default_config_static_selectorELNS0_4arch9wavefront6targetE1EEEvT1_, .Lfunc_end435-_ZN7rocprim17ROCPRIM_400000_NS6detail17trampoline_kernelINS0_14default_configENS1_25partition_config_selectorILNS1_17partition_subalgoE8EiNS0_10empty_typeEbEEZZNS1_14partition_implILS5_8ELb0ES3_jPKiPS6_PKS6_NS0_5tupleIJPiS6_EEENSE_IJSB_SB_EEENS0_18inequality_wrapperIN6hipcub16HIPCUB_304000_NS8EqualityEEEPlJS6_EEE10hipError_tPvRmT3_T4_T5_T6_T7_T9_mT8_P12ihipStream_tbDpT10_ENKUlT_T0_E_clISt17integral_constantIbLb0EES16_IbLb1EEEEDaS12_S13_EUlS12_E_NS1_11comp_targetILNS1_3genE5ELNS1_11target_archE942ELNS1_3gpuE9ELNS1_3repE0EEENS1_30default_config_static_selectorELNS0_4arch9wavefront6targetE1EEEvT1_
                                        ; -- End function
	.section	.AMDGPU.csdata,"",@progbits
; Kernel info:
; codeLenInByte = 8148
; NumSgprs: 57
; NumVgprs: 76
; NumAgprs: 0
; TotalNumVgprs: 76
; ScratchSize: 0
; MemoryBound: 0
; FloatMode: 240
; IeeeMode: 1
; LDSByteSize: 30728 bytes/workgroup (compile time only)
; SGPRBlocks: 7
; VGPRBlocks: 9
; NumSGPRsForWavesPerEU: 57
; NumVGPRsForWavesPerEU: 76
; AccumOffset: 76
; Occupancy: 4
; WaveLimiterHint : 1
; COMPUTE_PGM_RSRC2:SCRATCH_EN: 0
; COMPUTE_PGM_RSRC2:USER_SGPR: 2
; COMPUTE_PGM_RSRC2:TRAP_HANDLER: 0
; COMPUTE_PGM_RSRC2:TGID_X_EN: 1
; COMPUTE_PGM_RSRC2:TGID_Y_EN: 0
; COMPUTE_PGM_RSRC2:TGID_Z_EN: 0
; COMPUTE_PGM_RSRC2:TIDIG_COMP_CNT: 0
; COMPUTE_PGM_RSRC3_GFX90A:ACCUM_OFFSET: 18
; COMPUTE_PGM_RSRC3_GFX90A:TG_SPLIT: 0
	.section	.text._ZN7rocprim17ROCPRIM_400000_NS6detail17trampoline_kernelINS0_14default_configENS1_25partition_config_selectorILNS1_17partition_subalgoE8EiNS0_10empty_typeEbEEZZNS1_14partition_implILS5_8ELb0ES3_jPKiPS6_PKS6_NS0_5tupleIJPiS6_EEENSE_IJSB_SB_EEENS0_18inequality_wrapperIN6hipcub16HIPCUB_304000_NS8EqualityEEEPlJS6_EEE10hipError_tPvRmT3_T4_T5_T6_T7_T9_mT8_P12ihipStream_tbDpT10_ENKUlT_T0_E_clISt17integral_constantIbLb0EES16_IbLb1EEEEDaS12_S13_EUlS12_E_NS1_11comp_targetILNS1_3genE4ELNS1_11target_archE910ELNS1_3gpuE8ELNS1_3repE0EEENS1_30default_config_static_selectorELNS0_4arch9wavefront6targetE1EEEvT1_,"axG",@progbits,_ZN7rocprim17ROCPRIM_400000_NS6detail17trampoline_kernelINS0_14default_configENS1_25partition_config_selectorILNS1_17partition_subalgoE8EiNS0_10empty_typeEbEEZZNS1_14partition_implILS5_8ELb0ES3_jPKiPS6_PKS6_NS0_5tupleIJPiS6_EEENSE_IJSB_SB_EEENS0_18inequality_wrapperIN6hipcub16HIPCUB_304000_NS8EqualityEEEPlJS6_EEE10hipError_tPvRmT3_T4_T5_T6_T7_T9_mT8_P12ihipStream_tbDpT10_ENKUlT_T0_E_clISt17integral_constantIbLb0EES16_IbLb1EEEEDaS12_S13_EUlS12_E_NS1_11comp_targetILNS1_3genE4ELNS1_11target_archE910ELNS1_3gpuE8ELNS1_3repE0EEENS1_30default_config_static_selectorELNS0_4arch9wavefront6targetE1EEEvT1_,comdat
	.protected	_ZN7rocprim17ROCPRIM_400000_NS6detail17trampoline_kernelINS0_14default_configENS1_25partition_config_selectorILNS1_17partition_subalgoE8EiNS0_10empty_typeEbEEZZNS1_14partition_implILS5_8ELb0ES3_jPKiPS6_PKS6_NS0_5tupleIJPiS6_EEENSE_IJSB_SB_EEENS0_18inequality_wrapperIN6hipcub16HIPCUB_304000_NS8EqualityEEEPlJS6_EEE10hipError_tPvRmT3_T4_T5_T6_T7_T9_mT8_P12ihipStream_tbDpT10_ENKUlT_T0_E_clISt17integral_constantIbLb0EES16_IbLb1EEEEDaS12_S13_EUlS12_E_NS1_11comp_targetILNS1_3genE4ELNS1_11target_archE910ELNS1_3gpuE8ELNS1_3repE0EEENS1_30default_config_static_selectorELNS0_4arch9wavefront6targetE1EEEvT1_ ; -- Begin function _ZN7rocprim17ROCPRIM_400000_NS6detail17trampoline_kernelINS0_14default_configENS1_25partition_config_selectorILNS1_17partition_subalgoE8EiNS0_10empty_typeEbEEZZNS1_14partition_implILS5_8ELb0ES3_jPKiPS6_PKS6_NS0_5tupleIJPiS6_EEENSE_IJSB_SB_EEENS0_18inequality_wrapperIN6hipcub16HIPCUB_304000_NS8EqualityEEEPlJS6_EEE10hipError_tPvRmT3_T4_T5_T6_T7_T9_mT8_P12ihipStream_tbDpT10_ENKUlT_T0_E_clISt17integral_constantIbLb0EES16_IbLb1EEEEDaS12_S13_EUlS12_E_NS1_11comp_targetILNS1_3genE4ELNS1_11target_archE910ELNS1_3gpuE8ELNS1_3repE0EEENS1_30default_config_static_selectorELNS0_4arch9wavefront6targetE1EEEvT1_
	.globl	_ZN7rocprim17ROCPRIM_400000_NS6detail17trampoline_kernelINS0_14default_configENS1_25partition_config_selectorILNS1_17partition_subalgoE8EiNS0_10empty_typeEbEEZZNS1_14partition_implILS5_8ELb0ES3_jPKiPS6_PKS6_NS0_5tupleIJPiS6_EEENSE_IJSB_SB_EEENS0_18inequality_wrapperIN6hipcub16HIPCUB_304000_NS8EqualityEEEPlJS6_EEE10hipError_tPvRmT3_T4_T5_T6_T7_T9_mT8_P12ihipStream_tbDpT10_ENKUlT_T0_E_clISt17integral_constantIbLb0EES16_IbLb1EEEEDaS12_S13_EUlS12_E_NS1_11comp_targetILNS1_3genE4ELNS1_11target_archE910ELNS1_3gpuE8ELNS1_3repE0EEENS1_30default_config_static_selectorELNS0_4arch9wavefront6targetE1EEEvT1_
	.p2align	8
	.type	_ZN7rocprim17ROCPRIM_400000_NS6detail17trampoline_kernelINS0_14default_configENS1_25partition_config_selectorILNS1_17partition_subalgoE8EiNS0_10empty_typeEbEEZZNS1_14partition_implILS5_8ELb0ES3_jPKiPS6_PKS6_NS0_5tupleIJPiS6_EEENSE_IJSB_SB_EEENS0_18inequality_wrapperIN6hipcub16HIPCUB_304000_NS8EqualityEEEPlJS6_EEE10hipError_tPvRmT3_T4_T5_T6_T7_T9_mT8_P12ihipStream_tbDpT10_ENKUlT_T0_E_clISt17integral_constantIbLb0EES16_IbLb1EEEEDaS12_S13_EUlS12_E_NS1_11comp_targetILNS1_3genE4ELNS1_11target_archE910ELNS1_3gpuE8ELNS1_3repE0EEENS1_30default_config_static_selectorELNS0_4arch9wavefront6targetE1EEEvT1_,@function
_ZN7rocprim17ROCPRIM_400000_NS6detail17trampoline_kernelINS0_14default_configENS1_25partition_config_selectorILNS1_17partition_subalgoE8EiNS0_10empty_typeEbEEZZNS1_14partition_implILS5_8ELb0ES3_jPKiPS6_PKS6_NS0_5tupleIJPiS6_EEENSE_IJSB_SB_EEENS0_18inequality_wrapperIN6hipcub16HIPCUB_304000_NS8EqualityEEEPlJS6_EEE10hipError_tPvRmT3_T4_T5_T6_T7_T9_mT8_P12ihipStream_tbDpT10_ENKUlT_T0_E_clISt17integral_constantIbLb0EES16_IbLb1EEEEDaS12_S13_EUlS12_E_NS1_11comp_targetILNS1_3genE4ELNS1_11target_archE910ELNS1_3gpuE8ELNS1_3repE0EEENS1_30default_config_static_selectorELNS0_4arch9wavefront6targetE1EEEvT1_: ; @_ZN7rocprim17ROCPRIM_400000_NS6detail17trampoline_kernelINS0_14default_configENS1_25partition_config_selectorILNS1_17partition_subalgoE8EiNS0_10empty_typeEbEEZZNS1_14partition_implILS5_8ELb0ES3_jPKiPS6_PKS6_NS0_5tupleIJPiS6_EEENSE_IJSB_SB_EEENS0_18inequality_wrapperIN6hipcub16HIPCUB_304000_NS8EqualityEEEPlJS6_EEE10hipError_tPvRmT3_T4_T5_T6_T7_T9_mT8_P12ihipStream_tbDpT10_ENKUlT_T0_E_clISt17integral_constantIbLb0EES16_IbLb1EEEEDaS12_S13_EUlS12_E_NS1_11comp_targetILNS1_3genE4ELNS1_11target_archE910ELNS1_3gpuE8ELNS1_3repE0EEENS1_30default_config_static_selectorELNS0_4arch9wavefront6targetE1EEEvT1_
; %bb.0:
	.section	.rodata,"a",@progbits
	.p2align	6, 0x0
	.amdhsa_kernel _ZN7rocprim17ROCPRIM_400000_NS6detail17trampoline_kernelINS0_14default_configENS1_25partition_config_selectorILNS1_17partition_subalgoE8EiNS0_10empty_typeEbEEZZNS1_14partition_implILS5_8ELb0ES3_jPKiPS6_PKS6_NS0_5tupleIJPiS6_EEENSE_IJSB_SB_EEENS0_18inequality_wrapperIN6hipcub16HIPCUB_304000_NS8EqualityEEEPlJS6_EEE10hipError_tPvRmT3_T4_T5_T6_T7_T9_mT8_P12ihipStream_tbDpT10_ENKUlT_T0_E_clISt17integral_constantIbLb0EES16_IbLb1EEEEDaS12_S13_EUlS12_E_NS1_11comp_targetILNS1_3genE4ELNS1_11target_archE910ELNS1_3gpuE8ELNS1_3repE0EEENS1_30default_config_static_selectorELNS0_4arch9wavefront6targetE1EEEvT1_
		.amdhsa_group_segment_fixed_size 0
		.amdhsa_private_segment_fixed_size 0
		.amdhsa_kernarg_size 128
		.amdhsa_user_sgpr_count 2
		.amdhsa_user_sgpr_dispatch_ptr 0
		.amdhsa_user_sgpr_queue_ptr 0
		.amdhsa_user_sgpr_kernarg_segment_ptr 1
		.amdhsa_user_sgpr_dispatch_id 0
		.amdhsa_user_sgpr_kernarg_preload_length 0
		.amdhsa_user_sgpr_kernarg_preload_offset 0
		.amdhsa_user_sgpr_private_segment_size 0
		.amdhsa_uses_dynamic_stack 0
		.amdhsa_enable_private_segment 0
		.amdhsa_system_sgpr_workgroup_id_x 1
		.amdhsa_system_sgpr_workgroup_id_y 0
		.amdhsa_system_sgpr_workgroup_id_z 0
		.amdhsa_system_sgpr_workgroup_info 0
		.amdhsa_system_vgpr_workitem_id 0
		.amdhsa_next_free_vgpr 1
		.amdhsa_next_free_sgpr 0
		.amdhsa_accum_offset 4
		.amdhsa_reserve_vcc 0
		.amdhsa_float_round_mode_32 0
		.amdhsa_float_round_mode_16_64 0
		.amdhsa_float_denorm_mode_32 3
		.amdhsa_float_denorm_mode_16_64 3
		.amdhsa_dx10_clamp 1
		.amdhsa_ieee_mode 1
		.amdhsa_fp16_overflow 0
		.amdhsa_tg_split 0
		.amdhsa_exception_fp_ieee_invalid_op 0
		.amdhsa_exception_fp_denorm_src 0
		.amdhsa_exception_fp_ieee_div_zero 0
		.amdhsa_exception_fp_ieee_overflow 0
		.amdhsa_exception_fp_ieee_underflow 0
		.amdhsa_exception_fp_ieee_inexact 0
		.amdhsa_exception_int_div_zero 0
	.end_amdhsa_kernel
	.section	.text._ZN7rocprim17ROCPRIM_400000_NS6detail17trampoline_kernelINS0_14default_configENS1_25partition_config_selectorILNS1_17partition_subalgoE8EiNS0_10empty_typeEbEEZZNS1_14partition_implILS5_8ELb0ES3_jPKiPS6_PKS6_NS0_5tupleIJPiS6_EEENSE_IJSB_SB_EEENS0_18inequality_wrapperIN6hipcub16HIPCUB_304000_NS8EqualityEEEPlJS6_EEE10hipError_tPvRmT3_T4_T5_T6_T7_T9_mT8_P12ihipStream_tbDpT10_ENKUlT_T0_E_clISt17integral_constantIbLb0EES16_IbLb1EEEEDaS12_S13_EUlS12_E_NS1_11comp_targetILNS1_3genE4ELNS1_11target_archE910ELNS1_3gpuE8ELNS1_3repE0EEENS1_30default_config_static_selectorELNS0_4arch9wavefront6targetE1EEEvT1_,"axG",@progbits,_ZN7rocprim17ROCPRIM_400000_NS6detail17trampoline_kernelINS0_14default_configENS1_25partition_config_selectorILNS1_17partition_subalgoE8EiNS0_10empty_typeEbEEZZNS1_14partition_implILS5_8ELb0ES3_jPKiPS6_PKS6_NS0_5tupleIJPiS6_EEENSE_IJSB_SB_EEENS0_18inequality_wrapperIN6hipcub16HIPCUB_304000_NS8EqualityEEEPlJS6_EEE10hipError_tPvRmT3_T4_T5_T6_T7_T9_mT8_P12ihipStream_tbDpT10_ENKUlT_T0_E_clISt17integral_constantIbLb0EES16_IbLb1EEEEDaS12_S13_EUlS12_E_NS1_11comp_targetILNS1_3genE4ELNS1_11target_archE910ELNS1_3gpuE8ELNS1_3repE0EEENS1_30default_config_static_selectorELNS0_4arch9wavefront6targetE1EEEvT1_,comdat
.Lfunc_end436:
	.size	_ZN7rocprim17ROCPRIM_400000_NS6detail17trampoline_kernelINS0_14default_configENS1_25partition_config_selectorILNS1_17partition_subalgoE8EiNS0_10empty_typeEbEEZZNS1_14partition_implILS5_8ELb0ES3_jPKiPS6_PKS6_NS0_5tupleIJPiS6_EEENSE_IJSB_SB_EEENS0_18inequality_wrapperIN6hipcub16HIPCUB_304000_NS8EqualityEEEPlJS6_EEE10hipError_tPvRmT3_T4_T5_T6_T7_T9_mT8_P12ihipStream_tbDpT10_ENKUlT_T0_E_clISt17integral_constantIbLb0EES16_IbLb1EEEEDaS12_S13_EUlS12_E_NS1_11comp_targetILNS1_3genE4ELNS1_11target_archE910ELNS1_3gpuE8ELNS1_3repE0EEENS1_30default_config_static_selectorELNS0_4arch9wavefront6targetE1EEEvT1_, .Lfunc_end436-_ZN7rocprim17ROCPRIM_400000_NS6detail17trampoline_kernelINS0_14default_configENS1_25partition_config_selectorILNS1_17partition_subalgoE8EiNS0_10empty_typeEbEEZZNS1_14partition_implILS5_8ELb0ES3_jPKiPS6_PKS6_NS0_5tupleIJPiS6_EEENSE_IJSB_SB_EEENS0_18inequality_wrapperIN6hipcub16HIPCUB_304000_NS8EqualityEEEPlJS6_EEE10hipError_tPvRmT3_T4_T5_T6_T7_T9_mT8_P12ihipStream_tbDpT10_ENKUlT_T0_E_clISt17integral_constantIbLb0EES16_IbLb1EEEEDaS12_S13_EUlS12_E_NS1_11comp_targetILNS1_3genE4ELNS1_11target_archE910ELNS1_3gpuE8ELNS1_3repE0EEENS1_30default_config_static_selectorELNS0_4arch9wavefront6targetE1EEEvT1_
                                        ; -- End function
	.section	.AMDGPU.csdata,"",@progbits
; Kernel info:
; codeLenInByte = 0
; NumSgprs: 6
; NumVgprs: 0
; NumAgprs: 0
; TotalNumVgprs: 0
; ScratchSize: 0
; MemoryBound: 0
; FloatMode: 240
; IeeeMode: 1
; LDSByteSize: 0 bytes/workgroup (compile time only)
; SGPRBlocks: 0
; VGPRBlocks: 0
; NumSGPRsForWavesPerEU: 6
; NumVGPRsForWavesPerEU: 1
; AccumOffset: 4
; Occupancy: 8
; WaveLimiterHint : 0
; COMPUTE_PGM_RSRC2:SCRATCH_EN: 0
; COMPUTE_PGM_RSRC2:USER_SGPR: 2
; COMPUTE_PGM_RSRC2:TRAP_HANDLER: 0
; COMPUTE_PGM_RSRC2:TGID_X_EN: 1
; COMPUTE_PGM_RSRC2:TGID_Y_EN: 0
; COMPUTE_PGM_RSRC2:TGID_Z_EN: 0
; COMPUTE_PGM_RSRC2:TIDIG_COMP_CNT: 0
; COMPUTE_PGM_RSRC3_GFX90A:ACCUM_OFFSET: 0
; COMPUTE_PGM_RSRC3_GFX90A:TG_SPLIT: 0
	.section	.text._ZN7rocprim17ROCPRIM_400000_NS6detail17trampoline_kernelINS0_14default_configENS1_25partition_config_selectorILNS1_17partition_subalgoE8EiNS0_10empty_typeEbEEZZNS1_14partition_implILS5_8ELb0ES3_jPKiPS6_PKS6_NS0_5tupleIJPiS6_EEENSE_IJSB_SB_EEENS0_18inequality_wrapperIN6hipcub16HIPCUB_304000_NS8EqualityEEEPlJS6_EEE10hipError_tPvRmT3_T4_T5_T6_T7_T9_mT8_P12ihipStream_tbDpT10_ENKUlT_T0_E_clISt17integral_constantIbLb0EES16_IbLb1EEEEDaS12_S13_EUlS12_E_NS1_11comp_targetILNS1_3genE3ELNS1_11target_archE908ELNS1_3gpuE7ELNS1_3repE0EEENS1_30default_config_static_selectorELNS0_4arch9wavefront6targetE1EEEvT1_,"axG",@progbits,_ZN7rocprim17ROCPRIM_400000_NS6detail17trampoline_kernelINS0_14default_configENS1_25partition_config_selectorILNS1_17partition_subalgoE8EiNS0_10empty_typeEbEEZZNS1_14partition_implILS5_8ELb0ES3_jPKiPS6_PKS6_NS0_5tupleIJPiS6_EEENSE_IJSB_SB_EEENS0_18inequality_wrapperIN6hipcub16HIPCUB_304000_NS8EqualityEEEPlJS6_EEE10hipError_tPvRmT3_T4_T5_T6_T7_T9_mT8_P12ihipStream_tbDpT10_ENKUlT_T0_E_clISt17integral_constantIbLb0EES16_IbLb1EEEEDaS12_S13_EUlS12_E_NS1_11comp_targetILNS1_3genE3ELNS1_11target_archE908ELNS1_3gpuE7ELNS1_3repE0EEENS1_30default_config_static_selectorELNS0_4arch9wavefront6targetE1EEEvT1_,comdat
	.protected	_ZN7rocprim17ROCPRIM_400000_NS6detail17trampoline_kernelINS0_14default_configENS1_25partition_config_selectorILNS1_17partition_subalgoE8EiNS0_10empty_typeEbEEZZNS1_14partition_implILS5_8ELb0ES3_jPKiPS6_PKS6_NS0_5tupleIJPiS6_EEENSE_IJSB_SB_EEENS0_18inequality_wrapperIN6hipcub16HIPCUB_304000_NS8EqualityEEEPlJS6_EEE10hipError_tPvRmT3_T4_T5_T6_T7_T9_mT8_P12ihipStream_tbDpT10_ENKUlT_T0_E_clISt17integral_constantIbLb0EES16_IbLb1EEEEDaS12_S13_EUlS12_E_NS1_11comp_targetILNS1_3genE3ELNS1_11target_archE908ELNS1_3gpuE7ELNS1_3repE0EEENS1_30default_config_static_selectorELNS0_4arch9wavefront6targetE1EEEvT1_ ; -- Begin function _ZN7rocprim17ROCPRIM_400000_NS6detail17trampoline_kernelINS0_14default_configENS1_25partition_config_selectorILNS1_17partition_subalgoE8EiNS0_10empty_typeEbEEZZNS1_14partition_implILS5_8ELb0ES3_jPKiPS6_PKS6_NS0_5tupleIJPiS6_EEENSE_IJSB_SB_EEENS0_18inequality_wrapperIN6hipcub16HIPCUB_304000_NS8EqualityEEEPlJS6_EEE10hipError_tPvRmT3_T4_T5_T6_T7_T9_mT8_P12ihipStream_tbDpT10_ENKUlT_T0_E_clISt17integral_constantIbLb0EES16_IbLb1EEEEDaS12_S13_EUlS12_E_NS1_11comp_targetILNS1_3genE3ELNS1_11target_archE908ELNS1_3gpuE7ELNS1_3repE0EEENS1_30default_config_static_selectorELNS0_4arch9wavefront6targetE1EEEvT1_
	.globl	_ZN7rocprim17ROCPRIM_400000_NS6detail17trampoline_kernelINS0_14default_configENS1_25partition_config_selectorILNS1_17partition_subalgoE8EiNS0_10empty_typeEbEEZZNS1_14partition_implILS5_8ELb0ES3_jPKiPS6_PKS6_NS0_5tupleIJPiS6_EEENSE_IJSB_SB_EEENS0_18inequality_wrapperIN6hipcub16HIPCUB_304000_NS8EqualityEEEPlJS6_EEE10hipError_tPvRmT3_T4_T5_T6_T7_T9_mT8_P12ihipStream_tbDpT10_ENKUlT_T0_E_clISt17integral_constantIbLb0EES16_IbLb1EEEEDaS12_S13_EUlS12_E_NS1_11comp_targetILNS1_3genE3ELNS1_11target_archE908ELNS1_3gpuE7ELNS1_3repE0EEENS1_30default_config_static_selectorELNS0_4arch9wavefront6targetE1EEEvT1_
	.p2align	8
	.type	_ZN7rocprim17ROCPRIM_400000_NS6detail17trampoline_kernelINS0_14default_configENS1_25partition_config_selectorILNS1_17partition_subalgoE8EiNS0_10empty_typeEbEEZZNS1_14partition_implILS5_8ELb0ES3_jPKiPS6_PKS6_NS0_5tupleIJPiS6_EEENSE_IJSB_SB_EEENS0_18inequality_wrapperIN6hipcub16HIPCUB_304000_NS8EqualityEEEPlJS6_EEE10hipError_tPvRmT3_T4_T5_T6_T7_T9_mT8_P12ihipStream_tbDpT10_ENKUlT_T0_E_clISt17integral_constantIbLb0EES16_IbLb1EEEEDaS12_S13_EUlS12_E_NS1_11comp_targetILNS1_3genE3ELNS1_11target_archE908ELNS1_3gpuE7ELNS1_3repE0EEENS1_30default_config_static_selectorELNS0_4arch9wavefront6targetE1EEEvT1_,@function
_ZN7rocprim17ROCPRIM_400000_NS6detail17trampoline_kernelINS0_14default_configENS1_25partition_config_selectorILNS1_17partition_subalgoE8EiNS0_10empty_typeEbEEZZNS1_14partition_implILS5_8ELb0ES3_jPKiPS6_PKS6_NS0_5tupleIJPiS6_EEENSE_IJSB_SB_EEENS0_18inequality_wrapperIN6hipcub16HIPCUB_304000_NS8EqualityEEEPlJS6_EEE10hipError_tPvRmT3_T4_T5_T6_T7_T9_mT8_P12ihipStream_tbDpT10_ENKUlT_T0_E_clISt17integral_constantIbLb0EES16_IbLb1EEEEDaS12_S13_EUlS12_E_NS1_11comp_targetILNS1_3genE3ELNS1_11target_archE908ELNS1_3gpuE7ELNS1_3repE0EEENS1_30default_config_static_selectorELNS0_4arch9wavefront6targetE1EEEvT1_: ; @_ZN7rocprim17ROCPRIM_400000_NS6detail17trampoline_kernelINS0_14default_configENS1_25partition_config_selectorILNS1_17partition_subalgoE8EiNS0_10empty_typeEbEEZZNS1_14partition_implILS5_8ELb0ES3_jPKiPS6_PKS6_NS0_5tupleIJPiS6_EEENSE_IJSB_SB_EEENS0_18inequality_wrapperIN6hipcub16HIPCUB_304000_NS8EqualityEEEPlJS6_EEE10hipError_tPvRmT3_T4_T5_T6_T7_T9_mT8_P12ihipStream_tbDpT10_ENKUlT_T0_E_clISt17integral_constantIbLb0EES16_IbLb1EEEEDaS12_S13_EUlS12_E_NS1_11comp_targetILNS1_3genE3ELNS1_11target_archE908ELNS1_3gpuE7ELNS1_3repE0EEENS1_30default_config_static_selectorELNS0_4arch9wavefront6targetE1EEEvT1_
; %bb.0:
	.section	.rodata,"a",@progbits
	.p2align	6, 0x0
	.amdhsa_kernel _ZN7rocprim17ROCPRIM_400000_NS6detail17trampoline_kernelINS0_14default_configENS1_25partition_config_selectorILNS1_17partition_subalgoE8EiNS0_10empty_typeEbEEZZNS1_14partition_implILS5_8ELb0ES3_jPKiPS6_PKS6_NS0_5tupleIJPiS6_EEENSE_IJSB_SB_EEENS0_18inequality_wrapperIN6hipcub16HIPCUB_304000_NS8EqualityEEEPlJS6_EEE10hipError_tPvRmT3_T4_T5_T6_T7_T9_mT8_P12ihipStream_tbDpT10_ENKUlT_T0_E_clISt17integral_constantIbLb0EES16_IbLb1EEEEDaS12_S13_EUlS12_E_NS1_11comp_targetILNS1_3genE3ELNS1_11target_archE908ELNS1_3gpuE7ELNS1_3repE0EEENS1_30default_config_static_selectorELNS0_4arch9wavefront6targetE1EEEvT1_
		.amdhsa_group_segment_fixed_size 0
		.amdhsa_private_segment_fixed_size 0
		.amdhsa_kernarg_size 128
		.amdhsa_user_sgpr_count 2
		.amdhsa_user_sgpr_dispatch_ptr 0
		.amdhsa_user_sgpr_queue_ptr 0
		.amdhsa_user_sgpr_kernarg_segment_ptr 1
		.amdhsa_user_sgpr_dispatch_id 0
		.amdhsa_user_sgpr_kernarg_preload_length 0
		.amdhsa_user_sgpr_kernarg_preload_offset 0
		.amdhsa_user_sgpr_private_segment_size 0
		.amdhsa_uses_dynamic_stack 0
		.amdhsa_enable_private_segment 0
		.amdhsa_system_sgpr_workgroup_id_x 1
		.amdhsa_system_sgpr_workgroup_id_y 0
		.amdhsa_system_sgpr_workgroup_id_z 0
		.amdhsa_system_sgpr_workgroup_info 0
		.amdhsa_system_vgpr_workitem_id 0
		.amdhsa_next_free_vgpr 1
		.amdhsa_next_free_sgpr 0
		.amdhsa_accum_offset 4
		.amdhsa_reserve_vcc 0
		.amdhsa_float_round_mode_32 0
		.amdhsa_float_round_mode_16_64 0
		.amdhsa_float_denorm_mode_32 3
		.amdhsa_float_denorm_mode_16_64 3
		.amdhsa_dx10_clamp 1
		.amdhsa_ieee_mode 1
		.amdhsa_fp16_overflow 0
		.amdhsa_tg_split 0
		.amdhsa_exception_fp_ieee_invalid_op 0
		.amdhsa_exception_fp_denorm_src 0
		.amdhsa_exception_fp_ieee_div_zero 0
		.amdhsa_exception_fp_ieee_overflow 0
		.amdhsa_exception_fp_ieee_underflow 0
		.amdhsa_exception_fp_ieee_inexact 0
		.amdhsa_exception_int_div_zero 0
	.end_amdhsa_kernel
	.section	.text._ZN7rocprim17ROCPRIM_400000_NS6detail17trampoline_kernelINS0_14default_configENS1_25partition_config_selectorILNS1_17partition_subalgoE8EiNS0_10empty_typeEbEEZZNS1_14partition_implILS5_8ELb0ES3_jPKiPS6_PKS6_NS0_5tupleIJPiS6_EEENSE_IJSB_SB_EEENS0_18inequality_wrapperIN6hipcub16HIPCUB_304000_NS8EqualityEEEPlJS6_EEE10hipError_tPvRmT3_T4_T5_T6_T7_T9_mT8_P12ihipStream_tbDpT10_ENKUlT_T0_E_clISt17integral_constantIbLb0EES16_IbLb1EEEEDaS12_S13_EUlS12_E_NS1_11comp_targetILNS1_3genE3ELNS1_11target_archE908ELNS1_3gpuE7ELNS1_3repE0EEENS1_30default_config_static_selectorELNS0_4arch9wavefront6targetE1EEEvT1_,"axG",@progbits,_ZN7rocprim17ROCPRIM_400000_NS6detail17trampoline_kernelINS0_14default_configENS1_25partition_config_selectorILNS1_17partition_subalgoE8EiNS0_10empty_typeEbEEZZNS1_14partition_implILS5_8ELb0ES3_jPKiPS6_PKS6_NS0_5tupleIJPiS6_EEENSE_IJSB_SB_EEENS0_18inequality_wrapperIN6hipcub16HIPCUB_304000_NS8EqualityEEEPlJS6_EEE10hipError_tPvRmT3_T4_T5_T6_T7_T9_mT8_P12ihipStream_tbDpT10_ENKUlT_T0_E_clISt17integral_constantIbLb0EES16_IbLb1EEEEDaS12_S13_EUlS12_E_NS1_11comp_targetILNS1_3genE3ELNS1_11target_archE908ELNS1_3gpuE7ELNS1_3repE0EEENS1_30default_config_static_selectorELNS0_4arch9wavefront6targetE1EEEvT1_,comdat
.Lfunc_end437:
	.size	_ZN7rocprim17ROCPRIM_400000_NS6detail17trampoline_kernelINS0_14default_configENS1_25partition_config_selectorILNS1_17partition_subalgoE8EiNS0_10empty_typeEbEEZZNS1_14partition_implILS5_8ELb0ES3_jPKiPS6_PKS6_NS0_5tupleIJPiS6_EEENSE_IJSB_SB_EEENS0_18inequality_wrapperIN6hipcub16HIPCUB_304000_NS8EqualityEEEPlJS6_EEE10hipError_tPvRmT3_T4_T5_T6_T7_T9_mT8_P12ihipStream_tbDpT10_ENKUlT_T0_E_clISt17integral_constantIbLb0EES16_IbLb1EEEEDaS12_S13_EUlS12_E_NS1_11comp_targetILNS1_3genE3ELNS1_11target_archE908ELNS1_3gpuE7ELNS1_3repE0EEENS1_30default_config_static_selectorELNS0_4arch9wavefront6targetE1EEEvT1_, .Lfunc_end437-_ZN7rocprim17ROCPRIM_400000_NS6detail17trampoline_kernelINS0_14default_configENS1_25partition_config_selectorILNS1_17partition_subalgoE8EiNS0_10empty_typeEbEEZZNS1_14partition_implILS5_8ELb0ES3_jPKiPS6_PKS6_NS0_5tupleIJPiS6_EEENSE_IJSB_SB_EEENS0_18inequality_wrapperIN6hipcub16HIPCUB_304000_NS8EqualityEEEPlJS6_EEE10hipError_tPvRmT3_T4_T5_T6_T7_T9_mT8_P12ihipStream_tbDpT10_ENKUlT_T0_E_clISt17integral_constantIbLb0EES16_IbLb1EEEEDaS12_S13_EUlS12_E_NS1_11comp_targetILNS1_3genE3ELNS1_11target_archE908ELNS1_3gpuE7ELNS1_3repE0EEENS1_30default_config_static_selectorELNS0_4arch9wavefront6targetE1EEEvT1_
                                        ; -- End function
	.section	.AMDGPU.csdata,"",@progbits
; Kernel info:
; codeLenInByte = 0
; NumSgprs: 6
; NumVgprs: 0
; NumAgprs: 0
; TotalNumVgprs: 0
; ScratchSize: 0
; MemoryBound: 0
; FloatMode: 240
; IeeeMode: 1
; LDSByteSize: 0 bytes/workgroup (compile time only)
; SGPRBlocks: 0
; VGPRBlocks: 0
; NumSGPRsForWavesPerEU: 6
; NumVGPRsForWavesPerEU: 1
; AccumOffset: 4
; Occupancy: 8
; WaveLimiterHint : 0
; COMPUTE_PGM_RSRC2:SCRATCH_EN: 0
; COMPUTE_PGM_RSRC2:USER_SGPR: 2
; COMPUTE_PGM_RSRC2:TRAP_HANDLER: 0
; COMPUTE_PGM_RSRC2:TGID_X_EN: 1
; COMPUTE_PGM_RSRC2:TGID_Y_EN: 0
; COMPUTE_PGM_RSRC2:TGID_Z_EN: 0
; COMPUTE_PGM_RSRC2:TIDIG_COMP_CNT: 0
; COMPUTE_PGM_RSRC3_GFX90A:ACCUM_OFFSET: 0
; COMPUTE_PGM_RSRC3_GFX90A:TG_SPLIT: 0
	.section	.text._ZN7rocprim17ROCPRIM_400000_NS6detail17trampoline_kernelINS0_14default_configENS1_25partition_config_selectorILNS1_17partition_subalgoE8EiNS0_10empty_typeEbEEZZNS1_14partition_implILS5_8ELb0ES3_jPKiPS6_PKS6_NS0_5tupleIJPiS6_EEENSE_IJSB_SB_EEENS0_18inequality_wrapperIN6hipcub16HIPCUB_304000_NS8EqualityEEEPlJS6_EEE10hipError_tPvRmT3_T4_T5_T6_T7_T9_mT8_P12ihipStream_tbDpT10_ENKUlT_T0_E_clISt17integral_constantIbLb0EES16_IbLb1EEEEDaS12_S13_EUlS12_E_NS1_11comp_targetILNS1_3genE2ELNS1_11target_archE906ELNS1_3gpuE6ELNS1_3repE0EEENS1_30default_config_static_selectorELNS0_4arch9wavefront6targetE1EEEvT1_,"axG",@progbits,_ZN7rocprim17ROCPRIM_400000_NS6detail17trampoline_kernelINS0_14default_configENS1_25partition_config_selectorILNS1_17partition_subalgoE8EiNS0_10empty_typeEbEEZZNS1_14partition_implILS5_8ELb0ES3_jPKiPS6_PKS6_NS0_5tupleIJPiS6_EEENSE_IJSB_SB_EEENS0_18inequality_wrapperIN6hipcub16HIPCUB_304000_NS8EqualityEEEPlJS6_EEE10hipError_tPvRmT3_T4_T5_T6_T7_T9_mT8_P12ihipStream_tbDpT10_ENKUlT_T0_E_clISt17integral_constantIbLb0EES16_IbLb1EEEEDaS12_S13_EUlS12_E_NS1_11comp_targetILNS1_3genE2ELNS1_11target_archE906ELNS1_3gpuE6ELNS1_3repE0EEENS1_30default_config_static_selectorELNS0_4arch9wavefront6targetE1EEEvT1_,comdat
	.protected	_ZN7rocprim17ROCPRIM_400000_NS6detail17trampoline_kernelINS0_14default_configENS1_25partition_config_selectorILNS1_17partition_subalgoE8EiNS0_10empty_typeEbEEZZNS1_14partition_implILS5_8ELb0ES3_jPKiPS6_PKS6_NS0_5tupleIJPiS6_EEENSE_IJSB_SB_EEENS0_18inequality_wrapperIN6hipcub16HIPCUB_304000_NS8EqualityEEEPlJS6_EEE10hipError_tPvRmT3_T4_T5_T6_T7_T9_mT8_P12ihipStream_tbDpT10_ENKUlT_T0_E_clISt17integral_constantIbLb0EES16_IbLb1EEEEDaS12_S13_EUlS12_E_NS1_11comp_targetILNS1_3genE2ELNS1_11target_archE906ELNS1_3gpuE6ELNS1_3repE0EEENS1_30default_config_static_selectorELNS0_4arch9wavefront6targetE1EEEvT1_ ; -- Begin function _ZN7rocprim17ROCPRIM_400000_NS6detail17trampoline_kernelINS0_14default_configENS1_25partition_config_selectorILNS1_17partition_subalgoE8EiNS0_10empty_typeEbEEZZNS1_14partition_implILS5_8ELb0ES3_jPKiPS6_PKS6_NS0_5tupleIJPiS6_EEENSE_IJSB_SB_EEENS0_18inequality_wrapperIN6hipcub16HIPCUB_304000_NS8EqualityEEEPlJS6_EEE10hipError_tPvRmT3_T4_T5_T6_T7_T9_mT8_P12ihipStream_tbDpT10_ENKUlT_T0_E_clISt17integral_constantIbLb0EES16_IbLb1EEEEDaS12_S13_EUlS12_E_NS1_11comp_targetILNS1_3genE2ELNS1_11target_archE906ELNS1_3gpuE6ELNS1_3repE0EEENS1_30default_config_static_selectorELNS0_4arch9wavefront6targetE1EEEvT1_
	.globl	_ZN7rocprim17ROCPRIM_400000_NS6detail17trampoline_kernelINS0_14default_configENS1_25partition_config_selectorILNS1_17partition_subalgoE8EiNS0_10empty_typeEbEEZZNS1_14partition_implILS5_8ELb0ES3_jPKiPS6_PKS6_NS0_5tupleIJPiS6_EEENSE_IJSB_SB_EEENS0_18inequality_wrapperIN6hipcub16HIPCUB_304000_NS8EqualityEEEPlJS6_EEE10hipError_tPvRmT3_T4_T5_T6_T7_T9_mT8_P12ihipStream_tbDpT10_ENKUlT_T0_E_clISt17integral_constantIbLb0EES16_IbLb1EEEEDaS12_S13_EUlS12_E_NS1_11comp_targetILNS1_3genE2ELNS1_11target_archE906ELNS1_3gpuE6ELNS1_3repE0EEENS1_30default_config_static_selectorELNS0_4arch9wavefront6targetE1EEEvT1_
	.p2align	8
	.type	_ZN7rocprim17ROCPRIM_400000_NS6detail17trampoline_kernelINS0_14default_configENS1_25partition_config_selectorILNS1_17partition_subalgoE8EiNS0_10empty_typeEbEEZZNS1_14partition_implILS5_8ELb0ES3_jPKiPS6_PKS6_NS0_5tupleIJPiS6_EEENSE_IJSB_SB_EEENS0_18inequality_wrapperIN6hipcub16HIPCUB_304000_NS8EqualityEEEPlJS6_EEE10hipError_tPvRmT3_T4_T5_T6_T7_T9_mT8_P12ihipStream_tbDpT10_ENKUlT_T0_E_clISt17integral_constantIbLb0EES16_IbLb1EEEEDaS12_S13_EUlS12_E_NS1_11comp_targetILNS1_3genE2ELNS1_11target_archE906ELNS1_3gpuE6ELNS1_3repE0EEENS1_30default_config_static_selectorELNS0_4arch9wavefront6targetE1EEEvT1_,@function
_ZN7rocprim17ROCPRIM_400000_NS6detail17trampoline_kernelINS0_14default_configENS1_25partition_config_selectorILNS1_17partition_subalgoE8EiNS0_10empty_typeEbEEZZNS1_14partition_implILS5_8ELb0ES3_jPKiPS6_PKS6_NS0_5tupleIJPiS6_EEENSE_IJSB_SB_EEENS0_18inequality_wrapperIN6hipcub16HIPCUB_304000_NS8EqualityEEEPlJS6_EEE10hipError_tPvRmT3_T4_T5_T6_T7_T9_mT8_P12ihipStream_tbDpT10_ENKUlT_T0_E_clISt17integral_constantIbLb0EES16_IbLb1EEEEDaS12_S13_EUlS12_E_NS1_11comp_targetILNS1_3genE2ELNS1_11target_archE906ELNS1_3gpuE6ELNS1_3repE0EEENS1_30default_config_static_selectorELNS0_4arch9wavefront6targetE1EEEvT1_: ; @_ZN7rocprim17ROCPRIM_400000_NS6detail17trampoline_kernelINS0_14default_configENS1_25partition_config_selectorILNS1_17partition_subalgoE8EiNS0_10empty_typeEbEEZZNS1_14partition_implILS5_8ELb0ES3_jPKiPS6_PKS6_NS0_5tupleIJPiS6_EEENSE_IJSB_SB_EEENS0_18inequality_wrapperIN6hipcub16HIPCUB_304000_NS8EqualityEEEPlJS6_EEE10hipError_tPvRmT3_T4_T5_T6_T7_T9_mT8_P12ihipStream_tbDpT10_ENKUlT_T0_E_clISt17integral_constantIbLb0EES16_IbLb1EEEEDaS12_S13_EUlS12_E_NS1_11comp_targetILNS1_3genE2ELNS1_11target_archE906ELNS1_3gpuE6ELNS1_3repE0EEENS1_30default_config_static_selectorELNS0_4arch9wavefront6targetE1EEEvT1_
; %bb.0:
	.section	.rodata,"a",@progbits
	.p2align	6, 0x0
	.amdhsa_kernel _ZN7rocprim17ROCPRIM_400000_NS6detail17trampoline_kernelINS0_14default_configENS1_25partition_config_selectorILNS1_17partition_subalgoE8EiNS0_10empty_typeEbEEZZNS1_14partition_implILS5_8ELb0ES3_jPKiPS6_PKS6_NS0_5tupleIJPiS6_EEENSE_IJSB_SB_EEENS0_18inequality_wrapperIN6hipcub16HIPCUB_304000_NS8EqualityEEEPlJS6_EEE10hipError_tPvRmT3_T4_T5_T6_T7_T9_mT8_P12ihipStream_tbDpT10_ENKUlT_T0_E_clISt17integral_constantIbLb0EES16_IbLb1EEEEDaS12_S13_EUlS12_E_NS1_11comp_targetILNS1_3genE2ELNS1_11target_archE906ELNS1_3gpuE6ELNS1_3repE0EEENS1_30default_config_static_selectorELNS0_4arch9wavefront6targetE1EEEvT1_
		.amdhsa_group_segment_fixed_size 0
		.amdhsa_private_segment_fixed_size 0
		.amdhsa_kernarg_size 128
		.amdhsa_user_sgpr_count 2
		.amdhsa_user_sgpr_dispatch_ptr 0
		.amdhsa_user_sgpr_queue_ptr 0
		.amdhsa_user_sgpr_kernarg_segment_ptr 1
		.amdhsa_user_sgpr_dispatch_id 0
		.amdhsa_user_sgpr_kernarg_preload_length 0
		.amdhsa_user_sgpr_kernarg_preload_offset 0
		.amdhsa_user_sgpr_private_segment_size 0
		.amdhsa_uses_dynamic_stack 0
		.amdhsa_enable_private_segment 0
		.amdhsa_system_sgpr_workgroup_id_x 1
		.amdhsa_system_sgpr_workgroup_id_y 0
		.amdhsa_system_sgpr_workgroup_id_z 0
		.amdhsa_system_sgpr_workgroup_info 0
		.amdhsa_system_vgpr_workitem_id 0
		.amdhsa_next_free_vgpr 1
		.amdhsa_next_free_sgpr 0
		.amdhsa_accum_offset 4
		.amdhsa_reserve_vcc 0
		.amdhsa_float_round_mode_32 0
		.amdhsa_float_round_mode_16_64 0
		.amdhsa_float_denorm_mode_32 3
		.amdhsa_float_denorm_mode_16_64 3
		.amdhsa_dx10_clamp 1
		.amdhsa_ieee_mode 1
		.amdhsa_fp16_overflow 0
		.amdhsa_tg_split 0
		.amdhsa_exception_fp_ieee_invalid_op 0
		.amdhsa_exception_fp_denorm_src 0
		.amdhsa_exception_fp_ieee_div_zero 0
		.amdhsa_exception_fp_ieee_overflow 0
		.amdhsa_exception_fp_ieee_underflow 0
		.amdhsa_exception_fp_ieee_inexact 0
		.amdhsa_exception_int_div_zero 0
	.end_amdhsa_kernel
	.section	.text._ZN7rocprim17ROCPRIM_400000_NS6detail17trampoline_kernelINS0_14default_configENS1_25partition_config_selectorILNS1_17partition_subalgoE8EiNS0_10empty_typeEbEEZZNS1_14partition_implILS5_8ELb0ES3_jPKiPS6_PKS6_NS0_5tupleIJPiS6_EEENSE_IJSB_SB_EEENS0_18inequality_wrapperIN6hipcub16HIPCUB_304000_NS8EqualityEEEPlJS6_EEE10hipError_tPvRmT3_T4_T5_T6_T7_T9_mT8_P12ihipStream_tbDpT10_ENKUlT_T0_E_clISt17integral_constantIbLb0EES16_IbLb1EEEEDaS12_S13_EUlS12_E_NS1_11comp_targetILNS1_3genE2ELNS1_11target_archE906ELNS1_3gpuE6ELNS1_3repE0EEENS1_30default_config_static_selectorELNS0_4arch9wavefront6targetE1EEEvT1_,"axG",@progbits,_ZN7rocprim17ROCPRIM_400000_NS6detail17trampoline_kernelINS0_14default_configENS1_25partition_config_selectorILNS1_17partition_subalgoE8EiNS0_10empty_typeEbEEZZNS1_14partition_implILS5_8ELb0ES3_jPKiPS6_PKS6_NS0_5tupleIJPiS6_EEENSE_IJSB_SB_EEENS0_18inequality_wrapperIN6hipcub16HIPCUB_304000_NS8EqualityEEEPlJS6_EEE10hipError_tPvRmT3_T4_T5_T6_T7_T9_mT8_P12ihipStream_tbDpT10_ENKUlT_T0_E_clISt17integral_constantIbLb0EES16_IbLb1EEEEDaS12_S13_EUlS12_E_NS1_11comp_targetILNS1_3genE2ELNS1_11target_archE906ELNS1_3gpuE6ELNS1_3repE0EEENS1_30default_config_static_selectorELNS0_4arch9wavefront6targetE1EEEvT1_,comdat
.Lfunc_end438:
	.size	_ZN7rocprim17ROCPRIM_400000_NS6detail17trampoline_kernelINS0_14default_configENS1_25partition_config_selectorILNS1_17partition_subalgoE8EiNS0_10empty_typeEbEEZZNS1_14partition_implILS5_8ELb0ES3_jPKiPS6_PKS6_NS0_5tupleIJPiS6_EEENSE_IJSB_SB_EEENS0_18inequality_wrapperIN6hipcub16HIPCUB_304000_NS8EqualityEEEPlJS6_EEE10hipError_tPvRmT3_T4_T5_T6_T7_T9_mT8_P12ihipStream_tbDpT10_ENKUlT_T0_E_clISt17integral_constantIbLb0EES16_IbLb1EEEEDaS12_S13_EUlS12_E_NS1_11comp_targetILNS1_3genE2ELNS1_11target_archE906ELNS1_3gpuE6ELNS1_3repE0EEENS1_30default_config_static_selectorELNS0_4arch9wavefront6targetE1EEEvT1_, .Lfunc_end438-_ZN7rocprim17ROCPRIM_400000_NS6detail17trampoline_kernelINS0_14default_configENS1_25partition_config_selectorILNS1_17partition_subalgoE8EiNS0_10empty_typeEbEEZZNS1_14partition_implILS5_8ELb0ES3_jPKiPS6_PKS6_NS0_5tupleIJPiS6_EEENSE_IJSB_SB_EEENS0_18inequality_wrapperIN6hipcub16HIPCUB_304000_NS8EqualityEEEPlJS6_EEE10hipError_tPvRmT3_T4_T5_T6_T7_T9_mT8_P12ihipStream_tbDpT10_ENKUlT_T0_E_clISt17integral_constantIbLb0EES16_IbLb1EEEEDaS12_S13_EUlS12_E_NS1_11comp_targetILNS1_3genE2ELNS1_11target_archE906ELNS1_3gpuE6ELNS1_3repE0EEENS1_30default_config_static_selectorELNS0_4arch9wavefront6targetE1EEEvT1_
                                        ; -- End function
	.section	.AMDGPU.csdata,"",@progbits
; Kernel info:
; codeLenInByte = 0
; NumSgprs: 6
; NumVgprs: 0
; NumAgprs: 0
; TotalNumVgprs: 0
; ScratchSize: 0
; MemoryBound: 0
; FloatMode: 240
; IeeeMode: 1
; LDSByteSize: 0 bytes/workgroup (compile time only)
; SGPRBlocks: 0
; VGPRBlocks: 0
; NumSGPRsForWavesPerEU: 6
; NumVGPRsForWavesPerEU: 1
; AccumOffset: 4
; Occupancy: 8
; WaveLimiterHint : 0
; COMPUTE_PGM_RSRC2:SCRATCH_EN: 0
; COMPUTE_PGM_RSRC2:USER_SGPR: 2
; COMPUTE_PGM_RSRC2:TRAP_HANDLER: 0
; COMPUTE_PGM_RSRC2:TGID_X_EN: 1
; COMPUTE_PGM_RSRC2:TGID_Y_EN: 0
; COMPUTE_PGM_RSRC2:TGID_Z_EN: 0
; COMPUTE_PGM_RSRC2:TIDIG_COMP_CNT: 0
; COMPUTE_PGM_RSRC3_GFX90A:ACCUM_OFFSET: 0
; COMPUTE_PGM_RSRC3_GFX90A:TG_SPLIT: 0
	.section	.text._ZN7rocprim17ROCPRIM_400000_NS6detail17trampoline_kernelINS0_14default_configENS1_25partition_config_selectorILNS1_17partition_subalgoE8EiNS0_10empty_typeEbEEZZNS1_14partition_implILS5_8ELb0ES3_jPKiPS6_PKS6_NS0_5tupleIJPiS6_EEENSE_IJSB_SB_EEENS0_18inequality_wrapperIN6hipcub16HIPCUB_304000_NS8EqualityEEEPlJS6_EEE10hipError_tPvRmT3_T4_T5_T6_T7_T9_mT8_P12ihipStream_tbDpT10_ENKUlT_T0_E_clISt17integral_constantIbLb0EES16_IbLb1EEEEDaS12_S13_EUlS12_E_NS1_11comp_targetILNS1_3genE10ELNS1_11target_archE1200ELNS1_3gpuE4ELNS1_3repE0EEENS1_30default_config_static_selectorELNS0_4arch9wavefront6targetE1EEEvT1_,"axG",@progbits,_ZN7rocprim17ROCPRIM_400000_NS6detail17trampoline_kernelINS0_14default_configENS1_25partition_config_selectorILNS1_17partition_subalgoE8EiNS0_10empty_typeEbEEZZNS1_14partition_implILS5_8ELb0ES3_jPKiPS6_PKS6_NS0_5tupleIJPiS6_EEENSE_IJSB_SB_EEENS0_18inequality_wrapperIN6hipcub16HIPCUB_304000_NS8EqualityEEEPlJS6_EEE10hipError_tPvRmT3_T4_T5_T6_T7_T9_mT8_P12ihipStream_tbDpT10_ENKUlT_T0_E_clISt17integral_constantIbLb0EES16_IbLb1EEEEDaS12_S13_EUlS12_E_NS1_11comp_targetILNS1_3genE10ELNS1_11target_archE1200ELNS1_3gpuE4ELNS1_3repE0EEENS1_30default_config_static_selectorELNS0_4arch9wavefront6targetE1EEEvT1_,comdat
	.protected	_ZN7rocprim17ROCPRIM_400000_NS6detail17trampoline_kernelINS0_14default_configENS1_25partition_config_selectorILNS1_17partition_subalgoE8EiNS0_10empty_typeEbEEZZNS1_14partition_implILS5_8ELb0ES3_jPKiPS6_PKS6_NS0_5tupleIJPiS6_EEENSE_IJSB_SB_EEENS0_18inequality_wrapperIN6hipcub16HIPCUB_304000_NS8EqualityEEEPlJS6_EEE10hipError_tPvRmT3_T4_T5_T6_T7_T9_mT8_P12ihipStream_tbDpT10_ENKUlT_T0_E_clISt17integral_constantIbLb0EES16_IbLb1EEEEDaS12_S13_EUlS12_E_NS1_11comp_targetILNS1_3genE10ELNS1_11target_archE1200ELNS1_3gpuE4ELNS1_3repE0EEENS1_30default_config_static_selectorELNS0_4arch9wavefront6targetE1EEEvT1_ ; -- Begin function _ZN7rocprim17ROCPRIM_400000_NS6detail17trampoline_kernelINS0_14default_configENS1_25partition_config_selectorILNS1_17partition_subalgoE8EiNS0_10empty_typeEbEEZZNS1_14partition_implILS5_8ELb0ES3_jPKiPS6_PKS6_NS0_5tupleIJPiS6_EEENSE_IJSB_SB_EEENS0_18inequality_wrapperIN6hipcub16HIPCUB_304000_NS8EqualityEEEPlJS6_EEE10hipError_tPvRmT3_T4_T5_T6_T7_T9_mT8_P12ihipStream_tbDpT10_ENKUlT_T0_E_clISt17integral_constantIbLb0EES16_IbLb1EEEEDaS12_S13_EUlS12_E_NS1_11comp_targetILNS1_3genE10ELNS1_11target_archE1200ELNS1_3gpuE4ELNS1_3repE0EEENS1_30default_config_static_selectorELNS0_4arch9wavefront6targetE1EEEvT1_
	.globl	_ZN7rocprim17ROCPRIM_400000_NS6detail17trampoline_kernelINS0_14default_configENS1_25partition_config_selectorILNS1_17partition_subalgoE8EiNS0_10empty_typeEbEEZZNS1_14partition_implILS5_8ELb0ES3_jPKiPS6_PKS6_NS0_5tupleIJPiS6_EEENSE_IJSB_SB_EEENS0_18inequality_wrapperIN6hipcub16HIPCUB_304000_NS8EqualityEEEPlJS6_EEE10hipError_tPvRmT3_T4_T5_T6_T7_T9_mT8_P12ihipStream_tbDpT10_ENKUlT_T0_E_clISt17integral_constantIbLb0EES16_IbLb1EEEEDaS12_S13_EUlS12_E_NS1_11comp_targetILNS1_3genE10ELNS1_11target_archE1200ELNS1_3gpuE4ELNS1_3repE0EEENS1_30default_config_static_selectorELNS0_4arch9wavefront6targetE1EEEvT1_
	.p2align	8
	.type	_ZN7rocprim17ROCPRIM_400000_NS6detail17trampoline_kernelINS0_14default_configENS1_25partition_config_selectorILNS1_17partition_subalgoE8EiNS0_10empty_typeEbEEZZNS1_14partition_implILS5_8ELb0ES3_jPKiPS6_PKS6_NS0_5tupleIJPiS6_EEENSE_IJSB_SB_EEENS0_18inequality_wrapperIN6hipcub16HIPCUB_304000_NS8EqualityEEEPlJS6_EEE10hipError_tPvRmT3_T4_T5_T6_T7_T9_mT8_P12ihipStream_tbDpT10_ENKUlT_T0_E_clISt17integral_constantIbLb0EES16_IbLb1EEEEDaS12_S13_EUlS12_E_NS1_11comp_targetILNS1_3genE10ELNS1_11target_archE1200ELNS1_3gpuE4ELNS1_3repE0EEENS1_30default_config_static_selectorELNS0_4arch9wavefront6targetE1EEEvT1_,@function
_ZN7rocprim17ROCPRIM_400000_NS6detail17trampoline_kernelINS0_14default_configENS1_25partition_config_selectorILNS1_17partition_subalgoE8EiNS0_10empty_typeEbEEZZNS1_14partition_implILS5_8ELb0ES3_jPKiPS6_PKS6_NS0_5tupleIJPiS6_EEENSE_IJSB_SB_EEENS0_18inequality_wrapperIN6hipcub16HIPCUB_304000_NS8EqualityEEEPlJS6_EEE10hipError_tPvRmT3_T4_T5_T6_T7_T9_mT8_P12ihipStream_tbDpT10_ENKUlT_T0_E_clISt17integral_constantIbLb0EES16_IbLb1EEEEDaS12_S13_EUlS12_E_NS1_11comp_targetILNS1_3genE10ELNS1_11target_archE1200ELNS1_3gpuE4ELNS1_3repE0EEENS1_30default_config_static_selectorELNS0_4arch9wavefront6targetE1EEEvT1_: ; @_ZN7rocprim17ROCPRIM_400000_NS6detail17trampoline_kernelINS0_14default_configENS1_25partition_config_selectorILNS1_17partition_subalgoE8EiNS0_10empty_typeEbEEZZNS1_14partition_implILS5_8ELb0ES3_jPKiPS6_PKS6_NS0_5tupleIJPiS6_EEENSE_IJSB_SB_EEENS0_18inequality_wrapperIN6hipcub16HIPCUB_304000_NS8EqualityEEEPlJS6_EEE10hipError_tPvRmT3_T4_T5_T6_T7_T9_mT8_P12ihipStream_tbDpT10_ENKUlT_T0_E_clISt17integral_constantIbLb0EES16_IbLb1EEEEDaS12_S13_EUlS12_E_NS1_11comp_targetILNS1_3genE10ELNS1_11target_archE1200ELNS1_3gpuE4ELNS1_3repE0EEENS1_30default_config_static_selectorELNS0_4arch9wavefront6targetE1EEEvT1_
; %bb.0:
	.section	.rodata,"a",@progbits
	.p2align	6, 0x0
	.amdhsa_kernel _ZN7rocprim17ROCPRIM_400000_NS6detail17trampoline_kernelINS0_14default_configENS1_25partition_config_selectorILNS1_17partition_subalgoE8EiNS0_10empty_typeEbEEZZNS1_14partition_implILS5_8ELb0ES3_jPKiPS6_PKS6_NS0_5tupleIJPiS6_EEENSE_IJSB_SB_EEENS0_18inequality_wrapperIN6hipcub16HIPCUB_304000_NS8EqualityEEEPlJS6_EEE10hipError_tPvRmT3_T4_T5_T6_T7_T9_mT8_P12ihipStream_tbDpT10_ENKUlT_T0_E_clISt17integral_constantIbLb0EES16_IbLb1EEEEDaS12_S13_EUlS12_E_NS1_11comp_targetILNS1_3genE10ELNS1_11target_archE1200ELNS1_3gpuE4ELNS1_3repE0EEENS1_30default_config_static_selectorELNS0_4arch9wavefront6targetE1EEEvT1_
		.amdhsa_group_segment_fixed_size 0
		.amdhsa_private_segment_fixed_size 0
		.amdhsa_kernarg_size 128
		.amdhsa_user_sgpr_count 2
		.amdhsa_user_sgpr_dispatch_ptr 0
		.amdhsa_user_sgpr_queue_ptr 0
		.amdhsa_user_sgpr_kernarg_segment_ptr 1
		.amdhsa_user_sgpr_dispatch_id 0
		.amdhsa_user_sgpr_kernarg_preload_length 0
		.amdhsa_user_sgpr_kernarg_preload_offset 0
		.amdhsa_user_sgpr_private_segment_size 0
		.amdhsa_uses_dynamic_stack 0
		.amdhsa_enable_private_segment 0
		.amdhsa_system_sgpr_workgroup_id_x 1
		.amdhsa_system_sgpr_workgroup_id_y 0
		.amdhsa_system_sgpr_workgroup_id_z 0
		.amdhsa_system_sgpr_workgroup_info 0
		.amdhsa_system_vgpr_workitem_id 0
		.amdhsa_next_free_vgpr 1
		.amdhsa_next_free_sgpr 0
		.amdhsa_accum_offset 4
		.amdhsa_reserve_vcc 0
		.amdhsa_float_round_mode_32 0
		.amdhsa_float_round_mode_16_64 0
		.amdhsa_float_denorm_mode_32 3
		.amdhsa_float_denorm_mode_16_64 3
		.amdhsa_dx10_clamp 1
		.amdhsa_ieee_mode 1
		.amdhsa_fp16_overflow 0
		.amdhsa_tg_split 0
		.amdhsa_exception_fp_ieee_invalid_op 0
		.amdhsa_exception_fp_denorm_src 0
		.amdhsa_exception_fp_ieee_div_zero 0
		.amdhsa_exception_fp_ieee_overflow 0
		.amdhsa_exception_fp_ieee_underflow 0
		.amdhsa_exception_fp_ieee_inexact 0
		.amdhsa_exception_int_div_zero 0
	.end_amdhsa_kernel
	.section	.text._ZN7rocprim17ROCPRIM_400000_NS6detail17trampoline_kernelINS0_14default_configENS1_25partition_config_selectorILNS1_17partition_subalgoE8EiNS0_10empty_typeEbEEZZNS1_14partition_implILS5_8ELb0ES3_jPKiPS6_PKS6_NS0_5tupleIJPiS6_EEENSE_IJSB_SB_EEENS0_18inequality_wrapperIN6hipcub16HIPCUB_304000_NS8EqualityEEEPlJS6_EEE10hipError_tPvRmT3_T4_T5_T6_T7_T9_mT8_P12ihipStream_tbDpT10_ENKUlT_T0_E_clISt17integral_constantIbLb0EES16_IbLb1EEEEDaS12_S13_EUlS12_E_NS1_11comp_targetILNS1_3genE10ELNS1_11target_archE1200ELNS1_3gpuE4ELNS1_3repE0EEENS1_30default_config_static_selectorELNS0_4arch9wavefront6targetE1EEEvT1_,"axG",@progbits,_ZN7rocprim17ROCPRIM_400000_NS6detail17trampoline_kernelINS0_14default_configENS1_25partition_config_selectorILNS1_17partition_subalgoE8EiNS0_10empty_typeEbEEZZNS1_14partition_implILS5_8ELb0ES3_jPKiPS6_PKS6_NS0_5tupleIJPiS6_EEENSE_IJSB_SB_EEENS0_18inequality_wrapperIN6hipcub16HIPCUB_304000_NS8EqualityEEEPlJS6_EEE10hipError_tPvRmT3_T4_T5_T6_T7_T9_mT8_P12ihipStream_tbDpT10_ENKUlT_T0_E_clISt17integral_constantIbLb0EES16_IbLb1EEEEDaS12_S13_EUlS12_E_NS1_11comp_targetILNS1_3genE10ELNS1_11target_archE1200ELNS1_3gpuE4ELNS1_3repE0EEENS1_30default_config_static_selectorELNS0_4arch9wavefront6targetE1EEEvT1_,comdat
.Lfunc_end439:
	.size	_ZN7rocprim17ROCPRIM_400000_NS6detail17trampoline_kernelINS0_14default_configENS1_25partition_config_selectorILNS1_17partition_subalgoE8EiNS0_10empty_typeEbEEZZNS1_14partition_implILS5_8ELb0ES3_jPKiPS6_PKS6_NS0_5tupleIJPiS6_EEENSE_IJSB_SB_EEENS0_18inequality_wrapperIN6hipcub16HIPCUB_304000_NS8EqualityEEEPlJS6_EEE10hipError_tPvRmT3_T4_T5_T6_T7_T9_mT8_P12ihipStream_tbDpT10_ENKUlT_T0_E_clISt17integral_constantIbLb0EES16_IbLb1EEEEDaS12_S13_EUlS12_E_NS1_11comp_targetILNS1_3genE10ELNS1_11target_archE1200ELNS1_3gpuE4ELNS1_3repE0EEENS1_30default_config_static_selectorELNS0_4arch9wavefront6targetE1EEEvT1_, .Lfunc_end439-_ZN7rocprim17ROCPRIM_400000_NS6detail17trampoline_kernelINS0_14default_configENS1_25partition_config_selectorILNS1_17partition_subalgoE8EiNS0_10empty_typeEbEEZZNS1_14partition_implILS5_8ELb0ES3_jPKiPS6_PKS6_NS0_5tupleIJPiS6_EEENSE_IJSB_SB_EEENS0_18inequality_wrapperIN6hipcub16HIPCUB_304000_NS8EqualityEEEPlJS6_EEE10hipError_tPvRmT3_T4_T5_T6_T7_T9_mT8_P12ihipStream_tbDpT10_ENKUlT_T0_E_clISt17integral_constantIbLb0EES16_IbLb1EEEEDaS12_S13_EUlS12_E_NS1_11comp_targetILNS1_3genE10ELNS1_11target_archE1200ELNS1_3gpuE4ELNS1_3repE0EEENS1_30default_config_static_selectorELNS0_4arch9wavefront6targetE1EEEvT1_
                                        ; -- End function
	.section	.AMDGPU.csdata,"",@progbits
; Kernel info:
; codeLenInByte = 0
; NumSgprs: 6
; NumVgprs: 0
; NumAgprs: 0
; TotalNumVgprs: 0
; ScratchSize: 0
; MemoryBound: 0
; FloatMode: 240
; IeeeMode: 1
; LDSByteSize: 0 bytes/workgroup (compile time only)
; SGPRBlocks: 0
; VGPRBlocks: 0
; NumSGPRsForWavesPerEU: 6
; NumVGPRsForWavesPerEU: 1
; AccumOffset: 4
; Occupancy: 8
; WaveLimiterHint : 0
; COMPUTE_PGM_RSRC2:SCRATCH_EN: 0
; COMPUTE_PGM_RSRC2:USER_SGPR: 2
; COMPUTE_PGM_RSRC2:TRAP_HANDLER: 0
; COMPUTE_PGM_RSRC2:TGID_X_EN: 1
; COMPUTE_PGM_RSRC2:TGID_Y_EN: 0
; COMPUTE_PGM_RSRC2:TGID_Z_EN: 0
; COMPUTE_PGM_RSRC2:TIDIG_COMP_CNT: 0
; COMPUTE_PGM_RSRC3_GFX90A:ACCUM_OFFSET: 0
; COMPUTE_PGM_RSRC3_GFX90A:TG_SPLIT: 0
	.section	.text._ZN7rocprim17ROCPRIM_400000_NS6detail17trampoline_kernelINS0_14default_configENS1_25partition_config_selectorILNS1_17partition_subalgoE8EiNS0_10empty_typeEbEEZZNS1_14partition_implILS5_8ELb0ES3_jPKiPS6_PKS6_NS0_5tupleIJPiS6_EEENSE_IJSB_SB_EEENS0_18inequality_wrapperIN6hipcub16HIPCUB_304000_NS8EqualityEEEPlJS6_EEE10hipError_tPvRmT3_T4_T5_T6_T7_T9_mT8_P12ihipStream_tbDpT10_ENKUlT_T0_E_clISt17integral_constantIbLb0EES16_IbLb1EEEEDaS12_S13_EUlS12_E_NS1_11comp_targetILNS1_3genE9ELNS1_11target_archE1100ELNS1_3gpuE3ELNS1_3repE0EEENS1_30default_config_static_selectorELNS0_4arch9wavefront6targetE1EEEvT1_,"axG",@progbits,_ZN7rocprim17ROCPRIM_400000_NS6detail17trampoline_kernelINS0_14default_configENS1_25partition_config_selectorILNS1_17partition_subalgoE8EiNS0_10empty_typeEbEEZZNS1_14partition_implILS5_8ELb0ES3_jPKiPS6_PKS6_NS0_5tupleIJPiS6_EEENSE_IJSB_SB_EEENS0_18inequality_wrapperIN6hipcub16HIPCUB_304000_NS8EqualityEEEPlJS6_EEE10hipError_tPvRmT3_T4_T5_T6_T7_T9_mT8_P12ihipStream_tbDpT10_ENKUlT_T0_E_clISt17integral_constantIbLb0EES16_IbLb1EEEEDaS12_S13_EUlS12_E_NS1_11comp_targetILNS1_3genE9ELNS1_11target_archE1100ELNS1_3gpuE3ELNS1_3repE0EEENS1_30default_config_static_selectorELNS0_4arch9wavefront6targetE1EEEvT1_,comdat
	.protected	_ZN7rocprim17ROCPRIM_400000_NS6detail17trampoline_kernelINS0_14default_configENS1_25partition_config_selectorILNS1_17partition_subalgoE8EiNS0_10empty_typeEbEEZZNS1_14partition_implILS5_8ELb0ES3_jPKiPS6_PKS6_NS0_5tupleIJPiS6_EEENSE_IJSB_SB_EEENS0_18inequality_wrapperIN6hipcub16HIPCUB_304000_NS8EqualityEEEPlJS6_EEE10hipError_tPvRmT3_T4_T5_T6_T7_T9_mT8_P12ihipStream_tbDpT10_ENKUlT_T0_E_clISt17integral_constantIbLb0EES16_IbLb1EEEEDaS12_S13_EUlS12_E_NS1_11comp_targetILNS1_3genE9ELNS1_11target_archE1100ELNS1_3gpuE3ELNS1_3repE0EEENS1_30default_config_static_selectorELNS0_4arch9wavefront6targetE1EEEvT1_ ; -- Begin function _ZN7rocprim17ROCPRIM_400000_NS6detail17trampoline_kernelINS0_14default_configENS1_25partition_config_selectorILNS1_17partition_subalgoE8EiNS0_10empty_typeEbEEZZNS1_14partition_implILS5_8ELb0ES3_jPKiPS6_PKS6_NS0_5tupleIJPiS6_EEENSE_IJSB_SB_EEENS0_18inequality_wrapperIN6hipcub16HIPCUB_304000_NS8EqualityEEEPlJS6_EEE10hipError_tPvRmT3_T4_T5_T6_T7_T9_mT8_P12ihipStream_tbDpT10_ENKUlT_T0_E_clISt17integral_constantIbLb0EES16_IbLb1EEEEDaS12_S13_EUlS12_E_NS1_11comp_targetILNS1_3genE9ELNS1_11target_archE1100ELNS1_3gpuE3ELNS1_3repE0EEENS1_30default_config_static_selectorELNS0_4arch9wavefront6targetE1EEEvT1_
	.globl	_ZN7rocprim17ROCPRIM_400000_NS6detail17trampoline_kernelINS0_14default_configENS1_25partition_config_selectorILNS1_17partition_subalgoE8EiNS0_10empty_typeEbEEZZNS1_14partition_implILS5_8ELb0ES3_jPKiPS6_PKS6_NS0_5tupleIJPiS6_EEENSE_IJSB_SB_EEENS0_18inequality_wrapperIN6hipcub16HIPCUB_304000_NS8EqualityEEEPlJS6_EEE10hipError_tPvRmT3_T4_T5_T6_T7_T9_mT8_P12ihipStream_tbDpT10_ENKUlT_T0_E_clISt17integral_constantIbLb0EES16_IbLb1EEEEDaS12_S13_EUlS12_E_NS1_11comp_targetILNS1_3genE9ELNS1_11target_archE1100ELNS1_3gpuE3ELNS1_3repE0EEENS1_30default_config_static_selectorELNS0_4arch9wavefront6targetE1EEEvT1_
	.p2align	8
	.type	_ZN7rocprim17ROCPRIM_400000_NS6detail17trampoline_kernelINS0_14default_configENS1_25partition_config_selectorILNS1_17partition_subalgoE8EiNS0_10empty_typeEbEEZZNS1_14partition_implILS5_8ELb0ES3_jPKiPS6_PKS6_NS0_5tupleIJPiS6_EEENSE_IJSB_SB_EEENS0_18inequality_wrapperIN6hipcub16HIPCUB_304000_NS8EqualityEEEPlJS6_EEE10hipError_tPvRmT3_T4_T5_T6_T7_T9_mT8_P12ihipStream_tbDpT10_ENKUlT_T0_E_clISt17integral_constantIbLb0EES16_IbLb1EEEEDaS12_S13_EUlS12_E_NS1_11comp_targetILNS1_3genE9ELNS1_11target_archE1100ELNS1_3gpuE3ELNS1_3repE0EEENS1_30default_config_static_selectorELNS0_4arch9wavefront6targetE1EEEvT1_,@function
_ZN7rocprim17ROCPRIM_400000_NS6detail17trampoline_kernelINS0_14default_configENS1_25partition_config_selectorILNS1_17partition_subalgoE8EiNS0_10empty_typeEbEEZZNS1_14partition_implILS5_8ELb0ES3_jPKiPS6_PKS6_NS0_5tupleIJPiS6_EEENSE_IJSB_SB_EEENS0_18inequality_wrapperIN6hipcub16HIPCUB_304000_NS8EqualityEEEPlJS6_EEE10hipError_tPvRmT3_T4_T5_T6_T7_T9_mT8_P12ihipStream_tbDpT10_ENKUlT_T0_E_clISt17integral_constantIbLb0EES16_IbLb1EEEEDaS12_S13_EUlS12_E_NS1_11comp_targetILNS1_3genE9ELNS1_11target_archE1100ELNS1_3gpuE3ELNS1_3repE0EEENS1_30default_config_static_selectorELNS0_4arch9wavefront6targetE1EEEvT1_: ; @_ZN7rocprim17ROCPRIM_400000_NS6detail17trampoline_kernelINS0_14default_configENS1_25partition_config_selectorILNS1_17partition_subalgoE8EiNS0_10empty_typeEbEEZZNS1_14partition_implILS5_8ELb0ES3_jPKiPS6_PKS6_NS0_5tupleIJPiS6_EEENSE_IJSB_SB_EEENS0_18inequality_wrapperIN6hipcub16HIPCUB_304000_NS8EqualityEEEPlJS6_EEE10hipError_tPvRmT3_T4_T5_T6_T7_T9_mT8_P12ihipStream_tbDpT10_ENKUlT_T0_E_clISt17integral_constantIbLb0EES16_IbLb1EEEEDaS12_S13_EUlS12_E_NS1_11comp_targetILNS1_3genE9ELNS1_11target_archE1100ELNS1_3gpuE3ELNS1_3repE0EEENS1_30default_config_static_selectorELNS0_4arch9wavefront6targetE1EEEvT1_
; %bb.0:
	.section	.rodata,"a",@progbits
	.p2align	6, 0x0
	.amdhsa_kernel _ZN7rocprim17ROCPRIM_400000_NS6detail17trampoline_kernelINS0_14default_configENS1_25partition_config_selectorILNS1_17partition_subalgoE8EiNS0_10empty_typeEbEEZZNS1_14partition_implILS5_8ELb0ES3_jPKiPS6_PKS6_NS0_5tupleIJPiS6_EEENSE_IJSB_SB_EEENS0_18inequality_wrapperIN6hipcub16HIPCUB_304000_NS8EqualityEEEPlJS6_EEE10hipError_tPvRmT3_T4_T5_T6_T7_T9_mT8_P12ihipStream_tbDpT10_ENKUlT_T0_E_clISt17integral_constantIbLb0EES16_IbLb1EEEEDaS12_S13_EUlS12_E_NS1_11comp_targetILNS1_3genE9ELNS1_11target_archE1100ELNS1_3gpuE3ELNS1_3repE0EEENS1_30default_config_static_selectorELNS0_4arch9wavefront6targetE1EEEvT1_
		.amdhsa_group_segment_fixed_size 0
		.amdhsa_private_segment_fixed_size 0
		.amdhsa_kernarg_size 128
		.amdhsa_user_sgpr_count 2
		.amdhsa_user_sgpr_dispatch_ptr 0
		.amdhsa_user_sgpr_queue_ptr 0
		.amdhsa_user_sgpr_kernarg_segment_ptr 1
		.amdhsa_user_sgpr_dispatch_id 0
		.amdhsa_user_sgpr_kernarg_preload_length 0
		.amdhsa_user_sgpr_kernarg_preload_offset 0
		.amdhsa_user_sgpr_private_segment_size 0
		.amdhsa_uses_dynamic_stack 0
		.amdhsa_enable_private_segment 0
		.amdhsa_system_sgpr_workgroup_id_x 1
		.amdhsa_system_sgpr_workgroup_id_y 0
		.amdhsa_system_sgpr_workgroup_id_z 0
		.amdhsa_system_sgpr_workgroup_info 0
		.amdhsa_system_vgpr_workitem_id 0
		.amdhsa_next_free_vgpr 1
		.amdhsa_next_free_sgpr 0
		.amdhsa_accum_offset 4
		.amdhsa_reserve_vcc 0
		.amdhsa_float_round_mode_32 0
		.amdhsa_float_round_mode_16_64 0
		.amdhsa_float_denorm_mode_32 3
		.amdhsa_float_denorm_mode_16_64 3
		.amdhsa_dx10_clamp 1
		.amdhsa_ieee_mode 1
		.amdhsa_fp16_overflow 0
		.amdhsa_tg_split 0
		.amdhsa_exception_fp_ieee_invalid_op 0
		.amdhsa_exception_fp_denorm_src 0
		.amdhsa_exception_fp_ieee_div_zero 0
		.amdhsa_exception_fp_ieee_overflow 0
		.amdhsa_exception_fp_ieee_underflow 0
		.amdhsa_exception_fp_ieee_inexact 0
		.amdhsa_exception_int_div_zero 0
	.end_amdhsa_kernel
	.section	.text._ZN7rocprim17ROCPRIM_400000_NS6detail17trampoline_kernelINS0_14default_configENS1_25partition_config_selectorILNS1_17partition_subalgoE8EiNS0_10empty_typeEbEEZZNS1_14partition_implILS5_8ELb0ES3_jPKiPS6_PKS6_NS0_5tupleIJPiS6_EEENSE_IJSB_SB_EEENS0_18inequality_wrapperIN6hipcub16HIPCUB_304000_NS8EqualityEEEPlJS6_EEE10hipError_tPvRmT3_T4_T5_T6_T7_T9_mT8_P12ihipStream_tbDpT10_ENKUlT_T0_E_clISt17integral_constantIbLb0EES16_IbLb1EEEEDaS12_S13_EUlS12_E_NS1_11comp_targetILNS1_3genE9ELNS1_11target_archE1100ELNS1_3gpuE3ELNS1_3repE0EEENS1_30default_config_static_selectorELNS0_4arch9wavefront6targetE1EEEvT1_,"axG",@progbits,_ZN7rocprim17ROCPRIM_400000_NS6detail17trampoline_kernelINS0_14default_configENS1_25partition_config_selectorILNS1_17partition_subalgoE8EiNS0_10empty_typeEbEEZZNS1_14partition_implILS5_8ELb0ES3_jPKiPS6_PKS6_NS0_5tupleIJPiS6_EEENSE_IJSB_SB_EEENS0_18inequality_wrapperIN6hipcub16HIPCUB_304000_NS8EqualityEEEPlJS6_EEE10hipError_tPvRmT3_T4_T5_T6_T7_T9_mT8_P12ihipStream_tbDpT10_ENKUlT_T0_E_clISt17integral_constantIbLb0EES16_IbLb1EEEEDaS12_S13_EUlS12_E_NS1_11comp_targetILNS1_3genE9ELNS1_11target_archE1100ELNS1_3gpuE3ELNS1_3repE0EEENS1_30default_config_static_selectorELNS0_4arch9wavefront6targetE1EEEvT1_,comdat
.Lfunc_end440:
	.size	_ZN7rocprim17ROCPRIM_400000_NS6detail17trampoline_kernelINS0_14default_configENS1_25partition_config_selectorILNS1_17partition_subalgoE8EiNS0_10empty_typeEbEEZZNS1_14partition_implILS5_8ELb0ES3_jPKiPS6_PKS6_NS0_5tupleIJPiS6_EEENSE_IJSB_SB_EEENS0_18inequality_wrapperIN6hipcub16HIPCUB_304000_NS8EqualityEEEPlJS6_EEE10hipError_tPvRmT3_T4_T5_T6_T7_T9_mT8_P12ihipStream_tbDpT10_ENKUlT_T0_E_clISt17integral_constantIbLb0EES16_IbLb1EEEEDaS12_S13_EUlS12_E_NS1_11comp_targetILNS1_3genE9ELNS1_11target_archE1100ELNS1_3gpuE3ELNS1_3repE0EEENS1_30default_config_static_selectorELNS0_4arch9wavefront6targetE1EEEvT1_, .Lfunc_end440-_ZN7rocprim17ROCPRIM_400000_NS6detail17trampoline_kernelINS0_14default_configENS1_25partition_config_selectorILNS1_17partition_subalgoE8EiNS0_10empty_typeEbEEZZNS1_14partition_implILS5_8ELb0ES3_jPKiPS6_PKS6_NS0_5tupleIJPiS6_EEENSE_IJSB_SB_EEENS0_18inequality_wrapperIN6hipcub16HIPCUB_304000_NS8EqualityEEEPlJS6_EEE10hipError_tPvRmT3_T4_T5_T6_T7_T9_mT8_P12ihipStream_tbDpT10_ENKUlT_T0_E_clISt17integral_constantIbLb0EES16_IbLb1EEEEDaS12_S13_EUlS12_E_NS1_11comp_targetILNS1_3genE9ELNS1_11target_archE1100ELNS1_3gpuE3ELNS1_3repE0EEENS1_30default_config_static_selectorELNS0_4arch9wavefront6targetE1EEEvT1_
                                        ; -- End function
	.section	.AMDGPU.csdata,"",@progbits
; Kernel info:
; codeLenInByte = 0
; NumSgprs: 6
; NumVgprs: 0
; NumAgprs: 0
; TotalNumVgprs: 0
; ScratchSize: 0
; MemoryBound: 0
; FloatMode: 240
; IeeeMode: 1
; LDSByteSize: 0 bytes/workgroup (compile time only)
; SGPRBlocks: 0
; VGPRBlocks: 0
; NumSGPRsForWavesPerEU: 6
; NumVGPRsForWavesPerEU: 1
; AccumOffset: 4
; Occupancy: 8
; WaveLimiterHint : 0
; COMPUTE_PGM_RSRC2:SCRATCH_EN: 0
; COMPUTE_PGM_RSRC2:USER_SGPR: 2
; COMPUTE_PGM_RSRC2:TRAP_HANDLER: 0
; COMPUTE_PGM_RSRC2:TGID_X_EN: 1
; COMPUTE_PGM_RSRC2:TGID_Y_EN: 0
; COMPUTE_PGM_RSRC2:TGID_Z_EN: 0
; COMPUTE_PGM_RSRC2:TIDIG_COMP_CNT: 0
; COMPUTE_PGM_RSRC3_GFX90A:ACCUM_OFFSET: 0
; COMPUTE_PGM_RSRC3_GFX90A:TG_SPLIT: 0
	.section	.text._ZN7rocprim17ROCPRIM_400000_NS6detail17trampoline_kernelINS0_14default_configENS1_25partition_config_selectorILNS1_17partition_subalgoE8EiNS0_10empty_typeEbEEZZNS1_14partition_implILS5_8ELb0ES3_jPKiPS6_PKS6_NS0_5tupleIJPiS6_EEENSE_IJSB_SB_EEENS0_18inequality_wrapperIN6hipcub16HIPCUB_304000_NS8EqualityEEEPlJS6_EEE10hipError_tPvRmT3_T4_T5_T6_T7_T9_mT8_P12ihipStream_tbDpT10_ENKUlT_T0_E_clISt17integral_constantIbLb0EES16_IbLb1EEEEDaS12_S13_EUlS12_E_NS1_11comp_targetILNS1_3genE8ELNS1_11target_archE1030ELNS1_3gpuE2ELNS1_3repE0EEENS1_30default_config_static_selectorELNS0_4arch9wavefront6targetE1EEEvT1_,"axG",@progbits,_ZN7rocprim17ROCPRIM_400000_NS6detail17trampoline_kernelINS0_14default_configENS1_25partition_config_selectorILNS1_17partition_subalgoE8EiNS0_10empty_typeEbEEZZNS1_14partition_implILS5_8ELb0ES3_jPKiPS6_PKS6_NS0_5tupleIJPiS6_EEENSE_IJSB_SB_EEENS0_18inequality_wrapperIN6hipcub16HIPCUB_304000_NS8EqualityEEEPlJS6_EEE10hipError_tPvRmT3_T4_T5_T6_T7_T9_mT8_P12ihipStream_tbDpT10_ENKUlT_T0_E_clISt17integral_constantIbLb0EES16_IbLb1EEEEDaS12_S13_EUlS12_E_NS1_11comp_targetILNS1_3genE8ELNS1_11target_archE1030ELNS1_3gpuE2ELNS1_3repE0EEENS1_30default_config_static_selectorELNS0_4arch9wavefront6targetE1EEEvT1_,comdat
	.protected	_ZN7rocprim17ROCPRIM_400000_NS6detail17trampoline_kernelINS0_14default_configENS1_25partition_config_selectorILNS1_17partition_subalgoE8EiNS0_10empty_typeEbEEZZNS1_14partition_implILS5_8ELb0ES3_jPKiPS6_PKS6_NS0_5tupleIJPiS6_EEENSE_IJSB_SB_EEENS0_18inequality_wrapperIN6hipcub16HIPCUB_304000_NS8EqualityEEEPlJS6_EEE10hipError_tPvRmT3_T4_T5_T6_T7_T9_mT8_P12ihipStream_tbDpT10_ENKUlT_T0_E_clISt17integral_constantIbLb0EES16_IbLb1EEEEDaS12_S13_EUlS12_E_NS1_11comp_targetILNS1_3genE8ELNS1_11target_archE1030ELNS1_3gpuE2ELNS1_3repE0EEENS1_30default_config_static_selectorELNS0_4arch9wavefront6targetE1EEEvT1_ ; -- Begin function _ZN7rocprim17ROCPRIM_400000_NS6detail17trampoline_kernelINS0_14default_configENS1_25partition_config_selectorILNS1_17partition_subalgoE8EiNS0_10empty_typeEbEEZZNS1_14partition_implILS5_8ELb0ES3_jPKiPS6_PKS6_NS0_5tupleIJPiS6_EEENSE_IJSB_SB_EEENS0_18inequality_wrapperIN6hipcub16HIPCUB_304000_NS8EqualityEEEPlJS6_EEE10hipError_tPvRmT3_T4_T5_T6_T7_T9_mT8_P12ihipStream_tbDpT10_ENKUlT_T0_E_clISt17integral_constantIbLb0EES16_IbLb1EEEEDaS12_S13_EUlS12_E_NS1_11comp_targetILNS1_3genE8ELNS1_11target_archE1030ELNS1_3gpuE2ELNS1_3repE0EEENS1_30default_config_static_selectorELNS0_4arch9wavefront6targetE1EEEvT1_
	.globl	_ZN7rocprim17ROCPRIM_400000_NS6detail17trampoline_kernelINS0_14default_configENS1_25partition_config_selectorILNS1_17partition_subalgoE8EiNS0_10empty_typeEbEEZZNS1_14partition_implILS5_8ELb0ES3_jPKiPS6_PKS6_NS0_5tupleIJPiS6_EEENSE_IJSB_SB_EEENS0_18inequality_wrapperIN6hipcub16HIPCUB_304000_NS8EqualityEEEPlJS6_EEE10hipError_tPvRmT3_T4_T5_T6_T7_T9_mT8_P12ihipStream_tbDpT10_ENKUlT_T0_E_clISt17integral_constantIbLb0EES16_IbLb1EEEEDaS12_S13_EUlS12_E_NS1_11comp_targetILNS1_3genE8ELNS1_11target_archE1030ELNS1_3gpuE2ELNS1_3repE0EEENS1_30default_config_static_selectorELNS0_4arch9wavefront6targetE1EEEvT1_
	.p2align	8
	.type	_ZN7rocprim17ROCPRIM_400000_NS6detail17trampoline_kernelINS0_14default_configENS1_25partition_config_selectorILNS1_17partition_subalgoE8EiNS0_10empty_typeEbEEZZNS1_14partition_implILS5_8ELb0ES3_jPKiPS6_PKS6_NS0_5tupleIJPiS6_EEENSE_IJSB_SB_EEENS0_18inequality_wrapperIN6hipcub16HIPCUB_304000_NS8EqualityEEEPlJS6_EEE10hipError_tPvRmT3_T4_T5_T6_T7_T9_mT8_P12ihipStream_tbDpT10_ENKUlT_T0_E_clISt17integral_constantIbLb0EES16_IbLb1EEEEDaS12_S13_EUlS12_E_NS1_11comp_targetILNS1_3genE8ELNS1_11target_archE1030ELNS1_3gpuE2ELNS1_3repE0EEENS1_30default_config_static_selectorELNS0_4arch9wavefront6targetE1EEEvT1_,@function
_ZN7rocprim17ROCPRIM_400000_NS6detail17trampoline_kernelINS0_14default_configENS1_25partition_config_selectorILNS1_17partition_subalgoE8EiNS0_10empty_typeEbEEZZNS1_14partition_implILS5_8ELb0ES3_jPKiPS6_PKS6_NS0_5tupleIJPiS6_EEENSE_IJSB_SB_EEENS0_18inequality_wrapperIN6hipcub16HIPCUB_304000_NS8EqualityEEEPlJS6_EEE10hipError_tPvRmT3_T4_T5_T6_T7_T9_mT8_P12ihipStream_tbDpT10_ENKUlT_T0_E_clISt17integral_constantIbLb0EES16_IbLb1EEEEDaS12_S13_EUlS12_E_NS1_11comp_targetILNS1_3genE8ELNS1_11target_archE1030ELNS1_3gpuE2ELNS1_3repE0EEENS1_30default_config_static_selectorELNS0_4arch9wavefront6targetE1EEEvT1_: ; @_ZN7rocprim17ROCPRIM_400000_NS6detail17trampoline_kernelINS0_14default_configENS1_25partition_config_selectorILNS1_17partition_subalgoE8EiNS0_10empty_typeEbEEZZNS1_14partition_implILS5_8ELb0ES3_jPKiPS6_PKS6_NS0_5tupleIJPiS6_EEENSE_IJSB_SB_EEENS0_18inequality_wrapperIN6hipcub16HIPCUB_304000_NS8EqualityEEEPlJS6_EEE10hipError_tPvRmT3_T4_T5_T6_T7_T9_mT8_P12ihipStream_tbDpT10_ENKUlT_T0_E_clISt17integral_constantIbLb0EES16_IbLb1EEEEDaS12_S13_EUlS12_E_NS1_11comp_targetILNS1_3genE8ELNS1_11target_archE1030ELNS1_3gpuE2ELNS1_3repE0EEENS1_30default_config_static_selectorELNS0_4arch9wavefront6targetE1EEEvT1_
; %bb.0:
	.section	.rodata,"a",@progbits
	.p2align	6, 0x0
	.amdhsa_kernel _ZN7rocprim17ROCPRIM_400000_NS6detail17trampoline_kernelINS0_14default_configENS1_25partition_config_selectorILNS1_17partition_subalgoE8EiNS0_10empty_typeEbEEZZNS1_14partition_implILS5_8ELb0ES3_jPKiPS6_PKS6_NS0_5tupleIJPiS6_EEENSE_IJSB_SB_EEENS0_18inequality_wrapperIN6hipcub16HIPCUB_304000_NS8EqualityEEEPlJS6_EEE10hipError_tPvRmT3_T4_T5_T6_T7_T9_mT8_P12ihipStream_tbDpT10_ENKUlT_T0_E_clISt17integral_constantIbLb0EES16_IbLb1EEEEDaS12_S13_EUlS12_E_NS1_11comp_targetILNS1_3genE8ELNS1_11target_archE1030ELNS1_3gpuE2ELNS1_3repE0EEENS1_30default_config_static_selectorELNS0_4arch9wavefront6targetE1EEEvT1_
		.amdhsa_group_segment_fixed_size 0
		.amdhsa_private_segment_fixed_size 0
		.amdhsa_kernarg_size 128
		.amdhsa_user_sgpr_count 2
		.amdhsa_user_sgpr_dispatch_ptr 0
		.amdhsa_user_sgpr_queue_ptr 0
		.amdhsa_user_sgpr_kernarg_segment_ptr 1
		.amdhsa_user_sgpr_dispatch_id 0
		.amdhsa_user_sgpr_kernarg_preload_length 0
		.amdhsa_user_sgpr_kernarg_preload_offset 0
		.amdhsa_user_sgpr_private_segment_size 0
		.amdhsa_uses_dynamic_stack 0
		.amdhsa_enable_private_segment 0
		.amdhsa_system_sgpr_workgroup_id_x 1
		.amdhsa_system_sgpr_workgroup_id_y 0
		.amdhsa_system_sgpr_workgroup_id_z 0
		.amdhsa_system_sgpr_workgroup_info 0
		.amdhsa_system_vgpr_workitem_id 0
		.amdhsa_next_free_vgpr 1
		.amdhsa_next_free_sgpr 0
		.amdhsa_accum_offset 4
		.amdhsa_reserve_vcc 0
		.amdhsa_float_round_mode_32 0
		.amdhsa_float_round_mode_16_64 0
		.amdhsa_float_denorm_mode_32 3
		.amdhsa_float_denorm_mode_16_64 3
		.amdhsa_dx10_clamp 1
		.amdhsa_ieee_mode 1
		.amdhsa_fp16_overflow 0
		.amdhsa_tg_split 0
		.amdhsa_exception_fp_ieee_invalid_op 0
		.amdhsa_exception_fp_denorm_src 0
		.amdhsa_exception_fp_ieee_div_zero 0
		.amdhsa_exception_fp_ieee_overflow 0
		.amdhsa_exception_fp_ieee_underflow 0
		.amdhsa_exception_fp_ieee_inexact 0
		.amdhsa_exception_int_div_zero 0
	.end_amdhsa_kernel
	.section	.text._ZN7rocprim17ROCPRIM_400000_NS6detail17trampoline_kernelINS0_14default_configENS1_25partition_config_selectorILNS1_17partition_subalgoE8EiNS0_10empty_typeEbEEZZNS1_14partition_implILS5_8ELb0ES3_jPKiPS6_PKS6_NS0_5tupleIJPiS6_EEENSE_IJSB_SB_EEENS0_18inequality_wrapperIN6hipcub16HIPCUB_304000_NS8EqualityEEEPlJS6_EEE10hipError_tPvRmT3_T4_T5_T6_T7_T9_mT8_P12ihipStream_tbDpT10_ENKUlT_T0_E_clISt17integral_constantIbLb0EES16_IbLb1EEEEDaS12_S13_EUlS12_E_NS1_11comp_targetILNS1_3genE8ELNS1_11target_archE1030ELNS1_3gpuE2ELNS1_3repE0EEENS1_30default_config_static_selectorELNS0_4arch9wavefront6targetE1EEEvT1_,"axG",@progbits,_ZN7rocprim17ROCPRIM_400000_NS6detail17trampoline_kernelINS0_14default_configENS1_25partition_config_selectorILNS1_17partition_subalgoE8EiNS0_10empty_typeEbEEZZNS1_14partition_implILS5_8ELb0ES3_jPKiPS6_PKS6_NS0_5tupleIJPiS6_EEENSE_IJSB_SB_EEENS0_18inequality_wrapperIN6hipcub16HIPCUB_304000_NS8EqualityEEEPlJS6_EEE10hipError_tPvRmT3_T4_T5_T6_T7_T9_mT8_P12ihipStream_tbDpT10_ENKUlT_T0_E_clISt17integral_constantIbLb0EES16_IbLb1EEEEDaS12_S13_EUlS12_E_NS1_11comp_targetILNS1_3genE8ELNS1_11target_archE1030ELNS1_3gpuE2ELNS1_3repE0EEENS1_30default_config_static_selectorELNS0_4arch9wavefront6targetE1EEEvT1_,comdat
.Lfunc_end441:
	.size	_ZN7rocprim17ROCPRIM_400000_NS6detail17trampoline_kernelINS0_14default_configENS1_25partition_config_selectorILNS1_17partition_subalgoE8EiNS0_10empty_typeEbEEZZNS1_14partition_implILS5_8ELb0ES3_jPKiPS6_PKS6_NS0_5tupleIJPiS6_EEENSE_IJSB_SB_EEENS0_18inequality_wrapperIN6hipcub16HIPCUB_304000_NS8EqualityEEEPlJS6_EEE10hipError_tPvRmT3_T4_T5_T6_T7_T9_mT8_P12ihipStream_tbDpT10_ENKUlT_T0_E_clISt17integral_constantIbLb0EES16_IbLb1EEEEDaS12_S13_EUlS12_E_NS1_11comp_targetILNS1_3genE8ELNS1_11target_archE1030ELNS1_3gpuE2ELNS1_3repE0EEENS1_30default_config_static_selectorELNS0_4arch9wavefront6targetE1EEEvT1_, .Lfunc_end441-_ZN7rocprim17ROCPRIM_400000_NS6detail17trampoline_kernelINS0_14default_configENS1_25partition_config_selectorILNS1_17partition_subalgoE8EiNS0_10empty_typeEbEEZZNS1_14partition_implILS5_8ELb0ES3_jPKiPS6_PKS6_NS0_5tupleIJPiS6_EEENSE_IJSB_SB_EEENS0_18inequality_wrapperIN6hipcub16HIPCUB_304000_NS8EqualityEEEPlJS6_EEE10hipError_tPvRmT3_T4_T5_T6_T7_T9_mT8_P12ihipStream_tbDpT10_ENKUlT_T0_E_clISt17integral_constantIbLb0EES16_IbLb1EEEEDaS12_S13_EUlS12_E_NS1_11comp_targetILNS1_3genE8ELNS1_11target_archE1030ELNS1_3gpuE2ELNS1_3repE0EEENS1_30default_config_static_selectorELNS0_4arch9wavefront6targetE1EEEvT1_
                                        ; -- End function
	.section	.AMDGPU.csdata,"",@progbits
; Kernel info:
; codeLenInByte = 0
; NumSgprs: 6
; NumVgprs: 0
; NumAgprs: 0
; TotalNumVgprs: 0
; ScratchSize: 0
; MemoryBound: 0
; FloatMode: 240
; IeeeMode: 1
; LDSByteSize: 0 bytes/workgroup (compile time only)
; SGPRBlocks: 0
; VGPRBlocks: 0
; NumSGPRsForWavesPerEU: 6
; NumVGPRsForWavesPerEU: 1
; AccumOffset: 4
; Occupancy: 8
; WaveLimiterHint : 0
; COMPUTE_PGM_RSRC2:SCRATCH_EN: 0
; COMPUTE_PGM_RSRC2:USER_SGPR: 2
; COMPUTE_PGM_RSRC2:TRAP_HANDLER: 0
; COMPUTE_PGM_RSRC2:TGID_X_EN: 1
; COMPUTE_PGM_RSRC2:TGID_Y_EN: 0
; COMPUTE_PGM_RSRC2:TGID_Z_EN: 0
; COMPUTE_PGM_RSRC2:TIDIG_COMP_CNT: 0
; COMPUTE_PGM_RSRC3_GFX90A:ACCUM_OFFSET: 0
; COMPUTE_PGM_RSRC3_GFX90A:TG_SPLIT: 0
	.section	.text._ZN7rocprim17ROCPRIM_400000_NS6detail17trampoline_kernelINS0_14default_configENS1_33run_length_encode_config_selectorIijNS0_4plusIjEEEEZZNS1_33reduce_by_key_impl_wrapped_configILNS1_25lookback_scan_determinismE0ES3_S7_PKiNS0_17constant_iteratorIjlEEPiPlSF_S6_NS0_8equal_toIiEEEE10hipError_tPvRmT2_T3_mT4_T5_T6_T7_T8_P12ihipStream_tbENKUlT_T0_E_clISt17integral_constantIbLb0EESZ_EEDaSU_SV_EUlSU_E_NS1_11comp_targetILNS1_3genE0ELNS1_11target_archE4294967295ELNS1_3gpuE0ELNS1_3repE0EEENS1_30default_config_static_selectorELNS0_4arch9wavefront6targetE1EEEvT1_,"axG",@progbits,_ZN7rocprim17ROCPRIM_400000_NS6detail17trampoline_kernelINS0_14default_configENS1_33run_length_encode_config_selectorIijNS0_4plusIjEEEEZZNS1_33reduce_by_key_impl_wrapped_configILNS1_25lookback_scan_determinismE0ES3_S7_PKiNS0_17constant_iteratorIjlEEPiPlSF_S6_NS0_8equal_toIiEEEE10hipError_tPvRmT2_T3_mT4_T5_T6_T7_T8_P12ihipStream_tbENKUlT_T0_E_clISt17integral_constantIbLb0EESZ_EEDaSU_SV_EUlSU_E_NS1_11comp_targetILNS1_3genE0ELNS1_11target_archE4294967295ELNS1_3gpuE0ELNS1_3repE0EEENS1_30default_config_static_selectorELNS0_4arch9wavefront6targetE1EEEvT1_,comdat
	.protected	_ZN7rocprim17ROCPRIM_400000_NS6detail17trampoline_kernelINS0_14default_configENS1_33run_length_encode_config_selectorIijNS0_4plusIjEEEEZZNS1_33reduce_by_key_impl_wrapped_configILNS1_25lookback_scan_determinismE0ES3_S7_PKiNS0_17constant_iteratorIjlEEPiPlSF_S6_NS0_8equal_toIiEEEE10hipError_tPvRmT2_T3_mT4_T5_T6_T7_T8_P12ihipStream_tbENKUlT_T0_E_clISt17integral_constantIbLb0EESZ_EEDaSU_SV_EUlSU_E_NS1_11comp_targetILNS1_3genE0ELNS1_11target_archE4294967295ELNS1_3gpuE0ELNS1_3repE0EEENS1_30default_config_static_selectorELNS0_4arch9wavefront6targetE1EEEvT1_ ; -- Begin function _ZN7rocprim17ROCPRIM_400000_NS6detail17trampoline_kernelINS0_14default_configENS1_33run_length_encode_config_selectorIijNS0_4plusIjEEEEZZNS1_33reduce_by_key_impl_wrapped_configILNS1_25lookback_scan_determinismE0ES3_S7_PKiNS0_17constant_iteratorIjlEEPiPlSF_S6_NS0_8equal_toIiEEEE10hipError_tPvRmT2_T3_mT4_T5_T6_T7_T8_P12ihipStream_tbENKUlT_T0_E_clISt17integral_constantIbLb0EESZ_EEDaSU_SV_EUlSU_E_NS1_11comp_targetILNS1_3genE0ELNS1_11target_archE4294967295ELNS1_3gpuE0ELNS1_3repE0EEENS1_30default_config_static_selectorELNS0_4arch9wavefront6targetE1EEEvT1_
	.globl	_ZN7rocprim17ROCPRIM_400000_NS6detail17trampoline_kernelINS0_14default_configENS1_33run_length_encode_config_selectorIijNS0_4plusIjEEEEZZNS1_33reduce_by_key_impl_wrapped_configILNS1_25lookback_scan_determinismE0ES3_S7_PKiNS0_17constant_iteratorIjlEEPiPlSF_S6_NS0_8equal_toIiEEEE10hipError_tPvRmT2_T3_mT4_T5_T6_T7_T8_P12ihipStream_tbENKUlT_T0_E_clISt17integral_constantIbLb0EESZ_EEDaSU_SV_EUlSU_E_NS1_11comp_targetILNS1_3genE0ELNS1_11target_archE4294967295ELNS1_3gpuE0ELNS1_3repE0EEENS1_30default_config_static_selectorELNS0_4arch9wavefront6targetE1EEEvT1_
	.p2align	8
	.type	_ZN7rocprim17ROCPRIM_400000_NS6detail17trampoline_kernelINS0_14default_configENS1_33run_length_encode_config_selectorIijNS0_4plusIjEEEEZZNS1_33reduce_by_key_impl_wrapped_configILNS1_25lookback_scan_determinismE0ES3_S7_PKiNS0_17constant_iteratorIjlEEPiPlSF_S6_NS0_8equal_toIiEEEE10hipError_tPvRmT2_T3_mT4_T5_T6_T7_T8_P12ihipStream_tbENKUlT_T0_E_clISt17integral_constantIbLb0EESZ_EEDaSU_SV_EUlSU_E_NS1_11comp_targetILNS1_3genE0ELNS1_11target_archE4294967295ELNS1_3gpuE0ELNS1_3repE0EEENS1_30default_config_static_selectorELNS0_4arch9wavefront6targetE1EEEvT1_,@function
_ZN7rocprim17ROCPRIM_400000_NS6detail17trampoline_kernelINS0_14default_configENS1_33run_length_encode_config_selectorIijNS0_4plusIjEEEEZZNS1_33reduce_by_key_impl_wrapped_configILNS1_25lookback_scan_determinismE0ES3_S7_PKiNS0_17constant_iteratorIjlEEPiPlSF_S6_NS0_8equal_toIiEEEE10hipError_tPvRmT2_T3_mT4_T5_T6_T7_T8_P12ihipStream_tbENKUlT_T0_E_clISt17integral_constantIbLb0EESZ_EEDaSU_SV_EUlSU_E_NS1_11comp_targetILNS1_3genE0ELNS1_11target_archE4294967295ELNS1_3gpuE0ELNS1_3repE0EEENS1_30default_config_static_selectorELNS0_4arch9wavefront6targetE1EEEvT1_: ; @_ZN7rocprim17ROCPRIM_400000_NS6detail17trampoline_kernelINS0_14default_configENS1_33run_length_encode_config_selectorIijNS0_4plusIjEEEEZZNS1_33reduce_by_key_impl_wrapped_configILNS1_25lookback_scan_determinismE0ES3_S7_PKiNS0_17constant_iteratorIjlEEPiPlSF_S6_NS0_8equal_toIiEEEE10hipError_tPvRmT2_T3_mT4_T5_T6_T7_T8_P12ihipStream_tbENKUlT_T0_E_clISt17integral_constantIbLb0EESZ_EEDaSU_SV_EUlSU_E_NS1_11comp_targetILNS1_3genE0ELNS1_11target_archE4294967295ELNS1_3gpuE0ELNS1_3repE0EEENS1_30default_config_static_selectorELNS0_4arch9wavefront6targetE1EEEvT1_
; %bb.0:
	.section	.rodata,"a",@progbits
	.p2align	6, 0x0
	.amdhsa_kernel _ZN7rocprim17ROCPRIM_400000_NS6detail17trampoline_kernelINS0_14default_configENS1_33run_length_encode_config_selectorIijNS0_4plusIjEEEEZZNS1_33reduce_by_key_impl_wrapped_configILNS1_25lookback_scan_determinismE0ES3_S7_PKiNS0_17constant_iteratorIjlEEPiPlSF_S6_NS0_8equal_toIiEEEE10hipError_tPvRmT2_T3_mT4_T5_T6_T7_T8_P12ihipStream_tbENKUlT_T0_E_clISt17integral_constantIbLb0EESZ_EEDaSU_SV_EUlSU_E_NS1_11comp_targetILNS1_3genE0ELNS1_11target_archE4294967295ELNS1_3gpuE0ELNS1_3repE0EEENS1_30default_config_static_selectorELNS0_4arch9wavefront6targetE1EEEvT1_
		.amdhsa_group_segment_fixed_size 0
		.amdhsa_private_segment_fixed_size 0
		.amdhsa_kernarg_size 128
		.amdhsa_user_sgpr_count 2
		.amdhsa_user_sgpr_dispatch_ptr 0
		.amdhsa_user_sgpr_queue_ptr 0
		.amdhsa_user_sgpr_kernarg_segment_ptr 1
		.amdhsa_user_sgpr_dispatch_id 0
		.amdhsa_user_sgpr_kernarg_preload_length 0
		.amdhsa_user_sgpr_kernarg_preload_offset 0
		.amdhsa_user_sgpr_private_segment_size 0
		.amdhsa_uses_dynamic_stack 0
		.amdhsa_enable_private_segment 0
		.amdhsa_system_sgpr_workgroup_id_x 1
		.amdhsa_system_sgpr_workgroup_id_y 0
		.amdhsa_system_sgpr_workgroup_id_z 0
		.amdhsa_system_sgpr_workgroup_info 0
		.amdhsa_system_vgpr_workitem_id 0
		.amdhsa_next_free_vgpr 1
		.amdhsa_next_free_sgpr 0
		.amdhsa_accum_offset 4
		.amdhsa_reserve_vcc 0
		.amdhsa_float_round_mode_32 0
		.amdhsa_float_round_mode_16_64 0
		.amdhsa_float_denorm_mode_32 3
		.amdhsa_float_denorm_mode_16_64 3
		.amdhsa_dx10_clamp 1
		.amdhsa_ieee_mode 1
		.amdhsa_fp16_overflow 0
		.amdhsa_tg_split 0
		.amdhsa_exception_fp_ieee_invalid_op 0
		.amdhsa_exception_fp_denorm_src 0
		.amdhsa_exception_fp_ieee_div_zero 0
		.amdhsa_exception_fp_ieee_overflow 0
		.amdhsa_exception_fp_ieee_underflow 0
		.amdhsa_exception_fp_ieee_inexact 0
		.amdhsa_exception_int_div_zero 0
	.end_amdhsa_kernel
	.section	.text._ZN7rocprim17ROCPRIM_400000_NS6detail17trampoline_kernelINS0_14default_configENS1_33run_length_encode_config_selectorIijNS0_4plusIjEEEEZZNS1_33reduce_by_key_impl_wrapped_configILNS1_25lookback_scan_determinismE0ES3_S7_PKiNS0_17constant_iteratorIjlEEPiPlSF_S6_NS0_8equal_toIiEEEE10hipError_tPvRmT2_T3_mT4_T5_T6_T7_T8_P12ihipStream_tbENKUlT_T0_E_clISt17integral_constantIbLb0EESZ_EEDaSU_SV_EUlSU_E_NS1_11comp_targetILNS1_3genE0ELNS1_11target_archE4294967295ELNS1_3gpuE0ELNS1_3repE0EEENS1_30default_config_static_selectorELNS0_4arch9wavefront6targetE1EEEvT1_,"axG",@progbits,_ZN7rocprim17ROCPRIM_400000_NS6detail17trampoline_kernelINS0_14default_configENS1_33run_length_encode_config_selectorIijNS0_4plusIjEEEEZZNS1_33reduce_by_key_impl_wrapped_configILNS1_25lookback_scan_determinismE0ES3_S7_PKiNS0_17constant_iteratorIjlEEPiPlSF_S6_NS0_8equal_toIiEEEE10hipError_tPvRmT2_T3_mT4_T5_T6_T7_T8_P12ihipStream_tbENKUlT_T0_E_clISt17integral_constantIbLb0EESZ_EEDaSU_SV_EUlSU_E_NS1_11comp_targetILNS1_3genE0ELNS1_11target_archE4294967295ELNS1_3gpuE0ELNS1_3repE0EEENS1_30default_config_static_selectorELNS0_4arch9wavefront6targetE1EEEvT1_,comdat
.Lfunc_end442:
	.size	_ZN7rocprim17ROCPRIM_400000_NS6detail17trampoline_kernelINS0_14default_configENS1_33run_length_encode_config_selectorIijNS0_4plusIjEEEEZZNS1_33reduce_by_key_impl_wrapped_configILNS1_25lookback_scan_determinismE0ES3_S7_PKiNS0_17constant_iteratorIjlEEPiPlSF_S6_NS0_8equal_toIiEEEE10hipError_tPvRmT2_T3_mT4_T5_T6_T7_T8_P12ihipStream_tbENKUlT_T0_E_clISt17integral_constantIbLb0EESZ_EEDaSU_SV_EUlSU_E_NS1_11comp_targetILNS1_3genE0ELNS1_11target_archE4294967295ELNS1_3gpuE0ELNS1_3repE0EEENS1_30default_config_static_selectorELNS0_4arch9wavefront6targetE1EEEvT1_, .Lfunc_end442-_ZN7rocprim17ROCPRIM_400000_NS6detail17trampoline_kernelINS0_14default_configENS1_33run_length_encode_config_selectorIijNS0_4plusIjEEEEZZNS1_33reduce_by_key_impl_wrapped_configILNS1_25lookback_scan_determinismE0ES3_S7_PKiNS0_17constant_iteratorIjlEEPiPlSF_S6_NS0_8equal_toIiEEEE10hipError_tPvRmT2_T3_mT4_T5_T6_T7_T8_P12ihipStream_tbENKUlT_T0_E_clISt17integral_constantIbLb0EESZ_EEDaSU_SV_EUlSU_E_NS1_11comp_targetILNS1_3genE0ELNS1_11target_archE4294967295ELNS1_3gpuE0ELNS1_3repE0EEENS1_30default_config_static_selectorELNS0_4arch9wavefront6targetE1EEEvT1_
                                        ; -- End function
	.section	.AMDGPU.csdata,"",@progbits
; Kernel info:
; codeLenInByte = 0
; NumSgprs: 6
; NumVgprs: 0
; NumAgprs: 0
; TotalNumVgprs: 0
; ScratchSize: 0
; MemoryBound: 0
; FloatMode: 240
; IeeeMode: 1
; LDSByteSize: 0 bytes/workgroup (compile time only)
; SGPRBlocks: 0
; VGPRBlocks: 0
; NumSGPRsForWavesPerEU: 6
; NumVGPRsForWavesPerEU: 1
; AccumOffset: 4
; Occupancy: 8
; WaveLimiterHint : 0
; COMPUTE_PGM_RSRC2:SCRATCH_EN: 0
; COMPUTE_PGM_RSRC2:USER_SGPR: 2
; COMPUTE_PGM_RSRC2:TRAP_HANDLER: 0
; COMPUTE_PGM_RSRC2:TGID_X_EN: 1
; COMPUTE_PGM_RSRC2:TGID_Y_EN: 0
; COMPUTE_PGM_RSRC2:TGID_Z_EN: 0
; COMPUTE_PGM_RSRC2:TIDIG_COMP_CNT: 0
; COMPUTE_PGM_RSRC3_GFX90A:ACCUM_OFFSET: 0
; COMPUTE_PGM_RSRC3_GFX90A:TG_SPLIT: 0
	.section	.text._ZN7rocprim17ROCPRIM_400000_NS6detail17trampoline_kernelINS0_14default_configENS1_33run_length_encode_config_selectorIijNS0_4plusIjEEEEZZNS1_33reduce_by_key_impl_wrapped_configILNS1_25lookback_scan_determinismE0ES3_S7_PKiNS0_17constant_iteratorIjlEEPiPlSF_S6_NS0_8equal_toIiEEEE10hipError_tPvRmT2_T3_mT4_T5_T6_T7_T8_P12ihipStream_tbENKUlT_T0_E_clISt17integral_constantIbLb0EESZ_EEDaSU_SV_EUlSU_E_NS1_11comp_targetILNS1_3genE5ELNS1_11target_archE942ELNS1_3gpuE9ELNS1_3repE0EEENS1_30default_config_static_selectorELNS0_4arch9wavefront6targetE1EEEvT1_,"axG",@progbits,_ZN7rocprim17ROCPRIM_400000_NS6detail17trampoline_kernelINS0_14default_configENS1_33run_length_encode_config_selectorIijNS0_4plusIjEEEEZZNS1_33reduce_by_key_impl_wrapped_configILNS1_25lookback_scan_determinismE0ES3_S7_PKiNS0_17constant_iteratorIjlEEPiPlSF_S6_NS0_8equal_toIiEEEE10hipError_tPvRmT2_T3_mT4_T5_T6_T7_T8_P12ihipStream_tbENKUlT_T0_E_clISt17integral_constantIbLb0EESZ_EEDaSU_SV_EUlSU_E_NS1_11comp_targetILNS1_3genE5ELNS1_11target_archE942ELNS1_3gpuE9ELNS1_3repE0EEENS1_30default_config_static_selectorELNS0_4arch9wavefront6targetE1EEEvT1_,comdat
	.protected	_ZN7rocprim17ROCPRIM_400000_NS6detail17trampoline_kernelINS0_14default_configENS1_33run_length_encode_config_selectorIijNS0_4plusIjEEEEZZNS1_33reduce_by_key_impl_wrapped_configILNS1_25lookback_scan_determinismE0ES3_S7_PKiNS0_17constant_iteratorIjlEEPiPlSF_S6_NS0_8equal_toIiEEEE10hipError_tPvRmT2_T3_mT4_T5_T6_T7_T8_P12ihipStream_tbENKUlT_T0_E_clISt17integral_constantIbLb0EESZ_EEDaSU_SV_EUlSU_E_NS1_11comp_targetILNS1_3genE5ELNS1_11target_archE942ELNS1_3gpuE9ELNS1_3repE0EEENS1_30default_config_static_selectorELNS0_4arch9wavefront6targetE1EEEvT1_ ; -- Begin function _ZN7rocprim17ROCPRIM_400000_NS6detail17trampoline_kernelINS0_14default_configENS1_33run_length_encode_config_selectorIijNS0_4plusIjEEEEZZNS1_33reduce_by_key_impl_wrapped_configILNS1_25lookback_scan_determinismE0ES3_S7_PKiNS0_17constant_iteratorIjlEEPiPlSF_S6_NS0_8equal_toIiEEEE10hipError_tPvRmT2_T3_mT4_T5_T6_T7_T8_P12ihipStream_tbENKUlT_T0_E_clISt17integral_constantIbLb0EESZ_EEDaSU_SV_EUlSU_E_NS1_11comp_targetILNS1_3genE5ELNS1_11target_archE942ELNS1_3gpuE9ELNS1_3repE0EEENS1_30default_config_static_selectorELNS0_4arch9wavefront6targetE1EEEvT1_
	.globl	_ZN7rocprim17ROCPRIM_400000_NS6detail17trampoline_kernelINS0_14default_configENS1_33run_length_encode_config_selectorIijNS0_4plusIjEEEEZZNS1_33reduce_by_key_impl_wrapped_configILNS1_25lookback_scan_determinismE0ES3_S7_PKiNS0_17constant_iteratorIjlEEPiPlSF_S6_NS0_8equal_toIiEEEE10hipError_tPvRmT2_T3_mT4_T5_T6_T7_T8_P12ihipStream_tbENKUlT_T0_E_clISt17integral_constantIbLb0EESZ_EEDaSU_SV_EUlSU_E_NS1_11comp_targetILNS1_3genE5ELNS1_11target_archE942ELNS1_3gpuE9ELNS1_3repE0EEENS1_30default_config_static_selectorELNS0_4arch9wavefront6targetE1EEEvT1_
	.p2align	8
	.type	_ZN7rocprim17ROCPRIM_400000_NS6detail17trampoline_kernelINS0_14default_configENS1_33run_length_encode_config_selectorIijNS0_4plusIjEEEEZZNS1_33reduce_by_key_impl_wrapped_configILNS1_25lookback_scan_determinismE0ES3_S7_PKiNS0_17constant_iteratorIjlEEPiPlSF_S6_NS0_8equal_toIiEEEE10hipError_tPvRmT2_T3_mT4_T5_T6_T7_T8_P12ihipStream_tbENKUlT_T0_E_clISt17integral_constantIbLb0EESZ_EEDaSU_SV_EUlSU_E_NS1_11comp_targetILNS1_3genE5ELNS1_11target_archE942ELNS1_3gpuE9ELNS1_3repE0EEENS1_30default_config_static_selectorELNS0_4arch9wavefront6targetE1EEEvT1_,@function
_ZN7rocprim17ROCPRIM_400000_NS6detail17trampoline_kernelINS0_14default_configENS1_33run_length_encode_config_selectorIijNS0_4plusIjEEEEZZNS1_33reduce_by_key_impl_wrapped_configILNS1_25lookback_scan_determinismE0ES3_S7_PKiNS0_17constant_iteratorIjlEEPiPlSF_S6_NS0_8equal_toIiEEEE10hipError_tPvRmT2_T3_mT4_T5_T6_T7_T8_P12ihipStream_tbENKUlT_T0_E_clISt17integral_constantIbLb0EESZ_EEDaSU_SV_EUlSU_E_NS1_11comp_targetILNS1_3genE5ELNS1_11target_archE942ELNS1_3gpuE9ELNS1_3repE0EEENS1_30default_config_static_selectorELNS0_4arch9wavefront6targetE1EEEvT1_: ; @_ZN7rocprim17ROCPRIM_400000_NS6detail17trampoline_kernelINS0_14default_configENS1_33run_length_encode_config_selectorIijNS0_4plusIjEEEEZZNS1_33reduce_by_key_impl_wrapped_configILNS1_25lookback_scan_determinismE0ES3_S7_PKiNS0_17constant_iteratorIjlEEPiPlSF_S6_NS0_8equal_toIiEEEE10hipError_tPvRmT2_T3_mT4_T5_T6_T7_T8_P12ihipStream_tbENKUlT_T0_E_clISt17integral_constantIbLb0EESZ_EEDaSU_SV_EUlSU_E_NS1_11comp_targetILNS1_3genE5ELNS1_11target_archE942ELNS1_3gpuE9ELNS1_3repE0EEENS1_30default_config_static_selectorELNS0_4arch9wavefront6targetE1EEEvT1_
; %bb.0:
	s_load_dwordx8 s[36:43], s[0:1], 0x40
	s_load_dwordx4 s[4:7], s[0:1], 0x0
	s_load_dword s3, s[0:1], 0x10
	s_load_dwordx4 s[44:47], s[0:1], 0x60
	s_mov_b64 s[10:11], -1
	s_waitcnt lgkmcnt(0)
	s_mul_i32 s8, s40, s39
	s_mul_hi_u32 s9, s40, s38
	s_add_i32 s8, s9, s8
	s_mul_i32 s9, s41, s38
	s_add_i32 s8, s8, s9
	s_lshl_b64 s[6:7], s[6:7], 2
	s_add_u32 s6, s4, s6
	s_addc_u32 s7, s5, s7
	s_mul_i32 s4, s2, 0x1e00
	s_mov_b32 s5, 0
	s_lshl_b64 s[4:5], s[4:5], 2
	s_mul_i32 s9, s40, s38
	s_add_u32 s40, s6, s4
	s_addc_u32 s41, s7, s5
	s_add_u32 s4, s9, s2
	s_addc_u32 s5, s8, 0
	s_add_u32 s8, s42, -1
	s_addc_u32 s9, s43, -1
	s_cmp_eq_u64 s[4:5], s[8:9]
	s_cselect_b64 s[48:49], -1, 0
	s_cmp_lg_u64 s[4:5], s[8:9]
	s_cselect_b64 s[6:7], -1, 0
	s_mul_i32 s33, s8, 0xffffe200
	s_and_b64 vcc, exec, s[48:49]
	s_cbranch_vccnz .LBB443_2
; %bb.1:
	v_lshlrev_b32_e32 v2, 2, v0
	v_mov_b32_e32 v3, 0
	v_lshl_add_u64 v[4:5], s[40:41], 0, v[2:3]
	v_add_co_u32_e32 v6, vcc, 0x1000, v4
	global_load_dword v1, v2, s[40:41]
	global_load_dword v3, v2, s[40:41] offset:2048
	v_addc_co_u32_e32 v7, vcc, 0, v5, vcc
	v_add_co_u32_e32 v8, vcc, 0x2000, v4
	s_nop 1
	v_addc_co_u32_e32 v9, vcc, 0, v5, vcc
	v_add_co_u32_e32 v10, vcc, 0x3000, v4
	s_mov_b64 s[8:9], -1
	s_nop 0
	v_addc_co_u32_e32 v11, vcc, 0, v5, vcc
	v_add_co_u32_e32 v12, vcc, 0x4000, v4
	s_nop 1
	v_addc_co_u32_e32 v13, vcc, 0, v5, vcc
	global_load_dword v14, v[6:7], off
	global_load_dword v15, v[6:7], off offset:2048
	global_load_dword v16, v[8:9], off
	global_load_dword v17, v[8:9], off offset:2048
	;; [unrolled: 2-line block ×4, first 2 shown]
	v_add_co_u32_e32 v6, vcc, 0x5000, v4
	s_nop 1
	v_addc_co_u32_e32 v7, vcc, 0, v5, vcc
	v_add_co_u32_e32 v8, vcc, 0x6000, v4
	s_nop 1
	v_addc_co_u32_e32 v9, vcc, 0, v5, vcc
	global_load_dword v10, v[6:7], off
	global_load_dword v11, v[6:7], off offset:2048
	global_load_dword v12, v[8:9], off
	global_load_dword v13, v[8:9], off offset:2048
	v_add_co_u32_e32 v4, vcc, 0x7000, v4
	s_nop 1
	v_addc_co_u32_e32 v5, vcc, 0, v5, vcc
	global_load_dword v4, v[4:5], off
	v_mad_u32_u24 v5, v0, 56, v2
	s_waitcnt vmcnt(13)
	ds_write2st64_b32 v2, v1, v3 offset1:8
	s_waitcnt vmcnt(11)
	ds_write2st64_b32 v2, v14, v15 offset0:16 offset1:24
	s_waitcnt vmcnt(9)
	ds_write2st64_b32 v2, v16, v17 offset0:32 offset1:40
	;; [unrolled: 2-line block ×6, first 2 shown]
	s_waitcnt vmcnt(0)
	ds_write_b32 v2, v4 offset:28672
	s_waitcnt lgkmcnt(0)
	s_barrier
	ds_read2_b32 v[20:21], v5 offset1:1
	ds_read2_b32 v[18:19], v5 offset0:2 offset1:3
	ds_read2_b32 v[16:17], v5 offset0:4 offset1:5
	;; [unrolled: 1-line block ×6, first 2 shown]
	ds_read_b32 v1, v5 offset:56
	s_waitcnt lgkmcnt(7)
	v_mov_b32_e32 v22, v20
	s_waitcnt lgkmcnt(6)
	v_mov_b32_e32 v23, v18
	;; [unrolled: 2-line block ×7, first 2 shown]
	s_add_i32 s33, s33, s44
	s_cbranch_execz .LBB443_3
	s_branch .LBB443_34
.LBB443_2:
	s_mov_b64 s[8:9], 0
                                        ; implicit-def: $vgpr1
                                        ; implicit-def: $vgpr8
                                        ; implicit-def: $vgpr10
                                        ; implicit-def: $vgpr12
                                        ; implicit-def: $vgpr14
                                        ; implicit-def: $vgpr16
                                        ; implicit-def: $vgpr18
                                        ; implicit-def: $vgpr20
                                        ; implicit-def: $vgpr2_vgpr3
                                        ; implicit-def: $vgpr4_vgpr5
                                        ; implicit-def: $vgpr22_vgpr23
                                        ; implicit-def: $vgpr6_vgpr7
	s_add_i32 s33, s33, s44
	s_andn2_b64 vcc, exec, s[10:11]
	s_cbranch_vccnz .LBB443_34
.LBB443_3:
	v_cmp_gt_u32_e32 vcc, s33, v0
                                        ; implicit-def: $vgpr1
	s_and_saveexec_b64 s[8:9], vcc
	s_cbranch_execz .LBB443_5
; %bb.4:
	s_waitcnt lgkmcnt(0)
	v_lshlrev_b32_e32 v1, 2, v0
	global_load_dword v1, v1, s[40:41]
.LBB443_5:
	s_or_b64 exec, exec, s[8:9]
	v_or_b32_e32 v2, 0x200, v0
	v_cmp_gt_u32_e32 vcc, s33, v2
                                        ; implicit-def: $vgpr2
	s_and_saveexec_b64 s[8:9], vcc
	s_cbranch_execz .LBB443_7
; %bb.6:
	v_lshlrev_b32_e32 v2, 2, v0
	global_load_dword v2, v2, s[40:41] offset:2048
.LBB443_7:
	s_or_b64 exec, exec, s[8:9]
	v_or_b32_e32 v4, 0x400, v0
	v_cmp_gt_u32_e32 vcc, s33, v4
                                        ; implicit-def: $vgpr3
	s_and_saveexec_b64 s[8:9], vcc
	s_cbranch_execz .LBB443_9
; %bb.8:
	v_lshlrev_b32_e32 v3, 2, v4
	global_load_dword v3, v3, s[40:41]
.LBB443_9:
	s_or_b64 exec, exec, s[8:9]
	v_or_b32_e32 v5, 0x600, v0
	v_cmp_gt_u32_e32 vcc, s33, v5
                                        ; implicit-def: $vgpr4
	s_and_saveexec_b64 s[8:9], vcc
	s_cbranch_execz .LBB443_11
; %bb.10:
	v_lshlrev_b32_e32 v4, 2, v5
	global_load_dword v4, v4, s[40:41]
.LBB443_11:
	s_or_b64 exec, exec, s[8:9]
	v_or_b32_e32 v6, 0x800, v0
	v_cmp_gt_u32_e32 vcc, s33, v6
                                        ; implicit-def: $vgpr5
	s_and_saveexec_b64 s[8:9], vcc
	s_cbranch_execz .LBB443_13
; %bb.12:
	v_lshlrev_b32_e32 v5, 2, v6
	global_load_dword v5, v5, s[40:41]
.LBB443_13:
	s_or_b64 exec, exec, s[8:9]
	v_or_b32_e32 v7, 0xa00, v0
	v_cmp_gt_u32_e32 vcc, s33, v7
                                        ; implicit-def: $vgpr6
	s_and_saveexec_b64 s[8:9], vcc
	s_cbranch_execz .LBB443_15
; %bb.14:
	v_lshlrev_b32_e32 v6, 2, v7
	global_load_dword v6, v6, s[40:41]
.LBB443_15:
	s_or_b64 exec, exec, s[8:9]
	v_or_b32_e32 v8, 0xc00, v0
	v_cmp_gt_u32_e32 vcc, s33, v8
                                        ; implicit-def: $vgpr7
	s_and_saveexec_b64 s[8:9], vcc
	s_cbranch_execz .LBB443_17
; %bb.16:
	v_lshlrev_b32_e32 v7, 2, v8
	global_load_dword v7, v7, s[40:41]
.LBB443_17:
	s_or_b64 exec, exec, s[8:9]
	v_or_b32_e32 v9, 0xe00, v0
	v_cmp_gt_u32_e32 vcc, s33, v9
                                        ; implicit-def: $vgpr8
	s_and_saveexec_b64 s[8:9], vcc
	s_cbranch_execz .LBB443_19
; %bb.18:
	v_lshlrev_b32_e32 v8, 2, v9
	global_load_dword v8, v8, s[40:41]
.LBB443_19:
	s_or_b64 exec, exec, s[8:9]
	v_or_b32_e32 v10, 0x1000, v0
	v_cmp_gt_u32_e32 vcc, s33, v10
                                        ; implicit-def: $vgpr9
	s_and_saveexec_b64 s[8:9], vcc
	s_cbranch_execz .LBB443_21
; %bb.20:
	v_lshlrev_b32_e32 v9, 2, v10
	global_load_dword v9, v9, s[40:41]
.LBB443_21:
	s_or_b64 exec, exec, s[8:9]
	v_or_b32_e32 v11, 0x1200, v0
	v_cmp_gt_u32_e32 vcc, s33, v11
                                        ; implicit-def: $vgpr10
	s_and_saveexec_b64 s[8:9], vcc
	s_cbranch_execz .LBB443_23
; %bb.22:
	v_lshlrev_b32_e32 v10, 2, v11
	global_load_dword v10, v10, s[40:41]
.LBB443_23:
	s_or_b64 exec, exec, s[8:9]
	v_or_b32_e32 v12, 0x1400, v0
	v_cmp_gt_u32_e32 vcc, s33, v12
                                        ; implicit-def: $vgpr11
	s_and_saveexec_b64 s[8:9], vcc
	s_cbranch_execz .LBB443_25
; %bb.24:
	v_lshlrev_b32_e32 v11, 2, v12
	global_load_dword v11, v11, s[40:41]
.LBB443_25:
	s_or_b64 exec, exec, s[8:9]
	v_or_b32_e32 v13, 0x1600, v0
	v_cmp_gt_u32_e32 vcc, s33, v13
                                        ; implicit-def: $vgpr12
	s_and_saveexec_b64 s[8:9], vcc
	s_cbranch_execz .LBB443_27
; %bb.26:
	v_lshlrev_b32_e32 v12, 2, v13
	global_load_dword v12, v12, s[40:41]
.LBB443_27:
	s_or_b64 exec, exec, s[8:9]
	v_or_b32_e32 v14, 0x1800, v0
	v_cmp_gt_u32_e32 vcc, s33, v14
                                        ; implicit-def: $vgpr13
	s_and_saveexec_b64 s[8:9], vcc
	s_cbranch_execz .LBB443_29
; %bb.28:
	v_lshlrev_b32_e32 v13, 2, v14
	global_load_dword v13, v13, s[40:41]
.LBB443_29:
	s_or_b64 exec, exec, s[8:9]
	v_or_b32_e32 v15, 0x1a00, v0
	v_cmp_gt_u32_e32 vcc, s33, v15
                                        ; implicit-def: $vgpr14
	s_and_saveexec_b64 s[8:9], vcc
	s_cbranch_execz .LBB443_31
; %bb.30:
	v_lshlrev_b32_e32 v14, 2, v15
	global_load_dword v14, v14, s[40:41]
.LBB443_31:
	s_or_b64 exec, exec, s[8:9]
	v_or_b32_e32 v16, 0x1c00, v0
	v_cmp_gt_u32_e32 vcc, s33, v16
                                        ; implicit-def: $vgpr15
	s_and_saveexec_b64 s[8:9], vcc
	s_cbranch_execz .LBB443_33
; %bb.32:
	v_lshlrev_b32_e32 v15, 2, v16
	global_load_dword v15, v15, s[40:41]
.LBB443_33:
	s_or_b64 exec, exec, s[8:9]
	v_lshlrev_b32_e32 v16, 2, v0
	s_waitcnt vmcnt(0) lgkmcnt(0)
	ds_write2st64_b32 v16, v1, v2 offset1:8
	ds_write2st64_b32 v16, v3, v4 offset0:16 offset1:24
	ds_write2st64_b32 v16, v5, v6 offset0:32 offset1:40
	ds_write2st64_b32 v16, v7, v8 offset0:48 offset1:56
	ds_write2st64_b32 v16, v9, v10 offset0:64 offset1:72
	ds_write2st64_b32 v16, v11, v12 offset0:80 offset1:88
	ds_write2st64_b32 v16, v13, v14 offset0:96 offset1:104
	ds_write_b32 v16, v15 offset:28672
	v_mad_u32_u24 v1, v0, 56, v16
	s_waitcnt lgkmcnt(0)
	s_barrier
	ds_read2_b32 v[20:21], v1 offset1:1
	ds_read2_b32 v[18:19], v1 offset0:2 offset1:3
	ds_read2_b32 v[16:17], v1 offset0:4 offset1:5
	;; [unrolled: 1-line block ×6, first 2 shown]
	ds_read_b32 v1, v1 offset:56
	v_mad_u32_u24 v2, v0, 15, 14
	v_cmp_gt_u32_e64 s[8:9], s33, v2
	s_waitcnt lgkmcnt(7)
	v_mov_b32_e32 v22, v20
	s_waitcnt lgkmcnt(6)
	v_mov_b32_e32 v23, v18
	;; [unrolled: 2-line block ×7, first 2 shown]
.LBB443_34:
	v_mov_b32_e32 v52, s3
                                        ; implicit-def: $vgpr53
	s_and_saveexec_b64 s[10:11], s[8:9]
; %bb.35:
	v_mov_b32_e32 v53, s3
; %bb.36:
	s_or_b64 exec, exec, s[10:11]
	s_load_dwordx2 s[52:53], s[0:1], 0x70
	s_cmp_eq_u64 s[4:5], 0
	s_cselect_b64 s[50:51], -1, 0
	s_cmp_lg_u64 s[4:5], 0
	s_mov_b64 s[42:43], 0
	s_cselect_b64 s[8:9], -1, 0
	s_and_b64 vcc, exec, s[6:7]
	s_waitcnt lgkmcnt(0)
	s_barrier
	s_cbranch_vccz .LBB443_42
; %bb.37:
	s_and_b64 vcc, exec, s[8:9]
	s_cbranch_vccz .LBB443_43
; %bb.38:
	s_add_u32 s6, s40, -4
	s_addc_u32 s7, s41, -1
	s_load_dword s3, s[6:7], 0x0
	v_lshlrev_b32_e32 v24, 2, v0
	v_cmp_ne_u32_e32 vcc, 0, v0
	ds_write_b32 v24, v1
	s_waitcnt lgkmcnt(0)
	v_mov_b32_e32 v7, s3
	s_barrier
	s_and_saveexec_b64 s[6:7], vcc
	s_cbranch_execz .LBB443_40
; %bb.39:
	v_add_u32_e32 v7, -4, v24
	ds_read_b32 v7, v7
.LBB443_40:
	s_or_b64 exec, exec, s[6:7]
	v_cmp_ne_u32_e32 vcc, v22, v21
	s_waitcnt lgkmcnt(0)
	v_cmp_ne_u32_e64 s[6:7], v7, v20
	v_cndmask_b32_e64 v69, 0, 1, vcc
	v_cmp_ne_u32_e32 vcc, v23, v21
	s_mov_b64 s[42:43], -1
	s_nop 0
	v_cndmask_b32_e64 v68, 0, 1, vcc
	v_cmp_ne_u32_e32 vcc, v23, v19
	s_nop 1
	v_cndmask_b32_e64 v67, 0, 1, vcc
	v_cmp_ne_u32_e32 vcc, v4, v19
	;; [unrolled: 3-line block ×12, first 2 shown]
	s_nop 1
	v_cndmask_b32_e64 v56, 0, 1, vcc
.LBB443_41:
                                        ; implicit-def: $sgpr3
	s_branch .LBB443_55
.LBB443_42:
                                        ; implicit-def: $sgpr6_sgpr7
                                        ; implicit-def: $vgpr56
                                        ; implicit-def: $vgpr57
                                        ; implicit-def: $vgpr58
                                        ; implicit-def: $vgpr59
                                        ; implicit-def: $vgpr60
                                        ; implicit-def: $vgpr61
                                        ; implicit-def: $vgpr62
                                        ; implicit-def: $vgpr63
                                        ; implicit-def: $vgpr64
                                        ; implicit-def: $vgpr65
                                        ; implicit-def: $vgpr66
                                        ; implicit-def: $vgpr67
                                        ; implicit-def: $vgpr68
                                        ; implicit-def: $vgpr69
                                        ; implicit-def: $sgpr3
	s_cbranch_execnz .LBB443_47
	s_branch .LBB443_55
.LBB443_43:
                                        ; implicit-def: $sgpr6_sgpr7
                                        ; implicit-def: $vgpr56
                                        ; implicit-def: $vgpr57
                                        ; implicit-def: $vgpr58
                                        ; implicit-def: $vgpr59
                                        ; implicit-def: $vgpr60
                                        ; implicit-def: $vgpr61
                                        ; implicit-def: $vgpr62
                                        ; implicit-def: $vgpr63
                                        ; implicit-def: $vgpr64
                                        ; implicit-def: $vgpr65
                                        ; implicit-def: $vgpr66
                                        ; implicit-def: $vgpr67
                                        ; implicit-def: $vgpr68
                                        ; implicit-def: $vgpr69
	s_cbranch_execz .LBB443_41
; %bb.44:
	v_cmp_ne_u32_e32 vcc, v21, v22
	v_lshlrev_b32_e32 v7, 2, v0
	ds_write_b32 v7, v1
	v_cndmask_b32_e64 v69, 0, 1, vcc
	v_cmp_ne_u32_e32 vcc, v21, v23
	s_waitcnt lgkmcnt(0)
	s_barrier
	v_cndmask_b32_e64 v68, 0, 1, vcc
	v_cmp_ne_u32_e32 vcc, v23, v19
	s_waitcnt lgkmcnt(0)
                                        ; implicit-def: $sgpr6_sgpr7
	s_nop 0
	v_cndmask_b32_e64 v67, 0, 1, vcc
	v_cmp_ne_u32_e32 vcc, v4, v19
	s_nop 1
	v_cndmask_b32_e64 v66, 0, 1, vcc
	v_cmp_ne_u32_e32 vcc, v17, v4
	;; [unrolled: 3-line block ×12, first 2 shown]
	s_and_saveexec_b64 s[10:11], vcc
	s_xor_b64 s[10:11], exec, s[10:11]
	s_cbranch_execz .LBB443_46
; %bb.45:
	v_add_u32_e32 v2, -4, v7
	ds_read_b32 v2, v2
	s_or_b64 s[42:43], s[42:43], exec
	s_waitcnt lgkmcnt(0)
	v_cmp_ne_u32_e32 vcc, v2, v20
	s_and_b64 s[6:7], vcc, exec
.LBB443_46:
	s_or_b64 exec, exec, s[10:11]
	s_mov_b32 s3, 1
	s_branch .LBB443_55
.LBB443_47:
	s_mul_i32 s3, s5, 0xffffe200
	s_mul_hi_u32 s5, s4, 0xffffe200
	s_sub_i32 s5, s5, s4
	s_add_i32 s5, s5, s3
	s_mul_i32 s3, s4, 0xffffe200
	s_add_u32 s44, s3, s44
	s_addc_u32 s45, s5, s45
	s_and_b64 vcc, exec, s[8:9]
	v_cmp_ne_u32_e64 s[30:31], v9, v1
	v_cmp_ne_u32_e64 s[28:29], v8, v9
	;; [unrolled: 1-line block ×14, first 2 shown]
	v_mad_u32_u24 v2, v0, 15, 14
	v_mad_u32_u24 v42, v0, 15, 13
	v_mad_u32_u24 v40, v0, 15, 12
	v_mad_u32_u24 v38, v0, 15, 11
	v_mad_u32_u24 v36, v0, 15, 10
	v_mad_u32_u24 v34, v0, 15, 9
	v_mad_u32_u24 v32, v0, 15, 8
	v_mad_u32_u24 v30, v0, 15, 7
	v_mad_u32_u24 v28, v0, 15, 6
	v_mad_u32_u24 v26, v0, 15, 5
	v_mad_u32_u24 v24, v0, 15, 4
	v_mad_u32_u24 v22, v0, 15, 3
	v_mad_u32_u24 v6, v0, 15, 2
	v_mad_u32_u24 v4, v0, 15, 1
	v_cmp_ne_u32_e64 s[8:9], 0, v0
	s_cbranch_vccz .LBB443_52
; %bb.48:
	v_mov_b32_e32 v3, 0
	s_add_u32 s40, s40, -4
	v_cmp_gt_u64_e32 vcc, s[44:45], v[2:3]
	v_mov_b32_e32 v43, v3
	s_addc_u32 s41, s41, -1
	s_and_b64 s[30:31], vcc, s[30:31]
	v_cmp_gt_u64_e32 vcc, s[44:45], v[42:43]
	v_mov_b32_e32 v41, v3
	s_and_b64 s[28:29], vcc, s[28:29]
	v_cmp_gt_u64_e32 vcc, s[44:45], v[40:41]
	v_mov_b32_e32 v39, v3
	;; [unrolled: 3-line block ×8, first 2 shown]
	s_load_dword s3, s[40:41], 0x0
	s_and_b64 s[14:15], vcc, s[14:15]
	v_cmp_gt_u64_e32 vcc, s[44:45], v[26:27]
	v_mov_b32_e32 v25, v3
	s_and_b64 s[12:13], vcc, s[12:13]
	v_cmp_gt_u64_e32 vcc, s[44:45], v[24:25]
	v_mov_b32_e32 v23, v3
	s_and_b64 s[10:11], vcc, s[10:11]
	v_cmp_gt_u64_e32 vcc, s[44:45], v[22:23]
	v_mov_b32_e32 v7, v3
	s_and_b64 s[6:7], vcc, s[6:7]
	v_cmp_gt_u64_e32 vcc, s[44:45], v[6:7]
	v_mov_b32_e32 v5, v3
	s_and_b64 s[4:5], vcc, s[4:5]
	v_cmp_gt_u64_e32 vcc, s[44:45], v[4:5]
	v_lshlrev_b32_e32 v45, 2, v0
	v_mul_u32_u24_e32 v44, 15, v0
	s_and_b64 s[34:35], vcc, s[34:35]
	s_waitcnt lgkmcnt(0)
	v_mov_b32_e32 v5, s3
	ds_write_b32 v45, v1
	s_waitcnt lgkmcnt(0)
	s_barrier
	s_and_saveexec_b64 s[40:41], s[8:9]
	s_cbranch_execz .LBB443_50
; %bb.49:
	v_add_u32_e32 v5, -4, v45
	ds_read_b32 v5, v5
.LBB443_50:
	s_or_b64 exec, exec, s[40:41]
	v_mov_b32_e32 v45, v3
	v_cndmask_b32_e64 v68, 0, 1, s[4:5]
	v_cmp_gt_u64_e32 vcc, s[44:45], v[44:45]
	s_waitcnt lgkmcnt(0)
	v_cmp_ne_u32_e64 s[4:5], v5, v20
	v_cndmask_b32_e64 v56, 0, 1, s[30:31]
	v_cndmask_b32_e64 v57, 0, 1, s[28:29]
	;; [unrolled: 1-line block ×13, first 2 shown]
	s_and_b64 s[6:7], vcc, s[4:5]
	s_mov_b64 s[42:43], -1
.LBB443_51:
                                        ; implicit-def: $sgpr3
	v_mov_b32_e32 v70, s3
	s_and_saveexec_b64 s[4:5], s[42:43]
	s_cbranch_execnz .LBB443_56
	s_branch .LBB443_57
.LBB443_52:
                                        ; implicit-def: $sgpr6_sgpr7
                                        ; implicit-def: $vgpr56
                                        ; implicit-def: $vgpr57
                                        ; implicit-def: $vgpr58
                                        ; implicit-def: $vgpr59
                                        ; implicit-def: $vgpr60
                                        ; implicit-def: $vgpr61
                                        ; implicit-def: $vgpr62
                                        ; implicit-def: $vgpr63
                                        ; implicit-def: $vgpr64
                                        ; implicit-def: $vgpr65
                                        ; implicit-def: $vgpr66
                                        ; implicit-def: $vgpr67
                                        ; implicit-def: $vgpr68
                                        ; implicit-def: $vgpr69
	s_cbranch_execz .LBB443_51
; %bb.53:
	v_mov_b32_e32 v3, 0
	v_cmp_gt_u64_e32 vcc, s[44:45], v[2:3]
	v_cmp_ne_u32_e64 s[4:5], v9, v1
	s_and_b64 s[4:5], vcc, s[4:5]
	v_mov_b32_e32 v43, v3
	v_cndmask_b32_e64 v56, 0, 1, s[4:5]
	v_cmp_gt_u64_e32 vcc, s[44:45], v[42:43]
	v_cmp_ne_u32_e64 s[4:5], v8, v9
	s_and_b64 s[4:5], vcc, s[4:5]
	v_mov_b32_e32 v41, v3
	v_cndmask_b32_e64 v57, 0, 1, s[4:5]
	;; [unrolled: 5-line block ×13, first 2 shown]
	v_cmp_gt_u64_e32 vcc, s[44:45], v[4:5]
	v_cmp_ne_u32_e64 s[4:5], v20, v21
	s_and_b64 s[4:5], vcc, s[4:5]
	v_lshlrev_b32_e32 v44, 2, v0
	s_mov_b32 s3, 1
	v_cndmask_b32_e64 v69, 0, 1, s[4:5]
	v_cmp_ne_u32_e32 vcc, 0, v0
	ds_write_b32 v44, v1
	s_waitcnt lgkmcnt(0)
	s_barrier
	s_waitcnt lgkmcnt(0)
                                        ; implicit-def: $sgpr6_sgpr7
	s_and_saveexec_b64 s[8:9], vcc
	s_cbranch_execz .LBB443_146
; %bb.54:
	v_add_u32_e32 v2, -4, v44
	ds_read_b32 v4, v2
	v_mul_u32_u24_e32 v2, 15, v0
	v_cmp_gt_u64_e32 vcc, s[44:45], v[2:3]
	s_or_b64 s[42:43], s[42:43], exec
	s_waitcnt lgkmcnt(0)
	v_cmp_ne_u32_e64 s[4:5], v4, v20
	s_and_b64 s[4:5], vcc, s[4:5]
	s_and_b64 s[6:7], s[4:5], exec
	s_or_b64 exec, exec, s[8:9]
.LBB443_55:
	v_mov_b32_e32 v70, s3
	s_and_saveexec_b64 s[4:5], s[42:43]
.LBB443_56:
	v_cndmask_b32_e64 v70, 0, 1, s[6:7]
.LBB443_57:
	s_or_b64 exec, exec, s[4:5]
	s_load_dwordx4 s[40:43], s[0:1], 0x20
	s_load_dwordx2 s[34:35], s[0:1], 0x30
	s_cmp_eq_u64 s[38:39], 0
	v_add3_u32 v2, v69, v70, v68
	s_cselect_b64 s[38:39], -1, 0
	s_cmp_lg_u32 s2, 0
	v_cmp_eq_u32_e64 s[24:25], 0, v69
	v_cmp_eq_u32_e64 s[22:23], 0, v68
	;; [unrolled: 1-line block ×3, first 2 shown]
	v_add3_u32 v72, v2, v67, v66
	v_cmp_eq_u32_e64 s[18:19], 0, v66
	v_cmp_eq_u32_e64 s[16:17], 0, v65
	v_cmp_eq_u32_e64 s[14:15], 0, v64
	v_cmp_eq_u32_e64 s[12:13], 0, v63
	v_cmp_eq_u32_e64 s[10:11], 0, v62
	v_cmp_eq_u32_e64 s[8:9], 0, v61
	v_cmp_eq_u32_e64 s[6:7], 0, v60
	v_cmp_eq_u32_e64 s[4:5], 0, v59
	v_cmp_eq_u32_e64 s[28:29], 0, v58
	v_cmp_eq_u32_e64 s[0:1], 0, v57
	v_cmp_eq_u32_e32 vcc, 0, v56
	v_mbcnt_lo_u32_b32 v71, -1, 0
	v_lshrrev_b32_e32 v54, 6, v0
	v_or_b32_e32 v55, 63, v0
	s_cbranch_scc0 .LBB443_84
; %bb.58:
	v_cndmask_b32_e64 v2, 0, v52, s[24:25]
	v_add_u32_e32 v2, v2, v52
	v_cndmask_b32_e64 v2, 0, v2, s[22:23]
	v_add_u32_e32 v2, v2, v52
	;; [unrolled: 2-line block ×11, first 2 shown]
	v_cndmask_b32_e64 v2, 0, v2, s[28:29]
	v_add3_u32 v3, v72, v65, v64
	v_add_u32_e32 v2, v2, v52
	v_add3_u32 v3, v3, v63, v62
	v_cndmask_b32_e64 v2, 0, v2, s[0:1]
	v_add3_u32 v3, v3, v61, v60
	v_add_u32_e32 v2, v2, v52
	v_add3_u32 v3, v3, v59, v58
	v_cndmask_b32_e32 v2, 0, v2, vcc
	v_add3_u32 v3, v3, v57, v56
	v_add_u32_e32 v2, v2, v53
	v_mbcnt_hi_u32_b32 v25, -1, v71
	v_and_b32_e32 v4, 15, v25
	v_mov_b32_dpp v6, v2 row_shr:1 row_mask:0xf bank_mask:0xf
	v_cmp_eq_u32_e32 vcc, 0, v3
	v_mov_b32_dpp v5, v3 row_shr:1 row_mask:0xf bank_mask:0xf
	v_cmp_lt_u32_e64 s[26:27], 1, v4
	v_cndmask_b32_e32 v6, 0, v6, vcc
	v_cmp_eq_u32_e32 vcc, 0, v4
	s_nop 1
	v_cndmask_b32_e64 v5, v5, 0, vcc
	v_add_u32_e32 v3, v5, v3
	v_cndmask_b32_e64 v5, v6, 0, vcc
	v_add_u32_e32 v2, v5, v2
	v_cmp_eq_u32_e32 vcc, 0, v3
	v_mov_b32_dpp v5, v3 row_shr:2 row_mask:0xf bank_mask:0xf
	v_mov_b32_dpp v6, v2 row_shr:2 row_mask:0xf bank_mask:0xf
	v_cndmask_b32_e64 v5, 0, v5, s[26:27]
	s_and_b64 vcc, s[26:27], vcc
	v_cndmask_b32_e32 v6, 0, v6, vcc
	v_add_u32_e32 v3, v3, v5
	v_add_u32_e32 v2, v6, v2
	v_cmp_eq_u32_e32 vcc, 0, v3
	v_mov_b32_dpp v5, v3 row_shr:4 row_mask:0xf bank_mask:0xf
	v_cmp_lt_u32_e64 s[26:27], 3, v4
	v_mov_b32_dpp v6, v2 row_shr:4 row_mask:0xf bank_mask:0xf
	s_and_b64 vcc, s[26:27], vcc
	v_cndmask_b32_e64 v5, 0, v5, s[26:27]
	v_cndmask_b32_e32 v6, 0, v6, vcc
	v_add_u32_e32 v3, v5, v3
	v_add_u32_e32 v2, v2, v6
	v_cmp_eq_u32_e32 vcc, 0, v3
	v_cmp_lt_u32_e64 s[26:27], 7, v4
	v_mov_b32_dpp v5, v3 row_shr:8 row_mask:0xf bank_mask:0xf
	v_mov_b32_dpp v6, v2 row_shr:8 row_mask:0xf bank_mask:0xf
	s_and_b64 vcc, s[26:27], vcc
	v_cndmask_b32_e64 v4, 0, v5, s[26:27]
	v_cndmask_b32_e32 v5, 0, v6, vcc
	v_add_u32_e32 v2, v5, v2
	v_add_u32_e32 v3, v4, v3
	v_bfe_i32 v6, v25, 4, 1
	v_mov_b32_dpp v5, v2 row_bcast:15 row_mask:0xf bank_mask:0xf
	v_mov_b32_dpp v4, v3 row_bcast:15 row_mask:0xf bank_mask:0xf
	v_cmp_eq_u32_e32 vcc, 0, v3
	v_and_b32_e32 v4, v6, v4
	v_add_u32_e32 v3, v4, v3
	v_cndmask_b32_e32 v5, 0, v5, vcc
	v_and_b32_e32 v4, v6, v5
	v_add_u32_e32 v4, v4, v2
	v_mov_b32_dpp v2, v3 row_bcast:31 row_mask:0xf bank_mask:0xf
	v_cmp_eq_u32_e32 vcc, 0, v3
	v_cmp_lt_u32_e64 s[26:27], 31, v25
	v_mov_b32_dpp v5, v4 row_bcast:31 row_mask:0xf bank_mask:0xf
	s_and_b64 vcc, s[26:27], vcc
	v_cndmask_b32_e64 v2, 0, v2, s[26:27]
	v_add_u32_e32 v2, v2, v3
	v_cndmask_b32_e32 v3, 0, v5, vcc
	v_add_u32_e32 v3, v3, v4
	v_cmp_eq_u32_e32 vcc, v55, v0
	v_lshlrev_b32_e32 v4, 3, v54
	s_and_saveexec_b64 s[26:27], vcc
	s_cbranch_execz .LBB443_60
; %bb.59:
	ds_write_b64 v4, v[2:3] offset:4112
.LBB443_60:
	s_or_b64 exec, exec, s[26:27]
	v_cmp_gt_u32_e32 vcc, 8, v0
	s_waitcnt lgkmcnt(0)
	s_barrier
	s_and_saveexec_b64 s[30:31], vcc
	s_cbranch_execz .LBB443_62
; %bb.61:
	v_lshlrev_b32_e32 v5, 3, v0
	ds_read_b64 v[6:7], v5 offset:4112
	v_and_b32_e32 v22, 7, v25
	v_cmp_lt_u32_e64 s[26:27], 1, v22
	s_waitcnt lgkmcnt(0)
	v_mov_b32_dpp v24, v7 row_shr:1 row_mask:0xf bank_mask:0xf
	v_cmp_eq_u32_e32 vcc, 0, v6
	v_mov_b32_dpp v23, v6 row_shr:1 row_mask:0xf bank_mask:0xf
	s_nop 0
	v_cndmask_b32_e32 v24, 0, v24, vcc
	v_cmp_eq_u32_e32 vcc, 0, v22
	s_nop 1
	v_cndmask_b32_e64 v23, v23, 0, vcc
	v_add_u32_e32 v6, v23, v6
	v_cndmask_b32_e64 v23, v24, 0, vcc
	v_add_u32_e32 v7, v23, v7
	v_cmp_eq_u32_e32 vcc, 0, v6
	v_mov_b32_dpp v23, v6 row_shr:2 row_mask:0xf bank_mask:0xf
	v_mov_b32_dpp v24, v7 row_shr:2 row_mask:0xf bank_mask:0xf
	v_cndmask_b32_e64 v23, 0, v23, s[26:27]
	s_and_b64 vcc, s[26:27], vcc
	v_cndmask_b32_e32 v24, 0, v24, vcc
	v_add_u32_e32 v6, v23, v6
	v_add_u32_e32 v7, v24, v7
	v_cmp_eq_u32_e32 vcc, 0, v6
	v_mov_b32_dpp v23, v6 row_shr:4 row_mask:0xf bank_mask:0xf
	v_cmp_lt_u32_e64 s[26:27], 3, v22
	v_mov_b32_dpp v24, v7 row_shr:4 row_mask:0xf bank_mask:0xf
	s_and_b64 vcc, s[26:27], vcc
	v_cndmask_b32_e64 v22, 0, v23, s[26:27]
	v_add_u32_e32 v6, v22, v6
	v_cndmask_b32_e32 v22, 0, v24, vcc
	v_add_u32_e32 v7, v22, v7
	ds_write_b64 v5, v[6:7] offset:4112
.LBB443_62:
	s_or_b64 exec, exec, s[30:31]
	v_cmp_gt_u32_e32 vcc, 64, v0
	v_cmp_lt_u32_e64 s[26:27], 63, v0
	v_mov_b32_e32 v22, 0
	v_mov_b32_e32 v23, 0
	s_waitcnt lgkmcnt(0)
	s_barrier
	s_and_saveexec_b64 s[30:31], s[26:27]
	s_cbranch_execz .LBB443_64
; %bb.63:
	ds_read_b64 v[22:23], v4 offset:4104
	v_cmp_eq_u32_e64 s[26:27], 0, v2
	s_waitcnt lgkmcnt(0)
	v_add_u32_e32 v4, v22, v2
	v_cndmask_b32_e64 v2, 0, v23, s[26:27]
	v_add_u32_e32 v3, v2, v3
	v_mov_b32_e32 v2, v4
.LBB443_64:
	s_or_b64 exec, exec, s[30:31]
	v_add_u32_e32 v4, -1, v25
	v_and_b32_e32 v5, 64, v25
	v_cmp_lt_i32_e64 s[26:27], v4, v5
	s_nop 1
	v_cndmask_b32_e64 v4, v4, v25, s[26:27]
	v_lshlrev_b32_e32 v4, 2, v4
	ds_bpermute_b32 v30, v4, v2
	ds_bpermute_b32 v31, v4, v3
	v_cmp_eq_u32_e64 s[26:27], 0, v25
	s_and_saveexec_b64 s[44:45], vcc
	s_cbranch_execz .LBB443_83
; %bb.65:
	v_mov_b32_e32 v7, 0
	ds_read_b64 v[2:3], v7 offset:4168
	s_waitcnt lgkmcnt(0)
	v_readfirstlane_b32 s3, v2
	v_readfirstlane_b32 s56, v3
	s_and_saveexec_b64 s[30:31], s[26:27]
	s_cbranch_execz .LBB443_67
; %bb.66:
	s_add_i32 s54, s2, 64
	s_mov_b32 s55, 0
	s_lshl_b64 s[58:59], s[54:55], 4
	s_add_u32 s58, s36, s58
	s_addc_u32 s59, s37, s59
	s_and_b32 s61, s56, 0xff000000
	s_mov_b32 s60, s55
	s_and_b32 s63, s56, 0xff0000
	s_mov_b32 s62, s55
	s_or_b64 s[60:61], s[62:63], s[60:61]
	s_and_b32 s63, s56, 0xff00
	s_or_b64 s[60:61], s[60:61], s[62:63]
	s_and_b32 s63, s56, 0xff
	s_or_b64 s[54:55], s[60:61], s[62:63]
	v_mov_b32_e32 v4, s3
	v_mov_b32_e32 v5, s55
	;; [unrolled: 1-line block ×3, first 2 shown]
	v_mov_b64_e32 v[2:3], s[58:59]
	;;#ASMSTART
	global_store_dwordx4 v[2:3], v[4:7] off sc1	
s_waitcnt vmcnt(0)
	;;#ASMEND
.LBB443_67:
	s_or_b64 exec, exec, s[30:31]
	v_xad_u32 v24, v25, -1, s2
	v_add_u32_e32 v6, 64, v24
	v_lshl_add_u64 v[26:27], v[6:7], 4, s[36:37]
	;;#ASMSTART
	global_load_dwordx4 v[2:5], v[26:27] off sc1	
s_waitcnt vmcnt(0)
	;;#ASMEND
	s_nop 0
	v_and_b32_e32 v5, 0xff, v3
	v_and_b32_e32 v6, 0xff00, v3
	v_or3_b32 v2, v2, 0, 0
	v_and_b32_e32 v28, 0xff000000, v3
	v_or3_b32 v5, 0, v5, v6
	;; [unrolled: 2-line block ×3, first 2 shown]
	v_or3_b32 v2, v2, 0, 0
	v_cmp_eq_u16_sdwa s[54:55], v4, v7 src0_sel:BYTE_0 src1_sel:DWORD
	s_and_saveexec_b64 s[30:31], s[54:55]
	s_cbranch_execz .LBB443_71
; %bb.68:
	s_mov_b64 s[54:55], 0
	v_mov_b32_e32 v6, 0
.LBB443_69:                             ; =>This Inner Loop Header: Depth=1
	;;#ASMSTART
	global_load_dwordx4 v[2:5], v[26:27] off sc1	
s_waitcnt vmcnt(0)
	;;#ASMEND
	s_nop 0
	v_cmp_ne_u16_sdwa s[58:59], v4, v6 src0_sel:BYTE_0 src1_sel:DWORD
	s_or_b64 s[54:55], s[58:59], s[54:55]
	s_andn2_b64 exec, exec, s[54:55]
	s_cbranch_execnz .LBB443_69
; %bb.70:
	s_or_b64 exec, exec, s[54:55]
.LBB443_71:
	s_or_b64 exec, exec, s[30:31]
	v_mov_b32_e32 v32, 2
	v_cmp_eq_u16_sdwa s[30:31], v4, v32 src0_sel:BYTE_0 src1_sel:DWORD
	v_lshlrev_b64 v[26:27], v25, -1
	v_and_b32_e32 v33, 63, v25
	v_and_b32_e32 v5, s31, v27
	v_or_b32_e32 v5, 0x80000000, v5
	v_cmp_ne_u32_e32 vcc, 63, v33
	v_and_b32_e32 v6, s30, v26
	v_ffbl_b32_e32 v5, v5
	v_addc_co_u32_e32 v7, vcc, 0, v25, vcc
	v_add_u32_e32 v5, 32, v5
	v_ffbl_b32_e32 v6, v6
	v_lshlrev_b32_e32 v34, 2, v7
	v_min_u32_e32 v5, v6, v5
	ds_bpermute_b32 v6, v34, v3
	v_cmp_eq_u32_e32 vcc, 0, v2
	v_cmp_lt_u32_e64 s[30:31], v33, v5
	ds_bpermute_b32 v7, v34, v2
	s_and_b64 vcc, s[30:31], vcc
	s_waitcnt lgkmcnt(1)
	v_cndmask_b32_e32 v6, 0, v6, vcc
	v_cmp_gt_u32_e32 vcc, 62, v33
	v_add_u32_e32 v3, v6, v3
	s_waitcnt lgkmcnt(0)
	v_cndmask_b32_e64 v7, 0, v7, s[30:31]
	v_cndmask_b32_e64 v6, 0, 1, vcc
	v_lshlrev_b32_e32 v6, 1, v6
	v_add_lshl_u32 v35, v6, v25, 2
	ds_bpermute_b32 v6, v35, v3
	v_add_u32_e32 v2, v7, v2
	ds_bpermute_b32 v7, v35, v2
	v_add_u32_e32 v36, 2, v33
	v_cmp_eq_u32_e32 vcc, 0, v2
	v_add_u32_e32 v38, 4, v33
	v_add_u32_e32 v40, 8, v33
	s_waitcnt lgkmcnt(1)
	v_cndmask_b32_e32 v6, 0, v6, vcc
	v_cmp_gt_u32_e32 vcc, v36, v5
	v_add_u32_e32 v42, 16, v33
	v_add_u32_e32 v44, 32, v33
	v_cndmask_b32_e64 v6, v6, 0, vcc
	v_add_u32_e32 v3, v6, v3
	s_waitcnt lgkmcnt(0)
	v_cndmask_b32_e64 v6, v7, 0, vcc
	v_cmp_gt_u32_e32 vcc, 60, v33
	v_add_u32_e32 v2, v2, v6
	s_nop 0
	v_cndmask_b32_e64 v7, 0, 1, vcc
	v_lshlrev_b32_e32 v7, 2, v7
	v_add_lshl_u32 v37, v7, v25, 2
	ds_bpermute_b32 v7, v37, v3
	ds_bpermute_b32 v6, v37, v2
	v_cmp_eq_u32_e32 vcc, 0, v2
	s_waitcnt lgkmcnt(1)
	s_nop 0
	v_cndmask_b32_e32 v7, 0, v7, vcc
	v_cmp_gt_u32_e32 vcc, v38, v5
	s_nop 1
	v_cndmask_b32_e64 v7, v7, 0, vcc
	s_waitcnt lgkmcnt(0)
	v_cndmask_b32_e64 v6, v6, 0, vcc
	v_cmp_gt_u32_e32 vcc, 56, v33
	v_add_u32_e32 v3, v3, v7
	v_add_u32_e32 v2, v2, v6
	v_cndmask_b32_e64 v7, 0, 1, vcc
	v_lshlrev_b32_e32 v7, 3, v7
	v_add_lshl_u32 v39, v7, v25, 2
	ds_bpermute_b32 v7, v39, v3
	ds_bpermute_b32 v6, v39, v2
	v_cmp_eq_u32_e32 vcc, 0, v2
	s_waitcnt lgkmcnt(1)
	s_nop 0
	v_cndmask_b32_e32 v7, 0, v7, vcc
	v_cmp_gt_u32_e32 vcc, v40, v5
	s_nop 1
	v_cndmask_b32_e64 v7, v7, 0, vcc
	s_waitcnt lgkmcnt(0)
	v_cndmask_b32_e64 v6, v6, 0, vcc
	v_cmp_gt_u32_e32 vcc, 48, v33
	v_add_u32_e32 v3, v3, v7
	v_add_u32_e32 v2, v2, v6
	;; [unrolled: 17-line block ×3, first 2 shown]
	v_cndmask_b32_e64 v7, 0, 1, vcc
	v_lshlrev_b32_e32 v7, 5, v7
	v_add_lshl_u32 v43, v7, v25, 2
	ds_bpermute_b32 v7, v43, v3
	ds_bpermute_b32 v6, v43, v2
	v_cmp_eq_u32_e32 vcc, 0, v2
	v_mov_b32_e32 v25, 0
	s_waitcnt lgkmcnt(1)
	v_cndmask_b32_e32 v7, 0, v7, vcc
	v_cmp_gt_u32_e32 vcc, v44, v5
	s_nop 1
	v_cndmask_b32_e64 v5, v7, 0, vcc
	v_add_u32_e32 v3, v5, v3
	s_waitcnt lgkmcnt(0)
	v_cndmask_b32_e64 v5, v6, 0, vcc
	v_add_u32_e32 v2, v5, v2
	s_branch .LBB443_73
.LBB443_72:                             ;   in Loop: Header=BB443_73 Depth=1
	s_or_b64 exec, exec, s[30:31]
	v_cmp_eq_u16_sdwa s[30:31], v4, v32 src0_sel:BYTE_0 src1_sel:DWORD
	v_cmp_eq_u32_e32 vcc, 0, v2
	ds_bpermute_b32 v29, v34, v2
	v_and_b32_e32 v5, s31, v27
	v_or_b32_e32 v5, 0x80000000, v5
	v_and_b32_e32 v28, s30, v26
	v_ffbl_b32_e32 v5, v5
	v_add_u32_e32 v5, 32, v5
	v_ffbl_b32_e32 v28, v28
	v_min_u32_e32 v5, v28, v5
	ds_bpermute_b32 v28, v34, v3
	v_cmp_lt_u32_e64 s[30:31], v33, v5
	s_and_b64 vcc, s[30:31], vcc
	v_subrev_u32_e32 v24, 64, v24
	s_waitcnt lgkmcnt(1)
	v_cndmask_b32_e64 v29, 0, v29, s[30:31]
	s_waitcnt lgkmcnt(0)
	v_cndmask_b32_e32 v28, 0, v28, vcc
	v_add_u32_e32 v3, v28, v3
	ds_bpermute_b32 v28, v35, v3
	v_add_u32_e32 v2, v29, v2
	v_cmp_eq_u32_e32 vcc, 0, v2
	ds_bpermute_b32 v29, v35, v2
	s_waitcnt lgkmcnt(1)
	v_cndmask_b32_e32 v28, 0, v28, vcc
	v_cmp_gt_u32_e32 vcc, v36, v5
	s_nop 1
	v_cndmask_b32_e64 v28, v28, 0, vcc
	v_add_u32_e32 v3, v28, v3
	ds_bpermute_b32 v28, v37, v3
	s_waitcnt lgkmcnt(1)
	v_cndmask_b32_e64 v29, v29, 0, vcc
	v_add_u32_e32 v2, v2, v29
	v_cmp_eq_u32_e32 vcc, 0, v2
	ds_bpermute_b32 v29, v37, v2
	s_waitcnt lgkmcnt(1)
	v_cndmask_b32_e32 v28, 0, v28, vcc
	v_cmp_gt_u32_e32 vcc, v38, v5
	s_nop 1
	v_cndmask_b32_e64 v28, v28, 0, vcc
	v_add_u32_e32 v3, v3, v28
	ds_bpermute_b32 v28, v39, v3
	s_waitcnt lgkmcnt(1)
	v_cndmask_b32_e64 v29, v29, 0, vcc
	v_add_u32_e32 v2, v2, v29
	ds_bpermute_b32 v29, v39, v2
	v_cmp_eq_u32_e32 vcc, 0, v2
	s_waitcnt lgkmcnt(1)
	s_nop 0
	v_cndmask_b32_e32 v28, 0, v28, vcc
	v_cmp_gt_u32_e32 vcc, v40, v5
	s_nop 1
	v_cndmask_b32_e64 v28, v28, 0, vcc
	v_add_u32_e32 v3, v3, v28
	ds_bpermute_b32 v28, v41, v3
	s_waitcnt lgkmcnt(1)
	v_cndmask_b32_e64 v29, v29, 0, vcc
	v_add_u32_e32 v2, v2, v29
	ds_bpermute_b32 v29, v41, v2
	v_cmp_eq_u32_e32 vcc, 0, v2
	s_waitcnt lgkmcnt(1)
	s_nop 0
	;; [unrolled: 13-line block ×3, first 2 shown]
	v_cndmask_b32_e32 v28, 0, v28, vcc
	v_cmp_gt_u32_e32 vcc, v44, v5
	s_nop 1
	v_cndmask_b32_e64 v5, v28, 0, vcc
	v_add_u32_e32 v3, v5, v3
	s_waitcnt lgkmcnt(0)
	v_cndmask_b32_e64 v5, v29, 0, vcc
	v_cmp_eq_u32_e32 vcc, 0, v6
	v_add3_u32 v2, v2, v6, v5
	s_nop 0
	v_cndmask_b32_e32 v3, 0, v3, vcc
	v_add_u32_e32 v3, v3, v7
.LBB443_73:                             ; =>This Loop Header: Depth=1
                                        ;     Child Loop BB443_76 Depth 2
	v_cmp_ne_u16_sdwa s[30:31], v4, v32 src0_sel:BYTE_0 src1_sel:DWORD
	v_mov_b32_e32 v7, v3
	v_mov_b32_e32 v6, v2
	v_cndmask_b32_e64 v3, 0, 1, s[30:31]
	;;#ASMSTART
	;;#ASMEND
	s_nop 0
	v_cmp_ne_u32_e32 vcc, 0, v3
	s_cmp_lg_u64 vcc, exec
	s_cbranch_scc1 .LBB443_78
; %bb.74:                               ;   in Loop: Header=BB443_73 Depth=1
	v_lshl_add_u64 v[28:29], v[24:25], 4, s[36:37]
	;;#ASMSTART
	global_load_dwordx4 v[2:5], v[28:29] off sc1	
s_waitcnt vmcnt(0)
	;;#ASMEND
	s_nop 0
	v_and_b32_e32 v5, 0xff, v3
	v_and_b32_e32 v45, 0xff00, v3
	v_or3_b32 v2, v2, 0, 0
	v_and_b32_e32 v46, 0xff000000, v3
	v_or3_b32 v5, 0, v5, v45
	;; [unrolled: 2-line block ×3, first 2 shown]
	v_or3_b32 v2, v2, 0, 0
	v_cmp_eq_u16_sdwa s[54:55], v4, v25 src0_sel:BYTE_0 src1_sel:DWORD
	s_and_saveexec_b64 s[30:31], s[54:55]
	s_cbranch_execz .LBB443_72
; %bb.75:                               ;   in Loop: Header=BB443_73 Depth=1
	s_mov_b64 s[54:55], 0
.LBB443_76:                             ;   Parent Loop BB443_73 Depth=1
                                        ; =>  This Inner Loop Header: Depth=2
	;;#ASMSTART
	global_load_dwordx4 v[2:5], v[28:29] off sc1	
s_waitcnt vmcnt(0)
	;;#ASMEND
	s_nop 0
	v_cmp_ne_u16_sdwa s[58:59], v4, v25 src0_sel:BYTE_0 src1_sel:DWORD
	s_or_b64 s[54:55], s[58:59], s[54:55]
	s_andn2_b64 exec, exec, s[54:55]
	s_cbranch_execnz .LBB443_76
; %bb.77:                               ;   in Loop: Header=BB443_73 Depth=1
	s_or_b64 exec, exec, s[54:55]
	s_branch .LBB443_72
.LBB443_78:                             ;   in Loop: Header=BB443_73 Depth=1
                                        ; implicit-def: $vgpr3
                                        ; implicit-def: $vgpr2
                                        ; implicit-def: $vgpr4
	s_cbranch_execz .LBB443_73
; %bb.79:
	s_and_saveexec_b64 s[30:31], s[26:27]
	s_cbranch_execz .LBB443_81
; %bb.80:
	s_cmp_eq_u32 s3, 0
	s_cselect_b64 vcc, -1, 0
	s_mov_b32 s55, 0
	v_cndmask_b32_e32 v2, 0, v7, vcc
	s_add_i32 s54, s2, 64
	v_add_u32_e32 v2, s56, v2
	s_lshl_b64 s[54:55], s[54:55], 4
	s_add_u32 s54, s36, s54
	v_and_b32_e32 v3, 0xff000000, v2
	v_and_b32_e32 v4, 0xff0000, v2
	s_addc_u32 s55, s37, s55
	v_or_b32_e32 v3, v4, v3
	v_and_b32_e32 v4, 0xff00, v2
	v_and_b32_e32 v2, 0xff, v2
	v_add_u32_e32 v24, s3, v6
	v_mov_b32_e32 v27, 0
	v_or3_b32 v25, v3, v4, v2
	v_mov_b32_e32 v26, 2
	v_mov_b64_e32 v[2:3], s[54:55]
	;;#ASMSTART
	global_store_dwordx4 v[2:3], v[24:27] off sc1	
s_waitcnt vmcnt(0)
	;;#ASMEND
	v_mov_b32_e32 v4, s3
	v_mov_b32_e32 v5, s56
	ds_write_b128 v27, v[4:7] offset:4096
.LBB443_81:
	s_or_b64 exec, exec, s[30:31]
	v_cmp_eq_u32_e32 vcc, 0, v0
	s_and_b64 exec, exec, vcc
	s_cbranch_execz .LBB443_83
; %bb.82:
	v_mov_b32_e32 v2, 0
	ds_write_b64 v2, v[6:7] offset:4168
.LBB443_83:
	s_or_b64 exec, exec, s[44:45]
	v_mov_b32_e32 v4, 0
	s_waitcnt lgkmcnt(0)
	s_barrier
	ds_read_b64 v[2:3], v4 offset:4168
	v_cndmask_b32_e64 v6, v30, v22, s[26:27]
	v_cmp_eq_u32_e32 vcc, 0, v6
	v_cndmask_b32_e64 v5, v31, v23, s[26:27]
	s_waitcnt lgkmcnt(0)
	v_cndmask_b32_e32 v7, 0, v3, vcc
	v_add_u32_e32 v5, v7, v5
	v_cmp_eq_u32_e32 vcc, 0, v0
	s_barrier
	s_nop 0
	v_cndmask_b32_e32 v51, v5, v3, vcc
	v_cndmask_b32_e64 v3, v6, 0, vcc
	v_cmp_eq_u32_e32 vcc, 0, v70
	v_add_u32_e32 v50, v2, v3
	v_add_u32_e32 v48, v50, v70
	v_cndmask_b32_e32 v2, 0, v51, vcc
	v_add_u32_e32 v49, v2, v52
	v_cndmask_b32_e64 v2, 0, v49, s[24:25]
	v_add_u32_e32 v47, v2, v52
	v_cndmask_b32_e64 v2, 0, v47, s[22:23]
	;; [unrolled: 2-line block ×8, first 2 shown]
	v_add_u32_e32 v33, v2, v52
	v_add_u32_e32 v46, v48, v69
	v_cndmask_b32_e64 v2, 0, v33, s[8:9]
	v_add_u32_e32 v44, v46, v68
	v_add_u32_e32 v31, v2, v52
	v_add_u32_e32 v42, v44, v67
	v_cndmask_b32_e64 v2, 0, v31, s[6:7]
	v_add_u32_e32 v40, v42, v66
	v_add_u32_e32 v29, v2, v52
	v_add_u32_e32 v38, v40, v65
	v_cndmask_b32_e64 v2, 0, v29, s[4:5]
	v_add_u32_e32 v36, v38, v64
	v_add_u32_e32 v27, v2, v52
	ds_read_b128 v[2:5], v4 offset:4096
	v_add_u32_e32 v34, v36, v63
	v_add_u32_e32 v32, v34, v62
	;; [unrolled: 1-line block ×4, first 2 shown]
	v_cndmask_b32_e64 v6, 0, v27, s[28:29]
	v_add_u32_e32 v26, v28, v59
	v_add_u32_e32 v23, v6, v52
	s_waitcnt lgkmcnt(0)
	v_cmp_eq_u32_e32 vcc, 0, v2
	v_add_u32_e32 v22, v26, v58
	v_cndmask_b32_e64 v6, 0, v23, s[0:1]
	v_cndmask_b32_e32 v5, 0, v5, vcc
	v_add_u32_e32 v24, v22, v57
	v_add_u32_e32 v25, v6, v52
	;; [unrolled: 1-line block ×3, first 2 shown]
	s_branch .LBB443_96
.LBB443_84:
                                        ; implicit-def: $vgpr2
                                        ; implicit-def: $vgpr6
                                        ; implicit-def: $vgpr24_vgpr25
                                        ; implicit-def: $vgpr22_vgpr23
                                        ; implicit-def: $vgpr26_vgpr27
                                        ; implicit-def: $vgpr28_vgpr29
                                        ; implicit-def: $vgpr50_vgpr51
                                        ; implicit-def: $vgpr48_vgpr49
                                        ; implicit-def: $vgpr46_vgpr47
                                        ; implicit-def: $vgpr44_vgpr45
                                        ; implicit-def: $vgpr42_vgpr43
                                        ; implicit-def: $vgpr40_vgpr41
                                        ; implicit-def: $vgpr38_vgpr39
                                        ; implicit-def: $vgpr36_vgpr37
                                        ; implicit-def: $vgpr34_vgpr35
                                        ; implicit-def: $vgpr32_vgpr33
                                        ; implicit-def: $vgpr30_vgpr31
	s_cbranch_execz .LBB443_96
; %bb.85:
	s_and_b64 s[0:1], s[38:39], exec
	s_cselect_b32 s1, 0, s53
	s_cselect_b32 s0, 0, s52
	s_cmp_eq_u64 s[0:1], 0
	v_mov_b32_e32 v6, v52
	s_cbranch_scc1 .LBB443_87
; %bb.86:
	v_mov_b32_e32 v2, 0
	global_load_dword v6, v2, s[0:1]
.LBB443_87:
	v_cmp_eq_u32_e64 s[0:1], 0, v69
	v_cmp_eq_u32_e64 s[2:3], 0, v68
	v_cmp_eq_u32_e64 s[4:5], 0, v67
	v_cndmask_b32_e64 v2, 0, v52, s[0:1]
	v_add_u32_e32 v2, v2, v52
	v_cndmask_b32_e64 v2, 0, v2, s[2:3]
	v_add_u32_e32 v2, v2, v52
	v_cndmask_b32_e64 v2, 0, v2, s[4:5]
	v_add_u32_e32 v2, v2, v52
	v_cmp_eq_u32_e64 s[6:7], 0, v66
	v_cmp_eq_u32_e64 s[8:9], 0, v65
	v_cmp_eq_u32_e64 s[10:11], 0, v64
	v_cndmask_b32_e64 v2, 0, v2, s[6:7]
	v_add_u32_e32 v2, v2, v52
	v_cndmask_b32_e64 v2, 0, v2, s[8:9]
	v_add_u32_e32 v2, v2, v52
	v_cndmask_b32_e64 v2, 0, v2, s[10:11]
	v_add_u32_e32 v2, v2, v52
	;; [unrolled: 9-line block ×3, first 2 shown]
	v_cmp_eq_u32_e64 s[18:19], 0, v60
	v_cmp_eq_u32_e64 s[20:21], 0, v59
	;; [unrolled: 1-line block ×3, first 2 shown]
	v_cndmask_b32_e64 v2, 0, v2, s[18:19]
	v_add_u32_e32 v2, v2, v52
	v_cndmask_b32_e64 v2, 0, v2, s[20:21]
	v_add_u32_e32 v2, v2, v52
	v_cndmask_b32_e64 v2, 0, v2, s[22:23]
	v_add3_u32 v3, v72, v65, v64
	v_add_u32_e32 v2, v2, v52
	v_cmp_eq_u32_e32 vcc, 0, v57
	v_add3_u32 v3, v3, v63, v62
	v_add3_u32 v3, v3, v61, v60
	v_cndmask_b32_e32 v2, 0, v2, vcc
	v_add_u32_e32 v2, v2, v52
	v_cmp_eq_u32_e64 s[24:25], 0, v56
	v_add3_u32 v3, v3, v59, v58
	v_add3_u32 v3, v3, v57, v56
	v_cndmask_b32_e64 v2, 0, v2, s[24:25]
	v_add_u32_e32 v2, v2, v53
	v_mbcnt_hi_u32_b32 v7, -1, v71
	v_and_b32_e32 v4, 15, v7
	v_mov_b32_dpp v22, v2 row_shr:1 row_mask:0xf bank_mask:0xf
	v_cmp_eq_u32_e64 s[24:25], 0, v3
	v_mov_b32_dpp v5, v3 row_shr:1 row_mask:0xf bank_mask:0xf
	v_cmp_lt_u32_e64 s[26:27], 1, v4
	v_cndmask_b32_e64 v22, 0, v22, s[24:25]
	v_cmp_eq_u32_e64 s[24:25], 0, v4
	s_nop 1
	v_cndmask_b32_e64 v5, v5, 0, s[24:25]
	v_add_u32_e32 v3, v5, v3
	v_cndmask_b32_e64 v5, v22, 0, s[24:25]
	v_add_u32_e32 v2, v5, v2
	v_cmp_eq_u32_e64 s[24:25], 0, v3
	v_mov_b32_dpp v5, v3 row_shr:2 row_mask:0xf bank_mask:0xf
	v_mov_b32_dpp v22, v2 row_shr:2 row_mask:0xf bank_mask:0xf
	v_cndmask_b32_e64 v5, 0, v5, s[26:27]
	s_and_b64 s[24:25], s[26:27], s[24:25]
	v_cndmask_b32_e64 v22, 0, v22, s[24:25]
	v_add_u32_e32 v3, v3, v5
	v_add_u32_e32 v2, v22, v2
	v_cmp_eq_u32_e64 s[24:25], 0, v3
	v_mov_b32_dpp v5, v3 row_shr:4 row_mask:0xf bank_mask:0xf
	v_cmp_lt_u32_e64 s[26:27], 3, v4
	v_mov_b32_dpp v22, v2 row_shr:4 row_mask:0xf bank_mask:0xf
	s_and_b64 s[24:25], s[26:27], s[24:25]
	v_cndmask_b32_e64 v5, 0, v5, s[26:27]
	v_cndmask_b32_e64 v22, 0, v22, s[24:25]
	v_add_u32_e32 v3, v5, v3
	v_add_u32_e32 v2, v2, v22
	v_cmp_eq_u32_e64 s[24:25], 0, v3
	v_cmp_lt_u32_e64 s[26:27], 7, v4
	v_mov_b32_dpp v5, v3 row_shr:8 row_mask:0xf bank_mask:0xf
	v_mov_b32_dpp v22, v2 row_shr:8 row_mask:0xf bank_mask:0xf
	s_and_b64 s[24:25], s[26:27], s[24:25]
	v_cndmask_b32_e64 v4, 0, v5, s[26:27]
	v_cndmask_b32_e64 v5, 0, v22, s[24:25]
	v_add_u32_e32 v2, v5, v2
	v_add_u32_e32 v3, v4, v3
	v_bfe_i32 v22, v7, 4, 1
	v_mov_b32_dpp v5, v2 row_bcast:15 row_mask:0xf bank_mask:0xf
	v_mov_b32_dpp v4, v3 row_bcast:15 row_mask:0xf bank_mask:0xf
	v_cmp_eq_u32_e64 s[24:25], 0, v3
	v_and_b32_e32 v4, v22, v4
	v_add_u32_e32 v3, v4, v3
	v_cndmask_b32_e64 v5, 0, v5, s[24:25]
	v_and_b32_e32 v4, v22, v5
	v_add_u32_e32 v4, v4, v2
	v_mov_b32_dpp v2, v3 row_bcast:31 row_mask:0xf bank_mask:0xf
	v_cmp_eq_u32_e64 s[24:25], 0, v3
	v_cmp_lt_u32_e64 s[26:27], 31, v7
	v_mov_b32_dpp v5, v4 row_bcast:31 row_mask:0xf bank_mask:0xf
	s_and_b64 s[24:25], s[26:27], s[24:25]
	v_cndmask_b32_e64 v2, 0, v2, s[26:27]
	v_add_u32_e32 v2, v2, v3
	v_cndmask_b32_e64 v3, 0, v5, s[24:25]
	v_add_u32_e32 v3, v3, v4
	v_cmp_eq_u32_e64 s[24:25], v55, v0
	v_lshlrev_b32_e32 v5, 3, v54
	s_and_saveexec_b64 s[26:27], s[24:25]
	s_cbranch_execz .LBB443_89
; %bb.88:
	ds_write_b64 v5, v[2:3] offset:4112
.LBB443_89:
	s_or_b64 exec, exec, s[26:27]
	v_cmp_gt_u32_e64 s[24:25], 8, v0
	s_waitcnt lgkmcnt(0)
	s_barrier
	s_and_saveexec_b64 s[28:29], s[24:25]
	s_cbranch_execz .LBB443_91
; %bb.90:
	v_lshlrev_b32_e32 v4, 3, v0
	ds_read_b64 v[22:23], v4 offset:4112
	v_and_b32_e32 v24, 7, v7
	v_cmp_lt_u32_e64 s[26:27], 1, v24
	s_waitcnt lgkmcnt(0)
	v_mov_b32_dpp v26, v23 row_shr:1 row_mask:0xf bank_mask:0xf
	v_cmp_eq_u32_e64 s[24:25], 0, v22
	v_mov_b32_dpp v25, v22 row_shr:1 row_mask:0xf bank_mask:0xf
	s_nop 0
	v_cndmask_b32_e64 v26, 0, v26, s[24:25]
	v_cmp_eq_u32_e64 s[24:25], 0, v24
	s_nop 1
	v_cndmask_b32_e64 v25, v25, 0, s[24:25]
	v_add_u32_e32 v22, v25, v22
	v_cndmask_b32_e64 v25, v26, 0, s[24:25]
	v_add_u32_e32 v23, v25, v23
	v_cmp_eq_u32_e64 s[24:25], 0, v22
	v_mov_b32_dpp v25, v22 row_shr:2 row_mask:0xf bank_mask:0xf
	v_mov_b32_dpp v26, v23 row_shr:2 row_mask:0xf bank_mask:0xf
	v_cndmask_b32_e64 v25, 0, v25, s[26:27]
	s_and_b64 s[24:25], s[26:27], s[24:25]
	v_cndmask_b32_e64 v26, 0, v26, s[24:25]
	v_add_u32_e32 v22, v25, v22
	v_add_u32_e32 v23, v26, v23
	v_cmp_eq_u32_e64 s[24:25], 0, v22
	v_mov_b32_dpp v25, v22 row_shr:4 row_mask:0xf bank_mask:0xf
	v_cmp_lt_u32_e64 s[26:27], 3, v24
	v_mov_b32_dpp v26, v23 row_shr:4 row_mask:0xf bank_mask:0xf
	s_and_b64 s[24:25], s[26:27], s[24:25]
	v_cndmask_b32_e64 v24, 0, v25, s[26:27]
	v_add_u32_e32 v22, v24, v22
	v_cndmask_b32_e64 v24, 0, v26, s[24:25]
	v_add_u32_e32 v23, v24, v23
	ds_write_b64 v4, v[22:23] offset:4112
.LBB443_91:
	s_or_b64 exec, exec, s[28:29]
	v_cmp_lt_u32_e64 s[24:25], 63, v0
	v_mov_b32_e32 v23, 0
	v_mov_b32_e32 v4, 0
	s_waitcnt vmcnt(0)
	v_mov_b32_e32 v22, v6
	s_waitcnt lgkmcnt(0)
	s_barrier
	s_and_saveexec_b64 s[26:27], s[24:25]
	s_cbranch_execz .LBB443_93
; %bb.92:
	ds_read_b64 v[4:5], v5 offset:4104
	s_waitcnt lgkmcnt(0)
	v_cmp_eq_u32_e64 s[24:25], 0, v4
	s_nop 1
	v_cndmask_b32_e64 v22, 0, v6, s[24:25]
	v_add_u32_e32 v22, v22, v5
.LBB443_93:
	s_or_b64 exec, exec, s[26:27]
	v_cmp_eq_u32_e64 s[24:25], 0, v2
	v_add_u32_e32 v5, v4, v2
	v_and_b32_e32 v24, 64, v7
	v_cndmask_b32_e64 v2, 0, v22, s[24:25]
	v_add_u32_e32 v2, v2, v3
	v_add_u32_e32 v3, -1, v7
	v_cmp_lt_i32_e64 s[24:25], v3, v24
	v_cmp_eq_u32_e64 s[26:27], 0, v70
	s_nop 0
	v_cndmask_b32_e64 v3, v3, v7, s[24:25]
	v_lshlrev_b32_e32 v3, 2, v3
	ds_bpermute_b32 v5, v3, v5
	ds_bpermute_b32 v2, v3, v2
	v_cmp_eq_u32_e64 s[24:25], 0, v7
	s_waitcnt lgkmcnt(1)
	s_nop 0
	v_cndmask_b32_e64 v3, v5, v4, s[24:25]
	s_waitcnt lgkmcnt(0)
	v_cndmask_b32_e64 v2, v2, v22, s[24:25]
	v_cmp_eq_u32_e64 s[24:25], 0, v0
	s_nop 1
	v_cndmask_b32_e64 v51, v2, v6, s[24:25]
	v_cndmask_b32_e64 v2, 0, v51, s[26:27]
	v_add_u32_e32 v49, v2, v52
	v_cndmask_b32_e64 v2, 0, v49, s[0:1]
	v_add_u32_e32 v47, v2, v52
	;; [unrolled: 2-line block ×8, first 2 shown]
	v_cndmask_b32_e64 v50, v3, 0, s[24:25]
	v_cndmask_b32_e64 v2, 0, v35, s[14:15]
	v_add_u32_e32 v48, v50, v70
	v_add_u32_e32 v33, v2, v52
	v_add_u32_e32 v46, v48, v69
	v_cndmask_b32_e64 v2, 0, v33, s[16:17]
	v_add_u32_e32 v44, v46, v68
	v_add_u32_e32 v31, v2, v52
	v_add_u32_e32 v42, v44, v67
	;; [unrolled: 4-line block ×3, first 2 shown]
	v_cndmask_b32_e64 v2, 0, v29, s[20:21]
	v_add_u32_e32 v36, v38, v64
	v_add_u32_e32 v27, v2, v52
	ds_read_b64 v[2:3], v23 offset:4168
	v_add_u32_e32 v34, v36, v63
	v_add_u32_e32 v32, v34, v62
	v_add_u32_e32 v30, v32, v61
	v_cndmask_b32_e64 v4, 0, v27, s[22:23]
	v_add_u32_e32 v28, v30, v60
	v_add_u32_e32 v23, v4, v52
	;; [unrolled: 1-line block ×3, first 2 shown]
	v_cndmask_b32_e32 v4, 0, v23, vcc
	s_waitcnt lgkmcnt(0)
	v_cmp_eq_u32_e32 vcc, 0, v2
	v_add_u32_e32 v22, v26, v58
	v_add_u32_e32 v25, v4, v52
	v_cndmask_b32_e32 v4, 0, v6, vcc
	v_add_u32_e32 v24, v22, v57
	v_add_u32_e32 v6, v4, v3
	s_and_saveexec_b64 s[0:1], s[24:25]
	s_cbranch_execz .LBB443_95
; %bb.94:
	s_add_u32 s2, s36, 0x400
	v_and_b32_e32 v3, 0xff000000, v6
	v_and_b32_e32 v4, 0xff0000, v6
	s_addc_u32 s3, s37, 0
	v_or_b32_e32 v3, v4, v3
	v_and_b32_e32 v4, 0xff00, v6
	v_and_b32_e32 v7, 0xff, v6
	v_mov_b32_e32 v5, 0
	v_or3_b32 v3, v3, v4, v7
	v_mov_b32_e32 v4, 2
	v_mov_b64_e32 v[52:53], s[2:3]
	;;#ASMSTART
	global_store_dwordx4 v[52:53], v[2:5] off sc1	
s_waitcnt vmcnt(0)
	;;#ASMEND
.LBB443_95:
	s_or_b64 exec, exec, s[0:1]
	v_mov_b32_e32 v4, 0
.LBB443_96:
	s_and_b64 s[0:1], s[38:39], exec
	s_cselect_b32 s1, 0, s47
	s_cselect_b32 s0, 0, s46
	s_cmp_eq_u64 s[0:1], 0
	v_mov_b64_e32 v[52:53], 0
	s_waitcnt lgkmcnt(0)
	s_barrier
	s_cbranch_scc1 .LBB443_98
; %bb.97:
	v_mov_b32_e32 v3, 0
	global_load_dwordx2 v[52:53], v3, s[0:1]
.LBB443_98:
	v_cmp_eq_u32_e32 vcc, 0, v70
	s_waitcnt vmcnt(0)
	v_lshlrev_b64 v[54:55], 2, v[52:53]
	v_mov_b32_e32 v5, 0
	v_cndmask_b32_e64 v3, 1, 2, vcc
	v_cmp_eq_u32_e32 vcc, 0, v69
	s_movk_i32 s30, 0x200
	v_lshl_add_u64 v[54:55], s[40:41], 0, v[54:55]
	v_cndmask_b32_e64 v7, 1, 2, vcc
	v_cmp_eq_u32_e32 vcc, 0, v68
	v_and_b32_e32 v3, v7, v3
	v_lshlrev_b64 v[72:73], 2, v[4:5]
	v_cndmask_b32_e64 v7, 1, 2, vcc
	v_cmp_eq_u32_e32 vcc, 0, v67
	v_and_b32_e32 v3, v3, v7
	v_lshl_add_u64 v[54:55], v[54:55], 0, v[72:73]
	v_cndmask_b32_e64 v7, 1, 2, vcc
	v_cmp_eq_u32_e32 vcc, 0, v66
	v_and_b32_e32 v3, v3, v7
	v_cmp_ne_u32_e64 s[28:29], 0, v70
	v_cndmask_b32_e64 v7, 1, 2, vcc
	v_cmp_eq_u32_e32 vcc, 0, v65
	v_and_b32_e32 v3, v3, v7
	v_cmp_ne_u32_e64 s[26:27], 0, v69
	;; [unrolled: 4-line block ×11, first 2 shown]
	v_cndmask_b32_e64 v7, 1, 2, vcc
	v_and_b32_e32 v3, v3, v7
	v_cmp_gt_u32_e32 vcc, s30, v2
	v_cmp_ne_u32_e64 s[6:7], 0, v59
	v_cmp_ne_u32_e64 s[4:5], 0, v58
	;; [unrolled: 1-line block ×4, first 2 shown]
	s_mov_b64 s[36:37], -1
	v_cmp_gt_i16_e64 s[30:31], 2, v3
	s_cbranch_vccz .LBB443_105
; %bb.99:
	s_and_saveexec_b64 s[36:37], s[30:31]
	s_cbranch_execz .LBB443_104
; %bb.100:
	v_cmp_ne_u16_e32 vcc, 1, v3
	s_mov_b64 s[38:39], 0
	s_and_saveexec_b64 s[30:31], vcc
	s_xor_b64 s[30:31], exec, s[30:31]
	s_cbranch_execnz .LBB443_147
; %bb.101:
	s_andn2_saveexec_b64 s[30:31], s[30:31]
	s_cbranch_execnz .LBB443_163
.LBB443_102:
	s_or_b64 exec, exec, s[30:31]
	s_and_b64 exec, exec, s[38:39]
	s_cbranch_execz .LBB443_104
.LBB443_103:
	v_sub_u32_e32 v72, v24, v4
	v_mov_b32_e32 v73, 0
	v_lshl_add_u64 v[72:73], v[72:73], 2, v[54:55]
	global_store_dword v[72:73], v1, off
.LBB443_104:
	s_or_b64 exec, exec, s[36:37]
	s_mov_b64 s[36:37], 0
.LBB443_105:
	s_and_b64 vcc, exec, s[36:37]
	s_cbranch_vccz .LBB443_125
; %bb.106:
	v_cmp_gt_i16_e32 vcc, 2, v3
	s_and_saveexec_b64 s[30:31], vcc
	s_cbranch_execz .LBB443_111
; %bb.107:
	v_cmp_ne_u16_e32 vcc, 1, v3
	s_mov_b64 s[38:39], 0
	s_and_saveexec_b64 s[36:37], vcc
	s_xor_b64 s[36:37], exec, s[36:37]
	s_cbranch_execnz .LBB443_164
; %bb.108:
	s_andn2_saveexec_b64 s[0:1], s[36:37]
	s_cbranch_execnz .LBB443_180
.LBB443_109:
	s_or_b64 exec, exec, s[0:1]
	s_and_b64 exec, exec, s[38:39]
	s_cbranch_execz .LBB443_111
.LBB443_110:
	v_sub_u32_e32 v3, v24, v4
	v_lshlrev_b32_e32 v3, 2, v3
	ds_write_b32 v3, v1
.LBB443_111:
	s_or_b64 exec, exec, s[30:31]
	v_cmp_lt_u32_e32 vcc, v0, v2
	s_waitcnt lgkmcnt(0)
	s_barrier
	s_and_saveexec_b64 s[0:1], vcc
	s_cbranch_execz .LBB443_124
; %bb.112:
	v_xad_u32 v1, v0, -1, v2
	s_movk_i32 s2, 0x1ff
	v_cmp_lt_u32_e32 vcc, s2, v1
	s_mov_b64 s[4:5], -1
	v_mov_b32_e32 v8, v0
	s_and_saveexec_b64 s[2:3], vcc
	s_cbranch_execz .LBB443_121
; %bb.113:
	v_lshrrev_b32_e32 v3, 9, v1
	v_add_u32_e32 v8, -1, v3
	v_or_b32_e32 v1, 0x200, v0
	v_lshrrev_b32_e32 v7, 1, v8
	v_add_u32_e32 v7, 1, v7
	v_cmp_lt_u32_e32 vcc, 13, v8
	v_mov_b32_e32 v14, 0
	v_mov_b64_e32 v[8:9], v[0:1]
	s_and_saveexec_b64 s[4:5], vcc
	s_cbranch_execz .LBB443_117
; %bb.114:
	v_and_b32_e32 v12, -8, v7
	v_lshlrev_b32_e32 v13, 2, v0
	s_mov_b32 s8, 0
	s_mov_b64 s[6:7], 0
	v_mov_b32_e32 v11, 0
	v_mov_b64_e32 v[8:9], v[0:1]
.LBB443_115:                            ; =>This Inner Loop Header: Depth=1
	ds_read2st64_b32 v[16:17], v13 offset1:8
	v_mov_b32_e32 v10, v8
	ds_read2st64_b32 v[76:77], v13 offset0:48 offset1:56
	v_lshl_add_u64 v[94:95], v[10:11], 2, v[54:55]
	v_mov_b32_e32 v10, v9
	ds_read2st64_b32 v[18:19], v13 offset0:16 offset1:24
	ds_read2st64_b32 v[80:81], v13 offset0:64 offset1:72
	v_lshl_add_u64 v[98:99], v[10:11], 2, v[54:55]
	v_add_u32_e32 v10, 0x400, v8
	ds_read2st64_b32 v[84:85], v13 offset0:80 offset1:88
	v_lshl_add_u64 v[100:101], v[10:11], 2, v[54:55]
	v_add_u32_e32 v10, 0x800, v8
	v_add_u32_e32 v14, 0x400, v9
	v_mov_b32_e32 v15, v11
	v_add_u32_e32 v20, 0x800, v9
	ds_read2st64_b32 v[72:73], v13 offset0:32 offset1:40
	v_mov_b32_e32 v21, v11
	ds_read2st64_b32 v[88:89], v13 offset0:96 offset1:104
	v_lshl_add_u64 v[102:103], v[10:11], 2, v[54:55]
	v_add_u32_e32 v10, 0xc00, v8
	v_add_u32_e32 v74, 0xc00, v9
	v_mov_b32_e32 v75, v11
	ds_read2st64_b32 v[92:93], v13 offset0:112 offset1:120
	v_lshl_add_u64 v[96:97], v[14:15], 2, v[54:55]
	v_lshl_add_u64 v[20:21], v[20:21], 2, v[54:55]
	s_waitcnt lgkmcnt(7)
	global_store_dword v[94:95], v16, off
	global_store_dword v[98:99], v17, off
	s_waitcnt lgkmcnt(5)
	global_store_dword v[100:101], v18, off
	global_store_dword v[96:97], v19, off
	;; [unrolled: 3-line block ×3, first 2 shown]
	v_lshl_add_u64 v[16:17], v[10:11], 2, v[54:55]
	v_add_u32_e32 v10, 0x1000, v8
	v_add_u32_e32 v78, 0x1000, v9
	v_mov_b32_e32 v79, v11
	v_lshl_add_u64 v[74:75], v[74:75], 2, v[54:55]
	global_store_dword v[16:17], v76, off
	global_store_dword v[74:75], v77, off
	v_lshl_add_u64 v[16:17], v[10:11], 2, v[54:55]
	v_add_u32_e32 v10, 0x1400, v8
	v_add_u32_e32 v82, 0x1400, v9
	v_mov_b32_e32 v83, v11
	v_add_u32_e32 v12, -8, v12
	v_lshl_add_u64 v[78:79], v[78:79], 2, v[54:55]
	global_store_dword v[16:17], v80, off
	global_store_dword v[78:79], v81, off
	v_lshl_add_u64 v[16:17], v[10:11], 2, v[54:55]
	v_add_u32_e32 v10, 0x1800, v8
	v_add_u32_e32 v86, 0x1800, v9
	v_mov_b32_e32 v87, v11
	s_add_i32 s8, s8, 16
	v_lshl_add_u64 v[82:83], v[82:83], 2, v[54:55]
	v_cmp_eq_u32_e32 vcc, 0, v12
	global_store_dword v[16:17], v84, off
	global_store_dword v[82:83], v85, off
	v_lshl_add_u64 v[16:17], v[10:11], 2, v[54:55]
	v_add_u32_e32 v10, 0x1c00, v8
	v_add_u32_e32 v90, 0x1c00, v9
	v_mov_b32_e32 v91, v11
	v_add_u32_e32 v13, 0x8000, v13
	v_lshl_add_u64 v[86:87], v[86:87], 2, v[54:55]
	v_add_u32_e32 v9, 0x2000, v9
	v_mov_b32_e32 v14, s8
	s_or_b64 s[6:7], vcc, s[6:7]
	v_add_u32_e32 v8, 0x2000, v8
	s_waitcnt lgkmcnt(1)
	global_store_dword v[16:17], v88, off
	global_store_dword v[86:87], v89, off
	v_lshl_add_u64 v[16:17], v[10:11], 2, v[54:55]
	v_lshl_add_u64 v[90:91], v[90:91], 2, v[54:55]
	s_waitcnt lgkmcnt(0)
	global_store_dword v[16:17], v92, off
	global_store_dword v[90:91], v93, off
	s_andn2_b64 exec, exec, s[6:7]
	s_cbranch_execnz .LBB443_115
; %bb.116:
	s_or_b64 exec, exec, s[6:7]
.LBB443_117:
	s_or_b64 exec, exec, s[4:5]
	v_and_b32_e32 v1, 7, v7
	v_cmp_ne_u32_e32 vcc, 0, v1
	s_and_saveexec_b64 s[4:5], vcc
	s_cbranch_execz .LBB443_120
; %bb.118:
	v_lshlrev_b32_e32 v7, 2, v0
	v_lshl_or_b32 v7, v14, 11, v7
	s_mov_b64 s[6:7], 0
	v_mov_b32_e32 v11, 0
.LBB443_119:                            ; =>This Inner Loop Header: Depth=1
	ds_read2st64_b32 v[12:13], v7 offset1:8
	v_add_u32_e32 v1, -1, v1
	v_mov_b32_e32 v10, v8
	v_cmp_eq_u32_e32 vcc, 0, v1
	v_add_u32_e32 v8, 0x400, v8
	v_add_u32_e32 v7, 0x1000, v7
	v_lshl_add_u64 v[14:15], v[10:11], 2, v[54:55]
	v_mov_b32_e32 v10, v9
	v_add_u32_e32 v9, 0x400, v9
	s_or_b64 s[6:7], vcc, s[6:7]
	v_lshl_add_u64 v[16:17], v[10:11], 2, v[54:55]
	s_waitcnt lgkmcnt(0)
	global_store_dword v[14:15], v12, off
	global_store_dword v[16:17], v13, off
	s_andn2_b64 exec, exec, s[6:7]
	s_cbranch_execnz .LBB443_119
.LBB443_120:
	s_or_b64 exec, exec, s[4:5]
	v_add_u32_e32 v1, 1, v3
	v_and_b32_e32 v3, 0xfffffe, v1
	v_cmp_ne_u32_e32 vcc, v1, v3
	v_lshl_or_b32 v8, v3, 9, v0
	s_orn2_b64 s[4:5], vcc, exec
.LBB443_121:
	s_or_b64 exec, exec, s[2:3]
	s_and_b64 exec, exec, s[4:5]
	s_cbranch_execz .LBB443_124
; %bb.122:
	v_lshlrev_b32_e32 v1, 2, v8
	s_mov_b64 s[2:3], 0
	v_mov_b32_e32 v9, 0
.LBB443_123:                            ; =>This Inner Loop Header: Depth=1
	ds_read_b32 v3, v1
	v_lshl_add_u64 v[10:11], v[8:9], 2, v[54:55]
	v_add_u32_e32 v8, 0x200, v8
	v_cmp_ge_u32_e32 vcc, v8, v2
	v_add_u32_e32 v1, 0x800, v1
	s_or_b64 s[2:3], vcc, s[2:3]
	s_waitcnt lgkmcnt(0)
	global_store_dword v[10:11], v3, off
	s_andn2_b64 exec, exec, s[2:3]
	s_cbranch_execnz .LBB443_123
.LBB443_124:
	s_or_b64 exec, exec, s[0:1]
.LBB443_125:
	s_cmpk_lg_i32 s33, 0x1e00
	s_cselect_b64 s[0:1], -1, 0
	v_cndmask_b32_e64 v16, 0, 1, s[50:51]
	s_and_b64 s[0:1], s[48:49], s[0:1]
	v_cmp_eq_u32_e32 vcc, 0, v0
	v_sub_u32_e32 v1, v2, v16
	v_cndmask_b32_e64 v3, 0, 1, s[0:1]
	s_and_b64 s[0:1], vcc, s[50:51]
	v_add_u32_e32 v1, v1, v3
	v_cndmask_b32_e64 v3, v70, 0, s[0:1]
	s_mul_hi_u32 s0, s33, 0x88888889
	s_lshr_b32 s0, s0, 3
	v_mad_i32_i24 v7, v0, -15, s33
	v_cmp_eq_u32_e32 vcc, s0, v0
	v_cmp_ne_u32_e64 s[0:1], 0, v7
	s_and_b64 vcc, s[48:49], vcc
	s_mov_b32 s2, 0
	v_cndmask_b32_e64 v8, 1, v3, s[0:1]
	v_cmp_ne_u32_e64 s[0:1], 1, v7
	s_movk_i32 s30, 0x200
	s_mov_b64 s[36:37], -1
	v_cndmask_b32_e64 v9, 1, v69, s[0:1]
	v_cmp_ne_u32_e64 s[0:1], 2, v7
	s_barrier
	s_nop 0
	v_cndmask_b32_e64 v10, 1, v68, s[0:1]
	v_cmp_ne_u32_e64 s[0:1], 3, v7
	s_nop 1
	v_cndmask_b32_e64 v11, 1, v67, s[0:1]
	v_cmp_ne_u32_e64 s[0:1], 4, v7
	;; [unrolled: 3-line block ×7, first 2 shown]
	v_cndmask_b32_e32 v55, v62, v17, vcc
	v_cndmask_b32_e32 v62, v69, v9, vcc
	v_cndmask_b32_e64 v18, 1, v61, s[0:1]
	v_cmp_ne_u32_e64 s[0:1], 10, v7
	v_cndmask_b32_e32 v18, v61, v18, vcc
	v_cndmask_b32_e32 v61, v68, v10, vcc
	v_cndmask_b32_e64 v19, 1, v60, s[0:1]
	v_cmp_ne_u32_e64 s[0:1], 11, v7
	;; [unrolled: 4-line block ×5, first 2 shown]
	v_cndmask_b32_e32 v54, v57, v54, vcc
	v_cndmask_b32_e32 v57, v64, v14, vcc
	v_cndmask_b32_e64 v7, 1, v56, s[0:1]
	v_cndmask_b32_e32 v7, v56, v7, vcc
	v_cndmask_b32_e32 v56, v63, v15, vcc
	;; [unrolled: 1-line block ×3, first 2 shown]
	v_mov_b32_e32 v17, s2
	v_cmp_eq_u32_e32 vcc, 0, v63
	v_lshl_add_u64 v[14:15], v[16:17], 0, -1
	v_add_u32_e32 v3, v4, v16
	v_cndmask_b32_e64 v16, 1, 2, vcc
	v_cmp_eq_u32_e32 vcc, 0, v62
	v_lshlrev_b64 v[10:11], 3, v[52:53]
	v_cmp_ne_u32_e64 s[0:1], 0, v7
	v_cndmask_b32_e64 v17, 1, 2, vcc
	v_cmp_eq_u32_e32 vcc, 0, v61
	v_and_b32_e32 v16, v17, v16
	v_lshl_add_u64 v[8:9], s[42:43], 0, v[10:11]
	v_cndmask_b32_e64 v17, 1, 2, vcc
	v_cmp_eq_u32_e32 vcc, 0, v60
	v_and_b32_e32 v16, v16, v17
	v_lshlrev_b64 v[12:13], 3, v[4:5]
	v_cndmask_b32_e64 v17, 1, 2, vcc
	v_cmp_eq_u32_e32 vcc, 0, v59
	v_and_b32_e32 v16, v16, v17
	v_lshl_add_u64 v[8:9], v[8:9], 0, v[12:13]
	v_cndmask_b32_e64 v17, 1, 2, vcc
	v_cmp_eq_u32_e32 vcc, 0, v58
	v_and_b32_e32 v16, v16, v17
	v_cmp_ne_u32_e64 s[28:29], 0, v63
	v_cndmask_b32_e64 v17, 1, 2, vcc
	v_cmp_eq_u32_e32 vcc, 0, v57
	v_and_b32_e32 v16, v16, v17
	v_cmp_ne_u32_e64 s[26:27], 0, v62
	;; [unrolled: 4-line block ×10, first 2 shown]
	v_cndmask_b32_e64 v7, 1, 2, vcc
	v_and_b32_e32 v7, v16, v7
	v_cmp_gt_u32_e32 vcc, s30, v1
	v_cmp_ne_u32_e64 s[8:9], 0, v19
	v_cmp_ne_u32_e64 s[6:7], 0, v20
	;; [unrolled: 1-line block ×4, first 2 shown]
	v_cmp_gt_i16_e64 s[30:31], 2, v7
	s_cbranch_vccz .LBB443_132
; %bb.126:
	s_and_saveexec_b64 s[36:37], s[30:31]
	s_cbranch_execz .LBB443_131
; %bb.127:
	v_lshlrev_b64 v[16:17], 3, v[14:15]
	v_lshl_add_u64 v[16:17], v[8:9], 0, v[16:17]
	v_cmp_ne_u16_e32 vcc, 1, v7
	s_mov_b64 s[38:39], 0
	s_and_saveexec_b64 s[30:31], vcc
	s_xor_b64 s[30:31], exec, s[30:31]
	s_cbranch_execnz .LBB443_181
; %bb.128:
	s_andn2_saveexec_b64 s[30:31], s[30:31]
	s_cbranch_execnz .LBB443_197
.LBB443_129:
	s_or_b64 exec, exec, s[30:31]
	s_and_b64 exec, exec, s[38:39]
	s_cbranch_execz .LBB443_131
.LBB443_130:
	v_mov_b32_e32 v19, 0
	v_sub_u32_e32 v20, v24, v3
	v_mov_b32_e32 v21, v19
	v_mov_b32_e32 v18, v25
	v_lshl_add_u64 v[16:17], v[20:21], 3, v[16:17]
	global_store_dwordx2 v[16:17], v[18:19], off
.LBB443_131:
	s_or_b64 exec, exec, s[36:37]
	s_mov_b64 s[36:37], 0
.LBB443_132:
	s_and_b64 vcc, exec, s[36:37]
	s_cbranch_vccz .LBB443_142
; %bb.133:
	v_cmp_gt_i16_e32 vcc, 2, v7
	s_and_saveexec_b64 s[30:31], vcc
	s_cbranch_execz .LBB443_138
; %bb.134:
	v_cmp_ne_u16_e32 vcc, 1, v7
	s_mov_b64 s[38:39], 0
	s_and_saveexec_b64 s[36:37], vcc
	s_xor_b64 s[36:37], exec, s[36:37]
	s_cbranch_execnz .LBB443_198
; %bb.135:
	s_andn2_saveexec_b64 s[0:1], s[36:37]
	s_cbranch_execnz .LBB443_214
.LBB443_136:
	s_or_b64 exec, exec, s[0:1]
	s_and_b64 exec, exec, s[38:39]
	s_cbranch_execz .LBB443_138
.LBB443_137:
	v_sub_u32_e32 v3, v24, v3
	v_lshlrev_b32_e32 v3, 2, v3
	ds_write_b32 v3, v25
.LBB443_138:
	s_or_b64 exec, exec, s[30:31]
	v_cmp_lt_u32_e32 vcc, v0, v1
	s_waitcnt lgkmcnt(0)
	s_barrier
	s_and_saveexec_b64 s[0:1], vcc
	s_cbranch_execz .LBB443_141
; %bb.139:
	v_lshlrev_b64 v[14:15], 3, v[14:15]
	v_lshl_add_u64 v[10:11], v[10:11], 0, v[14:15]
	v_lshl_add_u64 v[12:13], v[10:11], 0, v[12:13]
	v_lshlrev_b32_e32 v10, 3, v0
	v_mov_b32_e32 v11, 0
	v_lshl_add_u64 v[12:13], s[42:43], 0, v[12:13]
	v_lshlrev_b32_e32 v3, 2, v0
	v_lshl_add_u64 v[12:13], v[12:13], 0, v[10:11]
	s_mov_b64 s[2:3], 0
	s_mov_b64 s[4:5], 0x1000
	v_mov_b32_e32 v7, v0
.LBB443_140:                            ; =>This Inner Loop Header: Depth=1
	ds_read_b32 v10, v3
	v_add_u32_e32 v7, 0x200, v7
	v_cmp_ge_u32_e32 vcc, v7, v1
	v_add_u32_e32 v3, 0x800, v3
	s_or_b64 s[2:3], vcc, s[2:3]
	s_waitcnt lgkmcnt(0)
	global_store_dwordx2 v[12:13], v[10:11], off
	v_lshl_add_u64 v[12:13], v[12:13], 0, s[4:5]
	s_andn2_b64 exec, exec, s[2:3]
	s_cbranch_execnz .LBB443_140
.LBB443_141:
	s_or_b64 exec, exec, s[0:1]
.LBB443_142:
	s_movk_i32 s0, 0x1ff
	v_cmp_eq_u32_e32 vcc, s0, v0
	s_and_b64 s[0:1], vcc, s[48:49]
	s_and_saveexec_b64 s[2:3], s[0:1]
	s_cbranch_execz .LBB443_145
; %bb.143:
	v_mov_b32_e32 v3, 0
	v_lshl_add_u64 v[0:1], v[2:3], 0, v[4:5]
	v_lshl_add_u64 v[0:1], v[0:1], 0, v[52:53]
	s_cmpk_lg_i32 s33, 0x1e00
	global_store_dwordx2 v3, v[0:1], s[34:35]
	s_cbranch_scc1 .LBB443_145
; %bb.144:
	v_lshlrev_b64 v[0:1], 3, v[2:3]
	v_mov_b32_e32 v7, v3
	v_lshl_add_u64 v[0:1], v[8:9], 0, v[0:1]
	global_store_dwordx2 v[0:1], v[6:7], off offset:-8
.LBB443_145:
	s_endpgm
.LBB443_146:
	s_or_b64 exec, exec, s[8:9]
	v_mov_b32_e32 v70, s3
	s_and_saveexec_b64 s[4:5], s[42:43]
	s_cbranch_execnz .LBB443_56
	s_branch .LBB443_57
.LBB443_147:
	s_and_saveexec_b64 s[38:39], s[28:29]
	s_cbranch_execnz .LBB443_215
; %bb.148:
	s_or_b64 exec, exec, s[38:39]
	s_and_saveexec_b64 s[38:39], s[26:27]
	s_cbranch_execnz .LBB443_216
.LBB443_149:
	s_or_b64 exec, exec, s[38:39]
	s_and_saveexec_b64 s[38:39], s[24:25]
	s_cbranch_execnz .LBB443_217
.LBB443_150:
	s_or_b64 exec, exec, s[38:39]
	s_and_saveexec_b64 s[38:39], s[22:23]
	s_cbranch_execnz .LBB443_218
.LBB443_151:
	s_or_b64 exec, exec, s[38:39]
	s_and_saveexec_b64 s[38:39], s[20:21]
	s_cbranch_execnz .LBB443_219
.LBB443_152:
	s_or_b64 exec, exec, s[38:39]
	s_and_saveexec_b64 s[38:39], s[18:19]
	s_cbranch_execnz .LBB443_220
.LBB443_153:
	s_or_b64 exec, exec, s[38:39]
	s_and_saveexec_b64 s[38:39], s[16:17]
	s_cbranch_execnz .LBB443_221
.LBB443_154:
	s_or_b64 exec, exec, s[38:39]
	s_and_saveexec_b64 s[38:39], s[14:15]
	s_cbranch_execnz .LBB443_222
.LBB443_155:
	s_or_b64 exec, exec, s[38:39]
	s_and_saveexec_b64 s[38:39], s[12:13]
	s_cbranch_execnz .LBB443_223
.LBB443_156:
	s_or_b64 exec, exec, s[38:39]
	s_and_saveexec_b64 s[38:39], s[10:11]
	s_cbranch_execnz .LBB443_224
.LBB443_157:
	s_or_b64 exec, exec, s[38:39]
	s_and_saveexec_b64 s[38:39], s[8:9]
	s_cbranch_execnz .LBB443_225
.LBB443_158:
	s_or_b64 exec, exec, s[38:39]
	s_and_saveexec_b64 s[38:39], s[6:7]
	s_cbranch_execnz .LBB443_226
.LBB443_159:
	s_or_b64 exec, exec, s[38:39]
	s_and_saveexec_b64 s[38:39], s[4:5]
	s_cbranch_execnz .LBB443_227
.LBB443_160:
	s_or_b64 exec, exec, s[38:39]
	s_and_saveexec_b64 s[38:39], s[2:3]
	s_cbranch_execz .LBB443_162
.LBB443_161:
	v_sub_u32_e32 v72, v22, v4
	v_mov_b32_e32 v73, 0
	v_lshl_add_u64 v[72:73], v[72:73], 2, v[54:55]
	global_store_dword v[72:73], v9, off
.LBB443_162:
	s_or_b64 exec, exec, s[38:39]
	s_and_b64 s[38:39], s[0:1], exec
	s_andn2_saveexec_b64 s[30:31], s[30:31]
	s_cbranch_execz .LBB443_102
.LBB443_163:
	v_sub_u32_e32 v72, v50, v4
	v_mov_b32_e32 v73, 0
	v_lshl_add_u64 v[74:75], v[72:73], 2, v[54:55]
	v_sub_u32_e32 v72, v48, v4
	global_store_dword v[74:75], v20, off
	v_lshl_add_u64 v[74:75], v[72:73], 2, v[54:55]
	v_sub_u32_e32 v72, v46, v4
	global_store_dword v[74:75], v21, off
	;; [unrolled: 3-line block ×12, first 2 shown]
	v_lshl_add_u64 v[74:75], v[72:73], 2, v[54:55]
	v_sub_u32_e32 v72, v22, v4
	v_lshl_add_u64 v[72:73], v[72:73], 2, v[54:55]
	s_or_b64 s[38:39], s[38:39], exec
	global_store_dword v[74:75], v8, off
	global_store_dword v[72:73], v9, off
	s_or_b64 exec, exec, s[30:31]
	s_and_b64 exec, exec, s[38:39]
	s_cbranch_execnz .LBB443_103
	s_branch .LBB443_104
.LBB443_164:
	s_and_saveexec_b64 s[38:39], s[28:29]
	s_cbranch_execnz .LBB443_228
; %bb.165:
	s_or_b64 exec, exec, s[38:39]
	s_and_saveexec_b64 s[28:29], s[26:27]
	s_cbranch_execnz .LBB443_229
.LBB443_166:
	s_or_b64 exec, exec, s[28:29]
	s_and_saveexec_b64 s[26:27], s[24:25]
	s_cbranch_execnz .LBB443_230
.LBB443_167:
	s_or_b64 exec, exec, s[26:27]
	s_and_saveexec_b64 s[24:25], s[22:23]
	s_cbranch_execnz .LBB443_231
.LBB443_168:
	s_or_b64 exec, exec, s[24:25]
	s_and_saveexec_b64 s[22:23], s[20:21]
	s_cbranch_execnz .LBB443_232
.LBB443_169:
	s_or_b64 exec, exec, s[22:23]
	s_and_saveexec_b64 s[20:21], s[18:19]
	s_cbranch_execnz .LBB443_233
.LBB443_170:
	s_or_b64 exec, exec, s[20:21]
	s_and_saveexec_b64 s[18:19], s[16:17]
	s_cbranch_execnz .LBB443_234
.LBB443_171:
	s_or_b64 exec, exec, s[18:19]
	s_and_saveexec_b64 s[16:17], s[14:15]
	s_cbranch_execnz .LBB443_235
.LBB443_172:
	s_or_b64 exec, exec, s[16:17]
	s_and_saveexec_b64 s[14:15], s[12:13]
	s_cbranch_execnz .LBB443_236
.LBB443_173:
	s_or_b64 exec, exec, s[14:15]
	s_and_saveexec_b64 s[12:13], s[10:11]
	s_cbranch_execnz .LBB443_237
.LBB443_174:
	s_or_b64 exec, exec, s[12:13]
	s_and_saveexec_b64 s[10:11], s[8:9]
	s_cbranch_execnz .LBB443_238
.LBB443_175:
	s_or_b64 exec, exec, s[10:11]
	s_and_saveexec_b64 s[8:9], s[6:7]
	s_cbranch_execnz .LBB443_239
.LBB443_176:
	s_or_b64 exec, exec, s[8:9]
	s_and_saveexec_b64 s[6:7], s[4:5]
	s_cbranch_execnz .LBB443_240
.LBB443_177:
	s_or_b64 exec, exec, s[6:7]
	s_and_saveexec_b64 s[4:5], s[2:3]
	s_cbranch_execz .LBB443_179
.LBB443_178:
	v_sub_u32_e32 v3, v22, v4
	v_lshlrev_b32_e32 v3, 2, v3
	ds_write_b32 v3, v9
.LBB443_179:
	s_or_b64 exec, exec, s[4:5]
	s_and_b64 s[38:39], s[0:1], exec
                                        ; implicit-def: $vgpr9
                                        ; implicit-def: $vgpr11
                                        ; implicit-def: $vgpr13
                                        ; implicit-def: $vgpr15
                                        ; implicit-def: $vgpr17
                                        ; implicit-def: $vgpr19
                                        ; implicit-def: $vgpr21
	s_andn2_saveexec_b64 s[0:1], s[36:37]
	s_cbranch_execz .LBB443_109
.LBB443_180:
	v_sub_u32_e32 v3, v50, v4
	v_lshlrev_b32_e32 v3, 2, v3
	ds_write_b32 v3, v20
	v_sub_u32_e32 v3, v48, v4
	v_lshlrev_b32_e32 v3, 2, v3
	ds_write_b32 v3, v21
	;; [unrolled: 3-line block ×13, first 2 shown]
	v_sub_u32_e32 v3, v22, v4
	v_lshlrev_b32_e32 v3, 2, v3
	s_or_b64 s[38:39], s[38:39], exec
	ds_write_b32 v3, v9
	s_or_b64 exec, exec, s[0:1]
	s_and_b64 exec, exec, s[38:39]
	s_cbranch_execnz .LBB443_110
	s_branch .LBB443_111
.LBB443_181:
	s_and_saveexec_b64 s[38:39], s[28:29]
	s_cbranch_execnz .LBB443_241
; %bb.182:
	s_or_b64 exec, exec, s[38:39]
	s_and_saveexec_b64 s[38:39], s[26:27]
	s_cbranch_execnz .LBB443_242
.LBB443_183:
	s_or_b64 exec, exec, s[38:39]
	s_and_saveexec_b64 s[38:39], s[24:25]
	s_cbranch_execnz .LBB443_243
.LBB443_184:
	s_or_b64 exec, exec, s[38:39]
	s_and_saveexec_b64 s[38:39], s[22:23]
	s_cbranch_execnz .LBB443_244
.LBB443_185:
	s_or_b64 exec, exec, s[38:39]
	s_and_saveexec_b64 s[38:39], s[20:21]
	s_cbranch_execnz .LBB443_245
.LBB443_186:
	s_or_b64 exec, exec, s[38:39]
	s_and_saveexec_b64 s[38:39], s[18:19]
	s_cbranch_execnz .LBB443_246
.LBB443_187:
	s_or_b64 exec, exec, s[38:39]
	s_and_saveexec_b64 s[38:39], s[16:17]
	s_cbranch_execnz .LBB443_247
.LBB443_188:
	s_or_b64 exec, exec, s[38:39]
	s_and_saveexec_b64 s[38:39], s[14:15]
	s_cbranch_execnz .LBB443_248
.LBB443_189:
	s_or_b64 exec, exec, s[38:39]
	s_and_saveexec_b64 s[38:39], s[12:13]
	s_cbranch_execnz .LBB443_249
.LBB443_190:
	s_or_b64 exec, exec, s[38:39]
	s_and_saveexec_b64 s[38:39], s[10:11]
	s_cbranch_execnz .LBB443_250
.LBB443_191:
	s_or_b64 exec, exec, s[38:39]
	s_and_saveexec_b64 s[38:39], s[8:9]
	s_cbranch_execnz .LBB443_251
.LBB443_192:
	s_or_b64 exec, exec, s[38:39]
	s_and_saveexec_b64 s[38:39], s[6:7]
	s_cbranch_execnz .LBB443_252
.LBB443_193:
	s_or_b64 exec, exec, s[38:39]
	s_and_saveexec_b64 s[38:39], s[4:5]
	s_cbranch_execnz .LBB443_253
.LBB443_194:
	s_or_b64 exec, exec, s[38:39]
	s_and_saveexec_b64 s[38:39], s[2:3]
	s_cbranch_execz .LBB443_196
.LBB443_195:
	v_sub_u32_e32 v18, v22, v3
	v_mov_b32_e32 v19, 0
	v_lshl_add_u64 v[20:21], v[18:19], 3, v[16:17]
	v_mov_b32_e32 v18, v23
	global_store_dwordx2 v[20:21], v[18:19], off
.LBB443_196:
	s_or_b64 exec, exec, s[38:39]
	s_and_b64 s[38:39], s[0:1], exec
	s_andn2_saveexec_b64 s[30:31], s[30:31]
	s_cbranch_execz .LBB443_129
.LBB443_197:
	v_mov_b32_e32 v19, 0
	v_sub_u32_e32 v20, v50, v3
	v_mov_b32_e32 v21, v19
	v_mov_b32_e32 v18, v51
	v_lshl_add_u64 v[20:21], v[20:21], 3, v[16:17]
	global_store_dwordx2 v[20:21], v[18:19], off
	v_sub_u32_e32 v20, v48, v3
	v_mov_b32_e32 v21, v19
	v_mov_b32_e32 v18, v49
	v_lshl_add_u64 v[20:21], v[20:21], 3, v[16:17]
	global_store_dwordx2 v[20:21], v[18:19], off
	;; [unrolled: 5-line block ×13, first 2 shown]
	v_sub_u32_e32 v20, v22, v3
	v_mov_b32_e32 v21, v19
	v_mov_b32_e32 v18, v23
	v_lshl_add_u64 v[20:21], v[20:21], 3, v[16:17]
	s_or_b64 s[38:39], s[38:39], exec
	global_store_dwordx2 v[20:21], v[18:19], off
	s_or_b64 exec, exec, s[30:31]
	s_and_b64 exec, exec, s[38:39]
	s_cbranch_execnz .LBB443_130
	s_branch .LBB443_131
.LBB443_198:
	s_and_saveexec_b64 s[38:39], s[28:29]
	s_cbranch_execnz .LBB443_254
; %bb.199:
	s_or_b64 exec, exec, s[38:39]
	s_and_saveexec_b64 s[28:29], s[26:27]
	s_cbranch_execnz .LBB443_255
.LBB443_200:
	s_or_b64 exec, exec, s[28:29]
	s_and_saveexec_b64 s[26:27], s[24:25]
	s_cbranch_execnz .LBB443_256
.LBB443_201:
	s_or_b64 exec, exec, s[26:27]
	s_and_saveexec_b64 s[24:25], s[22:23]
	s_cbranch_execnz .LBB443_257
.LBB443_202:
	s_or_b64 exec, exec, s[24:25]
	s_and_saveexec_b64 s[22:23], s[20:21]
	s_cbranch_execnz .LBB443_258
.LBB443_203:
	s_or_b64 exec, exec, s[22:23]
	s_and_saveexec_b64 s[20:21], s[18:19]
	s_cbranch_execnz .LBB443_259
.LBB443_204:
	s_or_b64 exec, exec, s[20:21]
	s_and_saveexec_b64 s[18:19], s[16:17]
	s_cbranch_execnz .LBB443_260
.LBB443_205:
	s_or_b64 exec, exec, s[18:19]
	s_and_saveexec_b64 s[16:17], s[14:15]
	s_cbranch_execnz .LBB443_261
.LBB443_206:
	s_or_b64 exec, exec, s[16:17]
	s_and_saveexec_b64 s[14:15], s[12:13]
	s_cbranch_execnz .LBB443_262
.LBB443_207:
	s_or_b64 exec, exec, s[14:15]
	s_and_saveexec_b64 s[12:13], s[10:11]
	s_cbranch_execnz .LBB443_263
.LBB443_208:
	s_or_b64 exec, exec, s[12:13]
	s_and_saveexec_b64 s[10:11], s[8:9]
	s_cbranch_execnz .LBB443_264
.LBB443_209:
	s_or_b64 exec, exec, s[10:11]
	s_and_saveexec_b64 s[8:9], s[6:7]
	s_cbranch_execnz .LBB443_265
.LBB443_210:
	s_or_b64 exec, exec, s[8:9]
	s_and_saveexec_b64 s[6:7], s[4:5]
	s_cbranch_execnz .LBB443_266
.LBB443_211:
	s_or_b64 exec, exec, s[6:7]
	s_and_saveexec_b64 s[4:5], s[2:3]
	s_cbranch_execz .LBB443_213
.LBB443_212:
	v_sub_u32_e32 v7, v22, v3
	v_lshlrev_b32_e32 v7, 2, v7
	ds_write_b32 v7, v23
.LBB443_213:
	s_or_b64 exec, exec, s[4:5]
	s_and_b64 s[38:39], s[0:1], exec
                                        ; implicit-def: $vgpr22_vgpr23
                                        ; implicit-def: $vgpr26_vgpr27
                                        ; implicit-def: $vgpr28_vgpr29
                                        ; implicit-def: $vgpr50_vgpr51
                                        ; implicit-def: $vgpr48_vgpr49
                                        ; implicit-def: $vgpr46_vgpr47
                                        ; implicit-def: $vgpr44_vgpr45
                                        ; implicit-def: $vgpr42_vgpr43
                                        ; implicit-def: $vgpr40_vgpr41
                                        ; implicit-def: $vgpr38_vgpr39
                                        ; implicit-def: $vgpr36_vgpr37
                                        ; implicit-def: $vgpr34_vgpr35
                                        ; implicit-def: $vgpr32_vgpr33
                                        ; implicit-def: $vgpr30_vgpr31
	s_andn2_saveexec_b64 s[0:1], s[36:37]
	s_cbranch_execz .LBB443_136
.LBB443_214:
	v_sub_u32_e32 v7, v50, v3
	v_lshlrev_b32_e32 v7, 2, v7
	ds_write_b32 v7, v51
	v_sub_u32_e32 v7, v48, v3
	v_lshlrev_b32_e32 v7, 2, v7
	ds_write_b32 v7, v49
	v_sub_u32_e32 v7, v46, v3
	v_lshlrev_b32_e32 v7, 2, v7
	ds_write_b32 v7, v47
	v_sub_u32_e32 v7, v44, v3
	v_lshlrev_b32_e32 v7, 2, v7
	ds_write_b32 v7, v45
	v_sub_u32_e32 v7, v42, v3
	v_lshlrev_b32_e32 v7, 2, v7
	ds_write_b32 v7, v43
	v_sub_u32_e32 v7, v40, v3
	v_lshlrev_b32_e32 v7, 2, v7
	ds_write_b32 v7, v41
	v_sub_u32_e32 v7, v38, v3
	v_lshlrev_b32_e32 v7, 2, v7
	ds_write_b32 v7, v39
	v_sub_u32_e32 v7, v36, v3
	v_lshlrev_b32_e32 v7, 2, v7
	ds_write_b32 v7, v37
	v_sub_u32_e32 v7, v34, v3
	v_lshlrev_b32_e32 v7, 2, v7
	ds_write_b32 v7, v35
	v_sub_u32_e32 v7, v32, v3
	v_lshlrev_b32_e32 v7, 2, v7
	ds_write_b32 v7, v33
	v_sub_u32_e32 v7, v30, v3
	v_lshlrev_b32_e32 v7, 2, v7
	ds_write_b32 v7, v31
	v_sub_u32_e32 v7, v28, v3
	v_lshlrev_b32_e32 v7, 2, v7
	ds_write_b32 v7, v29
	v_sub_u32_e32 v7, v26, v3
	v_lshlrev_b32_e32 v7, 2, v7
	ds_write_b32 v7, v27
	v_sub_u32_e32 v7, v22, v3
	v_lshlrev_b32_e32 v7, 2, v7
	s_or_b64 s[38:39], s[38:39], exec
	ds_write_b32 v7, v23
	s_or_b64 exec, exec, s[0:1]
	s_and_b64 exec, exec, s[38:39]
	s_cbranch_execnz .LBB443_137
	s_branch .LBB443_138
.LBB443_215:
	v_sub_u32_e32 v72, v50, v4
	v_mov_b32_e32 v73, 0
	v_lshl_add_u64 v[72:73], v[72:73], 2, v[54:55]
	global_store_dword v[72:73], v20, off
	s_or_b64 exec, exec, s[38:39]
	s_and_saveexec_b64 s[38:39], s[26:27]
	s_cbranch_execz .LBB443_149
.LBB443_216:
	v_sub_u32_e32 v72, v48, v4
	v_mov_b32_e32 v73, 0
	v_lshl_add_u64 v[72:73], v[72:73], 2, v[54:55]
	global_store_dword v[72:73], v21, off
	s_or_b64 exec, exec, s[38:39]
	s_and_saveexec_b64 s[38:39], s[24:25]
	s_cbranch_execz .LBB443_150
.LBB443_217:
	v_sub_u32_e32 v72, v46, v4
	v_mov_b32_e32 v73, 0
	v_lshl_add_u64 v[72:73], v[72:73], 2, v[54:55]
	global_store_dword v[72:73], v18, off
	s_or_b64 exec, exec, s[38:39]
	s_and_saveexec_b64 s[38:39], s[22:23]
	s_cbranch_execz .LBB443_151
.LBB443_218:
	v_sub_u32_e32 v72, v44, v4
	v_mov_b32_e32 v73, 0
	v_lshl_add_u64 v[72:73], v[72:73], 2, v[54:55]
	global_store_dword v[72:73], v19, off
	s_or_b64 exec, exec, s[38:39]
	s_and_saveexec_b64 s[38:39], s[20:21]
	s_cbranch_execz .LBB443_152
.LBB443_219:
	v_sub_u32_e32 v72, v42, v4
	v_mov_b32_e32 v73, 0
	v_lshl_add_u64 v[72:73], v[72:73], 2, v[54:55]
	global_store_dword v[72:73], v16, off
	s_or_b64 exec, exec, s[38:39]
	s_and_saveexec_b64 s[38:39], s[18:19]
	s_cbranch_execz .LBB443_153
.LBB443_220:
	v_sub_u32_e32 v72, v40, v4
	v_mov_b32_e32 v73, 0
	v_lshl_add_u64 v[72:73], v[72:73], 2, v[54:55]
	global_store_dword v[72:73], v17, off
	s_or_b64 exec, exec, s[38:39]
	s_and_saveexec_b64 s[38:39], s[16:17]
	s_cbranch_execz .LBB443_154
.LBB443_221:
	v_sub_u32_e32 v72, v38, v4
	v_mov_b32_e32 v73, 0
	v_lshl_add_u64 v[72:73], v[72:73], 2, v[54:55]
	global_store_dword v[72:73], v14, off
	s_or_b64 exec, exec, s[38:39]
	s_and_saveexec_b64 s[38:39], s[14:15]
	s_cbranch_execz .LBB443_155
.LBB443_222:
	v_sub_u32_e32 v72, v36, v4
	v_mov_b32_e32 v73, 0
	v_lshl_add_u64 v[72:73], v[72:73], 2, v[54:55]
	global_store_dword v[72:73], v15, off
	s_or_b64 exec, exec, s[38:39]
	s_and_saveexec_b64 s[38:39], s[12:13]
	s_cbranch_execz .LBB443_156
.LBB443_223:
	v_sub_u32_e32 v72, v34, v4
	v_mov_b32_e32 v73, 0
	v_lshl_add_u64 v[72:73], v[72:73], 2, v[54:55]
	global_store_dword v[72:73], v12, off
	s_or_b64 exec, exec, s[38:39]
	s_and_saveexec_b64 s[38:39], s[10:11]
	s_cbranch_execz .LBB443_157
.LBB443_224:
	v_sub_u32_e32 v72, v32, v4
	v_mov_b32_e32 v73, 0
	v_lshl_add_u64 v[72:73], v[72:73], 2, v[54:55]
	global_store_dword v[72:73], v13, off
	s_or_b64 exec, exec, s[38:39]
	s_and_saveexec_b64 s[38:39], s[8:9]
	s_cbranch_execz .LBB443_158
.LBB443_225:
	v_sub_u32_e32 v72, v30, v4
	v_mov_b32_e32 v73, 0
	v_lshl_add_u64 v[72:73], v[72:73], 2, v[54:55]
	global_store_dword v[72:73], v10, off
	s_or_b64 exec, exec, s[38:39]
	s_and_saveexec_b64 s[38:39], s[6:7]
	s_cbranch_execz .LBB443_159
.LBB443_226:
	v_sub_u32_e32 v72, v28, v4
	v_mov_b32_e32 v73, 0
	v_lshl_add_u64 v[72:73], v[72:73], 2, v[54:55]
	global_store_dword v[72:73], v11, off
	s_or_b64 exec, exec, s[38:39]
	s_and_saveexec_b64 s[38:39], s[4:5]
	s_cbranch_execz .LBB443_160
.LBB443_227:
	v_sub_u32_e32 v72, v26, v4
	v_mov_b32_e32 v73, 0
	v_lshl_add_u64 v[72:73], v[72:73], 2, v[54:55]
	global_store_dword v[72:73], v8, off
	s_or_b64 exec, exec, s[38:39]
	s_and_saveexec_b64 s[38:39], s[2:3]
	s_cbranch_execnz .LBB443_161
	s_branch .LBB443_162
.LBB443_228:
	v_sub_u32_e32 v3, v50, v4
	v_lshlrev_b32_e32 v3, 2, v3
	ds_write_b32 v3, v20
	s_or_b64 exec, exec, s[38:39]
	s_and_saveexec_b64 s[28:29], s[26:27]
	s_cbranch_execz .LBB443_166
.LBB443_229:
	v_sub_u32_e32 v3, v48, v4
	v_lshlrev_b32_e32 v3, 2, v3
	ds_write_b32 v3, v21
	s_or_b64 exec, exec, s[28:29]
	s_and_saveexec_b64 s[26:27], s[24:25]
	s_cbranch_execz .LBB443_167
.LBB443_230:
	v_sub_u32_e32 v3, v46, v4
	v_lshlrev_b32_e32 v3, 2, v3
	ds_write_b32 v3, v18
	s_or_b64 exec, exec, s[26:27]
	s_and_saveexec_b64 s[24:25], s[22:23]
	s_cbranch_execz .LBB443_168
.LBB443_231:
	v_sub_u32_e32 v3, v44, v4
	v_lshlrev_b32_e32 v3, 2, v3
	ds_write_b32 v3, v19
	s_or_b64 exec, exec, s[24:25]
	s_and_saveexec_b64 s[22:23], s[20:21]
	s_cbranch_execz .LBB443_169
.LBB443_232:
	v_sub_u32_e32 v3, v42, v4
	v_lshlrev_b32_e32 v3, 2, v3
	ds_write_b32 v3, v16
	s_or_b64 exec, exec, s[22:23]
	s_and_saveexec_b64 s[20:21], s[18:19]
	s_cbranch_execz .LBB443_170
.LBB443_233:
	v_sub_u32_e32 v3, v40, v4
	v_lshlrev_b32_e32 v3, 2, v3
	ds_write_b32 v3, v17
	s_or_b64 exec, exec, s[20:21]
	s_and_saveexec_b64 s[18:19], s[16:17]
	s_cbranch_execz .LBB443_171
.LBB443_234:
	v_sub_u32_e32 v3, v38, v4
	v_lshlrev_b32_e32 v3, 2, v3
	ds_write_b32 v3, v14
	s_or_b64 exec, exec, s[18:19]
	s_and_saveexec_b64 s[16:17], s[14:15]
	s_cbranch_execz .LBB443_172
.LBB443_235:
	v_sub_u32_e32 v3, v36, v4
	v_lshlrev_b32_e32 v3, 2, v3
	ds_write_b32 v3, v15
	s_or_b64 exec, exec, s[16:17]
	s_and_saveexec_b64 s[14:15], s[12:13]
	s_cbranch_execz .LBB443_173
.LBB443_236:
	v_sub_u32_e32 v3, v34, v4
	v_lshlrev_b32_e32 v3, 2, v3
	ds_write_b32 v3, v12
	s_or_b64 exec, exec, s[14:15]
	s_and_saveexec_b64 s[12:13], s[10:11]
	s_cbranch_execz .LBB443_174
.LBB443_237:
	v_sub_u32_e32 v3, v32, v4
	v_lshlrev_b32_e32 v3, 2, v3
	ds_write_b32 v3, v13
	s_or_b64 exec, exec, s[12:13]
	s_and_saveexec_b64 s[10:11], s[8:9]
	s_cbranch_execz .LBB443_175
.LBB443_238:
	v_sub_u32_e32 v3, v30, v4
	v_lshlrev_b32_e32 v3, 2, v3
	ds_write_b32 v3, v10
	s_or_b64 exec, exec, s[10:11]
	s_and_saveexec_b64 s[8:9], s[6:7]
	s_cbranch_execz .LBB443_176
.LBB443_239:
	v_sub_u32_e32 v3, v28, v4
	v_lshlrev_b32_e32 v3, 2, v3
	ds_write_b32 v3, v11
	s_or_b64 exec, exec, s[8:9]
	s_and_saveexec_b64 s[6:7], s[4:5]
	s_cbranch_execz .LBB443_177
.LBB443_240:
	v_sub_u32_e32 v3, v26, v4
	v_lshlrev_b32_e32 v3, 2, v3
	ds_write_b32 v3, v8
	s_or_b64 exec, exec, s[6:7]
	s_and_saveexec_b64 s[4:5], s[2:3]
	s_cbranch_execnz .LBB443_178
	s_branch .LBB443_179
.LBB443_241:
	v_sub_u32_e32 v18, v50, v3
	v_mov_b32_e32 v19, 0
	v_lshl_add_u64 v[20:21], v[18:19], 3, v[16:17]
	v_mov_b32_e32 v18, v51
	global_store_dwordx2 v[20:21], v[18:19], off
	s_or_b64 exec, exec, s[38:39]
	s_and_saveexec_b64 s[38:39], s[26:27]
	s_cbranch_execz .LBB443_183
.LBB443_242:
	v_sub_u32_e32 v18, v48, v3
	v_mov_b32_e32 v19, 0
	v_lshl_add_u64 v[20:21], v[18:19], 3, v[16:17]
	v_mov_b32_e32 v18, v49
	global_store_dwordx2 v[20:21], v[18:19], off
	s_or_b64 exec, exec, s[38:39]
	s_and_saveexec_b64 s[38:39], s[24:25]
	s_cbranch_execz .LBB443_184
.LBB443_243:
	v_sub_u32_e32 v18, v46, v3
	v_mov_b32_e32 v19, 0
	v_lshl_add_u64 v[20:21], v[18:19], 3, v[16:17]
	v_mov_b32_e32 v18, v47
	global_store_dwordx2 v[20:21], v[18:19], off
	s_or_b64 exec, exec, s[38:39]
	s_and_saveexec_b64 s[38:39], s[22:23]
	s_cbranch_execz .LBB443_185
.LBB443_244:
	v_sub_u32_e32 v18, v44, v3
	v_mov_b32_e32 v19, 0
	v_lshl_add_u64 v[20:21], v[18:19], 3, v[16:17]
	v_mov_b32_e32 v18, v45
	global_store_dwordx2 v[20:21], v[18:19], off
	s_or_b64 exec, exec, s[38:39]
	s_and_saveexec_b64 s[38:39], s[20:21]
	s_cbranch_execz .LBB443_186
.LBB443_245:
	v_sub_u32_e32 v18, v42, v3
	v_mov_b32_e32 v19, 0
	v_lshl_add_u64 v[20:21], v[18:19], 3, v[16:17]
	v_mov_b32_e32 v18, v43
	global_store_dwordx2 v[20:21], v[18:19], off
	s_or_b64 exec, exec, s[38:39]
	s_and_saveexec_b64 s[38:39], s[18:19]
	s_cbranch_execz .LBB443_187
.LBB443_246:
	v_sub_u32_e32 v18, v40, v3
	v_mov_b32_e32 v19, 0
	v_lshl_add_u64 v[20:21], v[18:19], 3, v[16:17]
	v_mov_b32_e32 v18, v41
	global_store_dwordx2 v[20:21], v[18:19], off
	s_or_b64 exec, exec, s[38:39]
	s_and_saveexec_b64 s[38:39], s[16:17]
	s_cbranch_execz .LBB443_188
.LBB443_247:
	v_sub_u32_e32 v18, v38, v3
	v_mov_b32_e32 v19, 0
	v_lshl_add_u64 v[20:21], v[18:19], 3, v[16:17]
	v_mov_b32_e32 v18, v39
	global_store_dwordx2 v[20:21], v[18:19], off
	s_or_b64 exec, exec, s[38:39]
	s_and_saveexec_b64 s[38:39], s[14:15]
	s_cbranch_execz .LBB443_189
.LBB443_248:
	v_sub_u32_e32 v18, v36, v3
	v_mov_b32_e32 v19, 0
	v_lshl_add_u64 v[20:21], v[18:19], 3, v[16:17]
	v_mov_b32_e32 v18, v37
	global_store_dwordx2 v[20:21], v[18:19], off
	s_or_b64 exec, exec, s[38:39]
	s_and_saveexec_b64 s[38:39], s[12:13]
	s_cbranch_execz .LBB443_190
.LBB443_249:
	v_sub_u32_e32 v18, v34, v3
	v_mov_b32_e32 v19, 0
	v_lshl_add_u64 v[20:21], v[18:19], 3, v[16:17]
	v_mov_b32_e32 v18, v35
	global_store_dwordx2 v[20:21], v[18:19], off
	s_or_b64 exec, exec, s[38:39]
	s_and_saveexec_b64 s[38:39], s[10:11]
	s_cbranch_execz .LBB443_191
.LBB443_250:
	v_sub_u32_e32 v18, v32, v3
	v_mov_b32_e32 v19, 0
	v_lshl_add_u64 v[20:21], v[18:19], 3, v[16:17]
	v_mov_b32_e32 v18, v33
	global_store_dwordx2 v[20:21], v[18:19], off
	s_or_b64 exec, exec, s[38:39]
	s_and_saveexec_b64 s[38:39], s[8:9]
	s_cbranch_execz .LBB443_192
.LBB443_251:
	v_sub_u32_e32 v18, v30, v3
	v_mov_b32_e32 v19, 0
	v_lshl_add_u64 v[20:21], v[18:19], 3, v[16:17]
	v_mov_b32_e32 v18, v31
	global_store_dwordx2 v[20:21], v[18:19], off
	s_or_b64 exec, exec, s[38:39]
	s_and_saveexec_b64 s[38:39], s[6:7]
	s_cbranch_execz .LBB443_193
.LBB443_252:
	v_sub_u32_e32 v18, v28, v3
	v_mov_b32_e32 v19, 0
	v_lshl_add_u64 v[20:21], v[18:19], 3, v[16:17]
	v_mov_b32_e32 v18, v29
	global_store_dwordx2 v[20:21], v[18:19], off
	s_or_b64 exec, exec, s[38:39]
	s_and_saveexec_b64 s[38:39], s[4:5]
	s_cbranch_execz .LBB443_194
.LBB443_253:
	v_sub_u32_e32 v18, v26, v3
	v_mov_b32_e32 v19, 0
	v_lshl_add_u64 v[20:21], v[18:19], 3, v[16:17]
	v_mov_b32_e32 v18, v27
	global_store_dwordx2 v[20:21], v[18:19], off
	s_or_b64 exec, exec, s[38:39]
	s_and_saveexec_b64 s[38:39], s[2:3]
	s_cbranch_execnz .LBB443_195
	s_branch .LBB443_196
.LBB443_254:
	v_sub_u32_e32 v7, v50, v3
	v_lshlrev_b32_e32 v7, 2, v7
	ds_write_b32 v7, v51
	s_or_b64 exec, exec, s[38:39]
	s_and_saveexec_b64 s[28:29], s[26:27]
	s_cbranch_execz .LBB443_200
.LBB443_255:
	v_sub_u32_e32 v7, v48, v3
	v_lshlrev_b32_e32 v7, 2, v7
	ds_write_b32 v7, v49
	s_or_b64 exec, exec, s[28:29]
	s_and_saveexec_b64 s[26:27], s[24:25]
	s_cbranch_execz .LBB443_201
.LBB443_256:
	v_sub_u32_e32 v7, v46, v3
	v_lshlrev_b32_e32 v7, 2, v7
	ds_write_b32 v7, v47
	s_or_b64 exec, exec, s[26:27]
	s_and_saveexec_b64 s[24:25], s[22:23]
	s_cbranch_execz .LBB443_202
.LBB443_257:
	v_sub_u32_e32 v7, v44, v3
	v_lshlrev_b32_e32 v7, 2, v7
	ds_write_b32 v7, v45
	s_or_b64 exec, exec, s[24:25]
	s_and_saveexec_b64 s[22:23], s[20:21]
	s_cbranch_execz .LBB443_203
.LBB443_258:
	v_sub_u32_e32 v7, v42, v3
	v_lshlrev_b32_e32 v7, 2, v7
	ds_write_b32 v7, v43
	s_or_b64 exec, exec, s[22:23]
	s_and_saveexec_b64 s[20:21], s[18:19]
	s_cbranch_execz .LBB443_204
.LBB443_259:
	v_sub_u32_e32 v7, v40, v3
	v_lshlrev_b32_e32 v7, 2, v7
	ds_write_b32 v7, v41
	s_or_b64 exec, exec, s[20:21]
	s_and_saveexec_b64 s[18:19], s[16:17]
	s_cbranch_execz .LBB443_205
.LBB443_260:
	v_sub_u32_e32 v7, v38, v3
	v_lshlrev_b32_e32 v7, 2, v7
	ds_write_b32 v7, v39
	s_or_b64 exec, exec, s[18:19]
	s_and_saveexec_b64 s[16:17], s[14:15]
	s_cbranch_execz .LBB443_206
.LBB443_261:
	v_sub_u32_e32 v7, v36, v3
	v_lshlrev_b32_e32 v7, 2, v7
	ds_write_b32 v7, v37
	s_or_b64 exec, exec, s[16:17]
	s_and_saveexec_b64 s[14:15], s[12:13]
	s_cbranch_execz .LBB443_207
.LBB443_262:
	v_sub_u32_e32 v7, v34, v3
	v_lshlrev_b32_e32 v7, 2, v7
	ds_write_b32 v7, v35
	s_or_b64 exec, exec, s[14:15]
	s_and_saveexec_b64 s[12:13], s[10:11]
	s_cbranch_execz .LBB443_208
.LBB443_263:
	v_sub_u32_e32 v7, v32, v3
	v_lshlrev_b32_e32 v7, 2, v7
	ds_write_b32 v7, v33
	s_or_b64 exec, exec, s[12:13]
	s_and_saveexec_b64 s[10:11], s[8:9]
	s_cbranch_execz .LBB443_209
.LBB443_264:
	v_sub_u32_e32 v7, v30, v3
	v_lshlrev_b32_e32 v7, 2, v7
	ds_write_b32 v7, v31
	s_or_b64 exec, exec, s[10:11]
	s_and_saveexec_b64 s[8:9], s[6:7]
	s_cbranch_execz .LBB443_210
.LBB443_265:
	v_sub_u32_e32 v7, v28, v3
	v_lshlrev_b32_e32 v7, 2, v7
	ds_write_b32 v7, v29
	s_or_b64 exec, exec, s[8:9]
	s_and_saveexec_b64 s[6:7], s[4:5]
	s_cbranch_execz .LBB443_211
.LBB443_266:
	v_sub_u32_e32 v7, v26, v3
	v_lshlrev_b32_e32 v7, 2, v7
	ds_write_b32 v7, v27
	s_or_b64 exec, exec, s[6:7]
	s_and_saveexec_b64 s[4:5], s[2:3]
	s_cbranch_execnz .LBB443_212
	s_branch .LBB443_213
	.section	.rodata,"a",@progbits
	.p2align	6, 0x0
	.amdhsa_kernel _ZN7rocprim17ROCPRIM_400000_NS6detail17trampoline_kernelINS0_14default_configENS1_33run_length_encode_config_selectorIijNS0_4plusIjEEEEZZNS1_33reduce_by_key_impl_wrapped_configILNS1_25lookback_scan_determinismE0ES3_S7_PKiNS0_17constant_iteratorIjlEEPiPlSF_S6_NS0_8equal_toIiEEEE10hipError_tPvRmT2_T3_mT4_T5_T6_T7_T8_P12ihipStream_tbENKUlT_T0_E_clISt17integral_constantIbLb0EESZ_EEDaSU_SV_EUlSU_E_NS1_11comp_targetILNS1_3genE5ELNS1_11target_archE942ELNS1_3gpuE9ELNS1_3repE0EEENS1_30default_config_static_selectorELNS0_4arch9wavefront6targetE1EEEvT1_
		.amdhsa_group_segment_fixed_size 30720
		.amdhsa_private_segment_fixed_size 0
		.amdhsa_kernarg_size 128
		.amdhsa_user_sgpr_count 2
		.amdhsa_user_sgpr_dispatch_ptr 0
		.amdhsa_user_sgpr_queue_ptr 0
		.amdhsa_user_sgpr_kernarg_segment_ptr 1
		.amdhsa_user_sgpr_dispatch_id 0
		.amdhsa_user_sgpr_kernarg_preload_length 0
		.amdhsa_user_sgpr_kernarg_preload_offset 0
		.amdhsa_user_sgpr_private_segment_size 0
		.amdhsa_uses_dynamic_stack 0
		.amdhsa_enable_private_segment 0
		.amdhsa_system_sgpr_workgroup_id_x 1
		.amdhsa_system_sgpr_workgroup_id_y 0
		.amdhsa_system_sgpr_workgroup_id_z 0
		.amdhsa_system_sgpr_workgroup_info 0
		.amdhsa_system_vgpr_workitem_id 0
		.amdhsa_next_free_vgpr 104
		.amdhsa_next_free_sgpr 64
		.amdhsa_accum_offset 104
		.amdhsa_reserve_vcc 1
		.amdhsa_float_round_mode_32 0
		.amdhsa_float_round_mode_16_64 0
		.amdhsa_float_denorm_mode_32 3
		.amdhsa_float_denorm_mode_16_64 3
		.amdhsa_dx10_clamp 1
		.amdhsa_ieee_mode 1
		.amdhsa_fp16_overflow 0
		.amdhsa_tg_split 0
		.amdhsa_exception_fp_ieee_invalid_op 0
		.amdhsa_exception_fp_denorm_src 0
		.amdhsa_exception_fp_ieee_div_zero 0
		.amdhsa_exception_fp_ieee_overflow 0
		.amdhsa_exception_fp_ieee_underflow 0
		.amdhsa_exception_fp_ieee_inexact 0
		.amdhsa_exception_int_div_zero 0
	.end_amdhsa_kernel
	.section	.text._ZN7rocprim17ROCPRIM_400000_NS6detail17trampoline_kernelINS0_14default_configENS1_33run_length_encode_config_selectorIijNS0_4plusIjEEEEZZNS1_33reduce_by_key_impl_wrapped_configILNS1_25lookback_scan_determinismE0ES3_S7_PKiNS0_17constant_iteratorIjlEEPiPlSF_S6_NS0_8equal_toIiEEEE10hipError_tPvRmT2_T3_mT4_T5_T6_T7_T8_P12ihipStream_tbENKUlT_T0_E_clISt17integral_constantIbLb0EESZ_EEDaSU_SV_EUlSU_E_NS1_11comp_targetILNS1_3genE5ELNS1_11target_archE942ELNS1_3gpuE9ELNS1_3repE0EEENS1_30default_config_static_selectorELNS0_4arch9wavefront6targetE1EEEvT1_,"axG",@progbits,_ZN7rocprim17ROCPRIM_400000_NS6detail17trampoline_kernelINS0_14default_configENS1_33run_length_encode_config_selectorIijNS0_4plusIjEEEEZZNS1_33reduce_by_key_impl_wrapped_configILNS1_25lookback_scan_determinismE0ES3_S7_PKiNS0_17constant_iteratorIjlEEPiPlSF_S6_NS0_8equal_toIiEEEE10hipError_tPvRmT2_T3_mT4_T5_T6_T7_T8_P12ihipStream_tbENKUlT_T0_E_clISt17integral_constantIbLb0EESZ_EEDaSU_SV_EUlSU_E_NS1_11comp_targetILNS1_3genE5ELNS1_11target_archE942ELNS1_3gpuE9ELNS1_3repE0EEENS1_30default_config_static_selectorELNS0_4arch9wavefront6targetE1EEEvT1_,comdat
.Lfunc_end443:
	.size	_ZN7rocprim17ROCPRIM_400000_NS6detail17trampoline_kernelINS0_14default_configENS1_33run_length_encode_config_selectorIijNS0_4plusIjEEEEZZNS1_33reduce_by_key_impl_wrapped_configILNS1_25lookback_scan_determinismE0ES3_S7_PKiNS0_17constant_iteratorIjlEEPiPlSF_S6_NS0_8equal_toIiEEEE10hipError_tPvRmT2_T3_mT4_T5_T6_T7_T8_P12ihipStream_tbENKUlT_T0_E_clISt17integral_constantIbLb0EESZ_EEDaSU_SV_EUlSU_E_NS1_11comp_targetILNS1_3genE5ELNS1_11target_archE942ELNS1_3gpuE9ELNS1_3repE0EEENS1_30default_config_static_selectorELNS0_4arch9wavefront6targetE1EEEvT1_, .Lfunc_end443-_ZN7rocprim17ROCPRIM_400000_NS6detail17trampoline_kernelINS0_14default_configENS1_33run_length_encode_config_selectorIijNS0_4plusIjEEEEZZNS1_33reduce_by_key_impl_wrapped_configILNS1_25lookback_scan_determinismE0ES3_S7_PKiNS0_17constant_iteratorIjlEEPiPlSF_S6_NS0_8equal_toIiEEEE10hipError_tPvRmT2_T3_mT4_T5_T6_T7_T8_P12ihipStream_tbENKUlT_T0_E_clISt17integral_constantIbLb0EESZ_EEDaSU_SV_EUlSU_E_NS1_11comp_targetILNS1_3genE5ELNS1_11target_archE942ELNS1_3gpuE9ELNS1_3repE0EEENS1_30default_config_static_selectorELNS0_4arch9wavefront6targetE1EEEvT1_
                                        ; -- End function
	.section	.AMDGPU.csdata,"",@progbits
; Kernel info:
; codeLenInByte = 14608
; NumSgprs: 70
; NumVgprs: 104
; NumAgprs: 0
; TotalNumVgprs: 104
; ScratchSize: 0
; MemoryBound: 0
; FloatMode: 240
; IeeeMode: 1
; LDSByteSize: 30720 bytes/workgroup (compile time only)
; SGPRBlocks: 8
; VGPRBlocks: 12
; NumSGPRsForWavesPerEU: 70
; NumVGPRsForWavesPerEU: 104
; AccumOffset: 104
; Occupancy: 4
; WaveLimiterHint : 1
; COMPUTE_PGM_RSRC2:SCRATCH_EN: 0
; COMPUTE_PGM_RSRC2:USER_SGPR: 2
; COMPUTE_PGM_RSRC2:TRAP_HANDLER: 0
; COMPUTE_PGM_RSRC2:TGID_X_EN: 1
; COMPUTE_PGM_RSRC2:TGID_Y_EN: 0
; COMPUTE_PGM_RSRC2:TGID_Z_EN: 0
; COMPUTE_PGM_RSRC2:TIDIG_COMP_CNT: 0
; COMPUTE_PGM_RSRC3_GFX90A:ACCUM_OFFSET: 25
; COMPUTE_PGM_RSRC3_GFX90A:TG_SPLIT: 0
	.section	.text._ZN7rocprim17ROCPRIM_400000_NS6detail17trampoline_kernelINS0_14default_configENS1_33run_length_encode_config_selectorIijNS0_4plusIjEEEEZZNS1_33reduce_by_key_impl_wrapped_configILNS1_25lookback_scan_determinismE0ES3_S7_PKiNS0_17constant_iteratorIjlEEPiPlSF_S6_NS0_8equal_toIiEEEE10hipError_tPvRmT2_T3_mT4_T5_T6_T7_T8_P12ihipStream_tbENKUlT_T0_E_clISt17integral_constantIbLb0EESZ_EEDaSU_SV_EUlSU_E_NS1_11comp_targetILNS1_3genE4ELNS1_11target_archE910ELNS1_3gpuE8ELNS1_3repE0EEENS1_30default_config_static_selectorELNS0_4arch9wavefront6targetE1EEEvT1_,"axG",@progbits,_ZN7rocprim17ROCPRIM_400000_NS6detail17trampoline_kernelINS0_14default_configENS1_33run_length_encode_config_selectorIijNS0_4plusIjEEEEZZNS1_33reduce_by_key_impl_wrapped_configILNS1_25lookback_scan_determinismE0ES3_S7_PKiNS0_17constant_iteratorIjlEEPiPlSF_S6_NS0_8equal_toIiEEEE10hipError_tPvRmT2_T3_mT4_T5_T6_T7_T8_P12ihipStream_tbENKUlT_T0_E_clISt17integral_constantIbLb0EESZ_EEDaSU_SV_EUlSU_E_NS1_11comp_targetILNS1_3genE4ELNS1_11target_archE910ELNS1_3gpuE8ELNS1_3repE0EEENS1_30default_config_static_selectorELNS0_4arch9wavefront6targetE1EEEvT1_,comdat
	.protected	_ZN7rocprim17ROCPRIM_400000_NS6detail17trampoline_kernelINS0_14default_configENS1_33run_length_encode_config_selectorIijNS0_4plusIjEEEEZZNS1_33reduce_by_key_impl_wrapped_configILNS1_25lookback_scan_determinismE0ES3_S7_PKiNS0_17constant_iteratorIjlEEPiPlSF_S6_NS0_8equal_toIiEEEE10hipError_tPvRmT2_T3_mT4_T5_T6_T7_T8_P12ihipStream_tbENKUlT_T0_E_clISt17integral_constantIbLb0EESZ_EEDaSU_SV_EUlSU_E_NS1_11comp_targetILNS1_3genE4ELNS1_11target_archE910ELNS1_3gpuE8ELNS1_3repE0EEENS1_30default_config_static_selectorELNS0_4arch9wavefront6targetE1EEEvT1_ ; -- Begin function _ZN7rocprim17ROCPRIM_400000_NS6detail17trampoline_kernelINS0_14default_configENS1_33run_length_encode_config_selectorIijNS0_4plusIjEEEEZZNS1_33reduce_by_key_impl_wrapped_configILNS1_25lookback_scan_determinismE0ES3_S7_PKiNS0_17constant_iteratorIjlEEPiPlSF_S6_NS0_8equal_toIiEEEE10hipError_tPvRmT2_T3_mT4_T5_T6_T7_T8_P12ihipStream_tbENKUlT_T0_E_clISt17integral_constantIbLb0EESZ_EEDaSU_SV_EUlSU_E_NS1_11comp_targetILNS1_3genE4ELNS1_11target_archE910ELNS1_3gpuE8ELNS1_3repE0EEENS1_30default_config_static_selectorELNS0_4arch9wavefront6targetE1EEEvT1_
	.globl	_ZN7rocprim17ROCPRIM_400000_NS6detail17trampoline_kernelINS0_14default_configENS1_33run_length_encode_config_selectorIijNS0_4plusIjEEEEZZNS1_33reduce_by_key_impl_wrapped_configILNS1_25lookback_scan_determinismE0ES3_S7_PKiNS0_17constant_iteratorIjlEEPiPlSF_S6_NS0_8equal_toIiEEEE10hipError_tPvRmT2_T3_mT4_T5_T6_T7_T8_P12ihipStream_tbENKUlT_T0_E_clISt17integral_constantIbLb0EESZ_EEDaSU_SV_EUlSU_E_NS1_11comp_targetILNS1_3genE4ELNS1_11target_archE910ELNS1_3gpuE8ELNS1_3repE0EEENS1_30default_config_static_selectorELNS0_4arch9wavefront6targetE1EEEvT1_
	.p2align	8
	.type	_ZN7rocprim17ROCPRIM_400000_NS6detail17trampoline_kernelINS0_14default_configENS1_33run_length_encode_config_selectorIijNS0_4plusIjEEEEZZNS1_33reduce_by_key_impl_wrapped_configILNS1_25lookback_scan_determinismE0ES3_S7_PKiNS0_17constant_iteratorIjlEEPiPlSF_S6_NS0_8equal_toIiEEEE10hipError_tPvRmT2_T3_mT4_T5_T6_T7_T8_P12ihipStream_tbENKUlT_T0_E_clISt17integral_constantIbLb0EESZ_EEDaSU_SV_EUlSU_E_NS1_11comp_targetILNS1_3genE4ELNS1_11target_archE910ELNS1_3gpuE8ELNS1_3repE0EEENS1_30default_config_static_selectorELNS0_4arch9wavefront6targetE1EEEvT1_,@function
_ZN7rocprim17ROCPRIM_400000_NS6detail17trampoline_kernelINS0_14default_configENS1_33run_length_encode_config_selectorIijNS0_4plusIjEEEEZZNS1_33reduce_by_key_impl_wrapped_configILNS1_25lookback_scan_determinismE0ES3_S7_PKiNS0_17constant_iteratorIjlEEPiPlSF_S6_NS0_8equal_toIiEEEE10hipError_tPvRmT2_T3_mT4_T5_T6_T7_T8_P12ihipStream_tbENKUlT_T0_E_clISt17integral_constantIbLb0EESZ_EEDaSU_SV_EUlSU_E_NS1_11comp_targetILNS1_3genE4ELNS1_11target_archE910ELNS1_3gpuE8ELNS1_3repE0EEENS1_30default_config_static_selectorELNS0_4arch9wavefront6targetE1EEEvT1_: ; @_ZN7rocprim17ROCPRIM_400000_NS6detail17trampoline_kernelINS0_14default_configENS1_33run_length_encode_config_selectorIijNS0_4plusIjEEEEZZNS1_33reduce_by_key_impl_wrapped_configILNS1_25lookback_scan_determinismE0ES3_S7_PKiNS0_17constant_iteratorIjlEEPiPlSF_S6_NS0_8equal_toIiEEEE10hipError_tPvRmT2_T3_mT4_T5_T6_T7_T8_P12ihipStream_tbENKUlT_T0_E_clISt17integral_constantIbLb0EESZ_EEDaSU_SV_EUlSU_E_NS1_11comp_targetILNS1_3genE4ELNS1_11target_archE910ELNS1_3gpuE8ELNS1_3repE0EEENS1_30default_config_static_selectorELNS0_4arch9wavefront6targetE1EEEvT1_
; %bb.0:
	.section	.rodata,"a",@progbits
	.p2align	6, 0x0
	.amdhsa_kernel _ZN7rocprim17ROCPRIM_400000_NS6detail17trampoline_kernelINS0_14default_configENS1_33run_length_encode_config_selectorIijNS0_4plusIjEEEEZZNS1_33reduce_by_key_impl_wrapped_configILNS1_25lookback_scan_determinismE0ES3_S7_PKiNS0_17constant_iteratorIjlEEPiPlSF_S6_NS0_8equal_toIiEEEE10hipError_tPvRmT2_T3_mT4_T5_T6_T7_T8_P12ihipStream_tbENKUlT_T0_E_clISt17integral_constantIbLb0EESZ_EEDaSU_SV_EUlSU_E_NS1_11comp_targetILNS1_3genE4ELNS1_11target_archE910ELNS1_3gpuE8ELNS1_3repE0EEENS1_30default_config_static_selectorELNS0_4arch9wavefront6targetE1EEEvT1_
		.amdhsa_group_segment_fixed_size 0
		.amdhsa_private_segment_fixed_size 0
		.amdhsa_kernarg_size 128
		.amdhsa_user_sgpr_count 2
		.amdhsa_user_sgpr_dispatch_ptr 0
		.amdhsa_user_sgpr_queue_ptr 0
		.amdhsa_user_sgpr_kernarg_segment_ptr 1
		.amdhsa_user_sgpr_dispatch_id 0
		.amdhsa_user_sgpr_kernarg_preload_length 0
		.amdhsa_user_sgpr_kernarg_preload_offset 0
		.amdhsa_user_sgpr_private_segment_size 0
		.amdhsa_uses_dynamic_stack 0
		.amdhsa_enable_private_segment 0
		.amdhsa_system_sgpr_workgroup_id_x 1
		.amdhsa_system_sgpr_workgroup_id_y 0
		.amdhsa_system_sgpr_workgroup_id_z 0
		.amdhsa_system_sgpr_workgroup_info 0
		.amdhsa_system_vgpr_workitem_id 0
		.amdhsa_next_free_vgpr 1
		.amdhsa_next_free_sgpr 0
		.amdhsa_accum_offset 4
		.amdhsa_reserve_vcc 0
		.amdhsa_float_round_mode_32 0
		.amdhsa_float_round_mode_16_64 0
		.amdhsa_float_denorm_mode_32 3
		.amdhsa_float_denorm_mode_16_64 3
		.amdhsa_dx10_clamp 1
		.amdhsa_ieee_mode 1
		.amdhsa_fp16_overflow 0
		.amdhsa_tg_split 0
		.amdhsa_exception_fp_ieee_invalid_op 0
		.amdhsa_exception_fp_denorm_src 0
		.amdhsa_exception_fp_ieee_div_zero 0
		.amdhsa_exception_fp_ieee_overflow 0
		.amdhsa_exception_fp_ieee_underflow 0
		.amdhsa_exception_fp_ieee_inexact 0
		.amdhsa_exception_int_div_zero 0
	.end_amdhsa_kernel
	.section	.text._ZN7rocprim17ROCPRIM_400000_NS6detail17trampoline_kernelINS0_14default_configENS1_33run_length_encode_config_selectorIijNS0_4plusIjEEEEZZNS1_33reduce_by_key_impl_wrapped_configILNS1_25lookback_scan_determinismE0ES3_S7_PKiNS0_17constant_iteratorIjlEEPiPlSF_S6_NS0_8equal_toIiEEEE10hipError_tPvRmT2_T3_mT4_T5_T6_T7_T8_P12ihipStream_tbENKUlT_T0_E_clISt17integral_constantIbLb0EESZ_EEDaSU_SV_EUlSU_E_NS1_11comp_targetILNS1_3genE4ELNS1_11target_archE910ELNS1_3gpuE8ELNS1_3repE0EEENS1_30default_config_static_selectorELNS0_4arch9wavefront6targetE1EEEvT1_,"axG",@progbits,_ZN7rocprim17ROCPRIM_400000_NS6detail17trampoline_kernelINS0_14default_configENS1_33run_length_encode_config_selectorIijNS0_4plusIjEEEEZZNS1_33reduce_by_key_impl_wrapped_configILNS1_25lookback_scan_determinismE0ES3_S7_PKiNS0_17constant_iteratorIjlEEPiPlSF_S6_NS0_8equal_toIiEEEE10hipError_tPvRmT2_T3_mT4_T5_T6_T7_T8_P12ihipStream_tbENKUlT_T0_E_clISt17integral_constantIbLb0EESZ_EEDaSU_SV_EUlSU_E_NS1_11comp_targetILNS1_3genE4ELNS1_11target_archE910ELNS1_3gpuE8ELNS1_3repE0EEENS1_30default_config_static_selectorELNS0_4arch9wavefront6targetE1EEEvT1_,comdat
.Lfunc_end444:
	.size	_ZN7rocprim17ROCPRIM_400000_NS6detail17trampoline_kernelINS0_14default_configENS1_33run_length_encode_config_selectorIijNS0_4plusIjEEEEZZNS1_33reduce_by_key_impl_wrapped_configILNS1_25lookback_scan_determinismE0ES3_S7_PKiNS0_17constant_iteratorIjlEEPiPlSF_S6_NS0_8equal_toIiEEEE10hipError_tPvRmT2_T3_mT4_T5_T6_T7_T8_P12ihipStream_tbENKUlT_T0_E_clISt17integral_constantIbLb0EESZ_EEDaSU_SV_EUlSU_E_NS1_11comp_targetILNS1_3genE4ELNS1_11target_archE910ELNS1_3gpuE8ELNS1_3repE0EEENS1_30default_config_static_selectorELNS0_4arch9wavefront6targetE1EEEvT1_, .Lfunc_end444-_ZN7rocprim17ROCPRIM_400000_NS6detail17trampoline_kernelINS0_14default_configENS1_33run_length_encode_config_selectorIijNS0_4plusIjEEEEZZNS1_33reduce_by_key_impl_wrapped_configILNS1_25lookback_scan_determinismE0ES3_S7_PKiNS0_17constant_iteratorIjlEEPiPlSF_S6_NS0_8equal_toIiEEEE10hipError_tPvRmT2_T3_mT4_T5_T6_T7_T8_P12ihipStream_tbENKUlT_T0_E_clISt17integral_constantIbLb0EESZ_EEDaSU_SV_EUlSU_E_NS1_11comp_targetILNS1_3genE4ELNS1_11target_archE910ELNS1_3gpuE8ELNS1_3repE0EEENS1_30default_config_static_selectorELNS0_4arch9wavefront6targetE1EEEvT1_
                                        ; -- End function
	.section	.AMDGPU.csdata,"",@progbits
; Kernel info:
; codeLenInByte = 0
; NumSgprs: 6
; NumVgprs: 0
; NumAgprs: 0
; TotalNumVgprs: 0
; ScratchSize: 0
; MemoryBound: 0
; FloatMode: 240
; IeeeMode: 1
; LDSByteSize: 0 bytes/workgroup (compile time only)
; SGPRBlocks: 0
; VGPRBlocks: 0
; NumSGPRsForWavesPerEU: 6
; NumVGPRsForWavesPerEU: 1
; AccumOffset: 4
; Occupancy: 8
; WaveLimiterHint : 0
; COMPUTE_PGM_RSRC2:SCRATCH_EN: 0
; COMPUTE_PGM_RSRC2:USER_SGPR: 2
; COMPUTE_PGM_RSRC2:TRAP_HANDLER: 0
; COMPUTE_PGM_RSRC2:TGID_X_EN: 1
; COMPUTE_PGM_RSRC2:TGID_Y_EN: 0
; COMPUTE_PGM_RSRC2:TGID_Z_EN: 0
; COMPUTE_PGM_RSRC2:TIDIG_COMP_CNT: 0
; COMPUTE_PGM_RSRC3_GFX90A:ACCUM_OFFSET: 0
; COMPUTE_PGM_RSRC3_GFX90A:TG_SPLIT: 0
	.section	.text._ZN7rocprim17ROCPRIM_400000_NS6detail17trampoline_kernelINS0_14default_configENS1_33run_length_encode_config_selectorIijNS0_4plusIjEEEEZZNS1_33reduce_by_key_impl_wrapped_configILNS1_25lookback_scan_determinismE0ES3_S7_PKiNS0_17constant_iteratorIjlEEPiPlSF_S6_NS0_8equal_toIiEEEE10hipError_tPvRmT2_T3_mT4_T5_T6_T7_T8_P12ihipStream_tbENKUlT_T0_E_clISt17integral_constantIbLb0EESZ_EEDaSU_SV_EUlSU_E_NS1_11comp_targetILNS1_3genE3ELNS1_11target_archE908ELNS1_3gpuE7ELNS1_3repE0EEENS1_30default_config_static_selectorELNS0_4arch9wavefront6targetE1EEEvT1_,"axG",@progbits,_ZN7rocprim17ROCPRIM_400000_NS6detail17trampoline_kernelINS0_14default_configENS1_33run_length_encode_config_selectorIijNS0_4plusIjEEEEZZNS1_33reduce_by_key_impl_wrapped_configILNS1_25lookback_scan_determinismE0ES3_S7_PKiNS0_17constant_iteratorIjlEEPiPlSF_S6_NS0_8equal_toIiEEEE10hipError_tPvRmT2_T3_mT4_T5_T6_T7_T8_P12ihipStream_tbENKUlT_T0_E_clISt17integral_constantIbLb0EESZ_EEDaSU_SV_EUlSU_E_NS1_11comp_targetILNS1_3genE3ELNS1_11target_archE908ELNS1_3gpuE7ELNS1_3repE0EEENS1_30default_config_static_selectorELNS0_4arch9wavefront6targetE1EEEvT1_,comdat
	.protected	_ZN7rocprim17ROCPRIM_400000_NS6detail17trampoline_kernelINS0_14default_configENS1_33run_length_encode_config_selectorIijNS0_4plusIjEEEEZZNS1_33reduce_by_key_impl_wrapped_configILNS1_25lookback_scan_determinismE0ES3_S7_PKiNS0_17constant_iteratorIjlEEPiPlSF_S6_NS0_8equal_toIiEEEE10hipError_tPvRmT2_T3_mT4_T5_T6_T7_T8_P12ihipStream_tbENKUlT_T0_E_clISt17integral_constantIbLb0EESZ_EEDaSU_SV_EUlSU_E_NS1_11comp_targetILNS1_3genE3ELNS1_11target_archE908ELNS1_3gpuE7ELNS1_3repE0EEENS1_30default_config_static_selectorELNS0_4arch9wavefront6targetE1EEEvT1_ ; -- Begin function _ZN7rocprim17ROCPRIM_400000_NS6detail17trampoline_kernelINS0_14default_configENS1_33run_length_encode_config_selectorIijNS0_4plusIjEEEEZZNS1_33reduce_by_key_impl_wrapped_configILNS1_25lookback_scan_determinismE0ES3_S7_PKiNS0_17constant_iteratorIjlEEPiPlSF_S6_NS0_8equal_toIiEEEE10hipError_tPvRmT2_T3_mT4_T5_T6_T7_T8_P12ihipStream_tbENKUlT_T0_E_clISt17integral_constantIbLb0EESZ_EEDaSU_SV_EUlSU_E_NS1_11comp_targetILNS1_3genE3ELNS1_11target_archE908ELNS1_3gpuE7ELNS1_3repE0EEENS1_30default_config_static_selectorELNS0_4arch9wavefront6targetE1EEEvT1_
	.globl	_ZN7rocprim17ROCPRIM_400000_NS6detail17trampoline_kernelINS0_14default_configENS1_33run_length_encode_config_selectorIijNS0_4plusIjEEEEZZNS1_33reduce_by_key_impl_wrapped_configILNS1_25lookback_scan_determinismE0ES3_S7_PKiNS0_17constant_iteratorIjlEEPiPlSF_S6_NS0_8equal_toIiEEEE10hipError_tPvRmT2_T3_mT4_T5_T6_T7_T8_P12ihipStream_tbENKUlT_T0_E_clISt17integral_constantIbLb0EESZ_EEDaSU_SV_EUlSU_E_NS1_11comp_targetILNS1_3genE3ELNS1_11target_archE908ELNS1_3gpuE7ELNS1_3repE0EEENS1_30default_config_static_selectorELNS0_4arch9wavefront6targetE1EEEvT1_
	.p2align	8
	.type	_ZN7rocprim17ROCPRIM_400000_NS6detail17trampoline_kernelINS0_14default_configENS1_33run_length_encode_config_selectorIijNS0_4plusIjEEEEZZNS1_33reduce_by_key_impl_wrapped_configILNS1_25lookback_scan_determinismE0ES3_S7_PKiNS0_17constant_iteratorIjlEEPiPlSF_S6_NS0_8equal_toIiEEEE10hipError_tPvRmT2_T3_mT4_T5_T6_T7_T8_P12ihipStream_tbENKUlT_T0_E_clISt17integral_constantIbLb0EESZ_EEDaSU_SV_EUlSU_E_NS1_11comp_targetILNS1_3genE3ELNS1_11target_archE908ELNS1_3gpuE7ELNS1_3repE0EEENS1_30default_config_static_selectorELNS0_4arch9wavefront6targetE1EEEvT1_,@function
_ZN7rocprim17ROCPRIM_400000_NS6detail17trampoline_kernelINS0_14default_configENS1_33run_length_encode_config_selectorIijNS0_4plusIjEEEEZZNS1_33reduce_by_key_impl_wrapped_configILNS1_25lookback_scan_determinismE0ES3_S7_PKiNS0_17constant_iteratorIjlEEPiPlSF_S6_NS0_8equal_toIiEEEE10hipError_tPvRmT2_T3_mT4_T5_T6_T7_T8_P12ihipStream_tbENKUlT_T0_E_clISt17integral_constantIbLb0EESZ_EEDaSU_SV_EUlSU_E_NS1_11comp_targetILNS1_3genE3ELNS1_11target_archE908ELNS1_3gpuE7ELNS1_3repE0EEENS1_30default_config_static_selectorELNS0_4arch9wavefront6targetE1EEEvT1_: ; @_ZN7rocprim17ROCPRIM_400000_NS6detail17trampoline_kernelINS0_14default_configENS1_33run_length_encode_config_selectorIijNS0_4plusIjEEEEZZNS1_33reduce_by_key_impl_wrapped_configILNS1_25lookback_scan_determinismE0ES3_S7_PKiNS0_17constant_iteratorIjlEEPiPlSF_S6_NS0_8equal_toIiEEEE10hipError_tPvRmT2_T3_mT4_T5_T6_T7_T8_P12ihipStream_tbENKUlT_T0_E_clISt17integral_constantIbLb0EESZ_EEDaSU_SV_EUlSU_E_NS1_11comp_targetILNS1_3genE3ELNS1_11target_archE908ELNS1_3gpuE7ELNS1_3repE0EEENS1_30default_config_static_selectorELNS0_4arch9wavefront6targetE1EEEvT1_
; %bb.0:
	.section	.rodata,"a",@progbits
	.p2align	6, 0x0
	.amdhsa_kernel _ZN7rocprim17ROCPRIM_400000_NS6detail17trampoline_kernelINS0_14default_configENS1_33run_length_encode_config_selectorIijNS0_4plusIjEEEEZZNS1_33reduce_by_key_impl_wrapped_configILNS1_25lookback_scan_determinismE0ES3_S7_PKiNS0_17constant_iteratorIjlEEPiPlSF_S6_NS0_8equal_toIiEEEE10hipError_tPvRmT2_T3_mT4_T5_T6_T7_T8_P12ihipStream_tbENKUlT_T0_E_clISt17integral_constantIbLb0EESZ_EEDaSU_SV_EUlSU_E_NS1_11comp_targetILNS1_3genE3ELNS1_11target_archE908ELNS1_3gpuE7ELNS1_3repE0EEENS1_30default_config_static_selectorELNS0_4arch9wavefront6targetE1EEEvT1_
		.amdhsa_group_segment_fixed_size 0
		.amdhsa_private_segment_fixed_size 0
		.amdhsa_kernarg_size 128
		.amdhsa_user_sgpr_count 2
		.amdhsa_user_sgpr_dispatch_ptr 0
		.amdhsa_user_sgpr_queue_ptr 0
		.amdhsa_user_sgpr_kernarg_segment_ptr 1
		.amdhsa_user_sgpr_dispatch_id 0
		.amdhsa_user_sgpr_kernarg_preload_length 0
		.amdhsa_user_sgpr_kernarg_preload_offset 0
		.amdhsa_user_sgpr_private_segment_size 0
		.amdhsa_uses_dynamic_stack 0
		.amdhsa_enable_private_segment 0
		.amdhsa_system_sgpr_workgroup_id_x 1
		.amdhsa_system_sgpr_workgroup_id_y 0
		.amdhsa_system_sgpr_workgroup_id_z 0
		.amdhsa_system_sgpr_workgroup_info 0
		.amdhsa_system_vgpr_workitem_id 0
		.amdhsa_next_free_vgpr 1
		.amdhsa_next_free_sgpr 0
		.amdhsa_accum_offset 4
		.amdhsa_reserve_vcc 0
		.amdhsa_float_round_mode_32 0
		.amdhsa_float_round_mode_16_64 0
		.amdhsa_float_denorm_mode_32 3
		.amdhsa_float_denorm_mode_16_64 3
		.amdhsa_dx10_clamp 1
		.amdhsa_ieee_mode 1
		.amdhsa_fp16_overflow 0
		.amdhsa_tg_split 0
		.amdhsa_exception_fp_ieee_invalid_op 0
		.amdhsa_exception_fp_denorm_src 0
		.amdhsa_exception_fp_ieee_div_zero 0
		.amdhsa_exception_fp_ieee_overflow 0
		.amdhsa_exception_fp_ieee_underflow 0
		.amdhsa_exception_fp_ieee_inexact 0
		.amdhsa_exception_int_div_zero 0
	.end_amdhsa_kernel
	.section	.text._ZN7rocprim17ROCPRIM_400000_NS6detail17trampoline_kernelINS0_14default_configENS1_33run_length_encode_config_selectorIijNS0_4plusIjEEEEZZNS1_33reduce_by_key_impl_wrapped_configILNS1_25lookback_scan_determinismE0ES3_S7_PKiNS0_17constant_iteratorIjlEEPiPlSF_S6_NS0_8equal_toIiEEEE10hipError_tPvRmT2_T3_mT4_T5_T6_T7_T8_P12ihipStream_tbENKUlT_T0_E_clISt17integral_constantIbLb0EESZ_EEDaSU_SV_EUlSU_E_NS1_11comp_targetILNS1_3genE3ELNS1_11target_archE908ELNS1_3gpuE7ELNS1_3repE0EEENS1_30default_config_static_selectorELNS0_4arch9wavefront6targetE1EEEvT1_,"axG",@progbits,_ZN7rocprim17ROCPRIM_400000_NS6detail17trampoline_kernelINS0_14default_configENS1_33run_length_encode_config_selectorIijNS0_4plusIjEEEEZZNS1_33reduce_by_key_impl_wrapped_configILNS1_25lookback_scan_determinismE0ES3_S7_PKiNS0_17constant_iteratorIjlEEPiPlSF_S6_NS0_8equal_toIiEEEE10hipError_tPvRmT2_T3_mT4_T5_T6_T7_T8_P12ihipStream_tbENKUlT_T0_E_clISt17integral_constantIbLb0EESZ_EEDaSU_SV_EUlSU_E_NS1_11comp_targetILNS1_3genE3ELNS1_11target_archE908ELNS1_3gpuE7ELNS1_3repE0EEENS1_30default_config_static_selectorELNS0_4arch9wavefront6targetE1EEEvT1_,comdat
.Lfunc_end445:
	.size	_ZN7rocprim17ROCPRIM_400000_NS6detail17trampoline_kernelINS0_14default_configENS1_33run_length_encode_config_selectorIijNS0_4plusIjEEEEZZNS1_33reduce_by_key_impl_wrapped_configILNS1_25lookback_scan_determinismE0ES3_S7_PKiNS0_17constant_iteratorIjlEEPiPlSF_S6_NS0_8equal_toIiEEEE10hipError_tPvRmT2_T3_mT4_T5_T6_T7_T8_P12ihipStream_tbENKUlT_T0_E_clISt17integral_constantIbLb0EESZ_EEDaSU_SV_EUlSU_E_NS1_11comp_targetILNS1_3genE3ELNS1_11target_archE908ELNS1_3gpuE7ELNS1_3repE0EEENS1_30default_config_static_selectorELNS0_4arch9wavefront6targetE1EEEvT1_, .Lfunc_end445-_ZN7rocprim17ROCPRIM_400000_NS6detail17trampoline_kernelINS0_14default_configENS1_33run_length_encode_config_selectorIijNS0_4plusIjEEEEZZNS1_33reduce_by_key_impl_wrapped_configILNS1_25lookback_scan_determinismE0ES3_S7_PKiNS0_17constant_iteratorIjlEEPiPlSF_S6_NS0_8equal_toIiEEEE10hipError_tPvRmT2_T3_mT4_T5_T6_T7_T8_P12ihipStream_tbENKUlT_T0_E_clISt17integral_constantIbLb0EESZ_EEDaSU_SV_EUlSU_E_NS1_11comp_targetILNS1_3genE3ELNS1_11target_archE908ELNS1_3gpuE7ELNS1_3repE0EEENS1_30default_config_static_selectorELNS0_4arch9wavefront6targetE1EEEvT1_
                                        ; -- End function
	.section	.AMDGPU.csdata,"",@progbits
; Kernel info:
; codeLenInByte = 0
; NumSgprs: 6
; NumVgprs: 0
; NumAgprs: 0
; TotalNumVgprs: 0
; ScratchSize: 0
; MemoryBound: 0
; FloatMode: 240
; IeeeMode: 1
; LDSByteSize: 0 bytes/workgroup (compile time only)
; SGPRBlocks: 0
; VGPRBlocks: 0
; NumSGPRsForWavesPerEU: 6
; NumVGPRsForWavesPerEU: 1
; AccumOffset: 4
; Occupancy: 8
; WaveLimiterHint : 0
; COMPUTE_PGM_RSRC2:SCRATCH_EN: 0
; COMPUTE_PGM_RSRC2:USER_SGPR: 2
; COMPUTE_PGM_RSRC2:TRAP_HANDLER: 0
; COMPUTE_PGM_RSRC2:TGID_X_EN: 1
; COMPUTE_PGM_RSRC2:TGID_Y_EN: 0
; COMPUTE_PGM_RSRC2:TGID_Z_EN: 0
; COMPUTE_PGM_RSRC2:TIDIG_COMP_CNT: 0
; COMPUTE_PGM_RSRC3_GFX90A:ACCUM_OFFSET: 0
; COMPUTE_PGM_RSRC3_GFX90A:TG_SPLIT: 0
	.section	.text._ZN7rocprim17ROCPRIM_400000_NS6detail17trampoline_kernelINS0_14default_configENS1_33run_length_encode_config_selectorIijNS0_4plusIjEEEEZZNS1_33reduce_by_key_impl_wrapped_configILNS1_25lookback_scan_determinismE0ES3_S7_PKiNS0_17constant_iteratorIjlEEPiPlSF_S6_NS0_8equal_toIiEEEE10hipError_tPvRmT2_T3_mT4_T5_T6_T7_T8_P12ihipStream_tbENKUlT_T0_E_clISt17integral_constantIbLb0EESZ_EEDaSU_SV_EUlSU_E_NS1_11comp_targetILNS1_3genE2ELNS1_11target_archE906ELNS1_3gpuE6ELNS1_3repE0EEENS1_30default_config_static_selectorELNS0_4arch9wavefront6targetE1EEEvT1_,"axG",@progbits,_ZN7rocprim17ROCPRIM_400000_NS6detail17trampoline_kernelINS0_14default_configENS1_33run_length_encode_config_selectorIijNS0_4plusIjEEEEZZNS1_33reduce_by_key_impl_wrapped_configILNS1_25lookback_scan_determinismE0ES3_S7_PKiNS0_17constant_iteratorIjlEEPiPlSF_S6_NS0_8equal_toIiEEEE10hipError_tPvRmT2_T3_mT4_T5_T6_T7_T8_P12ihipStream_tbENKUlT_T0_E_clISt17integral_constantIbLb0EESZ_EEDaSU_SV_EUlSU_E_NS1_11comp_targetILNS1_3genE2ELNS1_11target_archE906ELNS1_3gpuE6ELNS1_3repE0EEENS1_30default_config_static_selectorELNS0_4arch9wavefront6targetE1EEEvT1_,comdat
	.protected	_ZN7rocprim17ROCPRIM_400000_NS6detail17trampoline_kernelINS0_14default_configENS1_33run_length_encode_config_selectorIijNS0_4plusIjEEEEZZNS1_33reduce_by_key_impl_wrapped_configILNS1_25lookback_scan_determinismE0ES3_S7_PKiNS0_17constant_iteratorIjlEEPiPlSF_S6_NS0_8equal_toIiEEEE10hipError_tPvRmT2_T3_mT4_T5_T6_T7_T8_P12ihipStream_tbENKUlT_T0_E_clISt17integral_constantIbLb0EESZ_EEDaSU_SV_EUlSU_E_NS1_11comp_targetILNS1_3genE2ELNS1_11target_archE906ELNS1_3gpuE6ELNS1_3repE0EEENS1_30default_config_static_selectorELNS0_4arch9wavefront6targetE1EEEvT1_ ; -- Begin function _ZN7rocprim17ROCPRIM_400000_NS6detail17trampoline_kernelINS0_14default_configENS1_33run_length_encode_config_selectorIijNS0_4plusIjEEEEZZNS1_33reduce_by_key_impl_wrapped_configILNS1_25lookback_scan_determinismE0ES3_S7_PKiNS0_17constant_iteratorIjlEEPiPlSF_S6_NS0_8equal_toIiEEEE10hipError_tPvRmT2_T3_mT4_T5_T6_T7_T8_P12ihipStream_tbENKUlT_T0_E_clISt17integral_constantIbLb0EESZ_EEDaSU_SV_EUlSU_E_NS1_11comp_targetILNS1_3genE2ELNS1_11target_archE906ELNS1_3gpuE6ELNS1_3repE0EEENS1_30default_config_static_selectorELNS0_4arch9wavefront6targetE1EEEvT1_
	.globl	_ZN7rocprim17ROCPRIM_400000_NS6detail17trampoline_kernelINS0_14default_configENS1_33run_length_encode_config_selectorIijNS0_4plusIjEEEEZZNS1_33reduce_by_key_impl_wrapped_configILNS1_25lookback_scan_determinismE0ES3_S7_PKiNS0_17constant_iteratorIjlEEPiPlSF_S6_NS0_8equal_toIiEEEE10hipError_tPvRmT2_T3_mT4_T5_T6_T7_T8_P12ihipStream_tbENKUlT_T0_E_clISt17integral_constantIbLb0EESZ_EEDaSU_SV_EUlSU_E_NS1_11comp_targetILNS1_3genE2ELNS1_11target_archE906ELNS1_3gpuE6ELNS1_3repE0EEENS1_30default_config_static_selectorELNS0_4arch9wavefront6targetE1EEEvT1_
	.p2align	8
	.type	_ZN7rocprim17ROCPRIM_400000_NS6detail17trampoline_kernelINS0_14default_configENS1_33run_length_encode_config_selectorIijNS0_4plusIjEEEEZZNS1_33reduce_by_key_impl_wrapped_configILNS1_25lookback_scan_determinismE0ES3_S7_PKiNS0_17constant_iteratorIjlEEPiPlSF_S6_NS0_8equal_toIiEEEE10hipError_tPvRmT2_T3_mT4_T5_T6_T7_T8_P12ihipStream_tbENKUlT_T0_E_clISt17integral_constantIbLb0EESZ_EEDaSU_SV_EUlSU_E_NS1_11comp_targetILNS1_3genE2ELNS1_11target_archE906ELNS1_3gpuE6ELNS1_3repE0EEENS1_30default_config_static_selectorELNS0_4arch9wavefront6targetE1EEEvT1_,@function
_ZN7rocprim17ROCPRIM_400000_NS6detail17trampoline_kernelINS0_14default_configENS1_33run_length_encode_config_selectorIijNS0_4plusIjEEEEZZNS1_33reduce_by_key_impl_wrapped_configILNS1_25lookback_scan_determinismE0ES3_S7_PKiNS0_17constant_iteratorIjlEEPiPlSF_S6_NS0_8equal_toIiEEEE10hipError_tPvRmT2_T3_mT4_T5_T6_T7_T8_P12ihipStream_tbENKUlT_T0_E_clISt17integral_constantIbLb0EESZ_EEDaSU_SV_EUlSU_E_NS1_11comp_targetILNS1_3genE2ELNS1_11target_archE906ELNS1_3gpuE6ELNS1_3repE0EEENS1_30default_config_static_selectorELNS0_4arch9wavefront6targetE1EEEvT1_: ; @_ZN7rocprim17ROCPRIM_400000_NS6detail17trampoline_kernelINS0_14default_configENS1_33run_length_encode_config_selectorIijNS0_4plusIjEEEEZZNS1_33reduce_by_key_impl_wrapped_configILNS1_25lookback_scan_determinismE0ES3_S7_PKiNS0_17constant_iteratorIjlEEPiPlSF_S6_NS0_8equal_toIiEEEE10hipError_tPvRmT2_T3_mT4_T5_T6_T7_T8_P12ihipStream_tbENKUlT_T0_E_clISt17integral_constantIbLb0EESZ_EEDaSU_SV_EUlSU_E_NS1_11comp_targetILNS1_3genE2ELNS1_11target_archE906ELNS1_3gpuE6ELNS1_3repE0EEENS1_30default_config_static_selectorELNS0_4arch9wavefront6targetE1EEEvT1_
; %bb.0:
	.section	.rodata,"a",@progbits
	.p2align	6, 0x0
	.amdhsa_kernel _ZN7rocprim17ROCPRIM_400000_NS6detail17trampoline_kernelINS0_14default_configENS1_33run_length_encode_config_selectorIijNS0_4plusIjEEEEZZNS1_33reduce_by_key_impl_wrapped_configILNS1_25lookback_scan_determinismE0ES3_S7_PKiNS0_17constant_iteratorIjlEEPiPlSF_S6_NS0_8equal_toIiEEEE10hipError_tPvRmT2_T3_mT4_T5_T6_T7_T8_P12ihipStream_tbENKUlT_T0_E_clISt17integral_constantIbLb0EESZ_EEDaSU_SV_EUlSU_E_NS1_11comp_targetILNS1_3genE2ELNS1_11target_archE906ELNS1_3gpuE6ELNS1_3repE0EEENS1_30default_config_static_selectorELNS0_4arch9wavefront6targetE1EEEvT1_
		.amdhsa_group_segment_fixed_size 0
		.amdhsa_private_segment_fixed_size 0
		.amdhsa_kernarg_size 128
		.amdhsa_user_sgpr_count 2
		.amdhsa_user_sgpr_dispatch_ptr 0
		.amdhsa_user_sgpr_queue_ptr 0
		.amdhsa_user_sgpr_kernarg_segment_ptr 1
		.amdhsa_user_sgpr_dispatch_id 0
		.amdhsa_user_sgpr_kernarg_preload_length 0
		.amdhsa_user_sgpr_kernarg_preload_offset 0
		.amdhsa_user_sgpr_private_segment_size 0
		.amdhsa_uses_dynamic_stack 0
		.amdhsa_enable_private_segment 0
		.amdhsa_system_sgpr_workgroup_id_x 1
		.amdhsa_system_sgpr_workgroup_id_y 0
		.amdhsa_system_sgpr_workgroup_id_z 0
		.amdhsa_system_sgpr_workgroup_info 0
		.amdhsa_system_vgpr_workitem_id 0
		.amdhsa_next_free_vgpr 1
		.amdhsa_next_free_sgpr 0
		.amdhsa_accum_offset 4
		.amdhsa_reserve_vcc 0
		.amdhsa_float_round_mode_32 0
		.amdhsa_float_round_mode_16_64 0
		.amdhsa_float_denorm_mode_32 3
		.amdhsa_float_denorm_mode_16_64 3
		.amdhsa_dx10_clamp 1
		.amdhsa_ieee_mode 1
		.amdhsa_fp16_overflow 0
		.amdhsa_tg_split 0
		.amdhsa_exception_fp_ieee_invalid_op 0
		.amdhsa_exception_fp_denorm_src 0
		.amdhsa_exception_fp_ieee_div_zero 0
		.amdhsa_exception_fp_ieee_overflow 0
		.amdhsa_exception_fp_ieee_underflow 0
		.amdhsa_exception_fp_ieee_inexact 0
		.amdhsa_exception_int_div_zero 0
	.end_amdhsa_kernel
	.section	.text._ZN7rocprim17ROCPRIM_400000_NS6detail17trampoline_kernelINS0_14default_configENS1_33run_length_encode_config_selectorIijNS0_4plusIjEEEEZZNS1_33reduce_by_key_impl_wrapped_configILNS1_25lookback_scan_determinismE0ES3_S7_PKiNS0_17constant_iteratorIjlEEPiPlSF_S6_NS0_8equal_toIiEEEE10hipError_tPvRmT2_T3_mT4_T5_T6_T7_T8_P12ihipStream_tbENKUlT_T0_E_clISt17integral_constantIbLb0EESZ_EEDaSU_SV_EUlSU_E_NS1_11comp_targetILNS1_3genE2ELNS1_11target_archE906ELNS1_3gpuE6ELNS1_3repE0EEENS1_30default_config_static_selectorELNS0_4arch9wavefront6targetE1EEEvT1_,"axG",@progbits,_ZN7rocprim17ROCPRIM_400000_NS6detail17trampoline_kernelINS0_14default_configENS1_33run_length_encode_config_selectorIijNS0_4plusIjEEEEZZNS1_33reduce_by_key_impl_wrapped_configILNS1_25lookback_scan_determinismE0ES3_S7_PKiNS0_17constant_iteratorIjlEEPiPlSF_S6_NS0_8equal_toIiEEEE10hipError_tPvRmT2_T3_mT4_T5_T6_T7_T8_P12ihipStream_tbENKUlT_T0_E_clISt17integral_constantIbLb0EESZ_EEDaSU_SV_EUlSU_E_NS1_11comp_targetILNS1_3genE2ELNS1_11target_archE906ELNS1_3gpuE6ELNS1_3repE0EEENS1_30default_config_static_selectorELNS0_4arch9wavefront6targetE1EEEvT1_,comdat
.Lfunc_end446:
	.size	_ZN7rocprim17ROCPRIM_400000_NS6detail17trampoline_kernelINS0_14default_configENS1_33run_length_encode_config_selectorIijNS0_4plusIjEEEEZZNS1_33reduce_by_key_impl_wrapped_configILNS1_25lookback_scan_determinismE0ES3_S7_PKiNS0_17constant_iteratorIjlEEPiPlSF_S6_NS0_8equal_toIiEEEE10hipError_tPvRmT2_T3_mT4_T5_T6_T7_T8_P12ihipStream_tbENKUlT_T0_E_clISt17integral_constantIbLb0EESZ_EEDaSU_SV_EUlSU_E_NS1_11comp_targetILNS1_3genE2ELNS1_11target_archE906ELNS1_3gpuE6ELNS1_3repE0EEENS1_30default_config_static_selectorELNS0_4arch9wavefront6targetE1EEEvT1_, .Lfunc_end446-_ZN7rocprim17ROCPRIM_400000_NS6detail17trampoline_kernelINS0_14default_configENS1_33run_length_encode_config_selectorIijNS0_4plusIjEEEEZZNS1_33reduce_by_key_impl_wrapped_configILNS1_25lookback_scan_determinismE0ES3_S7_PKiNS0_17constant_iteratorIjlEEPiPlSF_S6_NS0_8equal_toIiEEEE10hipError_tPvRmT2_T3_mT4_T5_T6_T7_T8_P12ihipStream_tbENKUlT_T0_E_clISt17integral_constantIbLb0EESZ_EEDaSU_SV_EUlSU_E_NS1_11comp_targetILNS1_3genE2ELNS1_11target_archE906ELNS1_3gpuE6ELNS1_3repE0EEENS1_30default_config_static_selectorELNS0_4arch9wavefront6targetE1EEEvT1_
                                        ; -- End function
	.section	.AMDGPU.csdata,"",@progbits
; Kernel info:
; codeLenInByte = 0
; NumSgprs: 6
; NumVgprs: 0
; NumAgprs: 0
; TotalNumVgprs: 0
; ScratchSize: 0
; MemoryBound: 0
; FloatMode: 240
; IeeeMode: 1
; LDSByteSize: 0 bytes/workgroup (compile time only)
; SGPRBlocks: 0
; VGPRBlocks: 0
; NumSGPRsForWavesPerEU: 6
; NumVGPRsForWavesPerEU: 1
; AccumOffset: 4
; Occupancy: 8
; WaveLimiterHint : 0
; COMPUTE_PGM_RSRC2:SCRATCH_EN: 0
; COMPUTE_PGM_RSRC2:USER_SGPR: 2
; COMPUTE_PGM_RSRC2:TRAP_HANDLER: 0
; COMPUTE_PGM_RSRC2:TGID_X_EN: 1
; COMPUTE_PGM_RSRC2:TGID_Y_EN: 0
; COMPUTE_PGM_RSRC2:TGID_Z_EN: 0
; COMPUTE_PGM_RSRC2:TIDIG_COMP_CNT: 0
; COMPUTE_PGM_RSRC3_GFX90A:ACCUM_OFFSET: 0
; COMPUTE_PGM_RSRC3_GFX90A:TG_SPLIT: 0
	.section	.text._ZN7rocprim17ROCPRIM_400000_NS6detail17trampoline_kernelINS0_14default_configENS1_33run_length_encode_config_selectorIijNS0_4plusIjEEEEZZNS1_33reduce_by_key_impl_wrapped_configILNS1_25lookback_scan_determinismE0ES3_S7_PKiNS0_17constant_iteratorIjlEEPiPlSF_S6_NS0_8equal_toIiEEEE10hipError_tPvRmT2_T3_mT4_T5_T6_T7_T8_P12ihipStream_tbENKUlT_T0_E_clISt17integral_constantIbLb0EESZ_EEDaSU_SV_EUlSU_E_NS1_11comp_targetILNS1_3genE10ELNS1_11target_archE1201ELNS1_3gpuE5ELNS1_3repE0EEENS1_30default_config_static_selectorELNS0_4arch9wavefront6targetE1EEEvT1_,"axG",@progbits,_ZN7rocprim17ROCPRIM_400000_NS6detail17trampoline_kernelINS0_14default_configENS1_33run_length_encode_config_selectorIijNS0_4plusIjEEEEZZNS1_33reduce_by_key_impl_wrapped_configILNS1_25lookback_scan_determinismE0ES3_S7_PKiNS0_17constant_iteratorIjlEEPiPlSF_S6_NS0_8equal_toIiEEEE10hipError_tPvRmT2_T3_mT4_T5_T6_T7_T8_P12ihipStream_tbENKUlT_T0_E_clISt17integral_constantIbLb0EESZ_EEDaSU_SV_EUlSU_E_NS1_11comp_targetILNS1_3genE10ELNS1_11target_archE1201ELNS1_3gpuE5ELNS1_3repE0EEENS1_30default_config_static_selectorELNS0_4arch9wavefront6targetE1EEEvT1_,comdat
	.protected	_ZN7rocprim17ROCPRIM_400000_NS6detail17trampoline_kernelINS0_14default_configENS1_33run_length_encode_config_selectorIijNS0_4plusIjEEEEZZNS1_33reduce_by_key_impl_wrapped_configILNS1_25lookback_scan_determinismE0ES3_S7_PKiNS0_17constant_iteratorIjlEEPiPlSF_S6_NS0_8equal_toIiEEEE10hipError_tPvRmT2_T3_mT4_T5_T6_T7_T8_P12ihipStream_tbENKUlT_T0_E_clISt17integral_constantIbLb0EESZ_EEDaSU_SV_EUlSU_E_NS1_11comp_targetILNS1_3genE10ELNS1_11target_archE1201ELNS1_3gpuE5ELNS1_3repE0EEENS1_30default_config_static_selectorELNS0_4arch9wavefront6targetE1EEEvT1_ ; -- Begin function _ZN7rocprim17ROCPRIM_400000_NS6detail17trampoline_kernelINS0_14default_configENS1_33run_length_encode_config_selectorIijNS0_4plusIjEEEEZZNS1_33reduce_by_key_impl_wrapped_configILNS1_25lookback_scan_determinismE0ES3_S7_PKiNS0_17constant_iteratorIjlEEPiPlSF_S6_NS0_8equal_toIiEEEE10hipError_tPvRmT2_T3_mT4_T5_T6_T7_T8_P12ihipStream_tbENKUlT_T0_E_clISt17integral_constantIbLb0EESZ_EEDaSU_SV_EUlSU_E_NS1_11comp_targetILNS1_3genE10ELNS1_11target_archE1201ELNS1_3gpuE5ELNS1_3repE0EEENS1_30default_config_static_selectorELNS0_4arch9wavefront6targetE1EEEvT1_
	.globl	_ZN7rocprim17ROCPRIM_400000_NS6detail17trampoline_kernelINS0_14default_configENS1_33run_length_encode_config_selectorIijNS0_4plusIjEEEEZZNS1_33reduce_by_key_impl_wrapped_configILNS1_25lookback_scan_determinismE0ES3_S7_PKiNS0_17constant_iteratorIjlEEPiPlSF_S6_NS0_8equal_toIiEEEE10hipError_tPvRmT2_T3_mT4_T5_T6_T7_T8_P12ihipStream_tbENKUlT_T0_E_clISt17integral_constantIbLb0EESZ_EEDaSU_SV_EUlSU_E_NS1_11comp_targetILNS1_3genE10ELNS1_11target_archE1201ELNS1_3gpuE5ELNS1_3repE0EEENS1_30default_config_static_selectorELNS0_4arch9wavefront6targetE1EEEvT1_
	.p2align	8
	.type	_ZN7rocprim17ROCPRIM_400000_NS6detail17trampoline_kernelINS0_14default_configENS1_33run_length_encode_config_selectorIijNS0_4plusIjEEEEZZNS1_33reduce_by_key_impl_wrapped_configILNS1_25lookback_scan_determinismE0ES3_S7_PKiNS0_17constant_iteratorIjlEEPiPlSF_S6_NS0_8equal_toIiEEEE10hipError_tPvRmT2_T3_mT4_T5_T6_T7_T8_P12ihipStream_tbENKUlT_T0_E_clISt17integral_constantIbLb0EESZ_EEDaSU_SV_EUlSU_E_NS1_11comp_targetILNS1_3genE10ELNS1_11target_archE1201ELNS1_3gpuE5ELNS1_3repE0EEENS1_30default_config_static_selectorELNS0_4arch9wavefront6targetE1EEEvT1_,@function
_ZN7rocprim17ROCPRIM_400000_NS6detail17trampoline_kernelINS0_14default_configENS1_33run_length_encode_config_selectorIijNS0_4plusIjEEEEZZNS1_33reduce_by_key_impl_wrapped_configILNS1_25lookback_scan_determinismE0ES3_S7_PKiNS0_17constant_iteratorIjlEEPiPlSF_S6_NS0_8equal_toIiEEEE10hipError_tPvRmT2_T3_mT4_T5_T6_T7_T8_P12ihipStream_tbENKUlT_T0_E_clISt17integral_constantIbLb0EESZ_EEDaSU_SV_EUlSU_E_NS1_11comp_targetILNS1_3genE10ELNS1_11target_archE1201ELNS1_3gpuE5ELNS1_3repE0EEENS1_30default_config_static_selectorELNS0_4arch9wavefront6targetE1EEEvT1_: ; @_ZN7rocprim17ROCPRIM_400000_NS6detail17trampoline_kernelINS0_14default_configENS1_33run_length_encode_config_selectorIijNS0_4plusIjEEEEZZNS1_33reduce_by_key_impl_wrapped_configILNS1_25lookback_scan_determinismE0ES3_S7_PKiNS0_17constant_iteratorIjlEEPiPlSF_S6_NS0_8equal_toIiEEEE10hipError_tPvRmT2_T3_mT4_T5_T6_T7_T8_P12ihipStream_tbENKUlT_T0_E_clISt17integral_constantIbLb0EESZ_EEDaSU_SV_EUlSU_E_NS1_11comp_targetILNS1_3genE10ELNS1_11target_archE1201ELNS1_3gpuE5ELNS1_3repE0EEENS1_30default_config_static_selectorELNS0_4arch9wavefront6targetE1EEEvT1_
; %bb.0:
	.section	.rodata,"a",@progbits
	.p2align	6, 0x0
	.amdhsa_kernel _ZN7rocprim17ROCPRIM_400000_NS6detail17trampoline_kernelINS0_14default_configENS1_33run_length_encode_config_selectorIijNS0_4plusIjEEEEZZNS1_33reduce_by_key_impl_wrapped_configILNS1_25lookback_scan_determinismE0ES3_S7_PKiNS0_17constant_iteratorIjlEEPiPlSF_S6_NS0_8equal_toIiEEEE10hipError_tPvRmT2_T3_mT4_T5_T6_T7_T8_P12ihipStream_tbENKUlT_T0_E_clISt17integral_constantIbLb0EESZ_EEDaSU_SV_EUlSU_E_NS1_11comp_targetILNS1_3genE10ELNS1_11target_archE1201ELNS1_3gpuE5ELNS1_3repE0EEENS1_30default_config_static_selectorELNS0_4arch9wavefront6targetE1EEEvT1_
		.amdhsa_group_segment_fixed_size 0
		.amdhsa_private_segment_fixed_size 0
		.amdhsa_kernarg_size 128
		.amdhsa_user_sgpr_count 2
		.amdhsa_user_sgpr_dispatch_ptr 0
		.amdhsa_user_sgpr_queue_ptr 0
		.amdhsa_user_sgpr_kernarg_segment_ptr 1
		.amdhsa_user_sgpr_dispatch_id 0
		.amdhsa_user_sgpr_kernarg_preload_length 0
		.amdhsa_user_sgpr_kernarg_preload_offset 0
		.amdhsa_user_sgpr_private_segment_size 0
		.amdhsa_uses_dynamic_stack 0
		.amdhsa_enable_private_segment 0
		.amdhsa_system_sgpr_workgroup_id_x 1
		.amdhsa_system_sgpr_workgroup_id_y 0
		.amdhsa_system_sgpr_workgroup_id_z 0
		.amdhsa_system_sgpr_workgroup_info 0
		.amdhsa_system_vgpr_workitem_id 0
		.amdhsa_next_free_vgpr 1
		.amdhsa_next_free_sgpr 0
		.amdhsa_accum_offset 4
		.amdhsa_reserve_vcc 0
		.amdhsa_float_round_mode_32 0
		.amdhsa_float_round_mode_16_64 0
		.amdhsa_float_denorm_mode_32 3
		.amdhsa_float_denorm_mode_16_64 3
		.amdhsa_dx10_clamp 1
		.amdhsa_ieee_mode 1
		.amdhsa_fp16_overflow 0
		.amdhsa_tg_split 0
		.amdhsa_exception_fp_ieee_invalid_op 0
		.amdhsa_exception_fp_denorm_src 0
		.amdhsa_exception_fp_ieee_div_zero 0
		.amdhsa_exception_fp_ieee_overflow 0
		.amdhsa_exception_fp_ieee_underflow 0
		.amdhsa_exception_fp_ieee_inexact 0
		.amdhsa_exception_int_div_zero 0
	.end_amdhsa_kernel
	.section	.text._ZN7rocprim17ROCPRIM_400000_NS6detail17trampoline_kernelINS0_14default_configENS1_33run_length_encode_config_selectorIijNS0_4plusIjEEEEZZNS1_33reduce_by_key_impl_wrapped_configILNS1_25lookback_scan_determinismE0ES3_S7_PKiNS0_17constant_iteratorIjlEEPiPlSF_S6_NS0_8equal_toIiEEEE10hipError_tPvRmT2_T3_mT4_T5_T6_T7_T8_P12ihipStream_tbENKUlT_T0_E_clISt17integral_constantIbLb0EESZ_EEDaSU_SV_EUlSU_E_NS1_11comp_targetILNS1_3genE10ELNS1_11target_archE1201ELNS1_3gpuE5ELNS1_3repE0EEENS1_30default_config_static_selectorELNS0_4arch9wavefront6targetE1EEEvT1_,"axG",@progbits,_ZN7rocprim17ROCPRIM_400000_NS6detail17trampoline_kernelINS0_14default_configENS1_33run_length_encode_config_selectorIijNS0_4plusIjEEEEZZNS1_33reduce_by_key_impl_wrapped_configILNS1_25lookback_scan_determinismE0ES3_S7_PKiNS0_17constant_iteratorIjlEEPiPlSF_S6_NS0_8equal_toIiEEEE10hipError_tPvRmT2_T3_mT4_T5_T6_T7_T8_P12ihipStream_tbENKUlT_T0_E_clISt17integral_constantIbLb0EESZ_EEDaSU_SV_EUlSU_E_NS1_11comp_targetILNS1_3genE10ELNS1_11target_archE1201ELNS1_3gpuE5ELNS1_3repE0EEENS1_30default_config_static_selectorELNS0_4arch9wavefront6targetE1EEEvT1_,comdat
.Lfunc_end447:
	.size	_ZN7rocprim17ROCPRIM_400000_NS6detail17trampoline_kernelINS0_14default_configENS1_33run_length_encode_config_selectorIijNS0_4plusIjEEEEZZNS1_33reduce_by_key_impl_wrapped_configILNS1_25lookback_scan_determinismE0ES3_S7_PKiNS0_17constant_iteratorIjlEEPiPlSF_S6_NS0_8equal_toIiEEEE10hipError_tPvRmT2_T3_mT4_T5_T6_T7_T8_P12ihipStream_tbENKUlT_T0_E_clISt17integral_constantIbLb0EESZ_EEDaSU_SV_EUlSU_E_NS1_11comp_targetILNS1_3genE10ELNS1_11target_archE1201ELNS1_3gpuE5ELNS1_3repE0EEENS1_30default_config_static_selectorELNS0_4arch9wavefront6targetE1EEEvT1_, .Lfunc_end447-_ZN7rocprim17ROCPRIM_400000_NS6detail17trampoline_kernelINS0_14default_configENS1_33run_length_encode_config_selectorIijNS0_4plusIjEEEEZZNS1_33reduce_by_key_impl_wrapped_configILNS1_25lookback_scan_determinismE0ES3_S7_PKiNS0_17constant_iteratorIjlEEPiPlSF_S6_NS0_8equal_toIiEEEE10hipError_tPvRmT2_T3_mT4_T5_T6_T7_T8_P12ihipStream_tbENKUlT_T0_E_clISt17integral_constantIbLb0EESZ_EEDaSU_SV_EUlSU_E_NS1_11comp_targetILNS1_3genE10ELNS1_11target_archE1201ELNS1_3gpuE5ELNS1_3repE0EEENS1_30default_config_static_selectorELNS0_4arch9wavefront6targetE1EEEvT1_
                                        ; -- End function
	.section	.AMDGPU.csdata,"",@progbits
; Kernel info:
; codeLenInByte = 0
; NumSgprs: 6
; NumVgprs: 0
; NumAgprs: 0
; TotalNumVgprs: 0
; ScratchSize: 0
; MemoryBound: 0
; FloatMode: 240
; IeeeMode: 1
; LDSByteSize: 0 bytes/workgroup (compile time only)
; SGPRBlocks: 0
; VGPRBlocks: 0
; NumSGPRsForWavesPerEU: 6
; NumVGPRsForWavesPerEU: 1
; AccumOffset: 4
; Occupancy: 8
; WaveLimiterHint : 0
; COMPUTE_PGM_RSRC2:SCRATCH_EN: 0
; COMPUTE_PGM_RSRC2:USER_SGPR: 2
; COMPUTE_PGM_RSRC2:TRAP_HANDLER: 0
; COMPUTE_PGM_RSRC2:TGID_X_EN: 1
; COMPUTE_PGM_RSRC2:TGID_Y_EN: 0
; COMPUTE_PGM_RSRC2:TGID_Z_EN: 0
; COMPUTE_PGM_RSRC2:TIDIG_COMP_CNT: 0
; COMPUTE_PGM_RSRC3_GFX90A:ACCUM_OFFSET: 0
; COMPUTE_PGM_RSRC3_GFX90A:TG_SPLIT: 0
	.section	.text._ZN7rocprim17ROCPRIM_400000_NS6detail17trampoline_kernelINS0_14default_configENS1_33run_length_encode_config_selectorIijNS0_4plusIjEEEEZZNS1_33reduce_by_key_impl_wrapped_configILNS1_25lookback_scan_determinismE0ES3_S7_PKiNS0_17constant_iteratorIjlEEPiPlSF_S6_NS0_8equal_toIiEEEE10hipError_tPvRmT2_T3_mT4_T5_T6_T7_T8_P12ihipStream_tbENKUlT_T0_E_clISt17integral_constantIbLb0EESZ_EEDaSU_SV_EUlSU_E_NS1_11comp_targetILNS1_3genE10ELNS1_11target_archE1200ELNS1_3gpuE4ELNS1_3repE0EEENS1_30default_config_static_selectorELNS0_4arch9wavefront6targetE1EEEvT1_,"axG",@progbits,_ZN7rocprim17ROCPRIM_400000_NS6detail17trampoline_kernelINS0_14default_configENS1_33run_length_encode_config_selectorIijNS0_4plusIjEEEEZZNS1_33reduce_by_key_impl_wrapped_configILNS1_25lookback_scan_determinismE0ES3_S7_PKiNS0_17constant_iteratorIjlEEPiPlSF_S6_NS0_8equal_toIiEEEE10hipError_tPvRmT2_T3_mT4_T5_T6_T7_T8_P12ihipStream_tbENKUlT_T0_E_clISt17integral_constantIbLb0EESZ_EEDaSU_SV_EUlSU_E_NS1_11comp_targetILNS1_3genE10ELNS1_11target_archE1200ELNS1_3gpuE4ELNS1_3repE0EEENS1_30default_config_static_selectorELNS0_4arch9wavefront6targetE1EEEvT1_,comdat
	.protected	_ZN7rocprim17ROCPRIM_400000_NS6detail17trampoline_kernelINS0_14default_configENS1_33run_length_encode_config_selectorIijNS0_4plusIjEEEEZZNS1_33reduce_by_key_impl_wrapped_configILNS1_25lookback_scan_determinismE0ES3_S7_PKiNS0_17constant_iteratorIjlEEPiPlSF_S6_NS0_8equal_toIiEEEE10hipError_tPvRmT2_T3_mT4_T5_T6_T7_T8_P12ihipStream_tbENKUlT_T0_E_clISt17integral_constantIbLb0EESZ_EEDaSU_SV_EUlSU_E_NS1_11comp_targetILNS1_3genE10ELNS1_11target_archE1200ELNS1_3gpuE4ELNS1_3repE0EEENS1_30default_config_static_selectorELNS0_4arch9wavefront6targetE1EEEvT1_ ; -- Begin function _ZN7rocprim17ROCPRIM_400000_NS6detail17trampoline_kernelINS0_14default_configENS1_33run_length_encode_config_selectorIijNS0_4plusIjEEEEZZNS1_33reduce_by_key_impl_wrapped_configILNS1_25lookback_scan_determinismE0ES3_S7_PKiNS0_17constant_iteratorIjlEEPiPlSF_S6_NS0_8equal_toIiEEEE10hipError_tPvRmT2_T3_mT4_T5_T6_T7_T8_P12ihipStream_tbENKUlT_T0_E_clISt17integral_constantIbLb0EESZ_EEDaSU_SV_EUlSU_E_NS1_11comp_targetILNS1_3genE10ELNS1_11target_archE1200ELNS1_3gpuE4ELNS1_3repE0EEENS1_30default_config_static_selectorELNS0_4arch9wavefront6targetE1EEEvT1_
	.globl	_ZN7rocprim17ROCPRIM_400000_NS6detail17trampoline_kernelINS0_14default_configENS1_33run_length_encode_config_selectorIijNS0_4plusIjEEEEZZNS1_33reduce_by_key_impl_wrapped_configILNS1_25lookback_scan_determinismE0ES3_S7_PKiNS0_17constant_iteratorIjlEEPiPlSF_S6_NS0_8equal_toIiEEEE10hipError_tPvRmT2_T3_mT4_T5_T6_T7_T8_P12ihipStream_tbENKUlT_T0_E_clISt17integral_constantIbLb0EESZ_EEDaSU_SV_EUlSU_E_NS1_11comp_targetILNS1_3genE10ELNS1_11target_archE1200ELNS1_3gpuE4ELNS1_3repE0EEENS1_30default_config_static_selectorELNS0_4arch9wavefront6targetE1EEEvT1_
	.p2align	8
	.type	_ZN7rocprim17ROCPRIM_400000_NS6detail17trampoline_kernelINS0_14default_configENS1_33run_length_encode_config_selectorIijNS0_4plusIjEEEEZZNS1_33reduce_by_key_impl_wrapped_configILNS1_25lookback_scan_determinismE0ES3_S7_PKiNS0_17constant_iteratorIjlEEPiPlSF_S6_NS0_8equal_toIiEEEE10hipError_tPvRmT2_T3_mT4_T5_T6_T7_T8_P12ihipStream_tbENKUlT_T0_E_clISt17integral_constantIbLb0EESZ_EEDaSU_SV_EUlSU_E_NS1_11comp_targetILNS1_3genE10ELNS1_11target_archE1200ELNS1_3gpuE4ELNS1_3repE0EEENS1_30default_config_static_selectorELNS0_4arch9wavefront6targetE1EEEvT1_,@function
_ZN7rocprim17ROCPRIM_400000_NS6detail17trampoline_kernelINS0_14default_configENS1_33run_length_encode_config_selectorIijNS0_4plusIjEEEEZZNS1_33reduce_by_key_impl_wrapped_configILNS1_25lookback_scan_determinismE0ES3_S7_PKiNS0_17constant_iteratorIjlEEPiPlSF_S6_NS0_8equal_toIiEEEE10hipError_tPvRmT2_T3_mT4_T5_T6_T7_T8_P12ihipStream_tbENKUlT_T0_E_clISt17integral_constantIbLb0EESZ_EEDaSU_SV_EUlSU_E_NS1_11comp_targetILNS1_3genE10ELNS1_11target_archE1200ELNS1_3gpuE4ELNS1_3repE0EEENS1_30default_config_static_selectorELNS0_4arch9wavefront6targetE1EEEvT1_: ; @_ZN7rocprim17ROCPRIM_400000_NS6detail17trampoline_kernelINS0_14default_configENS1_33run_length_encode_config_selectorIijNS0_4plusIjEEEEZZNS1_33reduce_by_key_impl_wrapped_configILNS1_25lookback_scan_determinismE0ES3_S7_PKiNS0_17constant_iteratorIjlEEPiPlSF_S6_NS0_8equal_toIiEEEE10hipError_tPvRmT2_T3_mT4_T5_T6_T7_T8_P12ihipStream_tbENKUlT_T0_E_clISt17integral_constantIbLb0EESZ_EEDaSU_SV_EUlSU_E_NS1_11comp_targetILNS1_3genE10ELNS1_11target_archE1200ELNS1_3gpuE4ELNS1_3repE0EEENS1_30default_config_static_selectorELNS0_4arch9wavefront6targetE1EEEvT1_
; %bb.0:
	.section	.rodata,"a",@progbits
	.p2align	6, 0x0
	.amdhsa_kernel _ZN7rocprim17ROCPRIM_400000_NS6detail17trampoline_kernelINS0_14default_configENS1_33run_length_encode_config_selectorIijNS0_4plusIjEEEEZZNS1_33reduce_by_key_impl_wrapped_configILNS1_25lookback_scan_determinismE0ES3_S7_PKiNS0_17constant_iteratorIjlEEPiPlSF_S6_NS0_8equal_toIiEEEE10hipError_tPvRmT2_T3_mT4_T5_T6_T7_T8_P12ihipStream_tbENKUlT_T0_E_clISt17integral_constantIbLb0EESZ_EEDaSU_SV_EUlSU_E_NS1_11comp_targetILNS1_3genE10ELNS1_11target_archE1200ELNS1_3gpuE4ELNS1_3repE0EEENS1_30default_config_static_selectorELNS0_4arch9wavefront6targetE1EEEvT1_
		.amdhsa_group_segment_fixed_size 0
		.amdhsa_private_segment_fixed_size 0
		.amdhsa_kernarg_size 128
		.amdhsa_user_sgpr_count 2
		.amdhsa_user_sgpr_dispatch_ptr 0
		.amdhsa_user_sgpr_queue_ptr 0
		.amdhsa_user_sgpr_kernarg_segment_ptr 1
		.amdhsa_user_sgpr_dispatch_id 0
		.amdhsa_user_sgpr_kernarg_preload_length 0
		.amdhsa_user_sgpr_kernarg_preload_offset 0
		.amdhsa_user_sgpr_private_segment_size 0
		.amdhsa_uses_dynamic_stack 0
		.amdhsa_enable_private_segment 0
		.amdhsa_system_sgpr_workgroup_id_x 1
		.amdhsa_system_sgpr_workgroup_id_y 0
		.amdhsa_system_sgpr_workgroup_id_z 0
		.amdhsa_system_sgpr_workgroup_info 0
		.amdhsa_system_vgpr_workitem_id 0
		.amdhsa_next_free_vgpr 1
		.amdhsa_next_free_sgpr 0
		.amdhsa_accum_offset 4
		.amdhsa_reserve_vcc 0
		.amdhsa_float_round_mode_32 0
		.amdhsa_float_round_mode_16_64 0
		.amdhsa_float_denorm_mode_32 3
		.amdhsa_float_denorm_mode_16_64 3
		.amdhsa_dx10_clamp 1
		.amdhsa_ieee_mode 1
		.amdhsa_fp16_overflow 0
		.amdhsa_tg_split 0
		.amdhsa_exception_fp_ieee_invalid_op 0
		.amdhsa_exception_fp_denorm_src 0
		.amdhsa_exception_fp_ieee_div_zero 0
		.amdhsa_exception_fp_ieee_overflow 0
		.amdhsa_exception_fp_ieee_underflow 0
		.amdhsa_exception_fp_ieee_inexact 0
		.amdhsa_exception_int_div_zero 0
	.end_amdhsa_kernel
	.section	.text._ZN7rocprim17ROCPRIM_400000_NS6detail17trampoline_kernelINS0_14default_configENS1_33run_length_encode_config_selectorIijNS0_4plusIjEEEEZZNS1_33reduce_by_key_impl_wrapped_configILNS1_25lookback_scan_determinismE0ES3_S7_PKiNS0_17constant_iteratorIjlEEPiPlSF_S6_NS0_8equal_toIiEEEE10hipError_tPvRmT2_T3_mT4_T5_T6_T7_T8_P12ihipStream_tbENKUlT_T0_E_clISt17integral_constantIbLb0EESZ_EEDaSU_SV_EUlSU_E_NS1_11comp_targetILNS1_3genE10ELNS1_11target_archE1200ELNS1_3gpuE4ELNS1_3repE0EEENS1_30default_config_static_selectorELNS0_4arch9wavefront6targetE1EEEvT1_,"axG",@progbits,_ZN7rocprim17ROCPRIM_400000_NS6detail17trampoline_kernelINS0_14default_configENS1_33run_length_encode_config_selectorIijNS0_4plusIjEEEEZZNS1_33reduce_by_key_impl_wrapped_configILNS1_25lookback_scan_determinismE0ES3_S7_PKiNS0_17constant_iteratorIjlEEPiPlSF_S6_NS0_8equal_toIiEEEE10hipError_tPvRmT2_T3_mT4_T5_T6_T7_T8_P12ihipStream_tbENKUlT_T0_E_clISt17integral_constantIbLb0EESZ_EEDaSU_SV_EUlSU_E_NS1_11comp_targetILNS1_3genE10ELNS1_11target_archE1200ELNS1_3gpuE4ELNS1_3repE0EEENS1_30default_config_static_selectorELNS0_4arch9wavefront6targetE1EEEvT1_,comdat
.Lfunc_end448:
	.size	_ZN7rocprim17ROCPRIM_400000_NS6detail17trampoline_kernelINS0_14default_configENS1_33run_length_encode_config_selectorIijNS0_4plusIjEEEEZZNS1_33reduce_by_key_impl_wrapped_configILNS1_25lookback_scan_determinismE0ES3_S7_PKiNS0_17constant_iteratorIjlEEPiPlSF_S6_NS0_8equal_toIiEEEE10hipError_tPvRmT2_T3_mT4_T5_T6_T7_T8_P12ihipStream_tbENKUlT_T0_E_clISt17integral_constantIbLb0EESZ_EEDaSU_SV_EUlSU_E_NS1_11comp_targetILNS1_3genE10ELNS1_11target_archE1200ELNS1_3gpuE4ELNS1_3repE0EEENS1_30default_config_static_selectorELNS0_4arch9wavefront6targetE1EEEvT1_, .Lfunc_end448-_ZN7rocprim17ROCPRIM_400000_NS6detail17trampoline_kernelINS0_14default_configENS1_33run_length_encode_config_selectorIijNS0_4plusIjEEEEZZNS1_33reduce_by_key_impl_wrapped_configILNS1_25lookback_scan_determinismE0ES3_S7_PKiNS0_17constant_iteratorIjlEEPiPlSF_S6_NS0_8equal_toIiEEEE10hipError_tPvRmT2_T3_mT4_T5_T6_T7_T8_P12ihipStream_tbENKUlT_T0_E_clISt17integral_constantIbLb0EESZ_EEDaSU_SV_EUlSU_E_NS1_11comp_targetILNS1_3genE10ELNS1_11target_archE1200ELNS1_3gpuE4ELNS1_3repE0EEENS1_30default_config_static_selectorELNS0_4arch9wavefront6targetE1EEEvT1_
                                        ; -- End function
	.section	.AMDGPU.csdata,"",@progbits
; Kernel info:
; codeLenInByte = 0
; NumSgprs: 6
; NumVgprs: 0
; NumAgprs: 0
; TotalNumVgprs: 0
; ScratchSize: 0
; MemoryBound: 0
; FloatMode: 240
; IeeeMode: 1
; LDSByteSize: 0 bytes/workgroup (compile time only)
; SGPRBlocks: 0
; VGPRBlocks: 0
; NumSGPRsForWavesPerEU: 6
; NumVGPRsForWavesPerEU: 1
; AccumOffset: 4
; Occupancy: 8
; WaveLimiterHint : 0
; COMPUTE_PGM_RSRC2:SCRATCH_EN: 0
; COMPUTE_PGM_RSRC2:USER_SGPR: 2
; COMPUTE_PGM_RSRC2:TRAP_HANDLER: 0
; COMPUTE_PGM_RSRC2:TGID_X_EN: 1
; COMPUTE_PGM_RSRC2:TGID_Y_EN: 0
; COMPUTE_PGM_RSRC2:TGID_Z_EN: 0
; COMPUTE_PGM_RSRC2:TIDIG_COMP_CNT: 0
; COMPUTE_PGM_RSRC3_GFX90A:ACCUM_OFFSET: 0
; COMPUTE_PGM_RSRC3_GFX90A:TG_SPLIT: 0
	.section	.text._ZN7rocprim17ROCPRIM_400000_NS6detail17trampoline_kernelINS0_14default_configENS1_33run_length_encode_config_selectorIijNS0_4plusIjEEEEZZNS1_33reduce_by_key_impl_wrapped_configILNS1_25lookback_scan_determinismE0ES3_S7_PKiNS0_17constant_iteratorIjlEEPiPlSF_S6_NS0_8equal_toIiEEEE10hipError_tPvRmT2_T3_mT4_T5_T6_T7_T8_P12ihipStream_tbENKUlT_T0_E_clISt17integral_constantIbLb0EESZ_EEDaSU_SV_EUlSU_E_NS1_11comp_targetILNS1_3genE9ELNS1_11target_archE1100ELNS1_3gpuE3ELNS1_3repE0EEENS1_30default_config_static_selectorELNS0_4arch9wavefront6targetE1EEEvT1_,"axG",@progbits,_ZN7rocprim17ROCPRIM_400000_NS6detail17trampoline_kernelINS0_14default_configENS1_33run_length_encode_config_selectorIijNS0_4plusIjEEEEZZNS1_33reduce_by_key_impl_wrapped_configILNS1_25lookback_scan_determinismE0ES3_S7_PKiNS0_17constant_iteratorIjlEEPiPlSF_S6_NS0_8equal_toIiEEEE10hipError_tPvRmT2_T3_mT4_T5_T6_T7_T8_P12ihipStream_tbENKUlT_T0_E_clISt17integral_constantIbLb0EESZ_EEDaSU_SV_EUlSU_E_NS1_11comp_targetILNS1_3genE9ELNS1_11target_archE1100ELNS1_3gpuE3ELNS1_3repE0EEENS1_30default_config_static_selectorELNS0_4arch9wavefront6targetE1EEEvT1_,comdat
	.protected	_ZN7rocprim17ROCPRIM_400000_NS6detail17trampoline_kernelINS0_14default_configENS1_33run_length_encode_config_selectorIijNS0_4plusIjEEEEZZNS1_33reduce_by_key_impl_wrapped_configILNS1_25lookback_scan_determinismE0ES3_S7_PKiNS0_17constant_iteratorIjlEEPiPlSF_S6_NS0_8equal_toIiEEEE10hipError_tPvRmT2_T3_mT4_T5_T6_T7_T8_P12ihipStream_tbENKUlT_T0_E_clISt17integral_constantIbLb0EESZ_EEDaSU_SV_EUlSU_E_NS1_11comp_targetILNS1_3genE9ELNS1_11target_archE1100ELNS1_3gpuE3ELNS1_3repE0EEENS1_30default_config_static_selectorELNS0_4arch9wavefront6targetE1EEEvT1_ ; -- Begin function _ZN7rocprim17ROCPRIM_400000_NS6detail17trampoline_kernelINS0_14default_configENS1_33run_length_encode_config_selectorIijNS0_4plusIjEEEEZZNS1_33reduce_by_key_impl_wrapped_configILNS1_25lookback_scan_determinismE0ES3_S7_PKiNS0_17constant_iteratorIjlEEPiPlSF_S6_NS0_8equal_toIiEEEE10hipError_tPvRmT2_T3_mT4_T5_T6_T7_T8_P12ihipStream_tbENKUlT_T0_E_clISt17integral_constantIbLb0EESZ_EEDaSU_SV_EUlSU_E_NS1_11comp_targetILNS1_3genE9ELNS1_11target_archE1100ELNS1_3gpuE3ELNS1_3repE0EEENS1_30default_config_static_selectorELNS0_4arch9wavefront6targetE1EEEvT1_
	.globl	_ZN7rocprim17ROCPRIM_400000_NS6detail17trampoline_kernelINS0_14default_configENS1_33run_length_encode_config_selectorIijNS0_4plusIjEEEEZZNS1_33reduce_by_key_impl_wrapped_configILNS1_25lookback_scan_determinismE0ES3_S7_PKiNS0_17constant_iteratorIjlEEPiPlSF_S6_NS0_8equal_toIiEEEE10hipError_tPvRmT2_T3_mT4_T5_T6_T7_T8_P12ihipStream_tbENKUlT_T0_E_clISt17integral_constantIbLb0EESZ_EEDaSU_SV_EUlSU_E_NS1_11comp_targetILNS1_3genE9ELNS1_11target_archE1100ELNS1_3gpuE3ELNS1_3repE0EEENS1_30default_config_static_selectorELNS0_4arch9wavefront6targetE1EEEvT1_
	.p2align	8
	.type	_ZN7rocprim17ROCPRIM_400000_NS6detail17trampoline_kernelINS0_14default_configENS1_33run_length_encode_config_selectorIijNS0_4plusIjEEEEZZNS1_33reduce_by_key_impl_wrapped_configILNS1_25lookback_scan_determinismE0ES3_S7_PKiNS0_17constant_iteratorIjlEEPiPlSF_S6_NS0_8equal_toIiEEEE10hipError_tPvRmT2_T3_mT4_T5_T6_T7_T8_P12ihipStream_tbENKUlT_T0_E_clISt17integral_constantIbLb0EESZ_EEDaSU_SV_EUlSU_E_NS1_11comp_targetILNS1_3genE9ELNS1_11target_archE1100ELNS1_3gpuE3ELNS1_3repE0EEENS1_30default_config_static_selectorELNS0_4arch9wavefront6targetE1EEEvT1_,@function
_ZN7rocprim17ROCPRIM_400000_NS6detail17trampoline_kernelINS0_14default_configENS1_33run_length_encode_config_selectorIijNS0_4plusIjEEEEZZNS1_33reduce_by_key_impl_wrapped_configILNS1_25lookback_scan_determinismE0ES3_S7_PKiNS0_17constant_iteratorIjlEEPiPlSF_S6_NS0_8equal_toIiEEEE10hipError_tPvRmT2_T3_mT4_T5_T6_T7_T8_P12ihipStream_tbENKUlT_T0_E_clISt17integral_constantIbLb0EESZ_EEDaSU_SV_EUlSU_E_NS1_11comp_targetILNS1_3genE9ELNS1_11target_archE1100ELNS1_3gpuE3ELNS1_3repE0EEENS1_30default_config_static_selectorELNS0_4arch9wavefront6targetE1EEEvT1_: ; @_ZN7rocprim17ROCPRIM_400000_NS6detail17trampoline_kernelINS0_14default_configENS1_33run_length_encode_config_selectorIijNS0_4plusIjEEEEZZNS1_33reduce_by_key_impl_wrapped_configILNS1_25lookback_scan_determinismE0ES3_S7_PKiNS0_17constant_iteratorIjlEEPiPlSF_S6_NS0_8equal_toIiEEEE10hipError_tPvRmT2_T3_mT4_T5_T6_T7_T8_P12ihipStream_tbENKUlT_T0_E_clISt17integral_constantIbLb0EESZ_EEDaSU_SV_EUlSU_E_NS1_11comp_targetILNS1_3genE9ELNS1_11target_archE1100ELNS1_3gpuE3ELNS1_3repE0EEENS1_30default_config_static_selectorELNS0_4arch9wavefront6targetE1EEEvT1_
; %bb.0:
	.section	.rodata,"a",@progbits
	.p2align	6, 0x0
	.amdhsa_kernel _ZN7rocprim17ROCPRIM_400000_NS6detail17trampoline_kernelINS0_14default_configENS1_33run_length_encode_config_selectorIijNS0_4plusIjEEEEZZNS1_33reduce_by_key_impl_wrapped_configILNS1_25lookback_scan_determinismE0ES3_S7_PKiNS0_17constant_iteratorIjlEEPiPlSF_S6_NS0_8equal_toIiEEEE10hipError_tPvRmT2_T3_mT4_T5_T6_T7_T8_P12ihipStream_tbENKUlT_T0_E_clISt17integral_constantIbLb0EESZ_EEDaSU_SV_EUlSU_E_NS1_11comp_targetILNS1_3genE9ELNS1_11target_archE1100ELNS1_3gpuE3ELNS1_3repE0EEENS1_30default_config_static_selectorELNS0_4arch9wavefront6targetE1EEEvT1_
		.amdhsa_group_segment_fixed_size 0
		.amdhsa_private_segment_fixed_size 0
		.amdhsa_kernarg_size 128
		.amdhsa_user_sgpr_count 2
		.amdhsa_user_sgpr_dispatch_ptr 0
		.amdhsa_user_sgpr_queue_ptr 0
		.amdhsa_user_sgpr_kernarg_segment_ptr 1
		.amdhsa_user_sgpr_dispatch_id 0
		.amdhsa_user_sgpr_kernarg_preload_length 0
		.amdhsa_user_sgpr_kernarg_preload_offset 0
		.amdhsa_user_sgpr_private_segment_size 0
		.amdhsa_uses_dynamic_stack 0
		.amdhsa_enable_private_segment 0
		.amdhsa_system_sgpr_workgroup_id_x 1
		.amdhsa_system_sgpr_workgroup_id_y 0
		.amdhsa_system_sgpr_workgroup_id_z 0
		.amdhsa_system_sgpr_workgroup_info 0
		.amdhsa_system_vgpr_workitem_id 0
		.amdhsa_next_free_vgpr 1
		.amdhsa_next_free_sgpr 0
		.amdhsa_accum_offset 4
		.amdhsa_reserve_vcc 0
		.amdhsa_float_round_mode_32 0
		.amdhsa_float_round_mode_16_64 0
		.amdhsa_float_denorm_mode_32 3
		.amdhsa_float_denorm_mode_16_64 3
		.amdhsa_dx10_clamp 1
		.amdhsa_ieee_mode 1
		.amdhsa_fp16_overflow 0
		.amdhsa_tg_split 0
		.amdhsa_exception_fp_ieee_invalid_op 0
		.amdhsa_exception_fp_denorm_src 0
		.amdhsa_exception_fp_ieee_div_zero 0
		.amdhsa_exception_fp_ieee_overflow 0
		.amdhsa_exception_fp_ieee_underflow 0
		.amdhsa_exception_fp_ieee_inexact 0
		.amdhsa_exception_int_div_zero 0
	.end_amdhsa_kernel
	.section	.text._ZN7rocprim17ROCPRIM_400000_NS6detail17trampoline_kernelINS0_14default_configENS1_33run_length_encode_config_selectorIijNS0_4plusIjEEEEZZNS1_33reduce_by_key_impl_wrapped_configILNS1_25lookback_scan_determinismE0ES3_S7_PKiNS0_17constant_iteratorIjlEEPiPlSF_S6_NS0_8equal_toIiEEEE10hipError_tPvRmT2_T3_mT4_T5_T6_T7_T8_P12ihipStream_tbENKUlT_T0_E_clISt17integral_constantIbLb0EESZ_EEDaSU_SV_EUlSU_E_NS1_11comp_targetILNS1_3genE9ELNS1_11target_archE1100ELNS1_3gpuE3ELNS1_3repE0EEENS1_30default_config_static_selectorELNS0_4arch9wavefront6targetE1EEEvT1_,"axG",@progbits,_ZN7rocprim17ROCPRIM_400000_NS6detail17trampoline_kernelINS0_14default_configENS1_33run_length_encode_config_selectorIijNS0_4plusIjEEEEZZNS1_33reduce_by_key_impl_wrapped_configILNS1_25lookback_scan_determinismE0ES3_S7_PKiNS0_17constant_iteratorIjlEEPiPlSF_S6_NS0_8equal_toIiEEEE10hipError_tPvRmT2_T3_mT4_T5_T6_T7_T8_P12ihipStream_tbENKUlT_T0_E_clISt17integral_constantIbLb0EESZ_EEDaSU_SV_EUlSU_E_NS1_11comp_targetILNS1_3genE9ELNS1_11target_archE1100ELNS1_3gpuE3ELNS1_3repE0EEENS1_30default_config_static_selectorELNS0_4arch9wavefront6targetE1EEEvT1_,comdat
.Lfunc_end449:
	.size	_ZN7rocprim17ROCPRIM_400000_NS6detail17trampoline_kernelINS0_14default_configENS1_33run_length_encode_config_selectorIijNS0_4plusIjEEEEZZNS1_33reduce_by_key_impl_wrapped_configILNS1_25lookback_scan_determinismE0ES3_S7_PKiNS0_17constant_iteratorIjlEEPiPlSF_S6_NS0_8equal_toIiEEEE10hipError_tPvRmT2_T3_mT4_T5_T6_T7_T8_P12ihipStream_tbENKUlT_T0_E_clISt17integral_constantIbLb0EESZ_EEDaSU_SV_EUlSU_E_NS1_11comp_targetILNS1_3genE9ELNS1_11target_archE1100ELNS1_3gpuE3ELNS1_3repE0EEENS1_30default_config_static_selectorELNS0_4arch9wavefront6targetE1EEEvT1_, .Lfunc_end449-_ZN7rocprim17ROCPRIM_400000_NS6detail17trampoline_kernelINS0_14default_configENS1_33run_length_encode_config_selectorIijNS0_4plusIjEEEEZZNS1_33reduce_by_key_impl_wrapped_configILNS1_25lookback_scan_determinismE0ES3_S7_PKiNS0_17constant_iteratorIjlEEPiPlSF_S6_NS0_8equal_toIiEEEE10hipError_tPvRmT2_T3_mT4_T5_T6_T7_T8_P12ihipStream_tbENKUlT_T0_E_clISt17integral_constantIbLb0EESZ_EEDaSU_SV_EUlSU_E_NS1_11comp_targetILNS1_3genE9ELNS1_11target_archE1100ELNS1_3gpuE3ELNS1_3repE0EEENS1_30default_config_static_selectorELNS0_4arch9wavefront6targetE1EEEvT1_
                                        ; -- End function
	.section	.AMDGPU.csdata,"",@progbits
; Kernel info:
; codeLenInByte = 0
; NumSgprs: 6
; NumVgprs: 0
; NumAgprs: 0
; TotalNumVgprs: 0
; ScratchSize: 0
; MemoryBound: 0
; FloatMode: 240
; IeeeMode: 1
; LDSByteSize: 0 bytes/workgroup (compile time only)
; SGPRBlocks: 0
; VGPRBlocks: 0
; NumSGPRsForWavesPerEU: 6
; NumVGPRsForWavesPerEU: 1
; AccumOffset: 4
; Occupancy: 8
; WaveLimiterHint : 0
; COMPUTE_PGM_RSRC2:SCRATCH_EN: 0
; COMPUTE_PGM_RSRC2:USER_SGPR: 2
; COMPUTE_PGM_RSRC2:TRAP_HANDLER: 0
; COMPUTE_PGM_RSRC2:TGID_X_EN: 1
; COMPUTE_PGM_RSRC2:TGID_Y_EN: 0
; COMPUTE_PGM_RSRC2:TGID_Z_EN: 0
; COMPUTE_PGM_RSRC2:TIDIG_COMP_CNT: 0
; COMPUTE_PGM_RSRC3_GFX90A:ACCUM_OFFSET: 0
; COMPUTE_PGM_RSRC3_GFX90A:TG_SPLIT: 0
	.section	.text._ZN7rocprim17ROCPRIM_400000_NS6detail17trampoline_kernelINS0_14default_configENS1_33run_length_encode_config_selectorIijNS0_4plusIjEEEEZZNS1_33reduce_by_key_impl_wrapped_configILNS1_25lookback_scan_determinismE0ES3_S7_PKiNS0_17constant_iteratorIjlEEPiPlSF_S6_NS0_8equal_toIiEEEE10hipError_tPvRmT2_T3_mT4_T5_T6_T7_T8_P12ihipStream_tbENKUlT_T0_E_clISt17integral_constantIbLb0EESZ_EEDaSU_SV_EUlSU_E_NS1_11comp_targetILNS1_3genE8ELNS1_11target_archE1030ELNS1_3gpuE2ELNS1_3repE0EEENS1_30default_config_static_selectorELNS0_4arch9wavefront6targetE1EEEvT1_,"axG",@progbits,_ZN7rocprim17ROCPRIM_400000_NS6detail17trampoline_kernelINS0_14default_configENS1_33run_length_encode_config_selectorIijNS0_4plusIjEEEEZZNS1_33reduce_by_key_impl_wrapped_configILNS1_25lookback_scan_determinismE0ES3_S7_PKiNS0_17constant_iteratorIjlEEPiPlSF_S6_NS0_8equal_toIiEEEE10hipError_tPvRmT2_T3_mT4_T5_T6_T7_T8_P12ihipStream_tbENKUlT_T0_E_clISt17integral_constantIbLb0EESZ_EEDaSU_SV_EUlSU_E_NS1_11comp_targetILNS1_3genE8ELNS1_11target_archE1030ELNS1_3gpuE2ELNS1_3repE0EEENS1_30default_config_static_selectorELNS0_4arch9wavefront6targetE1EEEvT1_,comdat
	.protected	_ZN7rocprim17ROCPRIM_400000_NS6detail17trampoline_kernelINS0_14default_configENS1_33run_length_encode_config_selectorIijNS0_4plusIjEEEEZZNS1_33reduce_by_key_impl_wrapped_configILNS1_25lookback_scan_determinismE0ES3_S7_PKiNS0_17constant_iteratorIjlEEPiPlSF_S6_NS0_8equal_toIiEEEE10hipError_tPvRmT2_T3_mT4_T5_T6_T7_T8_P12ihipStream_tbENKUlT_T0_E_clISt17integral_constantIbLb0EESZ_EEDaSU_SV_EUlSU_E_NS1_11comp_targetILNS1_3genE8ELNS1_11target_archE1030ELNS1_3gpuE2ELNS1_3repE0EEENS1_30default_config_static_selectorELNS0_4arch9wavefront6targetE1EEEvT1_ ; -- Begin function _ZN7rocprim17ROCPRIM_400000_NS6detail17trampoline_kernelINS0_14default_configENS1_33run_length_encode_config_selectorIijNS0_4plusIjEEEEZZNS1_33reduce_by_key_impl_wrapped_configILNS1_25lookback_scan_determinismE0ES3_S7_PKiNS0_17constant_iteratorIjlEEPiPlSF_S6_NS0_8equal_toIiEEEE10hipError_tPvRmT2_T3_mT4_T5_T6_T7_T8_P12ihipStream_tbENKUlT_T0_E_clISt17integral_constantIbLb0EESZ_EEDaSU_SV_EUlSU_E_NS1_11comp_targetILNS1_3genE8ELNS1_11target_archE1030ELNS1_3gpuE2ELNS1_3repE0EEENS1_30default_config_static_selectorELNS0_4arch9wavefront6targetE1EEEvT1_
	.globl	_ZN7rocprim17ROCPRIM_400000_NS6detail17trampoline_kernelINS0_14default_configENS1_33run_length_encode_config_selectorIijNS0_4plusIjEEEEZZNS1_33reduce_by_key_impl_wrapped_configILNS1_25lookback_scan_determinismE0ES3_S7_PKiNS0_17constant_iteratorIjlEEPiPlSF_S6_NS0_8equal_toIiEEEE10hipError_tPvRmT2_T3_mT4_T5_T6_T7_T8_P12ihipStream_tbENKUlT_T0_E_clISt17integral_constantIbLb0EESZ_EEDaSU_SV_EUlSU_E_NS1_11comp_targetILNS1_3genE8ELNS1_11target_archE1030ELNS1_3gpuE2ELNS1_3repE0EEENS1_30default_config_static_selectorELNS0_4arch9wavefront6targetE1EEEvT1_
	.p2align	8
	.type	_ZN7rocprim17ROCPRIM_400000_NS6detail17trampoline_kernelINS0_14default_configENS1_33run_length_encode_config_selectorIijNS0_4plusIjEEEEZZNS1_33reduce_by_key_impl_wrapped_configILNS1_25lookback_scan_determinismE0ES3_S7_PKiNS0_17constant_iteratorIjlEEPiPlSF_S6_NS0_8equal_toIiEEEE10hipError_tPvRmT2_T3_mT4_T5_T6_T7_T8_P12ihipStream_tbENKUlT_T0_E_clISt17integral_constantIbLb0EESZ_EEDaSU_SV_EUlSU_E_NS1_11comp_targetILNS1_3genE8ELNS1_11target_archE1030ELNS1_3gpuE2ELNS1_3repE0EEENS1_30default_config_static_selectorELNS0_4arch9wavefront6targetE1EEEvT1_,@function
_ZN7rocprim17ROCPRIM_400000_NS6detail17trampoline_kernelINS0_14default_configENS1_33run_length_encode_config_selectorIijNS0_4plusIjEEEEZZNS1_33reduce_by_key_impl_wrapped_configILNS1_25lookback_scan_determinismE0ES3_S7_PKiNS0_17constant_iteratorIjlEEPiPlSF_S6_NS0_8equal_toIiEEEE10hipError_tPvRmT2_T3_mT4_T5_T6_T7_T8_P12ihipStream_tbENKUlT_T0_E_clISt17integral_constantIbLb0EESZ_EEDaSU_SV_EUlSU_E_NS1_11comp_targetILNS1_3genE8ELNS1_11target_archE1030ELNS1_3gpuE2ELNS1_3repE0EEENS1_30default_config_static_selectorELNS0_4arch9wavefront6targetE1EEEvT1_: ; @_ZN7rocprim17ROCPRIM_400000_NS6detail17trampoline_kernelINS0_14default_configENS1_33run_length_encode_config_selectorIijNS0_4plusIjEEEEZZNS1_33reduce_by_key_impl_wrapped_configILNS1_25lookback_scan_determinismE0ES3_S7_PKiNS0_17constant_iteratorIjlEEPiPlSF_S6_NS0_8equal_toIiEEEE10hipError_tPvRmT2_T3_mT4_T5_T6_T7_T8_P12ihipStream_tbENKUlT_T0_E_clISt17integral_constantIbLb0EESZ_EEDaSU_SV_EUlSU_E_NS1_11comp_targetILNS1_3genE8ELNS1_11target_archE1030ELNS1_3gpuE2ELNS1_3repE0EEENS1_30default_config_static_selectorELNS0_4arch9wavefront6targetE1EEEvT1_
; %bb.0:
	.section	.rodata,"a",@progbits
	.p2align	6, 0x0
	.amdhsa_kernel _ZN7rocprim17ROCPRIM_400000_NS6detail17trampoline_kernelINS0_14default_configENS1_33run_length_encode_config_selectorIijNS0_4plusIjEEEEZZNS1_33reduce_by_key_impl_wrapped_configILNS1_25lookback_scan_determinismE0ES3_S7_PKiNS0_17constant_iteratorIjlEEPiPlSF_S6_NS0_8equal_toIiEEEE10hipError_tPvRmT2_T3_mT4_T5_T6_T7_T8_P12ihipStream_tbENKUlT_T0_E_clISt17integral_constantIbLb0EESZ_EEDaSU_SV_EUlSU_E_NS1_11comp_targetILNS1_3genE8ELNS1_11target_archE1030ELNS1_3gpuE2ELNS1_3repE0EEENS1_30default_config_static_selectorELNS0_4arch9wavefront6targetE1EEEvT1_
		.amdhsa_group_segment_fixed_size 0
		.amdhsa_private_segment_fixed_size 0
		.amdhsa_kernarg_size 128
		.amdhsa_user_sgpr_count 2
		.amdhsa_user_sgpr_dispatch_ptr 0
		.amdhsa_user_sgpr_queue_ptr 0
		.amdhsa_user_sgpr_kernarg_segment_ptr 1
		.amdhsa_user_sgpr_dispatch_id 0
		.amdhsa_user_sgpr_kernarg_preload_length 0
		.amdhsa_user_sgpr_kernarg_preload_offset 0
		.amdhsa_user_sgpr_private_segment_size 0
		.amdhsa_uses_dynamic_stack 0
		.amdhsa_enable_private_segment 0
		.amdhsa_system_sgpr_workgroup_id_x 1
		.amdhsa_system_sgpr_workgroup_id_y 0
		.amdhsa_system_sgpr_workgroup_id_z 0
		.amdhsa_system_sgpr_workgroup_info 0
		.amdhsa_system_vgpr_workitem_id 0
		.amdhsa_next_free_vgpr 1
		.amdhsa_next_free_sgpr 0
		.amdhsa_accum_offset 4
		.amdhsa_reserve_vcc 0
		.amdhsa_float_round_mode_32 0
		.amdhsa_float_round_mode_16_64 0
		.amdhsa_float_denorm_mode_32 3
		.amdhsa_float_denorm_mode_16_64 3
		.amdhsa_dx10_clamp 1
		.amdhsa_ieee_mode 1
		.amdhsa_fp16_overflow 0
		.amdhsa_tg_split 0
		.amdhsa_exception_fp_ieee_invalid_op 0
		.amdhsa_exception_fp_denorm_src 0
		.amdhsa_exception_fp_ieee_div_zero 0
		.amdhsa_exception_fp_ieee_overflow 0
		.amdhsa_exception_fp_ieee_underflow 0
		.amdhsa_exception_fp_ieee_inexact 0
		.amdhsa_exception_int_div_zero 0
	.end_amdhsa_kernel
	.section	.text._ZN7rocprim17ROCPRIM_400000_NS6detail17trampoline_kernelINS0_14default_configENS1_33run_length_encode_config_selectorIijNS0_4plusIjEEEEZZNS1_33reduce_by_key_impl_wrapped_configILNS1_25lookback_scan_determinismE0ES3_S7_PKiNS0_17constant_iteratorIjlEEPiPlSF_S6_NS0_8equal_toIiEEEE10hipError_tPvRmT2_T3_mT4_T5_T6_T7_T8_P12ihipStream_tbENKUlT_T0_E_clISt17integral_constantIbLb0EESZ_EEDaSU_SV_EUlSU_E_NS1_11comp_targetILNS1_3genE8ELNS1_11target_archE1030ELNS1_3gpuE2ELNS1_3repE0EEENS1_30default_config_static_selectorELNS0_4arch9wavefront6targetE1EEEvT1_,"axG",@progbits,_ZN7rocprim17ROCPRIM_400000_NS6detail17trampoline_kernelINS0_14default_configENS1_33run_length_encode_config_selectorIijNS0_4plusIjEEEEZZNS1_33reduce_by_key_impl_wrapped_configILNS1_25lookback_scan_determinismE0ES3_S7_PKiNS0_17constant_iteratorIjlEEPiPlSF_S6_NS0_8equal_toIiEEEE10hipError_tPvRmT2_T3_mT4_T5_T6_T7_T8_P12ihipStream_tbENKUlT_T0_E_clISt17integral_constantIbLb0EESZ_EEDaSU_SV_EUlSU_E_NS1_11comp_targetILNS1_3genE8ELNS1_11target_archE1030ELNS1_3gpuE2ELNS1_3repE0EEENS1_30default_config_static_selectorELNS0_4arch9wavefront6targetE1EEEvT1_,comdat
.Lfunc_end450:
	.size	_ZN7rocprim17ROCPRIM_400000_NS6detail17trampoline_kernelINS0_14default_configENS1_33run_length_encode_config_selectorIijNS0_4plusIjEEEEZZNS1_33reduce_by_key_impl_wrapped_configILNS1_25lookback_scan_determinismE0ES3_S7_PKiNS0_17constant_iteratorIjlEEPiPlSF_S6_NS0_8equal_toIiEEEE10hipError_tPvRmT2_T3_mT4_T5_T6_T7_T8_P12ihipStream_tbENKUlT_T0_E_clISt17integral_constantIbLb0EESZ_EEDaSU_SV_EUlSU_E_NS1_11comp_targetILNS1_3genE8ELNS1_11target_archE1030ELNS1_3gpuE2ELNS1_3repE0EEENS1_30default_config_static_selectorELNS0_4arch9wavefront6targetE1EEEvT1_, .Lfunc_end450-_ZN7rocprim17ROCPRIM_400000_NS6detail17trampoline_kernelINS0_14default_configENS1_33run_length_encode_config_selectorIijNS0_4plusIjEEEEZZNS1_33reduce_by_key_impl_wrapped_configILNS1_25lookback_scan_determinismE0ES3_S7_PKiNS0_17constant_iteratorIjlEEPiPlSF_S6_NS0_8equal_toIiEEEE10hipError_tPvRmT2_T3_mT4_T5_T6_T7_T8_P12ihipStream_tbENKUlT_T0_E_clISt17integral_constantIbLb0EESZ_EEDaSU_SV_EUlSU_E_NS1_11comp_targetILNS1_3genE8ELNS1_11target_archE1030ELNS1_3gpuE2ELNS1_3repE0EEENS1_30default_config_static_selectorELNS0_4arch9wavefront6targetE1EEEvT1_
                                        ; -- End function
	.section	.AMDGPU.csdata,"",@progbits
; Kernel info:
; codeLenInByte = 0
; NumSgprs: 6
; NumVgprs: 0
; NumAgprs: 0
; TotalNumVgprs: 0
; ScratchSize: 0
; MemoryBound: 0
; FloatMode: 240
; IeeeMode: 1
; LDSByteSize: 0 bytes/workgroup (compile time only)
; SGPRBlocks: 0
; VGPRBlocks: 0
; NumSGPRsForWavesPerEU: 6
; NumVGPRsForWavesPerEU: 1
; AccumOffset: 4
; Occupancy: 8
; WaveLimiterHint : 0
; COMPUTE_PGM_RSRC2:SCRATCH_EN: 0
; COMPUTE_PGM_RSRC2:USER_SGPR: 2
; COMPUTE_PGM_RSRC2:TRAP_HANDLER: 0
; COMPUTE_PGM_RSRC2:TGID_X_EN: 1
; COMPUTE_PGM_RSRC2:TGID_Y_EN: 0
; COMPUTE_PGM_RSRC2:TGID_Z_EN: 0
; COMPUTE_PGM_RSRC2:TIDIG_COMP_CNT: 0
; COMPUTE_PGM_RSRC3_GFX90A:ACCUM_OFFSET: 0
; COMPUTE_PGM_RSRC3_GFX90A:TG_SPLIT: 0
	.section	.text._ZN7rocprim17ROCPRIM_400000_NS6detail17trampoline_kernelINS0_14default_configENS1_33run_length_encode_config_selectorIijNS0_4plusIjEEEEZZNS1_33reduce_by_key_impl_wrapped_configILNS1_25lookback_scan_determinismE0ES3_S7_PKiNS0_17constant_iteratorIjlEEPiPlSF_S6_NS0_8equal_toIiEEEE10hipError_tPvRmT2_T3_mT4_T5_T6_T7_T8_P12ihipStream_tbENKUlT_T0_E_clISt17integral_constantIbLb1EESZ_EEDaSU_SV_EUlSU_E_NS1_11comp_targetILNS1_3genE0ELNS1_11target_archE4294967295ELNS1_3gpuE0ELNS1_3repE0EEENS1_30default_config_static_selectorELNS0_4arch9wavefront6targetE1EEEvT1_,"axG",@progbits,_ZN7rocprim17ROCPRIM_400000_NS6detail17trampoline_kernelINS0_14default_configENS1_33run_length_encode_config_selectorIijNS0_4plusIjEEEEZZNS1_33reduce_by_key_impl_wrapped_configILNS1_25lookback_scan_determinismE0ES3_S7_PKiNS0_17constant_iteratorIjlEEPiPlSF_S6_NS0_8equal_toIiEEEE10hipError_tPvRmT2_T3_mT4_T5_T6_T7_T8_P12ihipStream_tbENKUlT_T0_E_clISt17integral_constantIbLb1EESZ_EEDaSU_SV_EUlSU_E_NS1_11comp_targetILNS1_3genE0ELNS1_11target_archE4294967295ELNS1_3gpuE0ELNS1_3repE0EEENS1_30default_config_static_selectorELNS0_4arch9wavefront6targetE1EEEvT1_,comdat
	.protected	_ZN7rocprim17ROCPRIM_400000_NS6detail17trampoline_kernelINS0_14default_configENS1_33run_length_encode_config_selectorIijNS0_4plusIjEEEEZZNS1_33reduce_by_key_impl_wrapped_configILNS1_25lookback_scan_determinismE0ES3_S7_PKiNS0_17constant_iteratorIjlEEPiPlSF_S6_NS0_8equal_toIiEEEE10hipError_tPvRmT2_T3_mT4_T5_T6_T7_T8_P12ihipStream_tbENKUlT_T0_E_clISt17integral_constantIbLb1EESZ_EEDaSU_SV_EUlSU_E_NS1_11comp_targetILNS1_3genE0ELNS1_11target_archE4294967295ELNS1_3gpuE0ELNS1_3repE0EEENS1_30default_config_static_selectorELNS0_4arch9wavefront6targetE1EEEvT1_ ; -- Begin function _ZN7rocprim17ROCPRIM_400000_NS6detail17trampoline_kernelINS0_14default_configENS1_33run_length_encode_config_selectorIijNS0_4plusIjEEEEZZNS1_33reduce_by_key_impl_wrapped_configILNS1_25lookback_scan_determinismE0ES3_S7_PKiNS0_17constant_iteratorIjlEEPiPlSF_S6_NS0_8equal_toIiEEEE10hipError_tPvRmT2_T3_mT4_T5_T6_T7_T8_P12ihipStream_tbENKUlT_T0_E_clISt17integral_constantIbLb1EESZ_EEDaSU_SV_EUlSU_E_NS1_11comp_targetILNS1_3genE0ELNS1_11target_archE4294967295ELNS1_3gpuE0ELNS1_3repE0EEENS1_30default_config_static_selectorELNS0_4arch9wavefront6targetE1EEEvT1_
	.globl	_ZN7rocprim17ROCPRIM_400000_NS6detail17trampoline_kernelINS0_14default_configENS1_33run_length_encode_config_selectorIijNS0_4plusIjEEEEZZNS1_33reduce_by_key_impl_wrapped_configILNS1_25lookback_scan_determinismE0ES3_S7_PKiNS0_17constant_iteratorIjlEEPiPlSF_S6_NS0_8equal_toIiEEEE10hipError_tPvRmT2_T3_mT4_T5_T6_T7_T8_P12ihipStream_tbENKUlT_T0_E_clISt17integral_constantIbLb1EESZ_EEDaSU_SV_EUlSU_E_NS1_11comp_targetILNS1_3genE0ELNS1_11target_archE4294967295ELNS1_3gpuE0ELNS1_3repE0EEENS1_30default_config_static_selectorELNS0_4arch9wavefront6targetE1EEEvT1_
	.p2align	8
	.type	_ZN7rocprim17ROCPRIM_400000_NS6detail17trampoline_kernelINS0_14default_configENS1_33run_length_encode_config_selectorIijNS0_4plusIjEEEEZZNS1_33reduce_by_key_impl_wrapped_configILNS1_25lookback_scan_determinismE0ES3_S7_PKiNS0_17constant_iteratorIjlEEPiPlSF_S6_NS0_8equal_toIiEEEE10hipError_tPvRmT2_T3_mT4_T5_T6_T7_T8_P12ihipStream_tbENKUlT_T0_E_clISt17integral_constantIbLb1EESZ_EEDaSU_SV_EUlSU_E_NS1_11comp_targetILNS1_3genE0ELNS1_11target_archE4294967295ELNS1_3gpuE0ELNS1_3repE0EEENS1_30default_config_static_selectorELNS0_4arch9wavefront6targetE1EEEvT1_,@function
_ZN7rocprim17ROCPRIM_400000_NS6detail17trampoline_kernelINS0_14default_configENS1_33run_length_encode_config_selectorIijNS0_4plusIjEEEEZZNS1_33reduce_by_key_impl_wrapped_configILNS1_25lookback_scan_determinismE0ES3_S7_PKiNS0_17constant_iteratorIjlEEPiPlSF_S6_NS0_8equal_toIiEEEE10hipError_tPvRmT2_T3_mT4_T5_T6_T7_T8_P12ihipStream_tbENKUlT_T0_E_clISt17integral_constantIbLb1EESZ_EEDaSU_SV_EUlSU_E_NS1_11comp_targetILNS1_3genE0ELNS1_11target_archE4294967295ELNS1_3gpuE0ELNS1_3repE0EEENS1_30default_config_static_selectorELNS0_4arch9wavefront6targetE1EEEvT1_: ; @_ZN7rocprim17ROCPRIM_400000_NS6detail17trampoline_kernelINS0_14default_configENS1_33run_length_encode_config_selectorIijNS0_4plusIjEEEEZZNS1_33reduce_by_key_impl_wrapped_configILNS1_25lookback_scan_determinismE0ES3_S7_PKiNS0_17constant_iteratorIjlEEPiPlSF_S6_NS0_8equal_toIiEEEE10hipError_tPvRmT2_T3_mT4_T5_T6_T7_T8_P12ihipStream_tbENKUlT_T0_E_clISt17integral_constantIbLb1EESZ_EEDaSU_SV_EUlSU_E_NS1_11comp_targetILNS1_3genE0ELNS1_11target_archE4294967295ELNS1_3gpuE0ELNS1_3repE0EEENS1_30default_config_static_selectorELNS0_4arch9wavefront6targetE1EEEvT1_
; %bb.0:
	.section	.rodata,"a",@progbits
	.p2align	6, 0x0
	.amdhsa_kernel _ZN7rocprim17ROCPRIM_400000_NS6detail17trampoline_kernelINS0_14default_configENS1_33run_length_encode_config_selectorIijNS0_4plusIjEEEEZZNS1_33reduce_by_key_impl_wrapped_configILNS1_25lookback_scan_determinismE0ES3_S7_PKiNS0_17constant_iteratorIjlEEPiPlSF_S6_NS0_8equal_toIiEEEE10hipError_tPvRmT2_T3_mT4_T5_T6_T7_T8_P12ihipStream_tbENKUlT_T0_E_clISt17integral_constantIbLb1EESZ_EEDaSU_SV_EUlSU_E_NS1_11comp_targetILNS1_3genE0ELNS1_11target_archE4294967295ELNS1_3gpuE0ELNS1_3repE0EEENS1_30default_config_static_selectorELNS0_4arch9wavefront6targetE1EEEvT1_
		.amdhsa_group_segment_fixed_size 0
		.amdhsa_private_segment_fixed_size 0
		.amdhsa_kernarg_size 128
		.amdhsa_user_sgpr_count 2
		.amdhsa_user_sgpr_dispatch_ptr 0
		.amdhsa_user_sgpr_queue_ptr 0
		.amdhsa_user_sgpr_kernarg_segment_ptr 1
		.amdhsa_user_sgpr_dispatch_id 0
		.amdhsa_user_sgpr_kernarg_preload_length 0
		.amdhsa_user_sgpr_kernarg_preload_offset 0
		.amdhsa_user_sgpr_private_segment_size 0
		.amdhsa_uses_dynamic_stack 0
		.amdhsa_enable_private_segment 0
		.amdhsa_system_sgpr_workgroup_id_x 1
		.amdhsa_system_sgpr_workgroup_id_y 0
		.amdhsa_system_sgpr_workgroup_id_z 0
		.amdhsa_system_sgpr_workgroup_info 0
		.amdhsa_system_vgpr_workitem_id 0
		.amdhsa_next_free_vgpr 1
		.amdhsa_next_free_sgpr 0
		.amdhsa_accum_offset 4
		.amdhsa_reserve_vcc 0
		.amdhsa_float_round_mode_32 0
		.amdhsa_float_round_mode_16_64 0
		.amdhsa_float_denorm_mode_32 3
		.amdhsa_float_denorm_mode_16_64 3
		.amdhsa_dx10_clamp 1
		.amdhsa_ieee_mode 1
		.amdhsa_fp16_overflow 0
		.amdhsa_tg_split 0
		.amdhsa_exception_fp_ieee_invalid_op 0
		.amdhsa_exception_fp_denorm_src 0
		.amdhsa_exception_fp_ieee_div_zero 0
		.amdhsa_exception_fp_ieee_overflow 0
		.amdhsa_exception_fp_ieee_underflow 0
		.amdhsa_exception_fp_ieee_inexact 0
		.amdhsa_exception_int_div_zero 0
	.end_amdhsa_kernel
	.section	.text._ZN7rocprim17ROCPRIM_400000_NS6detail17trampoline_kernelINS0_14default_configENS1_33run_length_encode_config_selectorIijNS0_4plusIjEEEEZZNS1_33reduce_by_key_impl_wrapped_configILNS1_25lookback_scan_determinismE0ES3_S7_PKiNS0_17constant_iteratorIjlEEPiPlSF_S6_NS0_8equal_toIiEEEE10hipError_tPvRmT2_T3_mT4_T5_T6_T7_T8_P12ihipStream_tbENKUlT_T0_E_clISt17integral_constantIbLb1EESZ_EEDaSU_SV_EUlSU_E_NS1_11comp_targetILNS1_3genE0ELNS1_11target_archE4294967295ELNS1_3gpuE0ELNS1_3repE0EEENS1_30default_config_static_selectorELNS0_4arch9wavefront6targetE1EEEvT1_,"axG",@progbits,_ZN7rocprim17ROCPRIM_400000_NS6detail17trampoline_kernelINS0_14default_configENS1_33run_length_encode_config_selectorIijNS0_4plusIjEEEEZZNS1_33reduce_by_key_impl_wrapped_configILNS1_25lookback_scan_determinismE0ES3_S7_PKiNS0_17constant_iteratorIjlEEPiPlSF_S6_NS0_8equal_toIiEEEE10hipError_tPvRmT2_T3_mT4_T5_T6_T7_T8_P12ihipStream_tbENKUlT_T0_E_clISt17integral_constantIbLb1EESZ_EEDaSU_SV_EUlSU_E_NS1_11comp_targetILNS1_3genE0ELNS1_11target_archE4294967295ELNS1_3gpuE0ELNS1_3repE0EEENS1_30default_config_static_selectorELNS0_4arch9wavefront6targetE1EEEvT1_,comdat
.Lfunc_end451:
	.size	_ZN7rocprim17ROCPRIM_400000_NS6detail17trampoline_kernelINS0_14default_configENS1_33run_length_encode_config_selectorIijNS0_4plusIjEEEEZZNS1_33reduce_by_key_impl_wrapped_configILNS1_25lookback_scan_determinismE0ES3_S7_PKiNS0_17constant_iteratorIjlEEPiPlSF_S6_NS0_8equal_toIiEEEE10hipError_tPvRmT2_T3_mT4_T5_T6_T7_T8_P12ihipStream_tbENKUlT_T0_E_clISt17integral_constantIbLb1EESZ_EEDaSU_SV_EUlSU_E_NS1_11comp_targetILNS1_3genE0ELNS1_11target_archE4294967295ELNS1_3gpuE0ELNS1_3repE0EEENS1_30default_config_static_selectorELNS0_4arch9wavefront6targetE1EEEvT1_, .Lfunc_end451-_ZN7rocprim17ROCPRIM_400000_NS6detail17trampoline_kernelINS0_14default_configENS1_33run_length_encode_config_selectorIijNS0_4plusIjEEEEZZNS1_33reduce_by_key_impl_wrapped_configILNS1_25lookback_scan_determinismE0ES3_S7_PKiNS0_17constant_iteratorIjlEEPiPlSF_S6_NS0_8equal_toIiEEEE10hipError_tPvRmT2_T3_mT4_T5_T6_T7_T8_P12ihipStream_tbENKUlT_T0_E_clISt17integral_constantIbLb1EESZ_EEDaSU_SV_EUlSU_E_NS1_11comp_targetILNS1_3genE0ELNS1_11target_archE4294967295ELNS1_3gpuE0ELNS1_3repE0EEENS1_30default_config_static_selectorELNS0_4arch9wavefront6targetE1EEEvT1_
                                        ; -- End function
	.section	.AMDGPU.csdata,"",@progbits
; Kernel info:
; codeLenInByte = 0
; NumSgprs: 6
; NumVgprs: 0
; NumAgprs: 0
; TotalNumVgprs: 0
; ScratchSize: 0
; MemoryBound: 0
; FloatMode: 240
; IeeeMode: 1
; LDSByteSize: 0 bytes/workgroup (compile time only)
; SGPRBlocks: 0
; VGPRBlocks: 0
; NumSGPRsForWavesPerEU: 6
; NumVGPRsForWavesPerEU: 1
; AccumOffset: 4
; Occupancy: 8
; WaveLimiterHint : 0
; COMPUTE_PGM_RSRC2:SCRATCH_EN: 0
; COMPUTE_PGM_RSRC2:USER_SGPR: 2
; COMPUTE_PGM_RSRC2:TRAP_HANDLER: 0
; COMPUTE_PGM_RSRC2:TGID_X_EN: 1
; COMPUTE_PGM_RSRC2:TGID_Y_EN: 0
; COMPUTE_PGM_RSRC2:TGID_Z_EN: 0
; COMPUTE_PGM_RSRC2:TIDIG_COMP_CNT: 0
; COMPUTE_PGM_RSRC3_GFX90A:ACCUM_OFFSET: 0
; COMPUTE_PGM_RSRC3_GFX90A:TG_SPLIT: 0
	.section	.text._ZN7rocprim17ROCPRIM_400000_NS6detail17trampoline_kernelINS0_14default_configENS1_33run_length_encode_config_selectorIijNS0_4plusIjEEEEZZNS1_33reduce_by_key_impl_wrapped_configILNS1_25lookback_scan_determinismE0ES3_S7_PKiNS0_17constant_iteratorIjlEEPiPlSF_S6_NS0_8equal_toIiEEEE10hipError_tPvRmT2_T3_mT4_T5_T6_T7_T8_P12ihipStream_tbENKUlT_T0_E_clISt17integral_constantIbLb1EESZ_EEDaSU_SV_EUlSU_E_NS1_11comp_targetILNS1_3genE5ELNS1_11target_archE942ELNS1_3gpuE9ELNS1_3repE0EEENS1_30default_config_static_selectorELNS0_4arch9wavefront6targetE1EEEvT1_,"axG",@progbits,_ZN7rocprim17ROCPRIM_400000_NS6detail17trampoline_kernelINS0_14default_configENS1_33run_length_encode_config_selectorIijNS0_4plusIjEEEEZZNS1_33reduce_by_key_impl_wrapped_configILNS1_25lookback_scan_determinismE0ES3_S7_PKiNS0_17constant_iteratorIjlEEPiPlSF_S6_NS0_8equal_toIiEEEE10hipError_tPvRmT2_T3_mT4_T5_T6_T7_T8_P12ihipStream_tbENKUlT_T0_E_clISt17integral_constantIbLb1EESZ_EEDaSU_SV_EUlSU_E_NS1_11comp_targetILNS1_3genE5ELNS1_11target_archE942ELNS1_3gpuE9ELNS1_3repE0EEENS1_30default_config_static_selectorELNS0_4arch9wavefront6targetE1EEEvT1_,comdat
	.protected	_ZN7rocprim17ROCPRIM_400000_NS6detail17trampoline_kernelINS0_14default_configENS1_33run_length_encode_config_selectorIijNS0_4plusIjEEEEZZNS1_33reduce_by_key_impl_wrapped_configILNS1_25lookback_scan_determinismE0ES3_S7_PKiNS0_17constant_iteratorIjlEEPiPlSF_S6_NS0_8equal_toIiEEEE10hipError_tPvRmT2_T3_mT4_T5_T6_T7_T8_P12ihipStream_tbENKUlT_T0_E_clISt17integral_constantIbLb1EESZ_EEDaSU_SV_EUlSU_E_NS1_11comp_targetILNS1_3genE5ELNS1_11target_archE942ELNS1_3gpuE9ELNS1_3repE0EEENS1_30default_config_static_selectorELNS0_4arch9wavefront6targetE1EEEvT1_ ; -- Begin function _ZN7rocprim17ROCPRIM_400000_NS6detail17trampoline_kernelINS0_14default_configENS1_33run_length_encode_config_selectorIijNS0_4plusIjEEEEZZNS1_33reduce_by_key_impl_wrapped_configILNS1_25lookback_scan_determinismE0ES3_S7_PKiNS0_17constant_iteratorIjlEEPiPlSF_S6_NS0_8equal_toIiEEEE10hipError_tPvRmT2_T3_mT4_T5_T6_T7_T8_P12ihipStream_tbENKUlT_T0_E_clISt17integral_constantIbLb1EESZ_EEDaSU_SV_EUlSU_E_NS1_11comp_targetILNS1_3genE5ELNS1_11target_archE942ELNS1_3gpuE9ELNS1_3repE0EEENS1_30default_config_static_selectorELNS0_4arch9wavefront6targetE1EEEvT1_
	.globl	_ZN7rocprim17ROCPRIM_400000_NS6detail17trampoline_kernelINS0_14default_configENS1_33run_length_encode_config_selectorIijNS0_4plusIjEEEEZZNS1_33reduce_by_key_impl_wrapped_configILNS1_25lookback_scan_determinismE0ES3_S7_PKiNS0_17constant_iteratorIjlEEPiPlSF_S6_NS0_8equal_toIiEEEE10hipError_tPvRmT2_T3_mT4_T5_T6_T7_T8_P12ihipStream_tbENKUlT_T0_E_clISt17integral_constantIbLb1EESZ_EEDaSU_SV_EUlSU_E_NS1_11comp_targetILNS1_3genE5ELNS1_11target_archE942ELNS1_3gpuE9ELNS1_3repE0EEENS1_30default_config_static_selectorELNS0_4arch9wavefront6targetE1EEEvT1_
	.p2align	8
	.type	_ZN7rocprim17ROCPRIM_400000_NS6detail17trampoline_kernelINS0_14default_configENS1_33run_length_encode_config_selectorIijNS0_4plusIjEEEEZZNS1_33reduce_by_key_impl_wrapped_configILNS1_25lookback_scan_determinismE0ES3_S7_PKiNS0_17constant_iteratorIjlEEPiPlSF_S6_NS0_8equal_toIiEEEE10hipError_tPvRmT2_T3_mT4_T5_T6_T7_T8_P12ihipStream_tbENKUlT_T0_E_clISt17integral_constantIbLb1EESZ_EEDaSU_SV_EUlSU_E_NS1_11comp_targetILNS1_3genE5ELNS1_11target_archE942ELNS1_3gpuE9ELNS1_3repE0EEENS1_30default_config_static_selectorELNS0_4arch9wavefront6targetE1EEEvT1_,@function
_ZN7rocprim17ROCPRIM_400000_NS6detail17trampoline_kernelINS0_14default_configENS1_33run_length_encode_config_selectorIijNS0_4plusIjEEEEZZNS1_33reduce_by_key_impl_wrapped_configILNS1_25lookback_scan_determinismE0ES3_S7_PKiNS0_17constant_iteratorIjlEEPiPlSF_S6_NS0_8equal_toIiEEEE10hipError_tPvRmT2_T3_mT4_T5_T6_T7_T8_P12ihipStream_tbENKUlT_T0_E_clISt17integral_constantIbLb1EESZ_EEDaSU_SV_EUlSU_E_NS1_11comp_targetILNS1_3genE5ELNS1_11target_archE942ELNS1_3gpuE9ELNS1_3repE0EEENS1_30default_config_static_selectorELNS0_4arch9wavefront6targetE1EEEvT1_: ; @_ZN7rocprim17ROCPRIM_400000_NS6detail17trampoline_kernelINS0_14default_configENS1_33run_length_encode_config_selectorIijNS0_4plusIjEEEEZZNS1_33reduce_by_key_impl_wrapped_configILNS1_25lookback_scan_determinismE0ES3_S7_PKiNS0_17constant_iteratorIjlEEPiPlSF_S6_NS0_8equal_toIiEEEE10hipError_tPvRmT2_T3_mT4_T5_T6_T7_T8_P12ihipStream_tbENKUlT_T0_E_clISt17integral_constantIbLb1EESZ_EEDaSU_SV_EUlSU_E_NS1_11comp_targetILNS1_3genE5ELNS1_11target_archE942ELNS1_3gpuE9ELNS1_3repE0EEENS1_30default_config_static_selectorELNS0_4arch9wavefront6targetE1EEEvT1_
; %bb.0:
	s_load_dword s10, s[0:1], 0x10
	s_load_dwordx4 s[44:47], s[0:1], 0x20
	s_load_dwordx2 s[48:49], s[0:1], 0x30
	s_load_dwordx2 s[50:51], s[0:1], 0x70
	s_load_dwordx4 s[28:31], s[0:1], 0x60
	s_load_dwordx8 s[36:43], s[0:1], 0x40
	v_cmp_ne_u32_e64 s[2:3], 0, v0
	v_cmp_eq_u32_e64 s[34:35], 0, v0
	s_and_saveexec_b64 s[4:5], s[34:35]
	s_cbranch_execz .LBB452_4
; %bb.1:
	s_mov_b64 s[8:9], exec
	v_mbcnt_lo_u32_b32 v1, s8, 0
	v_mbcnt_hi_u32_b32 v1, s9, v1
	v_cmp_eq_u32_e32 vcc, 0, v1
                                        ; implicit-def: $vgpr2
	s_and_saveexec_b64 s[6:7], vcc
	s_cbranch_execz .LBB452_3
; %bb.2:
	s_load_dwordx2 s[12:13], s[0:1], 0x78
	s_bcnt1_i32_b64 s8, s[8:9]
	v_mov_b32_e32 v2, 0
	v_mov_b32_e32 v3, s8
	s_waitcnt lgkmcnt(0)
	global_atomic_add v2, v2, v3, s[12:13] sc0
.LBB452_3:
	s_or_b64 exec, exec, s[6:7]
	s_waitcnt vmcnt(0)
	v_readfirstlane_b32 s6, v2
	v_mov_b32_e32 v2, 0
	s_nop 0
	v_add_u32_e32 v1, s6, v1
	ds_write_b32 v2, v1
.LBB452_4:
	s_or_b64 exec, exec, s[4:5]
	s_load_dwordx4 s[4:7], s[0:1], 0x0
	v_mov_b32_e32 v5, 0
	s_waitcnt lgkmcnt(0)
	s_barrier
	ds_read_b32 v1, v5
	s_mul_i32 s0, s40, s39
	s_mul_hi_u32 s1, s40, s38
	s_add_i32 s0, s1, s0
	s_mul_i32 s1, s41, s38
	s_add_i32 s8, s0, s1
	s_lshl_b64 s[0:1], s[6:7], 2
	s_add_u32 s0, s4, s0
	s_movk_i32 s4, 0x1e00
	s_waitcnt lgkmcnt(0)
	v_mul_lo_u32 v4, v1, s4
	s_mul_i32 s9, s40, s38
	s_addc_u32 s1, s5, s1
	v_readfirstlane_b32 s56, v1
	v_lshlrev_b64 v[2:3], 2, v[4:5]
	v_lshl_add_u64 v[2:3], s[0:1], 0, v[2:3]
	s_add_u32 s0, s9, s56
	s_addc_u32 s1, s8, 0
	s_add_u32 s4, s42, -1
	s_addc_u32 s5, s43, -1
	s_cmp_eq_u64 s[0:1], s[4:5]
	s_cselect_b64 s[40:41], -1, 0
	s_cmp_lg_u64 s[0:1], s[4:5]
	s_mov_b64 s[8:9], -1
	s_cselect_b64 s[6:7], -1, 0
	s_mul_i32 s33, s4, 0xffffe200
	s_and_b64 vcc, exec, s[40:41]
	s_barrier
	s_cbranch_vccnz .LBB452_6
; %bb.5:
	v_lshlrev_b32_e32 v4, 2, v0
	v_lshl_add_u64 v[6:7], v[2:3], 0, v[4:5]
	v_add_co_u32_e32 v8, vcc, 0x1000, v6
	v_readfirstlane_b32 s4, v2
	s_nop 0
	v_addc_co_u32_e32 v9, vcc, 0, v7, vcc
	v_add_co_u32_e32 v10, vcc, 0x2000, v6
	v_readfirstlane_b32 s5, v3
	s_nop 0
	v_addc_co_u32_e32 v11, vcc, 0, v7, vcc
	v_add_co_u32_e32 v12, vcc, 0x3000, v6
	s_nop 1
	global_load_dword v1, v4, s[4:5]
	global_load_dword v5, v4, s[4:5] offset:2048
	v_addc_co_u32_e32 v13, vcc, 0, v7, vcc
	v_add_co_u32_e32 v14, vcc, 0x4000, v6
	s_nop 1
	v_addc_co_u32_e32 v15, vcc, 0, v7, vcc
	global_load_dword v16, v[8:9], off
	global_load_dword v17, v[8:9], off offset:2048
	global_load_dword v18, v[10:11], off
	global_load_dword v19, v[10:11], off offset:2048
	;; [unrolled: 2-line block ×4, first 2 shown]
	v_add_co_u32_e32 v8, vcc, 0x5000, v6
	s_mov_b64 s[4:5], -1
	s_nop 0
	v_addc_co_u32_e32 v9, vcc, 0, v7, vcc
	v_add_co_u32_e32 v10, vcc, 0x6000, v6
	s_nop 1
	v_addc_co_u32_e32 v11, vcc, 0, v7, vcc
	global_load_dword v12, v[8:9], off
	global_load_dword v13, v[8:9], off offset:2048
	global_load_dword v14, v[10:11], off
	global_load_dword v15, v[10:11], off offset:2048
	v_add_co_u32_e32 v6, vcc, 0x7000, v6
	s_nop 1
	v_addc_co_u32_e32 v7, vcc, 0, v7, vcc
	global_load_dword v6, v[6:7], off
	v_mad_u32_u24 v7, v0, 56, v4
	s_waitcnt vmcnt(13)
	ds_write2st64_b32 v4, v1, v5 offset1:8
	s_waitcnt vmcnt(11)
	ds_write2st64_b32 v4, v16, v17 offset0:16 offset1:24
	s_waitcnt vmcnt(9)
	ds_write2st64_b32 v4, v18, v19 offset0:32 offset1:40
	s_waitcnt vmcnt(7)
	ds_write2st64_b32 v4, v20, v21 offset0:48 offset1:56
	s_waitcnt vmcnt(5)
	ds_write2st64_b32 v4, v22, v23 offset0:64 offset1:72
	s_waitcnt vmcnt(3)
	ds_write2st64_b32 v4, v12, v13 offset0:80 offset1:88
	s_waitcnt vmcnt(1)
	ds_write2st64_b32 v4, v14, v15 offset0:96 offset1:104
	s_waitcnt vmcnt(0)
	ds_write_b32 v4, v6 offset:28672
	s_waitcnt lgkmcnt(0)
	s_barrier
	ds_read2_b32 v[20:21], v7 offset1:1
	ds_read2_b32 v[18:19], v7 offset0:2 offset1:3
	ds_read2_b32 v[16:17], v7 offset0:4 offset1:5
	;; [unrolled: 1-line block ×6, first 2 shown]
	ds_read_b32 v1, v7 offset:56
	s_waitcnt lgkmcnt(7)
	v_mov_b32_e32 v24, v20
	s_waitcnt lgkmcnt(6)
	v_mov_b32_e32 v25, v18
	;; [unrolled: 2-line block ×7, first 2 shown]
	s_add_i32 s33, s33, s28
	s_cbranch_execz .LBB452_7
	s_branch .LBB452_38
.LBB452_6:
	s_mov_b64 s[4:5], 0
                                        ; implicit-def: $vgpr1
                                        ; implicit-def: $vgpr8
                                        ; implicit-def: $vgpr10
                                        ; implicit-def: $vgpr12
                                        ; implicit-def: $vgpr14
                                        ; implicit-def: $vgpr16
                                        ; implicit-def: $vgpr18
                                        ; implicit-def: $vgpr20
                                        ; implicit-def: $vgpr4_vgpr5
                                        ; implicit-def: $vgpr6_vgpr7
                                        ; implicit-def: $vgpr24_vgpr25
                                        ; implicit-def: $vgpr22_vgpr23
	s_add_i32 s33, s33, s28
	s_andn2_b64 vcc, exec, s[8:9]
	s_cbranch_vccnz .LBB452_38
.LBB452_7:
	v_cmp_gt_u32_e32 vcc, s33, v0
                                        ; implicit-def: $vgpr1
	s_and_saveexec_b64 s[4:5], vcc
	s_cbranch_execz .LBB452_9
; %bb.8:
	s_waitcnt lgkmcnt(0)
	v_lshlrev_b32_e32 v1, 2, v0
	v_readfirstlane_b32 s8, v2
	v_readfirstlane_b32 s9, v3
	s_nop 4
	global_load_dword v1, v1, s[8:9]
.LBB452_9:
	s_or_b64 exec, exec, s[4:5]
	v_or_b32_e32 v4, 0x200, v0
	v_cmp_gt_u32_e32 vcc, s33, v4
                                        ; implicit-def: $vgpr4
	s_and_saveexec_b64 s[4:5], vcc
	s_cbranch_execz .LBB452_11
; %bb.10:
	v_lshlrev_b32_e32 v4, 2, v0
	v_readfirstlane_b32 s8, v2
	v_readfirstlane_b32 s9, v3
	s_nop 4
	global_load_dword v4, v4, s[8:9] offset:2048
.LBB452_11:
	s_or_b64 exec, exec, s[4:5]
	v_or_b32_e32 v6, 0x400, v0
	v_cmp_gt_u32_e32 vcc, s33, v6
                                        ; implicit-def: $vgpr5
	s_and_saveexec_b64 s[4:5], vcc
	s_cbranch_execz .LBB452_13
; %bb.12:
	v_lshlrev_b32_e32 v5, 2, v6
	v_readfirstlane_b32 s8, v2
	v_readfirstlane_b32 s9, v3
	s_nop 4
	global_load_dword v5, v5, s[8:9]
.LBB452_13:
	s_or_b64 exec, exec, s[4:5]
	v_or_b32_e32 v7, 0x600, v0
	v_cmp_gt_u32_e32 vcc, s33, v7
                                        ; implicit-def: $vgpr6
	s_and_saveexec_b64 s[4:5], vcc
	s_cbranch_execz .LBB452_15
; %bb.14:
	v_lshlrev_b32_e32 v6, 2, v7
	v_readfirstlane_b32 s8, v2
	v_readfirstlane_b32 s9, v3
	s_nop 4
	global_load_dword v6, v6, s[8:9]
.LBB452_15:
	s_or_b64 exec, exec, s[4:5]
	v_or_b32_e32 v8, 0x800, v0
	v_cmp_gt_u32_e32 vcc, s33, v8
                                        ; implicit-def: $vgpr7
	s_and_saveexec_b64 s[4:5], vcc
	s_cbranch_execz .LBB452_17
; %bb.16:
	v_lshlrev_b32_e32 v7, 2, v8
	v_readfirstlane_b32 s8, v2
	v_readfirstlane_b32 s9, v3
	s_nop 4
	global_load_dword v7, v7, s[8:9]
.LBB452_17:
	s_or_b64 exec, exec, s[4:5]
	v_or_b32_e32 v9, 0xa00, v0
	v_cmp_gt_u32_e32 vcc, s33, v9
                                        ; implicit-def: $vgpr8
	s_and_saveexec_b64 s[4:5], vcc
	s_cbranch_execz .LBB452_19
; %bb.18:
	v_lshlrev_b32_e32 v8, 2, v9
	v_readfirstlane_b32 s8, v2
	v_readfirstlane_b32 s9, v3
	s_nop 4
	global_load_dword v8, v8, s[8:9]
.LBB452_19:
	s_or_b64 exec, exec, s[4:5]
	v_or_b32_e32 v10, 0xc00, v0
	v_cmp_gt_u32_e32 vcc, s33, v10
                                        ; implicit-def: $vgpr9
	s_and_saveexec_b64 s[4:5], vcc
	s_cbranch_execz .LBB452_21
; %bb.20:
	v_lshlrev_b32_e32 v9, 2, v10
	v_readfirstlane_b32 s8, v2
	v_readfirstlane_b32 s9, v3
	s_nop 4
	global_load_dword v9, v9, s[8:9]
.LBB452_21:
	s_or_b64 exec, exec, s[4:5]
	v_or_b32_e32 v11, 0xe00, v0
	v_cmp_gt_u32_e32 vcc, s33, v11
                                        ; implicit-def: $vgpr10
	s_and_saveexec_b64 s[4:5], vcc
	s_cbranch_execz .LBB452_23
; %bb.22:
	v_lshlrev_b32_e32 v10, 2, v11
	v_readfirstlane_b32 s8, v2
	v_readfirstlane_b32 s9, v3
	s_nop 4
	global_load_dword v10, v10, s[8:9]
.LBB452_23:
	s_or_b64 exec, exec, s[4:5]
	v_or_b32_e32 v12, 0x1000, v0
	v_cmp_gt_u32_e32 vcc, s33, v12
                                        ; implicit-def: $vgpr11
	s_and_saveexec_b64 s[4:5], vcc
	s_cbranch_execz .LBB452_25
; %bb.24:
	v_lshlrev_b32_e32 v11, 2, v12
	v_readfirstlane_b32 s8, v2
	v_readfirstlane_b32 s9, v3
	s_nop 4
	global_load_dword v11, v11, s[8:9]
.LBB452_25:
	s_or_b64 exec, exec, s[4:5]
	v_or_b32_e32 v13, 0x1200, v0
	v_cmp_gt_u32_e32 vcc, s33, v13
                                        ; implicit-def: $vgpr12
	s_and_saveexec_b64 s[4:5], vcc
	s_cbranch_execz .LBB452_27
; %bb.26:
	v_lshlrev_b32_e32 v12, 2, v13
	v_readfirstlane_b32 s8, v2
	v_readfirstlane_b32 s9, v3
	s_nop 4
	global_load_dword v12, v12, s[8:9]
.LBB452_27:
	s_or_b64 exec, exec, s[4:5]
	v_or_b32_e32 v14, 0x1400, v0
	v_cmp_gt_u32_e32 vcc, s33, v14
                                        ; implicit-def: $vgpr13
	s_and_saveexec_b64 s[4:5], vcc
	s_cbranch_execz .LBB452_29
; %bb.28:
	v_lshlrev_b32_e32 v13, 2, v14
	v_readfirstlane_b32 s8, v2
	v_readfirstlane_b32 s9, v3
	s_nop 4
	global_load_dword v13, v13, s[8:9]
.LBB452_29:
	s_or_b64 exec, exec, s[4:5]
	v_or_b32_e32 v15, 0x1600, v0
	v_cmp_gt_u32_e32 vcc, s33, v15
                                        ; implicit-def: $vgpr14
	s_and_saveexec_b64 s[4:5], vcc
	s_cbranch_execz .LBB452_31
; %bb.30:
	v_lshlrev_b32_e32 v14, 2, v15
	v_readfirstlane_b32 s8, v2
	v_readfirstlane_b32 s9, v3
	s_nop 4
	global_load_dword v14, v14, s[8:9]
.LBB452_31:
	s_or_b64 exec, exec, s[4:5]
	v_or_b32_e32 v16, 0x1800, v0
	v_cmp_gt_u32_e32 vcc, s33, v16
                                        ; implicit-def: $vgpr15
	s_and_saveexec_b64 s[4:5], vcc
	s_cbranch_execz .LBB452_33
; %bb.32:
	v_lshlrev_b32_e32 v15, 2, v16
	v_readfirstlane_b32 s8, v2
	v_readfirstlane_b32 s9, v3
	s_nop 4
	global_load_dword v15, v15, s[8:9]
.LBB452_33:
	s_or_b64 exec, exec, s[4:5]
	v_or_b32_e32 v17, 0x1a00, v0
	v_cmp_gt_u32_e32 vcc, s33, v17
                                        ; implicit-def: $vgpr16
	s_and_saveexec_b64 s[4:5], vcc
	s_cbranch_execz .LBB452_35
; %bb.34:
	v_lshlrev_b32_e32 v16, 2, v17
	v_readfirstlane_b32 s8, v2
	v_readfirstlane_b32 s9, v3
	s_nop 4
	global_load_dword v16, v16, s[8:9]
.LBB452_35:
	s_or_b64 exec, exec, s[4:5]
	v_or_b32_e32 v18, 0x1c00, v0
	v_cmp_gt_u32_e32 vcc, s33, v18
                                        ; implicit-def: $vgpr17
	s_and_saveexec_b64 s[4:5], vcc
	s_cbranch_execz .LBB452_37
; %bb.36:
	v_lshlrev_b32_e32 v17, 2, v18
	v_readfirstlane_b32 s8, v2
	v_readfirstlane_b32 s9, v3
	s_nop 4
	global_load_dword v17, v17, s[8:9]
.LBB452_37:
	s_or_b64 exec, exec, s[4:5]
	v_lshlrev_b32_e32 v18, 2, v0
	s_waitcnt vmcnt(0) lgkmcnt(0)
	ds_write2st64_b32 v18, v1, v4 offset1:8
	ds_write2st64_b32 v18, v5, v6 offset0:16 offset1:24
	ds_write2st64_b32 v18, v7, v8 offset0:32 offset1:40
	;; [unrolled: 1-line block ×6, first 2 shown]
	ds_write_b32 v18, v17 offset:28672
	v_mad_u32_u24 v1, v0, 56, v18
	s_waitcnt lgkmcnt(0)
	s_barrier
	ds_read2_b32 v[20:21], v1 offset1:1
	ds_read2_b32 v[18:19], v1 offset0:2 offset1:3
	ds_read2_b32 v[16:17], v1 offset0:4 offset1:5
	ds_read2_b32 v[14:15], v1 offset0:6 offset1:7
	ds_read2_b32 v[12:13], v1 offset0:8 offset1:9
	ds_read2_b32 v[10:11], v1 offset0:10 offset1:11
	ds_read2_b32 v[8:9], v1 offset0:12 offset1:13
	ds_read_b32 v1, v1 offset:56
	v_mad_u32_u24 v4, v0, 15, 14
	v_cmp_gt_u32_e64 s[4:5], s33, v4
	s_waitcnt lgkmcnt(7)
	v_mov_b32_e32 v24, v20
	s_waitcnt lgkmcnt(6)
	v_mov_b32_e32 v25, v18
	;; [unrolled: 2-line block ×7, first 2 shown]
.LBB452_38:
	v_mov_b32_e32 v52, s10
                                        ; implicit-def: $vgpr53
	s_and_saveexec_b64 s[8:9], s[4:5]
; %bb.39:
	v_mov_b32_e32 v53, s10
; %bb.40:
	s_or_b64 exec, exec, s[8:9]
	s_cmp_eq_u64 s[0:1], 0
	s_cselect_b64 s[42:43], -1, 0
	s_cmp_lg_u64 s[0:1], 0
	s_mov_b64 s[4:5], 0
	s_cselect_b64 s[8:9], -1, 0
	s_and_b64 vcc, exec, s[6:7]
	s_waitcnt lgkmcnt(0)
	s_barrier
	s_cbranch_vccz .LBB452_46
; %bb.41:
	s_and_b64 vcc, exec, s[8:9]
	s_cbranch_vccz .LBB452_47
; %bb.42:
	global_load_dword v23, v[2:3], off offset:-4
	v_lshlrev_b32_e32 v26, 2, v0
	ds_write_b32 v26, v1
	s_waitcnt lgkmcnt(0)
	s_barrier
	s_and_saveexec_b64 s[4:5], s[2:3]
	s_cbranch_execz .LBB452_44
; %bb.43:
	s_waitcnt vmcnt(0)
	v_add_u32_e32 v23, -4, v26
	ds_read_b32 v23, v23
.LBB452_44:
	s_or_b64 exec, exec, s[4:5]
	v_cmp_ne_u32_e32 vcc, v24, v21
	s_waitcnt vmcnt(0) lgkmcnt(0)
	v_cmp_ne_u32_e64 s[6:7], v23, v20
	v_cndmask_b32_e64 v69, 0, 1, vcc
	v_cmp_ne_u32_e32 vcc, v25, v21
	s_mov_b64 s[4:5], -1
	s_nop 0
	v_cndmask_b32_e64 v68, 0, 1, vcc
	v_cmp_ne_u32_e32 vcc, v25, v19
	s_nop 1
	v_cndmask_b32_e64 v67, 0, 1, vcc
	v_cmp_ne_u32_e32 vcc, v6, v19
	;; [unrolled: 3-line block ×12, first 2 shown]
	s_nop 1
	v_cndmask_b32_e64 v56, 0, 1, vcc
.LBB452_45:
                                        ; implicit-def: $sgpr12
	s_branch .LBB452_59
.LBB452_46:
                                        ; implicit-def: $sgpr6_sgpr7
                                        ; implicit-def: $vgpr56
                                        ; implicit-def: $vgpr57
                                        ; implicit-def: $vgpr58
                                        ; implicit-def: $vgpr59
                                        ; implicit-def: $vgpr60
                                        ; implicit-def: $vgpr61
                                        ; implicit-def: $vgpr62
                                        ; implicit-def: $vgpr63
                                        ; implicit-def: $vgpr64
                                        ; implicit-def: $vgpr65
                                        ; implicit-def: $vgpr66
                                        ; implicit-def: $vgpr67
                                        ; implicit-def: $vgpr68
                                        ; implicit-def: $vgpr69
                                        ; implicit-def: $sgpr12
	s_cbranch_execnz .LBB452_51
	s_branch .LBB452_59
.LBB452_47:
                                        ; implicit-def: $sgpr6_sgpr7
                                        ; implicit-def: $vgpr56
                                        ; implicit-def: $vgpr57
                                        ; implicit-def: $vgpr58
                                        ; implicit-def: $vgpr59
                                        ; implicit-def: $vgpr60
                                        ; implicit-def: $vgpr61
                                        ; implicit-def: $vgpr62
                                        ; implicit-def: $vgpr63
                                        ; implicit-def: $vgpr64
                                        ; implicit-def: $vgpr65
                                        ; implicit-def: $vgpr66
                                        ; implicit-def: $vgpr67
                                        ; implicit-def: $vgpr68
                                        ; implicit-def: $vgpr69
	s_cbranch_execz .LBB452_45
; %bb.48:
	v_cmp_ne_u32_e32 vcc, v21, v24
	v_lshlrev_b32_e32 v23, 2, v0
	ds_write_b32 v23, v1
	v_cndmask_b32_e64 v69, 0, 1, vcc
	v_cmp_ne_u32_e32 vcc, v21, v25
	s_waitcnt lgkmcnt(0)
	s_barrier
	v_cndmask_b32_e64 v68, 0, 1, vcc
	v_cmp_ne_u32_e32 vcc, v25, v19
	s_waitcnt lgkmcnt(0)
                                        ; implicit-def: $sgpr6_sgpr7
	s_nop 0
	v_cndmask_b32_e64 v67, 0, 1, vcc
	v_cmp_ne_u32_e32 vcc, v6, v19
	s_nop 1
	v_cndmask_b32_e64 v66, 0, 1, vcc
	v_cmp_ne_u32_e32 vcc, v17, v6
	;; [unrolled: 3-line block ×11, first 2 shown]
	s_nop 1
	v_cndmask_b32_e64 v56, 0, 1, vcc
	s_and_saveexec_b64 s[10:11], s[2:3]
	s_xor_b64 s[10:11], exec, s[10:11]
	s_cbranch_execz .LBB452_50
; %bb.49:
	v_add_u32_e32 v4, -4, v23
	ds_read_b32 v4, v4
	s_or_b64 s[4:5], s[4:5], exec
	s_waitcnt lgkmcnt(0)
	v_cmp_ne_u32_e32 vcc, v4, v20
	s_and_b64 s[6:7], vcc, exec
.LBB452_50:
	s_or_b64 exec, exec, s[10:11]
	s_mov_b32 s12, 1
	s_branch .LBB452_59
.LBB452_51:
	s_mul_hi_u32 s6, s0, 0xffffe200
	s_mulk_i32 s1, 0xe200
	s_sub_i32 s6, s6, s0
	s_add_i32 s6, s6, s1
	s_mulk_i32 s0, 0xe200
	s_add_u32 s10, s0, s28
	s_addc_u32 s11, s6, s29
	s_and_b64 vcc, exec, s[8:9]
	s_cbranch_vccz .LBB452_56
; %bb.52:
	global_load_dword v6, v[2:3], off offset:-4
	v_mad_u32_u24 v4, v0, 15, 14
	v_mov_b32_e32 v5, 0
	v_cmp_gt_u64_e32 vcc, s[10:11], v[4:5]
	v_cmp_ne_u32_e64 s[0:1], v9, v1
	v_mad_u32_u24 v4, v0, 15, 13
	s_and_b64 s[4:5], vcc, s[0:1]
	v_cmp_gt_u64_e32 vcc, s[10:11], v[4:5]
	v_cmp_ne_u32_e64 s[0:1], v8, v9
	v_mad_u32_u24 v4, v0, 15, 12
	s_and_b64 s[6:7], vcc, s[0:1]
	v_cmp_gt_u64_e32 vcc, s[10:11], v[4:5]
	v_cmp_ne_u32_e64 s[0:1], v11, v8
	v_mad_u32_u24 v4, v0, 15, 11
	s_and_b64 s[8:9], vcc, s[0:1]
	v_cmp_gt_u64_e32 vcc, s[10:11], v[4:5]
	v_cmp_ne_u32_e64 s[0:1], v10, v11
	v_mad_u32_u24 v4, v0, 15, 10
	s_and_b64 s[12:13], vcc, s[0:1]
	v_cmp_gt_u64_e32 vcc, s[10:11], v[4:5]
	v_cmp_ne_u32_e64 s[0:1], v13, v10
	v_mad_u32_u24 v4, v0, 15, 9
	s_and_b64 s[14:15], vcc, s[0:1]
	v_cmp_gt_u64_e32 vcc, s[10:11], v[4:5]
	v_cmp_ne_u32_e64 s[0:1], v12, v13
	v_mad_u32_u24 v4, v0, 15, 8
	s_and_b64 s[16:17], vcc, s[0:1]
	v_cmp_gt_u64_e32 vcc, s[10:11], v[4:5]
	v_cmp_ne_u32_e64 s[0:1], v15, v12
	v_mad_u32_u24 v4, v0, 15, 7
	s_and_b64 s[18:19], vcc, s[0:1]
	v_cmp_gt_u64_e32 vcc, s[10:11], v[4:5]
	v_cmp_ne_u32_e64 s[0:1], v14, v15
	v_mad_u32_u24 v4, v0, 15, 6
	s_and_b64 s[20:21], vcc, s[0:1]
	v_cmp_gt_u64_e32 vcc, s[10:11], v[4:5]
	v_cmp_ne_u32_e64 s[0:1], v17, v14
	v_mad_u32_u24 v4, v0, 15, 5
	s_and_b64 s[22:23], vcc, s[0:1]
	v_cmp_gt_u64_e32 vcc, s[10:11], v[4:5]
	v_cmp_ne_u32_e64 s[0:1], v16, v17
	v_mad_u32_u24 v4, v0, 15, 4
	s_and_b64 s[24:25], vcc, s[0:1]
	v_cmp_gt_u64_e32 vcc, s[10:11], v[4:5]
	v_cmp_ne_u32_e64 s[0:1], v19, v16
	v_mad_u32_u24 v4, v0, 15, 3
	s_and_b64 s[26:27], vcc, s[0:1]
	v_cmp_gt_u64_e32 vcc, s[10:11], v[4:5]
	v_cmp_ne_u32_e64 s[0:1], v18, v19
	v_mad_u32_u24 v4, v0, 15, 2
	s_and_b64 s[28:29], vcc, s[0:1]
	v_cmp_gt_u64_e32 vcc, s[10:11], v[4:5]
	v_cmp_ne_u32_e64 s[0:1], v21, v18
	v_mad_u32_u24 v4, v0, 15, 1
	s_and_b64 s[52:53], vcc, s[0:1]
	v_cmp_gt_u64_e32 vcc, s[10:11], v[4:5]
	v_cmp_ne_u32_e64 s[0:1], v20, v21
	v_lshlrev_b32_e32 v3, 2, v0
	v_mul_u32_u24_e32 v2, 15, v0
	s_and_b64 s[0:1], vcc, s[0:1]
	ds_write_b32 v3, v1
	s_waitcnt lgkmcnt(0)
	s_barrier
	s_and_saveexec_b64 s[54:55], s[2:3]
	s_cbranch_execz .LBB452_54
; %bb.53:
	v_add_u32_e32 v3, -4, v3
	s_waitcnt vmcnt(0)
	ds_read_b32 v6, v3
.LBB452_54:
	s_or_b64 exec, exec, s[54:55]
	v_mov_b32_e32 v3, v5
	v_cndmask_b32_e64 v69, 0, 1, s[0:1]
	v_cmp_gt_u64_e32 vcc, s[10:11], v[2:3]
	s_waitcnt vmcnt(0) lgkmcnt(0)
	v_cmp_ne_u32_e64 s[0:1], v6, v20
	v_cndmask_b32_e64 v56, 0, 1, s[4:5]
	v_cndmask_b32_e64 v57, 0, 1, s[6:7]
	;; [unrolled: 1-line block ×13, first 2 shown]
	s_and_b64 s[6:7], vcc, s[0:1]
	s_mov_b64 s[4:5], -1
.LBB452_55:
                                        ; implicit-def: $sgpr12
	v_mov_b32_e32 v70, s12
	s_and_saveexec_b64 s[0:1], s[4:5]
	s_cbranch_execnz .LBB452_60
	s_branch .LBB452_61
.LBB452_56:
                                        ; implicit-def: $sgpr6_sgpr7
                                        ; implicit-def: $vgpr56
                                        ; implicit-def: $vgpr57
                                        ; implicit-def: $vgpr58
                                        ; implicit-def: $vgpr59
                                        ; implicit-def: $vgpr60
                                        ; implicit-def: $vgpr61
                                        ; implicit-def: $vgpr62
                                        ; implicit-def: $vgpr63
                                        ; implicit-def: $vgpr64
                                        ; implicit-def: $vgpr65
                                        ; implicit-def: $vgpr66
                                        ; implicit-def: $vgpr67
                                        ; implicit-def: $vgpr68
                                        ; implicit-def: $vgpr69
	s_cbranch_execz .LBB452_55
; %bb.57:
	v_mad_u32_u24 v2, v0, 15, 14
	v_mov_b32_e32 v3, 0
	v_cmp_gt_u64_e32 vcc, s[10:11], v[2:3]
	v_cmp_ne_u32_e64 s[0:1], v9, v1
	s_and_b64 s[0:1], vcc, s[0:1]
	v_mad_u32_u24 v2, v0, 15, 13
	v_cndmask_b32_e64 v56, 0, 1, s[0:1]
	v_cmp_gt_u64_e32 vcc, s[10:11], v[2:3]
	v_cmp_ne_u32_e64 s[0:1], v8, v9
	s_and_b64 s[0:1], vcc, s[0:1]
	v_mad_u32_u24 v2, v0, 15, 12
	v_cndmask_b32_e64 v57, 0, 1, s[0:1]
	;; [unrolled: 5-line block ×13, first 2 shown]
	v_cmp_gt_u64_e32 vcc, s[10:11], v[2:3]
	v_cmp_ne_u32_e64 s[0:1], v20, v21
	s_and_b64 s[0:1], vcc, s[0:1]
	v_lshlrev_b32_e32 v4, 2, v0
	s_mov_b32 s12, 1
	v_cndmask_b32_e64 v69, 0, 1, s[0:1]
	ds_write_b32 v4, v1
	s_waitcnt lgkmcnt(0)
	s_barrier
	s_waitcnt lgkmcnt(0)
                                        ; implicit-def: $sgpr6_sgpr7
	s_and_saveexec_b64 s[8:9], s[2:3]
	s_cbranch_execz .LBB452_154
; %bb.58:
	v_add_u32_e32 v2, -4, v4
	ds_read_b32 v4, v2
	v_mul_u32_u24_e32 v2, 15, v0
	v_cmp_gt_u64_e32 vcc, s[10:11], v[2:3]
	s_or_b64 s[4:5], s[4:5], exec
	s_waitcnt lgkmcnt(0)
	v_cmp_ne_u32_e64 s[0:1], v4, v20
	s_and_b64 s[0:1], vcc, s[0:1]
	s_and_b64 s[6:7], s[0:1], exec
	s_or_b64 exec, exec, s[8:9]
.LBB452_59:
	v_mov_b32_e32 v70, s12
	s_and_saveexec_b64 s[0:1], s[4:5]
.LBB452_60:
	v_cndmask_b32_e64 v70, 0, 1, s[6:7]
.LBB452_61:
	s_or_b64 exec, exec, s[0:1]
	s_cmp_eq_u64 s[38:39], 0
	v_add3_u32 v2, v69, v70, v68
	s_cselect_b64 s[38:39], -1, 0
	s_cmp_lg_u32 s56, 0
	v_cmp_eq_u32_e64 s[26:27], 0, v69
	v_cmp_eq_u32_e64 s[24:25], 0, v68
	;; [unrolled: 1-line block ×3, first 2 shown]
	v_add3_u32 v72, v2, v67, v66
	v_cmp_eq_u32_e64 s[20:21], 0, v66
	v_cmp_eq_u32_e64 s[18:19], 0, v65
	;; [unrolled: 1-line block ×10, first 2 shown]
	v_cmp_eq_u32_e32 vcc, 0, v56
	v_mbcnt_lo_u32_b32 v71, -1, 0
	v_lshrrev_b32_e32 v54, 6, v0
	v_or_b32_e32 v55, 63, v0
	s_cbranch_scc0 .LBB452_92
; %bb.62:
	v_cndmask_b32_e64 v2, 0, v52, s[26:27]
	v_add_u32_e32 v2, v2, v52
	v_cndmask_b32_e64 v2, 0, v2, s[24:25]
	v_add_u32_e32 v2, v2, v52
	;; [unrolled: 2-line block ×11, first 2 shown]
	v_cndmask_b32_e64 v2, 0, v2, s[4:5]
	v_add3_u32 v3, v72, v65, v64
	v_add_u32_e32 v2, v2, v52
	v_add3_u32 v3, v3, v63, v62
	v_cndmask_b32_e64 v2, 0, v2, s[2:3]
	v_add3_u32 v3, v3, v61, v60
	v_add_u32_e32 v2, v2, v52
	v_add3_u32 v3, v3, v59, v58
	v_cndmask_b32_e32 v2, 0, v2, vcc
	v_add3_u32 v3, v3, v57, v56
	v_add_u32_e32 v2, v2, v53
	v_mbcnt_hi_u32_b32 v25, -1, v71
	v_and_b32_e32 v4, 15, v25
	v_mov_b32_dpp v6, v2 row_shr:1 row_mask:0xf bank_mask:0xf
	v_cmp_eq_u32_e32 vcc, 0, v3
	v_mov_b32_dpp v5, v3 row_shr:1 row_mask:0xf bank_mask:0xf
	v_cmp_lt_u32_e64 s[0:1], 1, v4
	v_cndmask_b32_e32 v6, 0, v6, vcc
	v_cmp_eq_u32_e32 vcc, 0, v4
	s_nop 1
	v_cndmask_b32_e64 v5, v5, 0, vcc
	v_add_u32_e32 v3, v5, v3
	v_cndmask_b32_e64 v5, v6, 0, vcc
	v_add_u32_e32 v2, v5, v2
	v_cmp_eq_u32_e32 vcc, 0, v3
	v_mov_b32_dpp v5, v3 row_shr:2 row_mask:0xf bank_mask:0xf
	v_mov_b32_dpp v6, v2 row_shr:2 row_mask:0xf bank_mask:0xf
	v_cndmask_b32_e64 v5, 0, v5, s[0:1]
	s_and_b64 vcc, s[0:1], vcc
	v_cndmask_b32_e32 v6, 0, v6, vcc
	v_add_u32_e32 v3, v3, v5
	v_add_u32_e32 v2, v6, v2
	v_cmp_eq_u32_e32 vcc, 0, v3
	v_mov_b32_dpp v5, v3 row_shr:4 row_mask:0xf bank_mask:0xf
	v_cmp_lt_u32_e64 s[0:1], 3, v4
	v_mov_b32_dpp v6, v2 row_shr:4 row_mask:0xf bank_mask:0xf
	s_and_b64 vcc, s[0:1], vcc
	v_cndmask_b32_e64 v5, 0, v5, s[0:1]
	v_cndmask_b32_e32 v6, 0, v6, vcc
	v_add_u32_e32 v3, v5, v3
	v_add_u32_e32 v2, v2, v6
	v_cmp_eq_u32_e32 vcc, 0, v3
	v_cmp_lt_u32_e64 s[0:1], 7, v4
	v_mov_b32_dpp v5, v3 row_shr:8 row_mask:0xf bank_mask:0xf
	v_mov_b32_dpp v6, v2 row_shr:8 row_mask:0xf bank_mask:0xf
	s_and_b64 vcc, s[0:1], vcc
	v_cndmask_b32_e64 v4, 0, v5, s[0:1]
	v_cndmask_b32_e32 v5, 0, v6, vcc
	v_add_u32_e32 v2, v5, v2
	v_add_u32_e32 v3, v4, v3
	v_bfe_i32 v6, v25, 4, 1
	v_mov_b32_dpp v5, v2 row_bcast:15 row_mask:0xf bank_mask:0xf
	v_mov_b32_dpp v4, v3 row_bcast:15 row_mask:0xf bank_mask:0xf
	v_cmp_eq_u32_e32 vcc, 0, v3
	v_and_b32_e32 v4, v6, v4
	v_add_u32_e32 v3, v4, v3
	v_cndmask_b32_e32 v5, 0, v5, vcc
	v_and_b32_e32 v4, v6, v5
	v_add_u32_e32 v4, v4, v2
	v_mov_b32_dpp v2, v3 row_bcast:31 row_mask:0xf bank_mask:0xf
	v_cmp_eq_u32_e32 vcc, 0, v3
	v_cmp_lt_u32_e64 s[0:1], 31, v25
	v_mov_b32_dpp v5, v4 row_bcast:31 row_mask:0xf bank_mask:0xf
	s_and_b64 vcc, s[0:1], vcc
	v_cndmask_b32_e64 v2, 0, v2, s[0:1]
	v_add_u32_e32 v2, v2, v3
	v_cndmask_b32_e32 v3, 0, v5, vcc
	v_add_u32_e32 v3, v3, v4
	v_cmp_eq_u32_e32 vcc, v55, v0
	v_lshlrev_b32_e32 v4, 3, v54
	s_and_saveexec_b64 s[0:1], vcc
	s_cbranch_execz .LBB452_64
; %bb.63:
	ds_write_b64 v4, v[2:3] offset:4112
.LBB452_64:
	s_or_b64 exec, exec, s[0:1]
	v_cmp_gt_u32_e32 vcc, 8, v0
	s_waitcnt lgkmcnt(0)
	s_barrier
	s_and_saveexec_b64 s[28:29], vcc
	s_cbranch_execz .LBB452_66
; %bb.65:
	v_lshlrev_b32_e32 v5, 3, v0
	ds_read_b64 v[6:7], v5 offset:4112
	v_and_b32_e32 v22, 7, v25
	v_cmp_lt_u32_e64 s[0:1], 1, v22
	s_waitcnt lgkmcnt(0)
	v_mov_b32_dpp v24, v7 row_shr:1 row_mask:0xf bank_mask:0xf
	v_cmp_eq_u32_e32 vcc, 0, v6
	v_mov_b32_dpp v23, v6 row_shr:1 row_mask:0xf bank_mask:0xf
	s_nop 0
	v_cndmask_b32_e32 v24, 0, v24, vcc
	v_cmp_eq_u32_e32 vcc, 0, v22
	s_nop 1
	v_cndmask_b32_e64 v23, v23, 0, vcc
	v_add_u32_e32 v6, v23, v6
	v_cndmask_b32_e64 v23, v24, 0, vcc
	v_add_u32_e32 v7, v23, v7
	v_cmp_eq_u32_e32 vcc, 0, v6
	v_mov_b32_dpp v23, v6 row_shr:2 row_mask:0xf bank_mask:0xf
	v_mov_b32_dpp v24, v7 row_shr:2 row_mask:0xf bank_mask:0xf
	v_cndmask_b32_e64 v23, 0, v23, s[0:1]
	s_and_b64 vcc, s[0:1], vcc
	v_cndmask_b32_e32 v24, 0, v24, vcc
	v_add_u32_e32 v6, v23, v6
	v_add_u32_e32 v7, v24, v7
	v_cmp_eq_u32_e32 vcc, 0, v6
	v_mov_b32_dpp v23, v6 row_shr:4 row_mask:0xf bank_mask:0xf
	v_cmp_lt_u32_e64 s[0:1], 3, v22
	v_mov_b32_dpp v24, v7 row_shr:4 row_mask:0xf bank_mask:0xf
	s_and_b64 vcc, s[0:1], vcc
	v_cndmask_b32_e64 v22, 0, v23, s[0:1]
	v_add_u32_e32 v6, v22, v6
	v_cndmask_b32_e32 v22, 0, v24, vcc
	v_add_u32_e32 v7, v22, v7
	ds_write_b64 v5, v[6:7] offset:4112
.LBB452_66:
	s_or_b64 exec, exec, s[28:29]
	v_cmp_gt_u32_e32 vcc, 64, v0
	v_cmp_lt_u32_e64 s[0:1], 63, v0
	v_mov_b32_e32 v22, 0
	v_mov_b32_e32 v23, 0
	s_waitcnt lgkmcnt(0)
	s_barrier
	s_and_saveexec_b64 s[28:29], s[0:1]
	s_cbranch_execz .LBB452_68
; %bb.67:
	ds_read_b64 v[22:23], v4 offset:4104
	v_cmp_eq_u32_e64 s[0:1], 0, v2
	s_waitcnt lgkmcnt(0)
	v_add_u32_e32 v4, v22, v2
	v_cndmask_b32_e64 v2, 0, v23, s[0:1]
	v_add_u32_e32 v3, v2, v3
	v_mov_b32_e32 v2, v4
.LBB452_68:
	s_or_b64 exec, exec, s[28:29]
	v_add_u32_e32 v4, -1, v25
	v_and_b32_e32 v5, 64, v25
	v_cmp_lt_i32_e64 s[0:1], v4, v5
	v_cmp_eq_u32_e64 s[28:29], 0, v25
	s_nop 0
	v_cndmask_b32_e64 v4, v4, v25, s[0:1]
	v_lshlrev_b32_e32 v4, 2, v4
	ds_bpermute_b32 v30, v4, v2
	ds_bpermute_b32 v31, v4, v3
	s_and_saveexec_b64 s[52:53], vcc
	s_cbranch_execz .LBB452_91
; %bb.69:
	v_mov_b32_e32 v7, 0
	ds_read_b64 v[2:3], v7 offset:4168
	s_waitcnt lgkmcnt(0)
	v_readfirstlane_b32 s57, v2
	v_readfirstlane_b32 s58, v3
	s_and_saveexec_b64 s[0:1], s[28:29]
	s_cbranch_execz .LBB452_71
; %bb.70:
	s_add_i32 s54, s56, 64
	s_mov_b32 s55, 0
	s_lshl_b64 s[60:61], s[54:55], 4
	s_add_u32 s60, s36, s60
	s_addc_u32 s61, s37, s61
	s_and_b32 s63, s58, 0xff000000
	s_mov_b32 s62, s55
	s_and_b32 s65, s58, 0xff0000
	s_mov_b32 s64, s55
	s_or_b64 s[62:63], s[64:65], s[62:63]
	s_and_b32 s65, s58, 0xff00
	s_or_b64 s[62:63], s[62:63], s[64:65]
	s_and_b32 s65, s58, 0xff
	s_or_b64 s[54:55], s[62:63], s[64:65]
	v_mov_b32_e32 v4, s57
	v_mov_b32_e32 v5, s55
	v_mov_b32_e32 v6, 1
	v_mov_b64_e32 v[2:3], s[60:61]
	;;#ASMSTART
	global_store_dwordx4 v[2:3], v[4:7] off sc1	
s_waitcnt vmcnt(0)
	;;#ASMEND
.LBB452_71:
	s_or_b64 exec, exec, s[0:1]
	v_xad_u32 v24, v25, -1, s56
	v_add_u32_e32 v6, 64, v24
	v_lshl_add_u64 v[26:27], v[6:7], 4, s[36:37]
	;;#ASMSTART
	global_load_dwordx4 v[2:5], v[26:27] off sc1	
s_waitcnt vmcnt(0)
	;;#ASMEND
	s_nop 0
	v_and_b32_e32 v5, 0xff, v3
	v_and_b32_e32 v6, 0xff00, v3
	v_or3_b32 v2, v2, 0, 0
	v_and_b32_e32 v28, 0xff000000, v3
	v_or3_b32 v5, 0, v5, v6
	;; [unrolled: 2-line block ×3, first 2 shown]
	v_or3_b32 v2, v2, 0, 0
	v_cmp_eq_u16_sdwa s[54:55], v4, v7 src0_sel:BYTE_0 src1_sel:DWORD
	s_and_saveexec_b64 s[0:1], s[54:55]
	s_cbranch_execz .LBB452_77
; %bb.72:
	s_mov_b32 s59, 1
	s_mov_b64 s[54:55], 0
	v_mov_b32_e32 v6, 0
.LBB452_73:                             ; =>This Loop Header: Depth=1
                                        ;     Child Loop BB452_74 Depth 2
	s_max_u32 s60, s59, 1
.LBB452_74:                             ;   Parent Loop BB452_73 Depth=1
                                        ; =>  This Inner Loop Header: Depth=2
	s_add_i32 s60, s60, -1
	s_cmp_eq_u32 s60, 0
	s_sleep 1
	s_cbranch_scc0 .LBB452_74
; %bb.75:                               ;   in Loop: Header=BB452_73 Depth=1
	s_cmp_lt_u32 s59, 32
	s_cselect_b64 s[60:61], -1, 0
	s_cmp_lg_u64 s[60:61], 0
	s_addc_u32 s59, s59, 0
	;;#ASMSTART
	global_load_dwordx4 v[2:5], v[26:27] off sc1	
s_waitcnt vmcnt(0)
	;;#ASMEND
	s_nop 0
	v_cmp_ne_u16_sdwa s[60:61], v4, v6 src0_sel:BYTE_0 src1_sel:DWORD
	s_or_b64 s[54:55], s[60:61], s[54:55]
	s_andn2_b64 exec, exec, s[54:55]
	s_cbranch_execnz .LBB452_73
; %bb.76:
	s_or_b64 exec, exec, s[54:55]
.LBB452_77:
	s_or_b64 exec, exec, s[0:1]
	v_mov_b32_e32 v32, 2
	v_cmp_eq_u16_sdwa s[0:1], v4, v32 src0_sel:BYTE_0 src1_sel:DWORD
	v_lshlrev_b64 v[26:27], v25, -1
	v_and_b32_e32 v33, 63, v25
	v_and_b32_e32 v5, s1, v27
	v_or_b32_e32 v5, 0x80000000, v5
	v_cmp_ne_u32_e32 vcc, 63, v33
	v_and_b32_e32 v6, s0, v26
	v_ffbl_b32_e32 v5, v5
	v_addc_co_u32_e32 v7, vcc, 0, v25, vcc
	v_add_u32_e32 v5, 32, v5
	v_ffbl_b32_e32 v6, v6
	v_lshlrev_b32_e32 v34, 2, v7
	v_min_u32_e32 v5, v6, v5
	ds_bpermute_b32 v6, v34, v3
	v_cmp_eq_u32_e32 vcc, 0, v2
	v_cmp_lt_u32_e64 s[0:1], v33, v5
	ds_bpermute_b32 v7, v34, v2
	s_and_b64 vcc, s[0:1], vcc
	s_waitcnt lgkmcnt(1)
	v_cndmask_b32_e32 v6, 0, v6, vcc
	v_cmp_gt_u32_e32 vcc, 62, v33
	v_add_u32_e32 v3, v6, v3
	s_waitcnt lgkmcnt(0)
	v_cndmask_b32_e64 v7, 0, v7, s[0:1]
	v_cndmask_b32_e64 v6, 0, 1, vcc
	v_lshlrev_b32_e32 v6, 1, v6
	v_add_lshl_u32 v35, v6, v25, 2
	ds_bpermute_b32 v6, v35, v3
	v_add_u32_e32 v2, v7, v2
	ds_bpermute_b32 v7, v35, v2
	v_add_u32_e32 v36, 2, v33
	v_cmp_eq_u32_e32 vcc, 0, v2
	v_add_u32_e32 v38, 4, v33
	v_add_u32_e32 v40, 8, v33
	s_waitcnt lgkmcnt(1)
	v_cndmask_b32_e32 v6, 0, v6, vcc
	v_cmp_gt_u32_e32 vcc, v36, v5
	v_add_u32_e32 v42, 16, v33
	v_add_u32_e32 v44, 32, v33
	v_cndmask_b32_e64 v6, v6, 0, vcc
	v_add_u32_e32 v3, v6, v3
	s_waitcnt lgkmcnt(0)
	v_cndmask_b32_e64 v6, v7, 0, vcc
	v_cmp_gt_u32_e32 vcc, 60, v33
	v_add_u32_e32 v2, v2, v6
	s_nop 0
	v_cndmask_b32_e64 v7, 0, 1, vcc
	v_lshlrev_b32_e32 v7, 2, v7
	v_add_lshl_u32 v37, v7, v25, 2
	ds_bpermute_b32 v7, v37, v3
	ds_bpermute_b32 v6, v37, v2
	v_cmp_eq_u32_e32 vcc, 0, v2
	s_waitcnt lgkmcnt(1)
	s_nop 0
	v_cndmask_b32_e32 v7, 0, v7, vcc
	v_cmp_gt_u32_e32 vcc, v38, v5
	s_nop 1
	v_cndmask_b32_e64 v7, v7, 0, vcc
	s_waitcnt lgkmcnt(0)
	v_cndmask_b32_e64 v6, v6, 0, vcc
	v_cmp_gt_u32_e32 vcc, 56, v33
	v_add_u32_e32 v3, v3, v7
	v_add_u32_e32 v2, v2, v6
	v_cndmask_b32_e64 v7, 0, 1, vcc
	v_lshlrev_b32_e32 v7, 3, v7
	v_add_lshl_u32 v39, v7, v25, 2
	ds_bpermute_b32 v7, v39, v3
	ds_bpermute_b32 v6, v39, v2
	v_cmp_eq_u32_e32 vcc, 0, v2
	s_waitcnt lgkmcnt(1)
	s_nop 0
	v_cndmask_b32_e32 v7, 0, v7, vcc
	v_cmp_gt_u32_e32 vcc, v40, v5
	s_nop 1
	v_cndmask_b32_e64 v7, v7, 0, vcc
	s_waitcnt lgkmcnt(0)
	v_cndmask_b32_e64 v6, v6, 0, vcc
	v_cmp_gt_u32_e32 vcc, 48, v33
	v_add_u32_e32 v3, v3, v7
	v_add_u32_e32 v2, v2, v6
	;; [unrolled: 17-line block ×3, first 2 shown]
	v_cndmask_b32_e64 v7, 0, 1, vcc
	v_lshlrev_b32_e32 v7, 5, v7
	v_add_lshl_u32 v43, v7, v25, 2
	ds_bpermute_b32 v7, v43, v3
	ds_bpermute_b32 v6, v43, v2
	v_cmp_eq_u32_e32 vcc, 0, v2
	v_mov_b32_e32 v25, 0
	s_waitcnt lgkmcnt(1)
	v_cndmask_b32_e32 v7, 0, v7, vcc
	v_cmp_gt_u32_e32 vcc, v44, v5
	s_nop 1
	v_cndmask_b32_e64 v5, v7, 0, vcc
	v_add_u32_e32 v3, v5, v3
	s_waitcnt lgkmcnt(0)
	v_cndmask_b32_e64 v5, v6, 0, vcc
	v_add_u32_e32 v2, v5, v2
	s_branch .LBB452_79
.LBB452_78:                             ;   in Loop: Header=BB452_79 Depth=1
	s_or_b64 exec, exec, s[0:1]
	v_cmp_eq_u16_sdwa s[0:1], v4, v32 src0_sel:BYTE_0 src1_sel:DWORD
	v_cmp_eq_u32_e32 vcc, 0, v2
	ds_bpermute_b32 v29, v34, v2
	v_and_b32_e32 v5, s1, v27
	v_or_b32_e32 v5, 0x80000000, v5
	v_and_b32_e32 v28, s0, v26
	v_ffbl_b32_e32 v5, v5
	v_add_u32_e32 v5, 32, v5
	v_ffbl_b32_e32 v28, v28
	v_min_u32_e32 v5, v28, v5
	ds_bpermute_b32 v28, v34, v3
	v_cmp_lt_u32_e64 s[0:1], v33, v5
	s_and_b64 vcc, s[0:1], vcc
	v_subrev_u32_e32 v24, 64, v24
	s_waitcnt lgkmcnt(1)
	v_cndmask_b32_e64 v29, 0, v29, s[0:1]
	s_waitcnt lgkmcnt(0)
	v_cndmask_b32_e32 v28, 0, v28, vcc
	v_add_u32_e32 v3, v28, v3
	ds_bpermute_b32 v28, v35, v3
	v_add_u32_e32 v2, v29, v2
	v_cmp_eq_u32_e32 vcc, 0, v2
	ds_bpermute_b32 v29, v35, v2
	s_waitcnt lgkmcnt(1)
	v_cndmask_b32_e32 v28, 0, v28, vcc
	v_cmp_gt_u32_e32 vcc, v36, v5
	s_nop 1
	v_cndmask_b32_e64 v28, v28, 0, vcc
	v_add_u32_e32 v3, v28, v3
	ds_bpermute_b32 v28, v37, v3
	s_waitcnt lgkmcnt(1)
	v_cndmask_b32_e64 v29, v29, 0, vcc
	v_add_u32_e32 v2, v2, v29
	v_cmp_eq_u32_e32 vcc, 0, v2
	ds_bpermute_b32 v29, v37, v2
	s_waitcnt lgkmcnt(1)
	v_cndmask_b32_e32 v28, 0, v28, vcc
	v_cmp_gt_u32_e32 vcc, v38, v5
	s_nop 1
	v_cndmask_b32_e64 v28, v28, 0, vcc
	v_add_u32_e32 v3, v3, v28
	ds_bpermute_b32 v28, v39, v3
	s_waitcnt lgkmcnt(1)
	v_cndmask_b32_e64 v29, v29, 0, vcc
	v_add_u32_e32 v2, v2, v29
	ds_bpermute_b32 v29, v39, v2
	v_cmp_eq_u32_e32 vcc, 0, v2
	s_waitcnt lgkmcnt(1)
	s_nop 0
	v_cndmask_b32_e32 v28, 0, v28, vcc
	v_cmp_gt_u32_e32 vcc, v40, v5
	s_nop 1
	v_cndmask_b32_e64 v28, v28, 0, vcc
	v_add_u32_e32 v3, v3, v28
	ds_bpermute_b32 v28, v41, v3
	s_waitcnt lgkmcnt(1)
	v_cndmask_b32_e64 v29, v29, 0, vcc
	v_add_u32_e32 v2, v2, v29
	ds_bpermute_b32 v29, v41, v2
	v_cmp_eq_u32_e32 vcc, 0, v2
	s_waitcnt lgkmcnt(1)
	s_nop 0
	;; [unrolled: 13-line block ×3, first 2 shown]
	v_cndmask_b32_e32 v28, 0, v28, vcc
	v_cmp_gt_u32_e32 vcc, v44, v5
	s_nop 1
	v_cndmask_b32_e64 v5, v28, 0, vcc
	v_add_u32_e32 v3, v5, v3
	s_waitcnt lgkmcnt(0)
	v_cndmask_b32_e64 v5, v29, 0, vcc
	v_cmp_eq_u32_e32 vcc, 0, v6
	v_add3_u32 v2, v2, v6, v5
	s_nop 0
	v_cndmask_b32_e32 v3, 0, v3, vcc
	v_add_u32_e32 v3, v3, v7
.LBB452_79:                             ; =>This Loop Header: Depth=1
                                        ;     Child Loop BB452_82 Depth 2
                                        ;       Child Loop BB452_83 Depth 3
	v_cmp_ne_u16_sdwa s[0:1], v4, v32 src0_sel:BYTE_0 src1_sel:DWORD
	v_mov_b32_e32 v7, v3
	v_mov_b32_e32 v6, v2
	v_cndmask_b32_e64 v3, 0, 1, s[0:1]
	;;#ASMSTART
	;;#ASMEND
	s_nop 0
	v_cmp_ne_u32_e32 vcc, 0, v3
	s_cmp_lg_u64 vcc, exec
	s_cbranch_scc1 .LBB452_86
; %bb.80:                               ;   in Loop: Header=BB452_79 Depth=1
	v_lshl_add_u64 v[28:29], v[24:25], 4, s[36:37]
	;;#ASMSTART
	global_load_dwordx4 v[2:5], v[28:29] off sc1	
s_waitcnt vmcnt(0)
	;;#ASMEND
	s_nop 0
	v_and_b32_e32 v5, 0xff, v3
	v_and_b32_e32 v45, 0xff00, v3
	v_or3_b32 v2, v2, 0, 0
	v_and_b32_e32 v46, 0xff000000, v3
	v_or3_b32 v5, 0, v5, v45
	;; [unrolled: 2-line block ×3, first 2 shown]
	v_or3_b32 v2, v2, 0, 0
	v_cmp_eq_u16_sdwa s[54:55], v4, v25 src0_sel:BYTE_0 src1_sel:DWORD
	s_and_saveexec_b64 s[0:1], s[54:55]
	s_cbranch_execz .LBB452_78
; %bb.81:                               ;   in Loop: Header=BB452_79 Depth=1
	s_mov_b32 s59, 1
	s_mov_b64 s[54:55], 0
.LBB452_82:                             ;   Parent Loop BB452_79 Depth=1
                                        ; =>  This Loop Header: Depth=2
                                        ;       Child Loop BB452_83 Depth 3
	s_max_u32 s60, s59, 1
.LBB452_83:                             ;   Parent Loop BB452_79 Depth=1
                                        ;     Parent Loop BB452_82 Depth=2
                                        ; =>    This Inner Loop Header: Depth=3
	s_add_i32 s60, s60, -1
	s_cmp_eq_u32 s60, 0
	s_sleep 1
	s_cbranch_scc0 .LBB452_83
; %bb.84:                               ;   in Loop: Header=BB452_82 Depth=2
	s_cmp_lt_u32 s59, 32
	s_cselect_b64 s[60:61], -1, 0
	s_cmp_lg_u64 s[60:61], 0
	s_addc_u32 s59, s59, 0
	;;#ASMSTART
	global_load_dwordx4 v[2:5], v[28:29] off sc1	
s_waitcnt vmcnt(0)
	;;#ASMEND
	s_nop 0
	v_cmp_ne_u16_sdwa s[60:61], v4, v25 src0_sel:BYTE_0 src1_sel:DWORD
	s_or_b64 s[54:55], s[60:61], s[54:55]
	s_andn2_b64 exec, exec, s[54:55]
	s_cbranch_execnz .LBB452_82
; %bb.85:                               ;   in Loop: Header=BB452_79 Depth=1
	s_or_b64 exec, exec, s[54:55]
	s_branch .LBB452_78
.LBB452_86:                             ;   in Loop: Header=BB452_79 Depth=1
                                        ; implicit-def: $vgpr3
                                        ; implicit-def: $vgpr2
                                        ; implicit-def: $vgpr4
	s_cbranch_execz .LBB452_79
; %bb.87:
	s_and_saveexec_b64 s[0:1], s[28:29]
	s_cbranch_execz .LBB452_89
; %bb.88:
	s_cmp_eq_u32 s57, 0
	s_cselect_b64 vcc, -1, 0
	s_mov_b32 s55, 0
	v_cndmask_b32_e32 v2, 0, v7, vcc
	s_add_i32 s54, s56, 64
	v_add_u32_e32 v2, s58, v2
	s_lshl_b64 s[54:55], s[54:55], 4
	s_add_u32 s54, s36, s54
	v_and_b32_e32 v3, 0xff000000, v2
	v_and_b32_e32 v4, 0xff0000, v2
	s_addc_u32 s55, s37, s55
	v_or_b32_e32 v3, v4, v3
	v_and_b32_e32 v4, 0xff00, v2
	v_and_b32_e32 v2, 0xff, v2
	v_add_u32_e32 v24, s57, v6
	v_mov_b32_e32 v27, 0
	v_or3_b32 v25, v3, v4, v2
	v_mov_b32_e32 v26, 2
	v_mov_b64_e32 v[2:3], s[54:55]
	;;#ASMSTART
	global_store_dwordx4 v[2:3], v[24:27] off sc1	
s_waitcnt vmcnt(0)
	;;#ASMEND
	v_mov_b32_e32 v4, s57
	v_mov_b32_e32 v5, s58
	ds_write_b128 v27, v[4:7] offset:4096
.LBB452_89:
	s_or_b64 exec, exec, s[0:1]
	s_and_b64 exec, exec, s[34:35]
	s_cbranch_execz .LBB452_91
; %bb.90:
	v_mov_b32_e32 v2, 0
	ds_write_b64 v2, v[6:7] offset:4168
.LBB452_91:
	s_or_b64 exec, exec, s[52:53]
	v_mov_b32_e32 v4, 0
	s_waitcnt lgkmcnt(0)
	s_barrier
	ds_read_b64 v[2:3], v4 offset:4168
	v_cndmask_b32_e64 v6, v30, v22, s[28:29]
	v_cmp_eq_u32_e32 vcc, 0, v6
	v_cndmask_b32_e64 v5, v31, v23, s[28:29]
	s_waitcnt lgkmcnt(0)
	v_cndmask_b32_e32 v7, 0, v3, vcc
	v_add_u32_e32 v5, v7, v5
	v_cndmask_b32_e64 v51, v5, v3, s[34:35]
	v_cndmask_b32_e64 v3, v6, 0, s[34:35]
	v_cmp_eq_u32_e32 vcc, 0, v70
	v_add_u32_e32 v50, v2, v3
	v_add_u32_e32 v48, v50, v70
	v_cndmask_b32_e32 v2, 0, v51, vcc
	v_add_u32_e32 v49, v2, v52
	v_cndmask_b32_e64 v2, 0, v49, s[26:27]
	v_add_u32_e32 v47, v2, v52
	v_cndmask_b32_e64 v2, 0, v47, s[24:25]
	;; [unrolled: 2-line block ×8, first 2 shown]
	v_add_u32_e32 v33, v2, v52
	v_add_u32_e32 v46, v48, v69
	v_cndmask_b32_e64 v2, 0, v33, s[10:11]
	v_add_u32_e32 v44, v46, v68
	v_add_u32_e32 v31, v2, v52
	v_add_u32_e32 v42, v44, v67
	v_cndmask_b32_e64 v2, 0, v31, s[8:9]
	v_add_u32_e32 v40, v42, v66
	;; [unrolled: 4-line block ×3, first 2 shown]
	v_add_u32_e32 v27, v2, v52
	s_barrier
	ds_read_b128 v[2:5], v4 offset:4096
	v_add_u32_e32 v34, v36, v63
	v_add_u32_e32 v32, v34, v62
	;; [unrolled: 1-line block ×4, first 2 shown]
	v_cndmask_b32_e64 v6, 0, v27, s[4:5]
	v_add_u32_e32 v26, v28, v59
	v_add_u32_e32 v23, v6, v52
	s_waitcnt lgkmcnt(0)
	v_cmp_eq_u32_e32 vcc, 0, v2
	v_add_u32_e32 v22, v26, v58
	v_cndmask_b32_e64 v6, 0, v23, s[2:3]
	v_cndmask_b32_e32 v5, 0, v5, vcc
	v_add_u32_e32 v24, v22, v57
	v_add_u32_e32 v25, v6, v52
	;; [unrolled: 1-line block ×3, first 2 shown]
	s_branch .LBB452_104
.LBB452_92:
                                        ; implicit-def: $vgpr2
                                        ; implicit-def: $vgpr6
                                        ; implicit-def: $vgpr24_vgpr25
                                        ; implicit-def: $vgpr22_vgpr23
                                        ; implicit-def: $vgpr26_vgpr27
                                        ; implicit-def: $vgpr28_vgpr29
                                        ; implicit-def: $vgpr50_vgpr51
                                        ; implicit-def: $vgpr48_vgpr49
                                        ; implicit-def: $vgpr46_vgpr47
                                        ; implicit-def: $vgpr44_vgpr45
                                        ; implicit-def: $vgpr42_vgpr43
                                        ; implicit-def: $vgpr40_vgpr41
                                        ; implicit-def: $vgpr38_vgpr39
                                        ; implicit-def: $vgpr36_vgpr37
                                        ; implicit-def: $vgpr34_vgpr35
                                        ; implicit-def: $vgpr32_vgpr33
                                        ; implicit-def: $vgpr30_vgpr31
	s_cbranch_execz .LBB452_104
; %bb.93:
	s_and_b64 s[0:1], s[38:39], exec
	s_cselect_b32 s1, 0, s51
	s_cselect_b32 s0, 0, s50
	s_cmp_eq_u64 s[0:1], 0
	v_mov_b32_e32 v6, v52
	s_cbranch_scc1 .LBB452_95
; %bb.94:
	v_mov_b32_e32 v2, 0
	global_load_dword v6, v2, s[0:1]
.LBB452_95:
	v_cmp_eq_u32_e64 s[2:3], 0, v69
	v_cmp_eq_u32_e64 s[4:5], 0, v68
	v_cmp_eq_u32_e64 s[6:7], 0, v67
	v_cndmask_b32_e64 v2, 0, v52, s[2:3]
	v_add_u32_e32 v2, v2, v52
	v_cndmask_b32_e64 v2, 0, v2, s[4:5]
	v_add_u32_e32 v2, v2, v52
	v_cndmask_b32_e64 v2, 0, v2, s[6:7]
	v_add_u32_e32 v2, v2, v52
	v_cmp_eq_u32_e64 s[8:9], 0, v66
	v_cmp_eq_u32_e64 s[10:11], 0, v65
	v_cmp_eq_u32_e64 s[12:13], 0, v64
	v_cndmask_b32_e64 v2, 0, v2, s[8:9]
	v_add_u32_e32 v2, v2, v52
	v_cndmask_b32_e64 v2, 0, v2, s[10:11]
	v_add_u32_e32 v2, v2, v52
	v_cndmask_b32_e64 v2, 0, v2, s[12:13]
	v_add_u32_e32 v2, v2, v52
	;; [unrolled: 9-line block ×3, first 2 shown]
	v_cmp_eq_u32_e64 s[20:21], 0, v60
	v_cmp_eq_u32_e64 s[22:23], 0, v59
	;; [unrolled: 1-line block ×3, first 2 shown]
	v_cndmask_b32_e64 v2, 0, v2, s[20:21]
	v_add_u32_e32 v2, v2, v52
	v_cndmask_b32_e64 v2, 0, v2, s[22:23]
	v_add_u32_e32 v2, v2, v52
	v_cndmask_b32_e64 v2, 0, v2, s[24:25]
	v_add3_u32 v3, v72, v65, v64
	v_add_u32_e32 v2, v2, v52
	v_cmp_eq_u32_e32 vcc, 0, v57
	v_add3_u32 v3, v3, v63, v62
	v_add3_u32 v3, v3, v61, v60
	v_cndmask_b32_e32 v2, 0, v2, vcc
	v_add_u32_e32 v2, v2, v52
	v_cmp_eq_u32_e64 s[0:1], 0, v56
	v_add3_u32 v3, v3, v59, v58
	v_add3_u32 v3, v3, v57, v56
	v_cndmask_b32_e64 v2, 0, v2, s[0:1]
	v_add_u32_e32 v2, v2, v53
	v_mbcnt_hi_u32_b32 v7, -1, v71
	v_and_b32_e32 v4, 15, v7
	v_mov_b32_dpp v22, v2 row_shr:1 row_mask:0xf bank_mask:0xf
	v_cmp_eq_u32_e64 s[0:1], 0, v3
	v_mov_b32_dpp v5, v3 row_shr:1 row_mask:0xf bank_mask:0xf
	v_cmp_lt_u32_e64 s[26:27], 1, v4
	v_cndmask_b32_e64 v22, 0, v22, s[0:1]
	v_cmp_eq_u32_e64 s[0:1], 0, v4
	s_nop 1
	v_cndmask_b32_e64 v5, v5, 0, s[0:1]
	v_add_u32_e32 v3, v5, v3
	v_cndmask_b32_e64 v5, v22, 0, s[0:1]
	v_add_u32_e32 v2, v5, v2
	v_cmp_eq_u32_e64 s[0:1], 0, v3
	v_mov_b32_dpp v5, v3 row_shr:2 row_mask:0xf bank_mask:0xf
	v_mov_b32_dpp v22, v2 row_shr:2 row_mask:0xf bank_mask:0xf
	v_cndmask_b32_e64 v5, 0, v5, s[26:27]
	s_and_b64 s[0:1], s[26:27], s[0:1]
	v_cndmask_b32_e64 v22, 0, v22, s[0:1]
	v_add_u32_e32 v3, v3, v5
	v_add_u32_e32 v2, v22, v2
	v_cmp_eq_u32_e64 s[0:1], 0, v3
	v_mov_b32_dpp v5, v3 row_shr:4 row_mask:0xf bank_mask:0xf
	v_cmp_lt_u32_e64 s[26:27], 3, v4
	v_mov_b32_dpp v22, v2 row_shr:4 row_mask:0xf bank_mask:0xf
	s_and_b64 s[0:1], s[26:27], s[0:1]
	v_cndmask_b32_e64 v5, 0, v5, s[26:27]
	v_cndmask_b32_e64 v22, 0, v22, s[0:1]
	v_add_u32_e32 v3, v5, v3
	v_add_u32_e32 v2, v2, v22
	v_cmp_eq_u32_e64 s[0:1], 0, v3
	v_cmp_lt_u32_e64 s[26:27], 7, v4
	v_mov_b32_dpp v5, v3 row_shr:8 row_mask:0xf bank_mask:0xf
	v_mov_b32_dpp v22, v2 row_shr:8 row_mask:0xf bank_mask:0xf
	s_and_b64 s[0:1], s[26:27], s[0:1]
	v_cndmask_b32_e64 v4, 0, v5, s[26:27]
	v_cndmask_b32_e64 v5, 0, v22, s[0:1]
	v_add_u32_e32 v2, v5, v2
	v_add_u32_e32 v3, v4, v3
	v_bfe_i32 v22, v7, 4, 1
	v_mov_b32_dpp v5, v2 row_bcast:15 row_mask:0xf bank_mask:0xf
	v_mov_b32_dpp v4, v3 row_bcast:15 row_mask:0xf bank_mask:0xf
	v_cmp_eq_u32_e64 s[0:1], 0, v3
	v_and_b32_e32 v4, v22, v4
	v_add_u32_e32 v3, v4, v3
	v_cndmask_b32_e64 v5, 0, v5, s[0:1]
	v_and_b32_e32 v4, v22, v5
	v_add_u32_e32 v4, v4, v2
	v_mov_b32_dpp v2, v3 row_bcast:31 row_mask:0xf bank_mask:0xf
	v_cmp_eq_u32_e64 s[0:1], 0, v3
	v_cmp_lt_u32_e64 s[26:27], 31, v7
	v_mov_b32_dpp v5, v4 row_bcast:31 row_mask:0xf bank_mask:0xf
	s_and_b64 s[0:1], s[26:27], s[0:1]
	v_cndmask_b32_e64 v2, 0, v2, s[26:27]
	v_add_u32_e32 v2, v2, v3
	v_cndmask_b32_e64 v3, 0, v5, s[0:1]
	v_add_u32_e32 v3, v3, v4
	v_cmp_eq_u32_e64 s[0:1], v55, v0
	s_and_saveexec_b64 s[26:27], s[0:1]
	s_cbranch_execz .LBB452_97
; %bb.96:
	v_lshlrev_b32_e32 v4, 3, v54
	ds_write_b64 v4, v[2:3] offset:4112
.LBB452_97:
	s_or_b64 exec, exec, s[26:27]
	v_cmp_gt_u32_e64 s[0:1], 8, v0
	s_waitcnt lgkmcnt(0)
	s_barrier
	s_and_saveexec_b64 s[28:29], s[0:1]
	s_cbranch_execz .LBB452_99
; %bb.98:
	v_lshlrev_b32_e32 v22, 3, v0
	ds_read_b64 v[4:5], v22 offset:4112
	v_and_b32_e32 v23, 7, v7
	v_cmp_lt_u32_e64 s[26:27], 1, v23
	s_waitcnt lgkmcnt(0)
	v_mov_b32_dpp v25, v5 row_shr:1 row_mask:0xf bank_mask:0xf
	v_cmp_eq_u32_e64 s[0:1], 0, v4
	v_mov_b32_dpp v24, v4 row_shr:1 row_mask:0xf bank_mask:0xf
	s_nop 0
	v_cndmask_b32_e64 v25, 0, v25, s[0:1]
	v_cmp_eq_u32_e64 s[0:1], 0, v23
	s_nop 1
	v_cndmask_b32_e64 v24, v24, 0, s[0:1]
	v_add_u32_e32 v4, v24, v4
	v_cndmask_b32_e64 v24, v25, 0, s[0:1]
	v_add_u32_e32 v5, v24, v5
	v_cmp_eq_u32_e64 s[0:1], 0, v4
	v_mov_b32_dpp v24, v4 row_shr:2 row_mask:0xf bank_mask:0xf
	v_mov_b32_dpp v25, v5 row_shr:2 row_mask:0xf bank_mask:0xf
	v_cndmask_b32_e64 v24, 0, v24, s[26:27]
	s_and_b64 s[0:1], s[26:27], s[0:1]
	v_cndmask_b32_e64 v25, 0, v25, s[0:1]
	v_add_u32_e32 v4, v24, v4
	v_add_u32_e32 v5, v25, v5
	v_cmp_eq_u32_e64 s[0:1], 0, v4
	v_mov_b32_dpp v24, v4 row_shr:4 row_mask:0xf bank_mask:0xf
	v_cmp_lt_u32_e64 s[26:27], 3, v23
	v_mov_b32_dpp v25, v5 row_shr:4 row_mask:0xf bank_mask:0xf
	s_and_b64 s[0:1], s[26:27], s[0:1]
	v_cndmask_b32_e64 v23, 0, v24, s[26:27]
	v_add_u32_e32 v4, v23, v4
	v_cndmask_b32_e64 v23, 0, v25, s[0:1]
	v_add_u32_e32 v5, v23, v5
	ds_write_b64 v22, v[4:5] offset:4112
.LBB452_99:
	s_or_b64 exec, exec, s[28:29]
	v_cmp_lt_u32_e64 s[0:1], 63, v0
	v_mov_b32_e32 v23, 0
	v_mov_b32_e32 v4, 0
	s_waitcnt vmcnt(0)
	v_mov_b32_e32 v5, v6
	s_waitcnt lgkmcnt(0)
	s_barrier
	s_and_saveexec_b64 s[26:27], s[0:1]
	s_cbranch_execz .LBB452_101
; %bb.100:
	v_lshlrev_b32_e32 v4, 3, v54
	ds_read_b64 v[4:5], v4 offset:4104
	s_waitcnt lgkmcnt(0)
	v_cmp_eq_u32_e64 s[0:1], 0, v4
	s_nop 1
	v_cndmask_b32_e64 v22, 0, v6, s[0:1]
	v_add_u32_e32 v5, v22, v5
.LBB452_101:
	s_or_b64 exec, exec, s[26:27]
	v_cmp_eq_u32_e64 s[0:1], 0, v2
	v_add_u32_e32 v22, v4, v2
	v_and_b32_e32 v24, 64, v7
	v_cndmask_b32_e64 v2, 0, v5, s[0:1]
	v_add_u32_e32 v2, v2, v3
	v_add_u32_e32 v3, -1, v7
	v_cmp_lt_i32_e64 s[0:1], v3, v24
	s_nop 1
	v_cndmask_b32_e64 v3, v3, v7, s[0:1]
	v_lshlrev_b32_e32 v3, 2, v3
	ds_bpermute_b32 v2, v3, v2
	ds_bpermute_b32 v22, v3, v22
	v_cmp_eq_u32_e64 s[0:1], 0, v7
	s_waitcnt lgkmcnt(1)
	s_nop 0
	v_cndmask_b32_e64 v2, v2, v5, s[0:1]
	s_waitcnt lgkmcnt(0)
	v_cndmask_b32_e64 v3, v22, v4, s[0:1]
	v_cndmask_b32_e64 v51, v2, v6, s[34:35]
	v_cmp_eq_u32_e64 s[0:1], 0, v70
	v_cndmask_b32_e64 v50, v3, 0, s[34:35]
	v_add_u32_e32 v48, v50, v70
	v_cndmask_b32_e64 v2, 0, v51, s[0:1]
	v_add_u32_e32 v49, v2, v52
	;; [unrolled: 2-line block ×10, first 2 shown]
	v_add_u32_e32 v46, v48, v69
	v_cndmask_b32_e64 v2, 0, v33, s[18:19]
	v_add_u32_e32 v44, v46, v68
	v_add_u32_e32 v31, v2, v52
	v_add_u32_e32 v42, v44, v67
	v_cndmask_b32_e64 v2, 0, v31, s[20:21]
	v_add_u32_e32 v40, v42, v66
	v_add_u32_e32 v29, v2, v52
	;; [unrolled: 4-line block ×3, first 2 shown]
	ds_read_b64 v[2:3], v23 offset:4168
	v_add_u32_e32 v34, v36, v63
	v_add_u32_e32 v32, v34, v62
	;; [unrolled: 1-line block ×3, first 2 shown]
	v_cndmask_b32_e64 v4, 0, v27, s[24:25]
	v_add_u32_e32 v28, v30, v60
	v_add_u32_e32 v23, v4, v52
	;; [unrolled: 1-line block ×3, first 2 shown]
	v_cndmask_b32_e32 v4, 0, v23, vcc
	s_waitcnt lgkmcnt(0)
	v_cmp_eq_u32_e32 vcc, 0, v2
	v_add_u32_e32 v22, v26, v58
	v_add_u32_e32 v25, v4, v52
	v_cndmask_b32_e32 v4, 0, v6, vcc
	v_add_u32_e32 v24, v22, v57
	v_add_u32_e32 v6, v4, v3
	s_and_saveexec_b64 s[0:1], s[34:35]
	s_cbranch_execz .LBB452_103
; %bb.102:
	s_add_u32 s2, s36, 0x400
	v_and_b32_e32 v3, 0xff000000, v6
	v_and_b32_e32 v4, 0xff0000, v6
	s_addc_u32 s3, s37, 0
	v_or_b32_e32 v3, v4, v3
	v_and_b32_e32 v4, 0xff00, v6
	v_and_b32_e32 v7, 0xff, v6
	v_mov_b32_e32 v5, 0
	v_or3_b32 v3, v3, v4, v7
	v_mov_b32_e32 v4, 2
	v_mov_b64_e32 v[52:53], s[2:3]
	;;#ASMSTART
	global_store_dwordx4 v[52:53], v[2:5] off sc1	
s_waitcnt vmcnt(0)
	;;#ASMEND
.LBB452_103:
	s_or_b64 exec, exec, s[0:1]
	v_mov_b32_e32 v4, 0
.LBB452_104:
	s_and_b64 s[0:1], s[38:39], exec
	s_cselect_b32 s1, 0, s31
	s_cselect_b32 s0, 0, s30
	s_cmp_eq_u64 s[0:1], 0
	v_mov_b64_e32 v[52:53], 0
	s_barrier
	s_cbranch_scc1 .LBB452_106
; %bb.105:
	v_mov_b32_e32 v3, 0
	global_load_dwordx2 v[52:53], v3, s[0:1]
.LBB452_106:
	v_cmp_eq_u32_e32 vcc, 0, v70
	s_waitcnt vmcnt(0)
	v_lshlrev_b64 v[54:55], 2, v[52:53]
	v_mov_b32_e32 v5, 0
	v_cndmask_b32_e64 v3, 1, 2, vcc
	v_cmp_eq_u32_e32 vcc, 0, v69
	s_movk_i32 s0, 0x200
	v_lshl_add_u64 v[54:55], s[44:45], 0, v[54:55]
	v_cndmask_b32_e64 v7, 1, 2, vcc
	v_cmp_eq_u32_e32 vcc, 0, v68
	v_and_b32_e32 v3, v7, v3
	v_lshlrev_b64 v[72:73], 2, v[4:5]
	v_cndmask_b32_e64 v7, 1, 2, vcc
	v_cmp_eq_u32_e32 vcc, 0, v67
	v_and_b32_e32 v3, v3, v7
	v_lshl_add_u64 v[54:55], v[54:55], 0, v[72:73]
	v_cndmask_b32_e64 v7, 1, 2, vcc
	v_cmp_eq_u32_e32 vcc, 0, v66
	v_and_b32_e32 v3, v3, v7
	v_cmp_ne_u32_e64 s[30:31], 0, v70
	v_cndmask_b32_e64 v7, 1, 2, vcc
	v_cmp_eq_u32_e32 vcc, 0, v65
	v_and_b32_e32 v3, v3, v7
	v_cmp_ne_u32_e64 s[28:29], 0, v69
	v_cndmask_b32_e64 v7, 1, 2, vcc
	v_cmp_eq_u32_e32 vcc, 0, v64
	v_and_b32_e32 v3, v3, v7
	v_cmp_ne_u32_e64 s[26:27], 0, v68
	v_cndmask_b32_e64 v7, 1, 2, vcc
	v_cmp_eq_u32_e32 vcc, 0, v63
	v_and_b32_e32 v3, v3, v7
	v_cmp_ne_u32_e64 s[24:25], 0, v67
	v_cndmask_b32_e64 v7, 1, 2, vcc
	v_cmp_eq_u32_e32 vcc, 0, v62
	v_and_b32_e32 v3, v3, v7
	v_cmp_ne_u32_e64 s[22:23], 0, v66
	v_cndmask_b32_e64 v7, 1, 2, vcc
	v_cmp_eq_u32_e32 vcc, 0, v61
	v_and_b32_e32 v3, v3, v7
	v_cmp_ne_u32_e64 s[20:21], 0, v65
	v_cndmask_b32_e64 v7, 1, 2, vcc
	v_cmp_eq_u32_e32 vcc, 0, v60
	v_and_b32_e32 v3, v3, v7
	v_cmp_ne_u32_e64 s[18:19], 0, v64
	v_cndmask_b32_e64 v7, 1, 2, vcc
	v_cmp_eq_u32_e32 vcc, 0, v59
	v_and_b32_e32 v3, v3, v7
	v_cmp_ne_u32_e64 s[16:17], 0, v63
	v_cndmask_b32_e64 v7, 1, 2, vcc
	v_cmp_eq_u32_e32 vcc, 0, v58
	v_and_b32_e32 v3, v3, v7
	v_cmp_ne_u32_e64 s[14:15], 0, v62
	v_cndmask_b32_e64 v7, 1, 2, vcc
	v_cmp_eq_u32_e32 vcc, 0, v57
	v_and_b32_e32 v3, v3, v7
	v_cmp_ne_u32_e64 s[12:13], 0, v61
	v_cndmask_b32_e64 v7, 1, 2, vcc
	v_cmp_eq_u32_e32 vcc, 0, v56
	v_and_b32_e32 v3, v3, v7
	v_cmp_ne_u32_e64 s[10:11], 0, v60
	v_cndmask_b32_e64 v7, 1, 2, vcc
	v_and_b32_e32 v3, v3, v7
	v_cmp_gt_u32_e32 vcc, s0, v2
	v_cmp_ne_u32_e64 s[8:9], 0, v59
	v_cmp_ne_u32_e64 s[6:7], 0, v58
	;; [unrolled: 1-line block ×4, first 2 shown]
	s_mov_b64 s[36:37], -1
	v_cmp_gt_i16_e64 s[0:1], 2, v3
	s_cbranch_vccz .LBB452_113
; %bb.107:
	s_and_saveexec_b64 s[36:37], s[0:1]
	s_cbranch_execz .LBB452_112
; %bb.108:
	v_cmp_ne_u16_e32 vcc, 1, v3
	s_mov_b64 s[38:39], 0
	s_and_saveexec_b64 s[0:1], vcc
	s_xor_b64 s[0:1], exec, s[0:1]
	s_cbranch_execnz .LBB452_155
; %bb.109:
	s_andn2_saveexec_b64 s[0:1], s[0:1]
	s_cbranch_execnz .LBB452_171
.LBB452_110:
	s_or_b64 exec, exec, s[0:1]
	s_and_b64 exec, exec, s[38:39]
	s_cbranch_execz .LBB452_112
.LBB452_111:
	v_sub_u32_e32 v72, v24, v4
	v_mov_b32_e32 v73, 0
	v_lshl_add_u64 v[72:73], v[72:73], 2, v[54:55]
	global_store_dword v[72:73], v1, off
.LBB452_112:
	s_or_b64 exec, exec, s[36:37]
	s_mov_b64 s[36:37], 0
.LBB452_113:
	s_and_b64 vcc, exec, s[36:37]
	s_cbranch_vccz .LBB452_133
; %bb.114:
	v_cmp_gt_i16_e32 vcc, 2, v3
	s_and_saveexec_b64 s[0:1], vcc
	s_cbranch_execz .LBB452_119
; %bb.115:
	v_cmp_ne_u16_e32 vcc, 1, v3
	s_mov_b64 s[38:39], 0
	s_and_saveexec_b64 s[36:37], vcc
	s_xor_b64 s[36:37], exec, s[36:37]
	s_cbranch_execnz .LBB452_172
; %bb.116:
	s_andn2_saveexec_b64 s[2:3], s[36:37]
	s_cbranch_execnz .LBB452_188
.LBB452_117:
	s_or_b64 exec, exec, s[2:3]
	s_and_b64 exec, exec, s[38:39]
	s_cbranch_execz .LBB452_119
.LBB452_118:
	v_sub_u32_e32 v3, v24, v4
	v_lshlrev_b32_e32 v3, 2, v3
	ds_write_b32 v3, v1
.LBB452_119:
	s_or_b64 exec, exec, s[0:1]
	v_cmp_lt_u32_e32 vcc, v0, v2
	s_waitcnt lgkmcnt(0)
	s_barrier
	s_and_saveexec_b64 s[0:1], vcc
	s_cbranch_execz .LBB452_132
; %bb.120:
	v_xad_u32 v1, v0, -1, v2
	s_movk_i32 s2, 0x1ff
	v_cmp_lt_u32_e32 vcc, s2, v1
	s_mov_b64 s[4:5], -1
	v_mov_b32_e32 v8, v0
	s_and_saveexec_b64 s[2:3], vcc
	s_cbranch_execz .LBB452_129
; %bb.121:
	v_lshrrev_b32_e32 v3, 9, v1
	v_add_u32_e32 v8, -1, v3
	v_or_b32_e32 v1, 0x200, v0
	v_lshrrev_b32_e32 v7, 1, v8
	v_add_u32_e32 v7, 1, v7
	v_cmp_lt_u32_e32 vcc, 13, v8
	v_mov_b32_e32 v14, 0
	v_mov_b64_e32 v[8:9], v[0:1]
	s_and_saveexec_b64 s[4:5], vcc
	s_cbranch_execz .LBB452_125
; %bb.122:
	v_and_b32_e32 v12, -8, v7
	v_lshlrev_b32_e32 v13, 2, v0
	s_mov_b32 s8, 0
	s_mov_b64 s[6:7], 0
	v_mov_b32_e32 v11, 0
	v_mov_b64_e32 v[8:9], v[0:1]
.LBB452_123:                            ; =>This Inner Loop Header: Depth=1
	ds_read2st64_b32 v[16:17], v13 offset1:8
	v_mov_b32_e32 v10, v8
	ds_read2st64_b32 v[76:77], v13 offset0:48 offset1:56
	v_lshl_add_u64 v[94:95], v[10:11], 2, v[54:55]
	v_mov_b32_e32 v10, v9
	ds_read2st64_b32 v[18:19], v13 offset0:16 offset1:24
	ds_read2st64_b32 v[80:81], v13 offset0:64 offset1:72
	v_lshl_add_u64 v[98:99], v[10:11], 2, v[54:55]
	v_add_u32_e32 v10, 0x400, v8
	ds_read2st64_b32 v[84:85], v13 offset0:80 offset1:88
	v_lshl_add_u64 v[100:101], v[10:11], 2, v[54:55]
	v_add_u32_e32 v10, 0x800, v8
	v_add_u32_e32 v14, 0x400, v9
	v_mov_b32_e32 v15, v11
	v_add_u32_e32 v20, 0x800, v9
	ds_read2st64_b32 v[72:73], v13 offset0:32 offset1:40
	v_mov_b32_e32 v21, v11
	ds_read2st64_b32 v[88:89], v13 offset0:96 offset1:104
	v_lshl_add_u64 v[102:103], v[10:11], 2, v[54:55]
	v_add_u32_e32 v10, 0xc00, v8
	v_add_u32_e32 v74, 0xc00, v9
	v_mov_b32_e32 v75, v11
	ds_read2st64_b32 v[92:93], v13 offset0:112 offset1:120
	v_lshl_add_u64 v[96:97], v[14:15], 2, v[54:55]
	v_lshl_add_u64 v[20:21], v[20:21], 2, v[54:55]
	s_waitcnt lgkmcnt(7)
	global_store_dword v[94:95], v16, off
	global_store_dword v[98:99], v17, off
	s_waitcnt lgkmcnt(5)
	global_store_dword v[100:101], v18, off
	global_store_dword v[96:97], v19, off
	s_waitcnt lgkmcnt(2)
	global_store_dword v[102:103], v72, off
	global_store_dword v[20:21], v73, off
	v_lshl_add_u64 v[16:17], v[10:11], 2, v[54:55]
	v_add_u32_e32 v10, 0x1000, v8
	v_add_u32_e32 v78, 0x1000, v9
	v_mov_b32_e32 v79, v11
	v_lshl_add_u64 v[74:75], v[74:75], 2, v[54:55]
	global_store_dword v[16:17], v76, off
	global_store_dword v[74:75], v77, off
	v_lshl_add_u64 v[16:17], v[10:11], 2, v[54:55]
	v_add_u32_e32 v10, 0x1400, v8
	v_add_u32_e32 v82, 0x1400, v9
	v_mov_b32_e32 v83, v11
	v_add_u32_e32 v12, -8, v12
	v_lshl_add_u64 v[78:79], v[78:79], 2, v[54:55]
	global_store_dword v[16:17], v80, off
	global_store_dword v[78:79], v81, off
	v_lshl_add_u64 v[16:17], v[10:11], 2, v[54:55]
	v_add_u32_e32 v10, 0x1800, v8
	v_add_u32_e32 v86, 0x1800, v9
	v_mov_b32_e32 v87, v11
	s_add_i32 s8, s8, 16
	v_lshl_add_u64 v[82:83], v[82:83], 2, v[54:55]
	v_cmp_eq_u32_e32 vcc, 0, v12
	global_store_dword v[16:17], v84, off
	global_store_dword v[82:83], v85, off
	v_lshl_add_u64 v[16:17], v[10:11], 2, v[54:55]
	v_add_u32_e32 v10, 0x1c00, v8
	v_add_u32_e32 v90, 0x1c00, v9
	v_mov_b32_e32 v91, v11
	v_add_u32_e32 v13, 0x8000, v13
	v_lshl_add_u64 v[86:87], v[86:87], 2, v[54:55]
	v_add_u32_e32 v9, 0x2000, v9
	v_mov_b32_e32 v14, s8
	s_or_b64 s[6:7], vcc, s[6:7]
	v_add_u32_e32 v8, 0x2000, v8
	s_waitcnt lgkmcnt(1)
	global_store_dword v[16:17], v88, off
	global_store_dword v[86:87], v89, off
	v_lshl_add_u64 v[16:17], v[10:11], 2, v[54:55]
	v_lshl_add_u64 v[90:91], v[90:91], 2, v[54:55]
	s_waitcnt lgkmcnt(0)
	global_store_dword v[16:17], v92, off
	global_store_dword v[90:91], v93, off
	s_andn2_b64 exec, exec, s[6:7]
	s_cbranch_execnz .LBB452_123
; %bb.124:
	s_or_b64 exec, exec, s[6:7]
.LBB452_125:
	s_or_b64 exec, exec, s[4:5]
	v_and_b32_e32 v1, 7, v7
	v_cmp_ne_u32_e32 vcc, 0, v1
	s_and_saveexec_b64 s[4:5], vcc
	s_cbranch_execz .LBB452_128
; %bb.126:
	v_lshlrev_b32_e32 v7, 2, v0
	v_lshl_or_b32 v7, v14, 11, v7
	s_mov_b64 s[6:7], 0
	v_mov_b32_e32 v11, 0
.LBB452_127:                            ; =>This Inner Loop Header: Depth=1
	ds_read2st64_b32 v[12:13], v7 offset1:8
	v_add_u32_e32 v1, -1, v1
	v_mov_b32_e32 v10, v8
	v_cmp_eq_u32_e32 vcc, 0, v1
	v_add_u32_e32 v8, 0x400, v8
	v_add_u32_e32 v7, 0x1000, v7
	v_lshl_add_u64 v[14:15], v[10:11], 2, v[54:55]
	v_mov_b32_e32 v10, v9
	v_add_u32_e32 v9, 0x400, v9
	s_or_b64 s[6:7], vcc, s[6:7]
	v_lshl_add_u64 v[16:17], v[10:11], 2, v[54:55]
	s_waitcnt lgkmcnt(0)
	global_store_dword v[14:15], v12, off
	global_store_dword v[16:17], v13, off
	s_andn2_b64 exec, exec, s[6:7]
	s_cbranch_execnz .LBB452_127
.LBB452_128:
	s_or_b64 exec, exec, s[4:5]
	v_add_u32_e32 v1, 1, v3
	v_and_b32_e32 v3, 0xfffffe, v1
	v_cmp_ne_u32_e32 vcc, v1, v3
	v_lshl_or_b32 v8, v3, 9, v0
	s_orn2_b64 s[4:5], vcc, exec
.LBB452_129:
	s_or_b64 exec, exec, s[2:3]
	s_and_b64 exec, exec, s[4:5]
	s_cbranch_execz .LBB452_132
; %bb.130:
	v_lshlrev_b32_e32 v1, 2, v8
	s_mov_b64 s[2:3], 0
	v_mov_b32_e32 v9, 0
.LBB452_131:                            ; =>This Inner Loop Header: Depth=1
	ds_read_b32 v3, v1
	v_lshl_add_u64 v[10:11], v[8:9], 2, v[54:55]
	v_add_u32_e32 v8, 0x200, v8
	v_cmp_ge_u32_e32 vcc, v8, v2
	v_add_u32_e32 v1, 0x800, v1
	s_or_b64 s[2:3], vcc, s[2:3]
	s_waitcnt lgkmcnt(0)
	global_store_dword v[10:11], v3, off
	s_andn2_b64 exec, exec, s[2:3]
	s_cbranch_execnz .LBB452_131
.LBB452_132:
	s_or_b64 exec, exec, s[0:1]
.LBB452_133:
	s_cmpk_lg_i32 s33, 0x1e00
	s_cselect_b64 s[0:1], -1, 0
	v_cndmask_b32_e64 v16, 0, 1, s[42:43]
	s_and_b64 s[0:1], s[0:1], s[40:41]
	v_sub_u32_e32 v1, v2, v16
	v_cndmask_b32_e64 v3, 0, 1, s[0:1]
	s_and_b64 s[0:1], s[34:35], s[42:43]
	v_add_u32_e32 v1, v1, v3
	v_cndmask_b32_e64 v3, v70, 0, s[0:1]
	s_mul_hi_u32 s0, s33, 0x88888889
	s_lshr_b32 s0, s0, 3
	v_mad_i32_i24 v7, v0, -15, s33
	v_cmp_eq_u32_e32 vcc, s0, v0
	v_cmp_ne_u32_e64 s[0:1], 0, v7
	s_and_b64 vcc, vcc, s[40:41]
	s_mov_b32 s2, 0
	v_cndmask_b32_e64 v8, 1, v3, s[0:1]
	v_cmp_ne_u32_e64 s[0:1], 1, v7
	s_movk_i32 s30, 0x200
	s_mov_b64 s[34:35], -1
	v_cndmask_b32_e64 v9, 1, v69, s[0:1]
	v_cmp_ne_u32_e64 s[0:1], 2, v7
	s_barrier
	s_nop 0
	v_cndmask_b32_e64 v10, 1, v68, s[0:1]
	v_cmp_ne_u32_e64 s[0:1], 3, v7
	s_nop 1
	v_cndmask_b32_e64 v11, 1, v67, s[0:1]
	v_cmp_ne_u32_e64 s[0:1], 4, v7
	;; [unrolled: 3-line block ×7, first 2 shown]
	v_cndmask_b32_e32 v55, v62, v17, vcc
	v_cndmask_b32_e32 v62, v69, v9, vcc
	v_cndmask_b32_e64 v18, 1, v61, s[0:1]
	v_cmp_ne_u32_e64 s[0:1], 10, v7
	v_cndmask_b32_e32 v18, v61, v18, vcc
	v_cndmask_b32_e32 v61, v68, v10, vcc
	v_cndmask_b32_e64 v19, 1, v60, s[0:1]
	v_cmp_ne_u32_e64 s[0:1], 11, v7
	v_cndmask_b32_e32 v19, v60, v19, vcc
	v_cndmask_b32_e32 v60, v67, v11, vcc
	v_cndmask_b32_e64 v20, 1, v59, s[0:1]
	v_cmp_ne_u32_e64 s[0:1], 12, v7
	v_cndmask_b32_e32 v20, v59, v20, vcc
	v_cndmask_b32_e32 v59, v66, v12, vcc
	v_cndmask_b32_e64 v21, 1, v58, s[0:1]
	v_cmp_ne_u32_e64 s[0:1], 13, v7
	v_cndmask_b32_e32 v21, v58, v21, vcc
	v_cndmask_b32_e32 v58, v65, v13, vcc
	v_cndmask_b32_e64 v54, 1, v57, s[0:1]
	v_cmp_ne_u32_e64 s[0:1], 14, v7
	v_cndmask_b32_e32 v54, v57, v54, vcc
	v_cndmask_b32_e32 v57, v64, v14, vcc
	v_cndmask_b32_e64 v7, 1, v56, s[0:1]
	v_cndmask_b32_e32 v7, v56, v7, vcc
	v_cndmask_b32_e32 v56, v63, v15, vcc
	;; [unrolled: 1-line block ×3, first 2 shown]
	v_mov_b32_e32 v17, s2
	v_cmp_eq_u32_e32 vcc, 0, v63
	v_lshl_add_u64 v[14:15], v[16:17], 0, -1
	v_add_u32_e32 v3, v4, v16
	v_cndmask_b32_e64 v16, 1, 2, vcc
	v_cmp_eq_u32_e32 vcc, 0, v62
	v_lshlrev_b64 v[10:11], 3, v[52:53]
	v_cmp_ne_u32_e64 s[0:1], 0, v7
	v_cndmask_b32_e64 v17, 1, 2, vcc
	v_cmp_eq_u32_e32 vcc, 0, v61
	v_and_b32_e32 v16, v17, v16
	v_lshl_add_u64 v[8:9], s[46:47], 0, v[10:11]
	v_cndmask_b32_e64 v17, 1, 2, vcc
	v_cmp_eq_u32_e32 vcc, 0, v60
	v_and_b32_e32 v16, v16, v17
	v_lshlrev_b64 v[12:13], 3, v[4:5]
	v_cndmask_b32_e64 v17, 1, 2, vcc
	v_cmp_eq_u32_e32 vcc, 0, v59
	v_and_b32_e32 v16, v16, v17
	v_lshl_add_u64 v[8:9], v[8:9], 0, v[12:13]
	v_cndmask_b32_e64 v17, 1, 2, vcc
	v_cmp_eq_u32_e32 vcc, 0, v58
	v_and_b32_e32 v16, v16, v17
	v_cmp_ne_u32_e64 s[28:29], 0, v63
	v_cndmask_b32_e64 v17, 1, 2, vcc
	v_cmp_eq_u32_e32 vcc, 0, v57
	v_and_b32_e32 v16, v16, v17
	v_cmp_ne_u32_e64 s[26:27], 0, v62
	;; [unrolled: 4-line block ×10, first 2 shown]
	v_cndmask_b32_e64 v7, 1, 2, vcc
	v_and_b32_e32 v7, v16, v7
	v_cmp_gt_u32_e32 vcc, s30, v1
	v_cmp_ne_u32_e64 s[8:9], 0, v19
	v_cmp_ne_u32_e64 s[6:7], 0, v20
	;; [unrolled: 1-line block ×4, first 2 shown]
	v_cmp_gt_i16_e64 s[30:31], 2, v7
	s_cbranch_vccz .LBB452_140
; %bb.134:
	s_and_saveexec_b64 s[34:35], s[30:31]
	s_cbranch_execz .LBB452_139
; %bb.135:
	v_lshlrev_b64 v[16:17], 3, v[14:15]
	v_lshl_add_u64 v[16:17], v[8:9], 0, v[16:17]
	v_cmp_ne_u16_e32 vcc, 1, v7
	s_mov_b64 s[36:37], 0
	s_and_saveexec_b64 s[30:31], vcc
	s_xor_b64 s[30:31], exec, s[30:31]
	s_cbranch_execnz .LBB452_189
; %bb.136:
	s_andn2_saveexec_b64 s[30:31], s[30:31]
	s_cbranch_execnz .LBB452_205
.LBB452_137:
	s_or_b64 exec, exec, s[30:31]
	s_and_b64 exec, exec, s[36:37]
	s_cbranch_execz .LBB452_139
.LBB452_138:
	v_mov_b32_e32 v19, 0
	v_sub_u32_e32 v20, v24, v3
	v_mov_b32_e32 v21, v19
	v_mov_b32_e32 v18, v25
	v_lshl_add_u64 v[16:17], v[20:21], 3, v[16:17]
	global_store_dwordx2 v[16:17], v[18:19], off
.LBB452_139:
	s_or_b64 exec, exec, s[34:35]
	s_mov_b64 s[34:35], 0
.LBB452_140:
	s_and_b64 vcc, exec, s[34:35]
	s_cbranch_vccz .LBB452_150
; %bb.141:
	v_cmp_gt_i16_e32 vcc, 2, v7
	s_and_saveexec_b64 s[30:31], vcc
	s_cbranch_execz .LBB452_146
; %bb.142:
	v_cmp_ne_u16_e32 vcc, 1, v7
	s_mov_b64 s[36:37], 0
	s_and_saveexec_b64 s[34:35], vcc
	s_xor_b64 s[34:35], exec, s[34:35]
	s_cbranch_execnz .LBB452_206
; %bb.143:
	s_andn2_saveexec_b64 s[0:1], s[34:35]
	s_cbranch_execnz .LBB452_222
.LBB452_144:
	s_or_b64 exec, exec, s[0:1]
	s_and_b64 exec, exec, s[36:37]
	s_cbranch_execz .LBB452_146
.LBB452_145:
	v_sub_u32_e32 v3, v24, v3
	v_lshlrev_b32_e32 v3, 2, v3
	ds_write_b32 v3, v25
.LBB452_146:
	s_or_b64 exec, exec, s[30:31]
	v_cmp_lt_u32_e32 vcc, v0, v1
	s_waitcnt lgkmcnt(0)
	s_barrier
	s_and_saveexec_b64 s[0:1], vcc
	s_cbranch_execz .LBB452_149
; %bb.147:
	v_lshlrev_b64 v[14:15], 3, v[14:15]
	v_lshl_add_u64 v[10:11], v[10:11], 0, v[14:15]
	v_lshl_add_u64 v[12:13], v[10:11], 0, v[12:13]
	v_lshlrev_b32_e32 v10, 3, v0
	v_mov_b32_e32 v11, 0
	v_lshl_add_u64 v[12:13], s[46:47], 0, v[12:13]
	v_lshlrev_b32_e32 v3, 2, v0
	v_lshl_add_u64 v[12:13], v[12:13], 0, v[10:11]
	s_mov_b64 s[2:3], 0
	s_mov_b64 s[4:5], 0x1000
	v_mov_b32_e32 v7, v0
.LBB452_148:                            ; =>This Inner Loop Header: Depth=1
	ds_read_b32 v10, v3
	v_add_u32_e32 v7, 0x200, v7
	v_cmp_ge_u32_e32 vcc, v7, v1
	v_add_u32_e32 v3, 0x800, v3
	s_or_b64 s[2:3], vcc, s[2:3]
	s_waitcnt lgkmcnt(0)
	global_store_dwordx2 v[12:13], v[10:11], off
	v_lshl_add_u64 v[12:13], v[12:13], 0, s[4:5]
	s_andn2_b64 exec, exec, s[2:3]
	s_cbranch_execnz .LBB452_148
.LBB452_149:
	s_or_b64 exec, exec, s[0:1]
.LBB452_150:
	s_movk_i32 s0, 0x1ff
	v_cmp_eq_u32_e32 vcc, s0, v0
	s_and_b64 s[0:1], vcc, s[40:41]
	s_and_saveexec_b64 s[2:3], s[0:1]
	s_cbranch_execz .LBB452_153
; %bb.151:
	v_mov_b32_e32 v3, 0
	v_lshl_add_u64 v[0:1], v[2:3], 0, v[4:5]
	v_lshl_add_u64 v[0:1], v[0:1], 0, v[52:53]
	s_cmpk_lg_i32 s33, 0x1e00
	global_store_dwordx2 v3, v[0:1], s[48:49]
	s_cbranch_scc1 .LBB452_153
; %bb.152:
	v_lshlrev_b64 v[0:1], 3, v[2:3]
	v_mov_b32_e32 v7, v3
	v_lshl_add_u64 v[0:1], v[8:9], 0, v[0:1]
	global_store_dwordx2 v[0:1], v[6:7], off offset:-8
.LBB452_153:
	s_endpgm
.LBB452_154:
	s_or_b64 exec, exec, s[8:9]
	v_mov_b32_e32 v70, s12
	s_and_saveexec_b64 s[0:1], s[4:5]
	s_cbranch_execnz .LBB452_60
	s_branch .LBB452_61
.LBB452_155:
	s_and_saveexec_b64 s[38:39], s[30:31]
	s_cbranch_execnz .LBB452_223
; %bb.156:
	s_or_b64 exec, exec, s[38:39]
	s_and_saveexec_b64 s[38:39], s[28:29]
	s_cbranch_execnz .LBB452_224
.LBB452_157:
	s_or_b64 exec, exec, s[38:39]
	s_and_saveexec_b64 s[38:39], s[26:27]
	s_cbranch_execnz .LBB452_225
.LBB452_158:
	s_or_b64 exec, exec, s[38:39]
	s_and_saveexec_b64 s[38:39], s[24:25]
	s_cbranch_execnz .LBB452_226
.LBB452_159:
	s_or_b64 exec, exec, s[38:39]
	s_and_saveexec_b64 s[38:39], s[22:23]
	s_cbranch_execnz .LBB452_227
.LBB452_160:
	s_or_b64 exec, exec, s[38:39]
	s_and_saveexec_b64 s[38:39], s[20:21]
	s_cbranch_execnz .LBB452_228
.LBB452_161:
	s_or_b64 exec, exec, s[38:39]
	s_and_saveexec_b64 s[38:39], s[18:19]
	s_cbranch_execnz .LBB452_229
.LBB452_162:
	s_or_b64 exec, exec, s[38:39]
	s_and_saveexec_b64 s[38:39], s[16:17]
	s_cbranch_execnz .LBB452_230
.LBB452_163:
	s_or_b64 exec, exec, s[38:39]
	s_and_saveexec_b64 s[38:39], s[14:15]
	s_cbranch_execnz .LBB452_231
.LBB452_164:
	s_or_b64 exec, exec, s[38:39]
	s_and_saveexec_b64 s[38:39], s[12:13]
	s_cbranch_execnz .LBB452_232
.LBB452_165:
	s_or_b64 exec, exec, s[38:39]
	s_and_saveexec_b64 s[38:39], s[10:11]
	s_cbranch_execnz .LBB452_233
.LBB452_166:
	s_or_b64 exec, exec, s[38:39]
	s_and_saveexec_b64 s[38:39], s[8:9]
	s_cbranch_execnz .LBB452_234
.LBB452_167:
	s_or_b64 exec, exec, s[38:39]
	s_and_saveexec_b64 s[38:39], s[6:7]
	s_cbranch_execnz .LBB452_235
.LBB452_168:
	s_or_b64 exec, exec, s[38:39]
	s_and_saveexec_b64 s[38:39], s[4:5]
	s_cbranch_execz .LBB452_170
.LBB452_169:
	v_sub_u32_e32 v72, v22, v4
	v_mov_b32_e32 v73, 0
	v_lshl_add_u64 v[72:73], v[72:73], 2, v[54:55]
	global_store_dword v[72:73], v9, off
.LBB452_170:
	s_or_b64 exec, exec, s[38:39]
	s_and_b64 s[38:39], s[2:3], exec
	s_andn2_saveexec_b64 s[0:1], s[0:1]
	s_cbranch_execz .LBB452_110
.LBB452_171:
	v_sub_u32_e32 v72, v50, v4
	v_mov_b32_e32 v73, 0
	v_lshl_add_u64 v[74:75], v[72:73], 2, v[54:55]
	v_sub_u32_e32 v72, v48, v4
	global_store_dword v[74:75], v20, off
	v_lshl_add_u64 v[74:75], v[72:73], 2, v[54:55]
	v_sub_u32_e32 v72, v46, v4
	global_store_dword v[74:75], v21, off
	;; [unrolled: 3-line block ×12, first 2 shown]
	v_lshl_add_u64 v[74:75], v[72:73], 2, v[54:55]
	v_sub_u32_e32 v72, v22, v4
	v_lshl_add_u64 v[72:73], v[72:73], 2, v[54:55]
	s_or_b64 s[38:39], s[38:39], exec
	global_store_dword v[74:75], v8, off
	global_store_dword v[72:73], v9, off
	s_or_b64 exec, exec, s[0:1]
	s_and_b64 exec, exec, s[38:39]
	s_cbranch_execnz .LBB452_111
	s_branch .LBB452_112
.LBB452_172:
	s_and_saveexec_b64 s[38:39], s[30:31]
	s_cbranch_execnz .LBB452_236
; %bb.173:
	s_or_b64 exec, exec, s[38:39]
	s_and_saveexec_b64 s[30:31], s[28:29]
	s_cbranch_execnz .LBB452_237
.LBB452_174:
	s_or_b64 exec, exec, s[30:31]
	s_and_saveexec_b64 s[28:29], s[26:27]
	s_cbranch_execnz .LBB452_238
.LBB452_175:
	s_or_b64 exec, exec, s[28:29]
	s_and_saveexec_b64 s[26:27], s[24:25]
	s_cbranch_execnz .LBB452_239
.LBB452_176:
	s_or_b64 exec, exec, s[26:27]
	s_and_saveexec_b64 s[24:25], s[22:23]
	s_cbranch_execnz .LBB452_240
.LBB452_177:
	s_or_b64 exec, exec, s[24:25]
	s_and_saveexec_b64 s[22:23], s[20:21]
	s_cbranch_execnz .LBB452_241
.LBB452_178:
	s_or_b64 exec, exec, s[22:23]
	s_and_saveexec_b64 s[20:21], s[18:19]
	s_cbranch_execnz .LBB452_242
.LBB452_179:
	s_or_b64 exec, exec, s[20:21]
	s_and_saveexec_b64 s[18:19], s[16:17]
	s_cbranch_execnz .LBB452_243
.LBB452_180:
	s_or_b64 exec, exec, s[18:19]
	s_and_saveexec_b64 s[16:17], s[14:15]
	s_cbranch_execnz .LBB452_244
.LBB452_181:
	s_or_b64 exec, exec, s[16:17]
	s_and_saveexec_b64 s[14:15], s[12:13]
	s_cbranch_execnz .LBB452_245
.LBB452_182:
	s_or_b64 exec, exec, s[14:15]
	s_and_saveexec_b64 s[12:13], s[10:11]
	s_cbranch_execnz .LBB452_246
.LBB452_183:
	s_or_b64 exec, exec, s[12:13]
	s_and_saveexec_b64 s[10:11], s[8:9]
	s_cbranch_execnz .LBB452_247
.LBB452_184:
	s_or_b64 exec, exec, s[10:11]
	s_and_saveexec_b64 s[8:9], s[6:7]
	s_cbranch_execnz .LBB452_248
.LBB452_185:
	s_or_b64 exec, exec, s[8:9]
	s_and_saveexec_b64 s[6:7], s[4:5]
	s_cbranch_execz .LBB452_187
.LBB452_186:
	v_sub_u32_e32 v3, v22, v4
	v_lshlrev_b32_e32 v3, 2, v3
	ds_write_b32 v3, v9
.LBB452_187:
	s_or_b64 exec, exec, s[6:7]
	s_and_b64 s[38:39], s[2:3], exec
                                        ; implicit-def: $vgpr9
                                        ; implicit-def: $vgpr11
                                        ; implicit-def: $vgpr13
                                        ; implicit-def: $vgpr15
                                        ; implicit-def: $vgpr17
                                        ; implicit-def: $vgpr19
                                        ; implicit-def: $vgpr21
	s_andn2_saveexec_b64 s[2:3], s[36:37]
	s_cbranch_execz .LBB452_117
.LBB452_188:
	v_sub_u32_e32 v3, v50, v4
	v_lshlrev_b32_e32 v3, 2, v3
	ds_write_b32 v3, v20
	v_sub_u32_e32 v3, v48, v4
	v_lshlrev_b32_e32 v3, 2, v3
	ds_write_b32 v3, v21
	;; [unrolled: 3-line block ×13, first 2 shown]
	v_sub_u32_e32 v3, v22, v4
	v_lshlrev_b32_e32 v3, 2, v3
	s_or_b64 s[38:39], s[38:39], exec
	ds_write_b32 v3, v9
	s_or_b64 exec, exec, s[2:3]
	s_and_b64 exec, exec, s[38:39]
	s_cbranch_execnz .LBB452_118
	s_branch .LBB452_119
.LBB452_189:
	s_and_saveexec_b64 s[36:37], s[28:29]
	s_cbranch_execnz .LBB452_249
; %bb.190:
	s_or_b64 exec, exec, s[36:37]
	s_and_saveexec_b64 s[36:37], s[26:27]
	s_cbranch_execnz .LBB452_250
.LBB452_191:
	s_or_b64 exec, exec, s[36:37]
	s_and_saveexec_b64 s[36:37], s[24:25]
	s_cbranch_execnz .LBB452_251
.LBB452_192:
	s_or_b64 exec, exec, s[36:37]
	s_and_saveexec_b64 s[36:37], s[22:23]
	s_cbranch_execnz .LBB452_252
.LBB452_193:
	s_or_b64 exec, exec, s[36:37]
	s_and_saveexec_b64 s[36:37], s[20:21]
	s_cbranch_execnz .LBB452_253
.LBB452_194:
	s_or_b64 exec, exec, s[36:37]
	s_and_saveexec_b64 s[36:37], s[18:19]
	s_cbranch_execnz .LBB452_254
.LBB452_195:
	s_or_b64 exec, exec, s[36:37]
	s_and_saveexec_b64 s[36:37], s[16:17]
	s_cbranch_execnz .LBB452_255
.LBB452_196:
	s_or_b64 exec, exec, s[36:37]
	s_and_saveexec_b64 s[36:37], s[14:15]
	s_cbranch_execnz .LBB452_256
.LBB452_197:
	s_or_b64 exec, exec, s[36:37]
	s_and_saveexec_b64 s[36:37], s[12:13]
	s_cbranch_execnz .LBB452_257
.LBB452_198:
	s_or_b64 exec, exec, s[36:37]
	s_and_saveexec_b64 s[36:37], s[10:11]
	s_cbranch_execnz .LBB452_258
.LBB452_199:
	s_or_b64 exec, exec, s[36:37]
	s_and_saveexec_b64 s[36:37], s[8:9]
	s_cbranch_execnz .LBB452_259
.LBB452_200:
	s_or_b64 exec, exec, s[36:37]
	s_and_saveexec_b64 s[36:37], s[6:7]
	s_cbranch_execnz .LBB452_260
.LBB452_201:
	s_or_b64 exec, exec, s[36:37]
	s_and_saveexec_b64 s[36:37], s[4:5]
	s_cbranch_execnz .LBB452_261
.LBB452_202:
	s_or_b64 exec, exec, s[36:37]
	s_and_saveexec_b64 s[36:37], s[2:3]
	s_cbranch_execz .LBB452_204
.LBB452_203:
	v_sub_u32_e32 v18, v22, v3
	v_mov_b32_e32 v19, 0
	v_lshl_add_u64 v[20:21], v[18:19], 3, v[16:17]
	v_mov_b32_e32 v18, v23
	global_store_dwordx2 v[20:21], v[18:19], off
.LBB452_204:
	s_or_b64 exec, exec, s[36:37]
	s_and_b64 s[36:37], s[0:1], exec
	s_andn2_saveexec_b64 s[30:31], s[30:31]
	s_cbranch_execz .LBB452_137
.LBB452_205:
	v_mov_b32_e32 v19, 0
	v_sub_u32_e32 v20, v50, v3
	v_mov_b32_e32 v21, v19
	v_mov_b32_e32 v18, v51
	v_lshl_add_u64 v[20:21], v[20:21], 3, v[16:17]
	global_store_dwordx2 v[20:21], v[18:19], off
	v_sub_u32_e32 v20, v48, v3
	v_mov_b32_e32 v21, v19
	v_mov_b32_e32 v18, v49
	v_lshl_add_u64 v[20:21], v[20:21], 3, v[16:17]
	global_store_dwordx2 v[20:21], v[18:19], off
	;; [unrolled: 5-line block ×13, first 2 shown]
	v_sub_u32_e32 v20, v22, v3
	v_mov_b32_e32 v21, v19
	v_mov_b32_e32 v18, v23
	v_lshl_add_u64 v[20:21], v[20:21], 3, v[16:17]
	s_or_b64 s[36:37], s[36:37], exec
	global_store_dwordx2 v[20:21], v[18:19], off
	s_or_b64 exec, exec, s[30:31]
	s_and_b64 exec, exec, s[36:37]
	s_cbranch_execnz .LBB452_138
	s_branch .LBB452_139
.LBB452_206:
	s_and_saveexec_b64 s[36:37], s[28:29]
	s_cbranch_execnz .LBB452_262
; %bb.207:
	s_or_b64 exec, exec, s[36:37]
	s_and_saveexec_b64 s[28:29], s[26:27]
	s_cbranch_execnz .LBB452_263
.LBB452_208:
	s_or_b64 exec, exec, s[28:29]
	s_and_saveexec_b64 s[26:27], s[24:25]
	s_cbranch_execnz .LBB452_264
.LBB452_209:
	s_or_b64 exec, exec, s[26:27]
	s_and_saveexec_b64 s[24:25], s[22:23]
	s_cbranch_execnz .LBB452_265
.LBB452_210:
	s_or_b64 exec, exec, s[24:25]
	s_and_saveexec_b64 s[22:23], s[20:21]
	s_cbranch_execnz .LBB452_266
.LBB452_211:
	s_or_b64 exec, exec, s[22:23]
	s_and_saveexec_b64 s[20:21], s[18:19]
	s_cbranch_execnz .LBB452_267
.LBB452_212:
	s_or_b64 exec, exec, s[20:21]
	s_and_saveexec_b64 s[18:19], s[16:17]
	s_cbranch_execnz .LBB452_268
.LBB452_213:
	s_or_b64 exec, exec, s[18:19]
	s_and_saveexec_b64 s[16:17], s[14:15]
	s_cbranch_execnz .LBB452_269
.LBB452_214:
	s_or_b64 exec, exec, s[16:17]
	s_and_saveexec_b64 s[14:15], s[12:13]
	s_cbranch_execnz .LBB452_270
.LBB452_215:
	s_or_b64 exec, exec, s[14:15]
	s_and_saveexec_b64 s[12:13], s[10:11]
	s_cbranch_execnz .LBB452_271
.LBB452_216:
	s_or_b64 exec, exec, s[12:13]
	s_and_saveexec_b64 s[10:11], s[8:9]
	s_cbranch_execnz .LBB452_272
.LBB452_217:
	s_or_b64 exec, exec, s[10:11]
	s_and_saveexec_b64 s[8:9], s[6:7]
	s_cbranch_execnz .LBB452_273
.LBB452_218:
	s_or_b64 exec, exec, s[8:9]
	s_and_saveexec_b64 s[6:7], s[4:5]
	s_cbranch_execnz .LBB452_274
.LBB452_219:
	s_or_b64 exec, exec, s[6:7]
	s_and_saveexec_b64 s[4:5], s[2:3]
	s_cbranch_execz .LBB452_221
.LBB452_220:
	v_sub_u32_e32 v7, v22, v3
	v_lshlrev_b32_e32 v7, 2, v7
	ds_write_b32 v7, v23
.LBB452_221:
	s_or_b64 exec, exec, s[4:5]
	s_and_b64 s[36:37], s[0:1], exec
                                        ; implicit-def: $vgpr22_vgpr23
                                        ; implicit-def: $vgpr26_vgpr27
                                        ; implicit-def: $vgpr28_vgpr29
                                        ; implicit-def: $vgpr50_vgpr51
                                        ; implicit-def: $vgpr48_vgpr49
                                        ; implicit-def: $vgpr46_vgpr47
                                        ; implicit-def: $vgpr44_vgpr45
                                        ; implicit-def: $vgpr42_vgpr43
                                        ; implicit-def: $vgpr40_vgpr41
                                        ; implicit-def: $vgpr38_vgpr39
                                        ; implicit-def: $vgpr36_vgpr37
                                        ; implicit-def: $vgpr34_vgpr35
                                        ; implicit-def: $vgpr32_vgpr33
                                        ; implicit-def: $vgpr30_vgpr31
	s_andn2_saveexec_b64 s[0:1], s[34:35]
	s_cbranch_execz .LBB452_144
.LBB452_222:
	v_sub_u32_e32 v7, v50, v3
	v_lshlrev_b32_e32 v7, 2, v7
	ds_write_b32 v7, v51
	v_sub_u32_e32 v7, v48, v3
	v_lshlrev_b32_e32 v7, 2, v7
	ds_write_b32 v7, v49
	;; [unrolled: 3-line block ×13, first 2 shown]
	v_sub_u32_e32 v7, v22, v3
	v_lshlrev_b32_e32 v7, 2, v7
	s_or_b64 s[36:37], s[36:37], exec
	ds_write_b32 v7, v23
	s_or_b64 exec, exec, s[0:1]
	s_and_b64 exec, exec, s[36:37]
	s_cbranch_execnz .LBB452_145
	s_branch .LBB452_146
.LBB452_223:
	v_sub_u32_e32 v72, v50, v4
	v_mov_b32_e32 v73, 0
	v_lshl_add_u64 v[72:73], v[72:73], 2, v[54:55]
	global_store_dword v[72:73], v20, off
	s_or_b64 exec, exec, s[38:39]
	s_and_saveexec_b64 s[38:39], s[28:29]
	s_cbranch_execz .LBB452_157
.LBB452_224:
	v_sub_u32_e32 v72, v48, v4
	v_mov_b32_e32 v73, 0
	v_lshl_add_u64 v[72:73], v[72:73], 2, v[54:55]
	global_store_dword v[72:73], v21, off
	s_or_b64 exec, exec, s[38:39]
	s_and_saveexec_b64 s[38:39], s[26:27]
	s_cbranch_execz .LBB452_158
.LBB452_225:
	v_sub_u32_e32 v72, v46, v4
	v_mov_b32_e32 v73, 0
	v_lshl_add_u64 v[72:73], v[72:73], 2, v[54:55]
	global_store_dword v[72:73], v18, off
	s_or_b64 exec, exec, s[38:39]
	s_and_saveexec_b64 s[38:39], s[24:25]
	s_cbranch_execz .LBB452_159
.LBB452_226:
	v_sub_u32_e32 v72, v44, v4
	v_mov_b32_e32 v73, 0
	v_lshl_add_u64 v[72:73], v[72:73], 2, v[54:55]
	global_store_dword v[72:73], v19, off
	s_or_b64 exec, exec, s[38:39]
	s_and_saveexec_b64 s[38:39], s[22:23]
	s_cbranch_execz .LBB452_160
.LBB452_227:
	v_sub_u32_e32 v72, v42, v4
	v_mov_b32_e32 v73, 0
	v_lshl_add_u64 v[72:73], v[72:73], 2, v[54:55]
	global_store_dword v[72:73], v16, off
	s_or_b64 exec, exec, s[38:39]
	s_and_saveexec_b64 s[38:39], s[20:21]
	s_cbranch_execz .LBB452_161
.LBB452_228:
	v_sub_u32_e32 v72, v40, v4
	v_mov_b32_e32 v73, 0
	v_lshl_add_u64 v[72:73], v[72:73], 2, v[54:55]
	global_store_dword v[72:73], v17, off
	s_or_b64 exec, exec, s[38:39]
	s_and_saveexec_b64 s[38:39], s[18:19]
	s_cbranch_execz .LBB452_162
.LBB452_229:
	v_sub_u32_e32 v72, v38, v4
	v_mov_b32_e32 v73, 0
	v_lshl_add_u64 v[72:73], v[72:73], 2, v[54:55]
	global_store_dword v[72:73], v14, off
	s_or_b64 exec, exec, s[38:39]
	s_and_saveexec_b64 s[38:39], s[16:17]
	s_cbranch_execz .LBB452_163
.LBB452_230:
	v_sub_u32_e32 v72, v36, v4
	v_mov_b32_e32 v73, 0
	v_lshl_add_u64 v[72:73], v[72:73], 2, v[54:55]
	global_store_dword v[72:73], v15, off
	s_or_b64 exec, exec, s[38:39]
	s_and_saveexec_b64 s[38:39], s[14:15]
	s_cbranch_execz .LBB452_164
.LBB452_231:
	v_sub_u32_e32 v72, v34, v4
	v_mov_b32_e32 v73, 0
	v_lshl_add_u64 v[72:73], v[72:73], 2, v[54:55]
	global_store_dword v[72:73], v12, off
	s_or_b64 exec, exec, s[38:39]
	s_and_saveexec_b64 s[38:39], s[12:13]
	s_cbranch_execz .LBB452_165
.LBB452_232:
	v_sub_u32_e32 v72, v32, v4
	v_mov_b32_e32 v73, 0
	v_lshl_add_u64 v[72:73], v[72:73], 2, v[54:55]
	global_store_dword v[72:73], v13, off
	s_or_b64 exec, exec, s[38:39]
	s_and_saveexec_b64 s[38:39], s[10:11]
	s_cbranch_execz .LBB452_166
.LBB452_233:
	v_sub_u32_e32 v72, v30, v4
	v_mov_b32_e32 v73, 0
	v_lshl_add_u64 v[72:73], v[72:73], 2, v[54:55]
	global_store_dword v[72:73], v10, off
	s_or_b64 exec, exec, s[38:39]
	s_and_saveexec_b64 s[38:39], s[8:9]
	s_cbranch_execz .LBB452_167
.LBB452_234:
	v_sub_u32_e32 v72, v28, v4
	v_mov_b32_e32 v73, 0
	v_lshl_add_u64 v[72:73], v[72:73], 2, v[54:55]
	global_store_dword v[72:73], v11, off
	s_or_b64 exec, exec, s[38:39]
	s_and_saveexec_b64 s[38:39], s[6:7]
	s_cbranch_execz .LBB452_168
.LBB452_235:
	v_sub_u32_e32 v72, v26, v4
	v_mov_b32_e32 v73, 0
	v_lshl_add_u64 v[72:73], v[72:73], 2, v[54:55]
	global_store_dword v[72:73], v8, off
	s_or_b64 exec, exec, s[38:39]
	s_and_saveexec_b64 s[38:39], s[4:5]
	s_cbranch_execnz .LBB452_169
	s_branch .LBB452_170
.LBB452_236:
	v_sub_u32_e32 v3, v50, v4
	v_lshlrev_b32_e32 v3, 2, v3
	ds_write_b32 v3, v20
	s_or_b64 exec, exec, s[38:39]
	s_and_saveexec_b64 s[30:31], s[28:29]
	s_cbranch_execz .LBB452_174
.LBB452_237:
	v_sub_u32_e32 v3, v48, v4
	v_lshlrev_b32_e32 v3, 2, v3
	ds_write_b32 v3, v21
	s_or_b64 exec, exec, s[30:31]
	s_and_saveexec_b64 s[28:29], s[26:27]
	s_cbranch_execz .LBB452_175
.LBB452_238:
	v_sub_u32_e32 v3, v46, v4
	v_lshlrev_b32_e32 v3, 2, v3
	ds_write_b32 v3, v18
	s_or_b64 exec, exec, s[28:29]
	s_and_saveexec_b64 s[26:27], s[24:25]
	s_cbranch_execz .LBB452_176
.LBB452_239:
	v_sub_u32_e32 v3, v44, v4
	v_lshlrev_b32_e32 v3, 2, v3
	ds_write_b32 v3, v19
	s_or_b64 exec, exec, s[26:27]
	s_and_saveexec_b64 s[24:25], s[22:23]
	s_cbranch_execz .LBB452_177
.LBB452_240:
	v_sub_u32_e32 v3, v42, v4
	v_lshlrev_b32_e32 v3, 2, v3
	ds_write_b32 v3, v16
	s_or_b64 exec, exec, s[24:25]
	s_and_saveexec_b64 s[22:23], s[20:21]
	s_cbranch_execz .LBB452_178
.LBB452_241:
	v_sub_u32_e32 v3, v40, v4
	v_lshlrev_b32_e32 v3, 2, v3
	ds_write_b32 v3, v17
	s_or_b64 exec, exec, s[22:23]
	s_and_saveexec_b64 s[20:21], s[18:19]
	s_cbranch_execz .LBB452_179
.LBB452_242:
	v_sub_u32_e32 v3, v38, v4
	v_lshlrev_b32_e32 v3, 2, v3
	ds_write_b32 v3, v14
	s_or_b64 exec, exec, s[20:21]
	s_and_saveexec_b64 s[18:19], s[16:17]
	s_cbranch_execz .LBB452_180
.LBB452_243:
	v_sub_u32_e32 v3, v36, v4
	v_lshlrev_b32_e32 v3, 2, v3
	ds_write_b32 v3, v15
	s_or_b64 exec, exec, s[18:19]
	s_and_saveexec_b64 s[16:17], s[14:15]
	s_cbranch_execz .LBB452_181
.LBB452_244:
	v_sub_u32_e32 v3, v34, v4
	v_lshlrev_b32_e32 v3, 2, v3
	ds_write_b32 v3, v12
	s_or_b64 exec, exec, s[16:17]
	s_and_saveexec_b64 s[14:15], s[12:13]
	s_cbranch_execz .LBB452_182
.LBB452_245:
	v_sub_u32_e32 v3, v32, v4
	v_lshlrev_b32_e32 v3, 2, v3
	ds_write_b32 v3, v13
	s_or_b64 exec, exec, s[14:15]
	s_and_saveexec_b64 s[12:13], s[10:11]
	s_cbranch_execz .LBB452_183
.LBB452_246:
	v_sub_u32_e32 v3, v30, v4
	v_lshlrev_b32_e32 v3, 2, v3
	ds_write_b32 v3, v10
	s_or_b64 exec, exec, s[12:13]
	s_and_saveexec_b64 s[10:11], s[8:9]
	s_cbranch_execz .LBB452_184
.LBB452_247:
	v_sub_u32_e32 v3, v28, v4
	v_lshlrev_b32_e32 v3, 2, v3
	ds_write_b32 v3, v11
	s_or_b64 exec, exec, s[10:11]
	s_and_saveexec_b64 s[8:9], s[6:7]
	s_cbranch_execz .LBB452_185
.LBB452_248:
	v_sub_u32_e32 v3, v26, v4
	v_lshlrev_b32_e32 v3, 2, v3
	ds_write_b32 v3, v8
	s_or_b64 exec, exec, s[8:9]
	s_and_saveexec_b64 s[6:7], s[4:5]
	s_cbranch_execnz .LBB452_186
	s_branch .LBB452_187
.LBB452_249:
	v_sub_u32_e32 v18, v50, v3
	v_mov_b32_e32 v19, 0
	v_lshl_add_u64 v[20:21], v[18:19], 3, v[16:17]
	v_mov_b32_e32 v18, v51
	global_store_dwordx2 v[20:21], v[18:19], off
	s_or_b64 exec, exec, s[36:37]
	s_and_saveexec_b64 s[36:37], s[26:27]
	s_cbranch_execz .LBB452_191
.LBB452_250:
	v_sub_u32_e32 v18, v48, v3
	v_mov_b32_e32 v19, 0
	v_lshl_add_u64 v[20:21], v[18:19], 3, v[16:17]
	v_mov_b32_e32 v18, v49
	global_store_dwordx2 v[20:21], v[18:19], off
	s_or_b64 exec, exec, s[36:37]
	s_and_saveexec_b64 s[36:37], s[24:25]
	s_cbranch_execz .LBB452_192
.LBB452_251:
	v_sub_u32_e32 v18, v46, v3
	v_mov_b32_e32 v19, 0
	v_lshl_add_u64 v[20:21], v[18:19], 3, v[16:17]
	v_mov_b32_e32 v18, v47
	global_store_dwordx2 v[20:21], v[18:19], off
	s_or_b64 exec, exec, s[36:37]
	s_and_saveexec_b64 s[36:37], s[22:23]
	s_cbranch_execz .LBB452_193
.LBB452_252:
	v_sub_u32_e32 v18, v44, v3
	v_mov_b32_e32 v19, 0
	v_lshl_add_u64 v[20:21], v[18:19], 3, v[16:17]
	v_mov_b32_e32 v18, v45
	global_store_dwordx2 v[20:21], v[18:19], off
	s_or_b64 exec, exec, s[36:37]
	s_and_saveexec_b64 s[36:37], s[20:21]
	s_cbranch_execz .LBB452_194
.LBB452_253:
	v_sub_u32_e32 v18, v42, v3
	v_mov_b32_e32 v19, 0
	v_lshl_add_u64 v[20:21], v[18:19], 3, v[16:17]
	v_mov_b32_e32 v18, v43
	global_store_dwordx2 v[20:21], v[18:19], off
	s_or_b64 exec, exec, s[36:37]
	s_and_saveexec_b64 s[36:37], s[18:19]
	s_cbranch_execz .LBB452_195
.LBB452_254:
	v_sub_u32_e32 v18, v40, v3
	v_mov_b32_e32 v19, 0
	v_lshl_add_u64 v[20:21], v[18:19], 3, v[16:17]
	v_mov_b32_e32 v18, v41
	global_store_dwordx2 v[20:21], v[18:19], off
	s_or_b64 exec, exec, s[36:37]
	s_and_saveexec_b64 s[36:37], s[16:17]
	s_cbranch_execz .LBB452_196
.LBB452_255:
	v_sub_u32_e32 v18, v38, v3
	v_mov_b32_e32 v19, 0
	v_lshl_add_u64 v[20:21], v[18:19], 3, v[16:17]
	v_mov_b32_e32 v18, v39
	global_store_dwordx2 v[20:21], v[18:19], off
	s_or_b64 exec, exec, s[36:37]
	s_and_saveexec_b64 s[36:37], s[14:15]
	s_cbranch_execz .LBB452_197
.LBB452_256:
	v_sub_u32_e32 v18, v36, v3
	v_mov_b32_e32 v19, 0
	v_lshl_add_u64 v[20:21], v[18:19], 3, v[16:17]
	v_mov_b32_e32 v18, v37
	global_store_dwordx2 v[20:21], v[18:19], off
	s_or_b64 exec, exec, s[36:37]
	s_and_saveexec_b64 s[36:37], s[12:13]
	s_cbranch_execz .LBB452_198
.LBB452_257:
	v_sub_u32_e32 v18, v34, v3
	v_mov_b32_e32 v19, 0
	v_lshl_add_u64 v[20:21], v[18:19], 3, v[16:17]
	v_mov_b32_e32 v18, v35
	global_store_dwordx2 v[20:21], v[18:19], off
	s_or_b64 exec, exec, s[36:37]
	s_and_saveexec_b64 s[36:37], s[10:11]
	s_cbranch_execz .LBB452_199
.LBB452_258:
	v_sub_u32_e32 v18, v32, v3
	v_mov_b32_e32 v19, 0
	v_lshl_add_u64 v[20:21], v[18:19], 3, v[16:17]
	v_mov_b32_e32 v18, v33
	global_store_dwordx2 v[20:21], v[18:19], off
	s_or_b64 exec, exec, s[36:37]
	s_and_saveexec_b64 s[36:37], s[8:9]
	s_cbranch_execz .LBB452_200
.LBB452_259:
	v_sub_u32_e32 v18, v30, v3
	v_mov_b32_e32 v19, 0
	v_lshl_add_u64 v[20:21], v[18:19], 3, v[16:17]
	v_mov_b32_e32 v18, v31
	global_store_dwordx2 v[20:21], v[18:19], off
	s_or_b64 exec, exec, s[36:37]
	s_and_saveexec_b64 s[36:37], s[6:7]
	s_cbranch_execz .LBB452_201
.LBB452_260:
	v_sub_u32_e32 v18, v28, v3
	v_mov_b32_e32 v19, 0
	v_lshl_add_u64 v[20:21], v[18:19], 3, v[16:17]
	v_mov_b32_e32 v18, v29
	global_store_dwordx2 v[20:21], v[18:19], off
	s_or_b64 exec, exec, s[36:37]
	s_and_saveexec_b64 s[36:37], s[4:5]
	s_cbranch_execz .LBB452_202
.LBB452_261:
	v_sub_u32_e32 v18, v26, v3
	v_mov_b32_e32 v19, 0
	v_lshl_add_u64 v[20:21], v[18:19], 3, v[16:17]
	v_mov_b32_e32 v18, v27
	global_store_dwordx2 v[20:21], v[18:19], off
	s_or_b64 exec, exec, s[36:37]
	s_and_saveexec_b64 s[36:37], s[2:3]
	s_cbranch_execnz .LBB452_203
	s_branch .LBB452_204
.LBB452_262:
	v_sub_u32_e32 v7, v50, v3
	v_lshlrev_b32_e32 v7, 2, v7
	ds_write_b32 v7, v51
	s_or_b64 exec, exec, s[36:37]
	s_and_saveexec_b64 s[28:29], s[26:27]
	s_cbranch_execz .LBB452_208
.LBB452_263:
	v_sub_u32_e32 v7, v48, v3
	v_lshlrev_b32_e32 v7, 2, v7
	ds_write_b32 v7, v49
	s_or_b64 exec, exec, s[28:29]
	s_and_saveexec_b64 s[26:27], s[24:25]
	s_cbranch_execz .LBB452_209
.LBB452_264:
	v_sub_u32_e32 v7, v46, v3
	v_lshlrev_b32_e32 v7, 2, v7
	ds_write_b32 v7, v47
	s_or_b64 exec, exec, s[26:27]
	s_and_saveexec_b64 s[24:25], s[22:23]
	s_cbranch_execz .LBB452_210
.LBB452_265:
	v_sub_u32_e32 v7, v44, v3
	v_lshlrev_b32_e32 v7, 2, v7
	ds_write_b32 v7, v45
	s_or_b64 exec, exec, s[24:25]
	s_and_saveexec_b64 s[22:23], s[20:21]
	s_cbranch_execz .LBB452_211
.LBB452_266:
	v_sub_u32_e32 v7, v42, v3
	v_lshlrev_b32_e32 v7, 2, v7
	ds_write_b32 v7, v43
	s_or_b64 exec, exec, s[22:23]
	s_and_saveexec_b64 s[20:21], s[18:19]
	s_cbranch_execz .LBB452_212
.LBB452_267:
	v_sub_u32_e32 v7, v40, v3
	v_lshlrev_b32_e32 v7, 2, v7
	ds_write_b32 v7, v41
	s_or_b64 exec, exec, s[20:21]
	s_and_saveexec_b64 s[18:19], s[16:17]
	s_cbranch_execz .LBB452_213
.LBB452_268:
	v_sub_u32_e32 v7, v38, v3
	v_lshlrev_b32_e32 v7, 2, v7
	ds_write_b32 v7, v39
	s_or_b64 exec, exec, s[18:19]
	s_and_saveexec_b64 s[16:17], s[14:15]
	s_cbranch_execz .LBB452_214
.LBB452_269:
	v_sub_u32_e32 v7, v36, v3
	v_lshlrev_b32_e32 v7, 2, v7
	ds_write_b32 v7, v37
	s_or_b64 exec, exec, s[16:17]
	s_and_saveexec_b64 s[14:15], s[12:13]
	s_cbranch_execz .LBB452_215
.LBB452_270:
	v_sub_u32_e32 v7, v34, v3
	v_lshlrev_b32_e32 v7, 2, v7
	ds_write_b32 v7, v35
	s_or_b64 exec, exec, s[14:15]
	s_and_saveexec_b64 s[12:13], s[10:11]
	s_cbranch_execz .LBB452_216
.LBB452_271:
	v_sub_u32_e32 v7, v32, v3
	v_lshlrev_b32_e32 v7, 2, v7
	ds_write_b32 v7, v33
	s_or_b64 exec, exec, s[12:13]
	s_and_saveexec_b64 s[10:11], s[8:9]
	s_cbranch_execz .LBB452_217
.LBB452_272:
	v_sub_u32_e32 v7, v30, v3
	v_lshlrev_b32_e32 v7, 2, v7
	ds_write_b32 v7, v31
	s_or_b64 exec, exec, s[10:11]
	s_and_saveexec_b64 s[8:9], s[6:7]
	s_cbranch_execz .LBB452_218
.LBB452_273:
	v_sub_u32_e32 v7, v28, v3
	v_lshlrev_b32_e32 v7, 2, v7
	ds_write_b32 v7, v29
	s_or_b64 exec, exec, s[8:9]
	s_and_saveexec_b64 s[6:7], s[4:5]
	s_cbranch_execz .LBB452_219
.LBB452_274:
	v_sub_u32_e32 v7, v26, v3
	v_lshlrev_b32_e32 v7, 2, v7
	ds_write_b32 v7, v27
	s_or_b64 exec, exec, s[6:7]
	s_and_saveexec_b64 s[4:5], s[2:3]
	s_cbranch_execnz .LBB452_220
	s_branch .LBB452_221
	.section	.rodata,"a",@progbits
	.p2align	6, 0x0
	.amdhsa_kernel _ZN7rocprim17ROCPRIM_400000_NS6detail17trampoline_kernelINS0_14default_configENS1_33run_length_encode_config_selectorIijNS0_4plusIjEEEEZZNS1_33reduce_by_key_impl_wrapped_configILNS1_25lookback_scan_determinismE0ES3_S7_PKiNS0_17constant_iteratorIjlEEPiPlSF_S6_NS0_8equal_toIiEEEE10hipError_tPvRmT2_T3_mT4_T5_T6_T7_T8_P12ihipStream_tbENKUlT_T0_E_clISt17integral_constantIbLb1EESZ_EEDaSU_SV_EUlSU_E_NS1_11comp_targetILNS1_3genE5ELNS1_11target_archE942ELNS1_3gpuE9ELNS1_3repE0EEENS1_30default_config_static_selectorELNS0_4arch9wavefront6targetE1EEEvT1_
		.amdhsa_group_segment_fixed_size 30720
		.amdhsa_private_segment_fixed_size 0
		.amdhsa_kernarg_size 128
		.amdhsa_user_sgpr_count 2
		.amdhsa_user_sgpr_dispatch_ptr 0
		.amdhsa_user_sgpr_queue_ptr 0
		.amdhsa_user_sgpr_kernarg_segment_ptr 1
		.amdhsa_user_sgpr_dispatch_id 0
		.amdhsa_user_sgpr_kernarg_preload_length 0
		.amdhsa_user_sgpr_kernarg_preload_offset 0
		.amdhsa_user_sgpr_private_segment_size 0
		.amdhsa_uses_dynamic_stack 0
		.amdhsa_enable_private_segment 0
		.amdhsa_system_sgpr_workgroup_id_x 1
		.amdhsa_system_sgpr_workgroup_id_y 0
		.amdhsa_system_sgpr_workgroup_id_z 0
		.amdhsa_system_sgpr_workgroup_info 0
		.amdhsa_system_vgpr_workitem_id 0
		.amdhsa_next_free_vgpr 104
		.amdhsa_next_free_sgpr 66
		.amdhsa_accum_offset 104
		.amdhsa_reserve_vcc 1
		.amdhsa_float_round_mode_32 0
		.amdhsa_float_round_mode_16_64 0
		.amdhsa_float_denorm_mode_32 3
		.amdhsa_float_denorm_mode_16_64 3
		.amdhsa_dx10_clamp 1
		.amdhsa_ieee_mode 1
		.amdhsa_fp16_overflow 0
		.amdhsa_tg_split 0
		.amdhsa_exception_fp_ieee_invalid_op 0
		.amdhsa_exception_fp_denorm_src 0
		.amdhsa_exception_fp_ieee_div_zero 0
		.amdhsa_exception_fp_ieee_overflow 0
		.amdhsa_exception_fp_ieee_underflow 0
		.amdhsa_exception_fp_ieee_inexact 0
		.amdhsa_exception_int_div_zero 0
	.end_amdhsa_kernel
	.section	.text._ZN7rocprim17ROCPRIM_400000_NS6detail17trampoline_kernelINS0_14default_configENS1_33run_length_encode_config_selectorIijNS0_4plusIjEEEEZZNS1_33reduce_by_key_impl_wrapped_configILNS1_25lookback_scan_determinismE0ES3_S7_PKiNS0_17constant_iteratorIjlEEPiPlSF_S6_NS0_8equal_toIiEEEE10hipError_tPvRmT2_T3_mT4_T5_T6_T7_T8_P12ihipStream_tbENKUlT_T0_E_clISt17integral_constantIbLb1EESZ_EEDaSU_SV_EUlSU_E_NS1_11comp_targetILNS1_3genE5ELNS1_11target_archE942ELNS1_3gpuE9ELNS1_3repE0EEENS1_30default_config_static_selectorELNS0_4arch9wavefront6targetE1EEEvT1_,"axG",@progbits,_ZN7rocprim17ROCPRIM_400000_NS6detail17trampoline_kernelINS0_14default_configENS1_33run_length_encode_config_selectorIijNS0_4plusIjEEEEZZNS1_33reduce_by_key_impl_wrapped_configILNS1_25lookback_scan_determinismE0ES3_S7_PKiNS0_17constant_iteratorIjlEEPiPlSF_S6_NS0_8equal_toIiEEEE10hipError_tPvRmT2_T3_mT4_T5_T6_T7_T8_P12ihipStream_tbENKUlT_T0_E_clISt17integral_constantIbLb1EESZ_EEDaSU_SV_EUlSU_E_NS1_11comp_targetILNS1_3genE5ELNS1_11target_archE942ELNS1_3gpuE9ELNS1_3repE0EEENS1_30default_config_static_selectorELNS0_4arch9wavefront6targetE1EEEvT1_,comdat
.Lfunc_end452:
	.size	_ZN7rocprim17ROCPRIM_400000_NS6detail17trampoline_kernelINS0_14default_configENS1_33run_length_encode_config_selectorIijNS0_4plusIjEEEEZZNS1_33reduce_by_key_impl_wrapped_configILNS1_25lookback_scan_determinismE0ES3_S7_PKiNS0_17constant_iteratorIjlEEPiPlSF_S6_NS0_8equal_toIiEEEE10hipError_tPvRmT2_T3_mT4_T5_T6_T7_T8_P12ihipStream_tbENKUlT_T0_E_clISt17integral_constantIbLb1EESZ_EEDaSU_SV_EUlSU_E_NS1_11comp_targetILNS1_3genE5ELNS1_11target_archE942ELNS1_3gpuE9ELNS1_3repE0EEENS1_30default_config_static_selectorELNS0_4arch9wavefront6targetE1EEEvT1_, .Lfunc_end452-_ZN7rocprim17ROCPRIM_400000_NS6detail17trampoline_kernelINS0_14default_configENS1_33run_length_encode_config_selectorIijNS0_4plusIjEEEEZZNS1_33reduce_by_key_impl_wrapped_configILNS1_25lookback_scan_determinismE0ES3_S7_PKiNS0_17constant_iteratorIjlEEPiPlSF_S6_NS0_8equal_toIiEEEE10hipError_tPvRmT2_T3_mT4_T5_T6_T7_T8_P12ihipStream_tbENKUlT_T0_E_clISt17integral_constantIbLb1EESZ_EEDaSU_SV_EUlSU_E_NS1_11comp_targetILNS1_3genE5ELNS1_11target_archE942ELNS1_3gpuE9ELNS1_3repE0EEENS1_30default_config_static_selectorELNS0_4arch9wavefront6targetE1EEEvT1_
                                        ; -- End function
	.section	.AMDGPU.csdata,"",@progbits
; Kernel info:
; codeLenInByte = 14968
; NumSgprs: 72
; NumVgprs: 104
; NumAgprs: 0
; TotalNumVgprs: 104
; ScratchSize: 0
; MemoryBound: 0
; FloatMode: 240
; IeeeMode: 1
; LDSByteSize: 30720 bytes/workgroup (compile time only)
; SGPRBlocks: 8
; VGPRBlocks: 12
; NumSGPRsForWavesPerEU: 72
; NumVGPRsForWavesPerEU: 104
; AccumOffset: 104
; Occupancy: 4
; WaveLimiterHint : 1
; COMPUTE_PGM_RSRC2:SCRATCH_EN: 0
; COMPUTE_PGM_RSRC2:USER_SGPR: 2
; COMPUTE_PGM_RSRC2:TRAP_HANDLER: 0
; COMPUTE_PGM_RSRC2:TGID_X_EN: 1
; COMPUTE_PGM_RSRC2:TGID_Y_EN: 0
; COMPUTE_PGM_RSRC2:TGID_Z_EN: 0
; COMPUTE_PGM_RSRC2:TIDIG_COMP_CNT: 0
; COMPUTE_PGM_RSRC3_GFX90A:ACCUM_OFFSET: 25
; COMPUTE_PGM_RSRC3_GFX90A:TG_SPLIT: 0
	.section	.text._ZN7rocprim17ROCPRIM_400000_NS6detail17trampoline_kernelINS0_14default_configENS1_33run_length_encode_config_selectorIijNS0_4plusIjEEEEZZNS1_33reduce_by_key_impl_wrapped_configILNS1_25lookback_scan_determinismE0ES3_S7_PKiNS0_17constant_iteratorIjlEEPiPlSF_S6_NS0_8equal_toIiEEEE10hipError_tPvRmT2_T3_mT4_T5_T6_T7_T8_P12ihipStream_tbENKUlT_T0_E_clISt17integral_constantIbLb1EESZ_EEDaSU_SV_EUlSU_E_NS1_11comp_targetILNS1_3genE4ELNS1_11target_archE910ELNS1_3gpuE8ELNS1_3repE0EEENS1_30default_config_static_selectorELNS0_4arch9wavefront6targetE1EEEvT1_,"axG",@progbits,_ZN7rocprim17ROCPRIM_400000_NS6detail17trampoline_kernelINS0_14default_configENS1_33run_length_encode_config_selectorIijNS0_4plusIjEEEEZZNS1_33reduce_by_key_impl_wrapped_configILNS1_25lookback_scan_determinismE0ES3_S7_PKiNS0_17constant_iteratorIjlEEPiPlSF_S6_NS0_8equal_toIiEEEE10hipError_tPvRmT2_T3_mT4_T5_T6_T7_T8_P12ihipStream_tbENKUlT_T0_E_clISt17integral_constantIbLb1EESZ_EEDaSU_SV_EUlSU_E_NS1_11comp_targetILNS1_3genE4ELNS1_11target_archE910ELNS1_3gpuE8ELNS1_3repE0EEENS1_30default_config_static_selectorELNS0_4arch9wavefront6targetE1EEEvT1_,comdat
	.protected	_ZN7rocprim17ROCPRIM_400000_NS6detail17trampoline_kernelINS0_14default_configENS1_33run_length_encode_config_selectorIijNS0_4plusIjEEEEZZNS1_33reduce_by_key_impl_wrapped_configILNS1_25lookback_scan_determinismE0ES3_S7_PKiNS0_17constant_iteratorIjlEEPiPlSF_S6_NS0_8equal_toIiEEEE10hipError_tPvRmT2_T3_mT4_T5_T6_T7_T8_P12ihipStream_tbENKUlT_T0_E_clISt17integral_constantIbLb1EESZ_EEDaSU_SV_EUlSU_E_NS1_11comp_targetILNS1_3genE4ELNS1_11target_archE910ELNS1_3gpuE8ELNS1_3repE0EEENS1_30default_config_static_selectorELNS0_4arch9wavefront6targetE1EEEvT1_ ; -- Begin function _ZN7rocprim17ROCPRIM_400000_NS6detail17trampoline_kernelINS0_14default_configENS1_33run_length_encode_config_selectorIijNS0_4plusIjEEEEZZNS1_33reduce_by_key_impl_wrapped_configILNS1_25lookback_scan_determinismE0ES3_S7_PKiNS0_17constant_iteratorIjlEEPiPlSF_S6_NS0_8equal_toIiEEEE10hipError_tPvRmT2_T3_mT4_T5_T6_T7_T8_P12ihipStream_tbENKUlT_T0_E_clISt17integral_constantIbLb1EESZ_EEDaSU_SV_EUlSU_E_NS1_11comp_targetILNS1_3genE4ELNS1_11target_archE910ELNS1_3gpuE8ELNS1_3repE0EEENS1_30default_config_static_selectorELNS0_4arch9wavefront6targetE1EEEvT1_
	.globl	_ZN7rocprim17ROCPRIM_400000_NS6detail17trampoline_kernelINS0_14default_configENS1_33run_length_encode_config_selectorIijNS0_4plusIjEEEEZZNS1_33reduce_by_key_impl_wrapped_configILNS1_25lookback_scan_determinismE0ES3_S7_PKiNS0_17constant_iteratorIjlEEPiPlSF_S6_NS0_8equal_toIiEEEE10hipError_tPvRmT2_T3_mT4_T5_T6_T7_T8_P12ihipStream_tbENKUlT_T0_E_clISt17integral_constantIbLb1EESZ_EEDaSU_SV_EUlSU_E_NS1_11comp_targetILNS1_3genE4ELNS1_11target_archE910ELNS1_3gpuE8ELNS1_3repE0EEENS1_30default_config_static_selectorELNS0_4arch9wavefront6targetE1EEEvT1_
	.p2align	8
	.type	_ZN7rocprim17ROCPRIM_400000_NS6detail17trampoline_kernelINS0_14default_configENS1_33run_length_encode_config_selectorIijNS0_4plusIjEEEEZZNS1_33reduce_by_key_impl_wrapped_configILNS1_25lookback_scan_determinismE0ES3_S7_PKiNS0_17constant_iteratorIjlEEPiPlSF_S6_NS0_8equal_toIiEEEE10hipError_tPvRmT2_T3_mT4_T5_T6_T7_T8_P12ihipStream_tbENKUlT_T0_E_clISt17integral_constantIbLb1EESZ_EEDaSU_SV_EUlSU_E_NS1_11comp_targetILNS1_3genE4ELNS1_11target_archE910ELNS1_3gpuE8ELNS1_3repE0EEENS1_30default_config_static_selectorELNS0_4arch9wavefront6targetE1EEEvT1_,@function
_ZN7rocprim17ROCPRIM_400000_NS6detail17trampoline_kernelINS0_14default_configENS1_33run_length_encode_config_selectorIijNS0_4plusIjEEEEZZNS1_33reduce_by_key_impl_wrapped_configILNS1_25lookback_scan_determinismE0ES3_S7_PKiNS0_17constant_iteratorIjlEEPiPlSF_S6_NS0_8equal_toIiEEEE10hipError_tPvRmT2_T3_mT4_T5_T6_T7_T8_P12ihipStream_tbENKUlT_T0_E_clISt17integral_constantIbLb1EESZ_EEDaSU_SV_EUlSU_E_NS1_11comp_targetILNS1_3genE4ELNS1_11target_archE910ELNS1_3gpuE8ELNS1_3repE0EEENS1_30default_config_static_selectorELNS0_4arch9wavefront6targetE1EEEvT1_: ; @_ZN7rocprim17ROCPRIM_400000_NS6detail17trampoline_kernelINS0_14default_configENS1_33run_length_encode_config_selectorIijNS0_4plusIjEEEEZZNS1_33reduce_by_key_impl_wrapped_configILNS1_25lookback_scan_determinismE0ES3_S7_PKiNS0_17constant_iteratorIjlEEPiPlSF_S6_NS0_8equal_toIiEEEE10hipError_tPvRmT2_T3_mT4_T5_T6_T7_T8_P12ihipStream_tbENKUlT_T0_E_clISt17integral_constantIbLb1EESZ_EEDaSU_SV_EUlSU_E_NS1_11comp_targetILNS1_3genE4ELNS1_11target_archE910ELNS1_3gpuE8ELNS1_3repE0EEENS1_30default_config_static_selectorELNS0_4arch9wavefront6targetE1EEEvT1_
; %bb.0:
	.section	.rodata,"a",@progbits
	.p2align	6, 0x0
	.amdhsa_kernel _ZN7rocprim17ROCPRIM_400000_NS6detail17trampoline_kernelINS0_14default_configENS1_33run_length_encode_config_selectorIijNS0_4plusIjEEEEZZNS1_33reduce_by_key_impl_wrapped_configILNS1_25lookback_scan_determinismE0ES3_S7_PKiNS0_17constant_iteratorIjlEEPiPlSF_S6_NS0_8equal_toIiEEEE10hipError_tPvRmT2_T3_mT4_T5_T6_T7_T8_P12ihipStream_tbENKUlT_T0_E_clISt17integral_constantIbLb1EESZ_EEDaSU_SV_EUlSU_E_NS1_11comp_targetILNS1_3genE4ELNS1_11target_archE910ELNS1_3gpuE8ELNS1_3repE0EEENS1_30default_config_static_selectorELNS0_4arch9wavefront6targetE1EEEvT1_
		.amdhsa_group_segment_fixed_size 0
		.amdhsa_private_segment_fixed_size 0
		.amdhsa_kernarg_size 128
		.amdhsa_user_sgpr_count 2
		.amdhsa_user_sgpr_dispatch_ptr 0
		.amdhsa_user_sgpr_queue_ptr 0
		.amdhsa_user_sgpr_kernarg_segment_ptr 1
		.amdhsa_user_sgpr_dispatch_id 0
		.amdhsa_user_sgpr_kernarg_preload_length 0
		.amdhsa_user_sgpr_kernarg_preload_offset 0
		.amdhsa_user_sgpr_private_segment_size 0
		.amdhsa_uses_dynamic_stack 0
		.amdhsa_enable_private_segment 0
		.amdhsa_system_sgpr_workgroup_id_x 1
		.amdhsa_system_sgpr_workgroup_id_y 0
		.amdhsa_system_sgpr_workgroup_id_z 0
		.amdhsa_system_sgpr_workgroup_info 0
		.amdhsa_system_vgpr_workitem_id 0
		.amdhsa_next_free_vgpr 1
		.amdhsa_next_free_sgpr 0
		.amdhsa_accum_offset 4
		.amdhsa_reserve_vcc 0
		.amdhsa_float_round_mode_32 0
		.amdhsa_float_round_mode_16_64 0
		.amdhsa_float_denorm_mode_32 3
		.amdhsa_float_denorm_mode_16_64 3
		.amdhsa_dx10_clamp 1
		.amdhsa_ieee_mode 1
		.amdhsa_fp16_overflow 0
		.amdhsa_tg_split 0
		.amdhsa_exception_fp_ieee_invalid_op 0
		.amdhsa_exception_fp_denorm_src 0
		.amdhsa_exception_fp_ieee_div_zero 0
		.amdhsa_exception_fp_ieee_overflow 0
		.amdhsa_exception_fp_ieee_underflow 0
		.amdhsa_exception_fp_ieee_inexact 0
		.amdhsa_exception_int_div_zero 0
	.end_amdhsa_kernel
	.section	.text._ZN7rocprim17ROCPRIM_400000_NS6detail17trampoline_kernelINS0_14default_configENS1_33run_length_encode_config_selectorIijNS0_4plusIjEEEEZZNS1_33reduce_by_key_impl_wrapped_configILNS1_25lookback_scan_determinismE0ES3_S7_PKiNS0_17constant_iteratorIjlEEPiPlSF_S6_NS0_8equal_toIiEEEE10hipError_tPvRmT2_T3_mT4_T5_T6_T7_T8_P12ihipStream_tbENKUlT_T0_E_clISt17integral_constantIbLb1EESZ_EEDaSU_SV_EUlSU_E_NS1_11comp_targetILNS1_3genE4ELNS1_11target_archE910ELNS1_3gpuE8ELNS1_3repE0EEENS1_30default_config_static_selectorELNS0_4arch9wavefront6targetE1EEEvT1_,"axG",@progbits,_ZN7rocprim17ROCPRIM_400000_NS6detail17trampoline_kernelINS0_14default_configENS1_33run_length_encode_config_selectorIijNS0_4plusIjEEEEZZNS1_33reduce_by_key_impl_wrapped_configILNS1_25lookback_scan_determinismE0ES3_S7_PKiNS0_17constant_iteratorIjlEEPiPlSF_S6_NS0_8equal_toIiEEEE10hipError_tPvRmT2_T3_mT4_T5_T6_T7_T8_P12ihipStream_tbENKUlT_T0_E_clISt17integral_constantIbLb1EESZ_EEDaSU_SV_EUlSU_E_NS1_11comp_targetILNS1_3genE4ELNS1_11target_archE910ELNS1_3gpuE8ELNS1_3repE0EEENS1_30default_config_static_selectorELNS0_4arch9wavefront6targetE1EEEvT1_,comdat
.Lfunc_end453:
	.size	_ZN7rocprim17ROCPRIM_400000_NS6detail17trampoline_kernelINS0_14default_configENS1_33run_length_encode_config_selectorIijNS0_4plusIjEEEEZZNS1_33reduce_by_key_impl_wrapped_configILNS1_25lookback_scan_determinismE0ES3_S7_PKiNS0_17constant_iteratorIjlEEPiPlSF_S6_NS0_8equal_toIiEEEE10hipError_tPvRmT2_T3_mT4_T5_T6_T7_T8_P12ihipStream_tbENKUlT_T0_E_clISt17integral_constantIbLb1EESZ_EEDaSU_SV_EUlSU_E_NS1_11comp_targetILNS1_3genE4ELNS1_11target_archE910ELNS1_3gpuE8ELNS1_3repE0EEENS1_30default_config_static_selectorELNS0_4arch9wavefront6targetE1EEEvT1_, .Lfunc_end453-_ZN7rocprim17ROCPRIM_400000_NS6detail17trampoline_kernelINS0_14default_configENS1_33run_length_encode_config_selectorIijNS0_4plusIjEEEEZZNS1_33reduce_by_key_impl_wrapped_configILNS1_25lookback_scan_determinismE0ES3_S7_PKiNS0_17constant_iteratorIjlEEPiPlSF_S6_NS0_8equal_toIiEEEE10hipError_tPvRmT2_T3_mT4_T5_T6_T7_T8_P12ihipStream_tbENKUlT_T0_E_clISt17integral_constantIbLb1EESZ_EEDaSU_SV_EUlSU_E_NS1_11comp_targetILNS1_3genE4ELNS1_11target_archE910ELNS1_3gpuE8ELNS1_3repE0EEENS1_30default_config_static_selectorELNS0_4arch9wavefront6targetE1EEEvT1_
                                        ; -- End function
	.section	.AMDGPU.csdata,"",@progbits
; Kernel info:
; codeLenInByte = 0
; NumSgprs: 6
; NumVgprs: 0
; NumAgprs: 0
; TotalNumVgprs: 0
; ScratchSize: 0
; MemoryBound: 0
; FloatMode: 240
; IeeeMode: 1
; LDSByteSize: 0 bytes/workgroup (compile time only)
; SGPRBlocks: 0
; VGPRBlocks: 0
; NumSGPRsForWavesPerEU: 6
; NumVGPRsForWavesPerEU: 1
; AccumOffset: 4
; Occupancy: 8
; WaveLimiterHint : 0
; COMPUTE_PGM_RSRC2:SCRATCH_EN: 0
; COMPUTE_PGM_RSRC2:USER_SGPR: 2
; COMPUTE_PGM_RSRC2:TRAP_HANDLER: 0
; COMPUTE_PGM_RSRC2:TGID_X_EN: 1
; COMPUTE_PGM_RSRC2:TGID_Y_EN: 0
; COMPUTE_PGM_RSRC2:TGID_Z_EN: 0
; COMPUTE_PGM_RSRC2:TIDIG_COMP_CNT: 0
; COMPUTE_PGM_RSRC3_GFX90A:ACCUM_OFFSET: 0
; COMPUTE_PGM_RSRC3_GFX90A:TG_SPLIT: 0
	.section	.text._ZN7rocprim17ROCPRIM_400000_NS6detail17trampoline_kernelINS0_14default_configENS1_33run_length_encode_config_selectorIijNS0_4plusIjEEEEZZNS1_33reduce_by_key_impl_wrapped_configILNS1_25lookback_scan_determinismE0ES3_S7_PKiNS0_17constant_iteratorIjlEEPiPlSF_S6_NS0_8equal_toIiEEEE10hipError_tPvRmT2_T3_mT4_T5_T6_T7_T8_P12ihipStream_tbENKUlT_T0_E_clISt17integral_constantIbLb1EESZ_EEDaSU_SV_EUlSU_E_NS1_11comp_targetILNS1_3genE3ELNS1_11target_archE908ELNS1_3gpuE7ELNS1_3repE0EEENS1_30default_config_static_selectorELNS0_4arch9wavefront6targetE1EEEvT1_,"axG",@progbits,_ZN7rocprim17ROCPRIM_400000_NS6detail17trampoline_kernelINS0_14default_configENS1_33run_length_encode_config_selectorIijNS0_4plusIjEEEEZZNS1_33reduce_by_key_impl_wrapped_configILNS1_25lookback_scan_determinismE0ES3_S7_PKiNS0_17constant_iteratorIjlEEPiPlSF_S6_NS0_8equal_toIiEEEE10hipError_tPvRmT2_T3_mT4_T5_T6_T7_T8_P12ihipStream_tbENKUlT_T0_E_clISt17integral_constantIbLb1EESZ_EEDaSU_SV_EUlSU_E_NS1_11comp_targetILNS1_3genE3ELNS1_11target_archE908ELNS1_3gpuE7ELNS1_3repE0EEENS1_30default_config_static_selectorELNS0_4arch9wavefront6targetE1EEEvT1_,comdat
	.protected	_ZN7rocprim17ROCPRIM_400000_NS6detail17trampoline_kernelINS0_14default_configENS1_33run_length_encode_config_selectorIijNS0_4plusIjEEEEZZNS1_33reduce_by_key_impl_wrapped_configILNS1_25lookback_scan_determinismE0ES3_S7_PKiNS0_17constant_iteratorIjlEEPiPlSF_S6_NS0_8equal_toIiEEEE10hipError_tPvRmT2_T3_mT4_T5_T6_T7_T8_P12ihipStream_tbENKUlT_T0_E_clISt17integral_constantIbLb1EESZ_EEDaSU_SV_EUlSU_E_NS1_11comp_targetILNS1_3genE3ELNS1_11target_archE908ELNS1_3gpuE7ELNS1_3repE0EEENS1_30default_config_static_selectorELNS0_4arch9wavefront6targetE1EEEvT1_ ; -- Begin function _ZN7rocprim17ROCPRIM_400000_NS6detail17trampoline_kernelINS0_14default_configENS1_33run_length_encode_config_selectorIijNS0_4plusIjEEEEZZNS1_33reduce_by_key_impl_wrapped_configILNS1_25lookback_scan_determinismE0ES3_S7_PKiNS0_17constant_iteratorIjlEEPiPlSF_S6_NS0_8equal_toIiEEEE10hipError_tPvRmT2_T3_mT4_T5_T6_T7_T8_P12ihipStream_tbENKUlT_T0_E_clISt17integral_constantIbLb1EESZ_EEDaSU_SV_EUlSU_E_NS1_11comp_targetILNS1_3genE3ELNS1_11target_archE908ELNS1_3gpuE7ELNS1_3repE0EEENS1_30default_config_static_selectorELNS0_4arch9wavefront6targetE1EEEvT1_
	.globl	_ZN7rocprim17ROCPRIM_400000_NS6detail17trampoline_kernelINS0_14default_configENS1_33run_length_encode_config_selectorIijNS0_4plusIjEEEEZZNS1_33reduce_by_key_impl_wrapped_configILNS1_25lookback_scan_determinismE0ES3_S7_PKiNS0_17constant_iteratorIjlEEPiPlSF_S6_NS0_8equal_toIiEEEE10hipError_tPvRmT2_T3_mT4_T5_T6_T7_T8_P12ihipStream_tbENKUlT_T0_E_clISt17integral_constantIbLb1EESZ_EEDaSU_SV_EUlSU_E_NS1_11comp_targetILNS1_3genE3ELNS1_11target_archE908ELNS1_3gpuE7ELNS1_3repE0EEENS1_30default_config_static_selectorELNS0_4arch9wavefront6targetE1EEEvT1_
	.p2align	8
	.type	_ZN7rocprim17ROCPRIM_400000_NS6detail17trampoline_kernelINS0_14default_configENS1_33run_length_encode_config_selectorIijNS0_4plusIjEEEEZZNS1_33reduce_by_key_impl_wrapped_configILNS1_25lookback_scan_determinismE0ES3_S7_PKiNS0_17constant_iteratorIjlEEPiPlSF_S6_NS0_8equal_toIiEEEE10hipError_tPvRmT2_T3_mT4_T5_T6_T7_T8_P12ihipStream_tbENKUlT_T0_E_clISt17integral_constantIbLb1EESZ_EEDaSU_SV_EUlSU_E_NS1_11comp_targetILNS1_3genE3ELNS1_11target_archE908ELNS1_3gpuE7ELNS1_3repE0EEENS1_30default_config_static_selectorELNS0_4arch9wavefront6targetE1EEEvT1_,@function
_ZN7rocprim17ROCPRIM_400000_NS6detail17trampoline_kernelINS0_14default_configENS1_33run_length_encode_config_selectorIijNS0_4plusIjEEEEZZNS1_33reduce_by_key_impl_wrapped_configILNS1_25lookback_scan_determinismE0ES3_S7_PKiNS0_17constant_iteratorIjlEEPiPlSF_S6_NS0_8equal_toIiEEEE10hipError_tPvRmT2_T3_mT4_T5_T6_T7_T8_P12ihipStream_tbENKUlT_T0_E_clISt17integral_constantIbLb1EESZ_EEDaSU_SV_EUlSU_E_NS1_11comp_targetILNS1_3genE3ELNS1_11target_archE908ELNS1_3gpuE7ELNS1_3repE0EEENS1_30default_config_static_selectorELNS0_4arch9wavefront6targetE1EEEvT1_: ; @_ZN7rocprim17ROCPRIM_400000_NS6detail17trampoline_kernelINS0_14default_configENS1_33run_length_encode_config_selectorIijNS0_4plusIjEEEEZZNS1_33reduce_by_key_impl_wrapped_configILNS1_25lookback_scan_determinismE0ES3_S7_PKiNS0_17constant_iteratorIjlEEPiPlSF_S6_NS0_8equal_toIiEEEE10hipError_tPvRmT2_T3_mT4_T5_T6_T7_T8_P12ihipStream_tbENKUlT_T0_E_clISt17integral_constantIbLb1EESZ_EEDaSU_SV_EUlSU_E_NS1_11comp_targetILNS1_3genE3ELNS1_11target_archE908ELNS1_3gpuE7ELNS1_3repE0EEENS1_30default_config_static_selectorELNS0_4arch9wavefront6targetE1EEEvT1_
; %bb.0:
	.section	.rodata,"a",@progbits
	.p2align	6, 0x0
	.amdhsa_kernel _ZN7rocprim17ROCPRIM_400000_NS6detail17trampoline_kernelINS0_14default_configENS1_33run_length_encode_config_selectorIijNS0_4plusIjEEEEZZNS1_33reduce_by_key_impl_wrapped_configILNS1_25lookback_scan_determinismE0ES3_S7_PKiNS0_17constant_iteratorIjlEEPiPlSF_S6_NS0_8equal_toIiEEEE10hipError_tPvRmT2_T3_mT4_T5_T6_T7_T8_P12ihipStream_tbENKUlT_T0_E_clISt17integral_constantIbLb1EESZ_EEDaSU_SV_EUlSU_E_NS1_11comp_targetILNS1_3genE3ELNS1_11target_archE908ELNS1_3gpuE7ELNS1_3repE0EEENS1_30default_config_static_selectorELNS0_4arch9wavefront6targetE1EEEvT1_
		.amdhsa_group_segment_fixed_size 0
		.amdhsa_private_segment_fixed_size 0
		.amdhsa_kernarg_size 128
		.amdhsa_user_sgpr_count 2
		.amdhsa_user_sgpr_dispatch_ptr 0
		.amdhsa_user_sgpr_queue_ptr 0
		.amdhsa_user_sgpr_kernarg_segment_ptr 1
		.amdhsa_user_sgpr_dispatch_id 0
		.amdhsa_user_sgpr_kernarg_preload_length 0
		.amdhsa_user_sgpr_kernarg_preload_offset 0
		.amdhsa_user_sgpr_private_segment_size 0
		.amdhsa_uses_dynamic_stack 0
		.amdhsa_enable_private_segment 0
		.amdhsa_system_sgpr_workgroup_id_x 1
		.amdhsa_system_sgpr_workgroup_id_y 0
		.amdhsa_system_sgpr_workgroup_id_z 0
		.amdhsa_system_sgpr_workgroup_info 0
		.amdhsa_system_vgpr_workitem_id 0
		.amdhsa_next_free_vgpr 1
		.amdhsa_next_free_sgpr 0
		.amdhsa_accum_offset 4
		.amdhsa_reserve_vcc 0
		.amdhsa_float_round_mode_32 0
		.amdhsa_float_round_mode_16_64 0
		.amdhsa_float_denorm_mode_32 3
		.amdhsa_float_denorm_mode_16_64 3
		.amdhsa_dx10_clamp 1
		.amdhsa_ieee_mode 1
		.amdhsa_fp16_overflow 0
		.amdhsa_tg_split 0
		.amdhsa_exception_fp_ieee_invalid_op 0
		.amdhsa_exception_fp_denorm_src 0
		.amdhsa_exception_fp_ieee_div_zero 0
		.amdhsa_exception_fp_ieee_overflow 0
		.amdhsa_exception_fp_ieee_underflow 0
		.amdhsa_exception_fp_ieee_inexact 0
		.amdhsa_exception_int_div_zero 0
	.end_amdhsa_kernel
	.section	.text._ZN7rocprim17ROCPRIM_400000_NS6detail17trampoline_kernelINS0_14default_configENS1_33run_length_encode_config_selectorIijNS0_4plusIjEEEEZZNS1_33reduce_by_key_impl_wrapped_configILNS1_25lookback_scan_determinismE0ES3_S7_PKiNS0_17constant_iteratorIjlEEPiPlSF_S6_NS0_8equal_toIiEEEE10hipError_tPvRmT2_T3_mT4_T5_T6_T7_T8_P12ihipStream_tbENKUlT_T0_E_clISt17integral_constantIbLb1EESZ_EEDaSU_SV_EUlSU_E_NS1_11comp_targetILNS1_3genE3ELNS1_11target_archE908ELNS1_3gpuE7ELNS1_3repE0EEENS1_30default_config_static_selectorELNS0_4arch9wavefront6targetE1EEEvT1_,"axG",@progbits,_ZN7rocprim17ROCPRIM_400000_NS6detail17trampoline_kernelINS0_14default_configENS1_33run_length_encode_config_selectorIijNS0_4plusIjEEEEZZNS1_33reduce_by_key_impl_wrapped_configILNS1_25lookback_scan_determinismE0ES3_S7_PKiNS0_17constant_iteratorIjlEEPiPlSF_S6_NS0_8equal_toIiEEEE10hipError_tPvRmT2_T3_mT4_T5_T6_T7_T8_P12ihipStream_tbENKUlT_T0_E_clISt17integral_constantIbLb1EESZ_EEDaSU_SV_EUlSU_E_NS1_11comp_targetILNS1_3genE3ELNS1_11target_archE908ELNS1_3gpuE7ELNS1_3repE0EEENS1_30default_config_static_selectorELNS0_4arch9wavefront6targetE1EEEvT1_,comdat
.Lfunc_end454:
	.size	_ZN7rocprim17ROCPRIM_400000_NS6detail17trampoline_kernelINS0_14default_configENS1_33run_length_encode_config_selectorIijNS0_4plusIjEEEEZZNS1_33reduce_by_key_impl_wrapped_configILNS1_25lookback_scan_determinismE0ES3_S7_PKiNS0_17constant_iteratorIjlEEPiPlSF_S6_NS0_8equal_toIiEEEE10hipError_tPvRmT2_T3_mT4_T5_T6_T7_T8_P12ihipStream_tbENKUlT_T0_E_clISt17integral_constantIbLb1EESZ_EEDaSU_SV_EUlSU_E_NS1_11comp_targetILNS1_3genE3ELNS1_11target_archE908ELNS1_3gpuE7ELNS1_3repE0EEENS1_30default_config_static_selectorELNS0_4arch9wavefront6targetE1EEEvT1_, .Lfunc_end454-_ZN7rocprim17ROCPRIM_400000_NS6detail17trampoline_kernelINS0_14default_configENS1_33run_length_encode_config_selectorIijNS0_4plusIjEEEEZZNS1_33reduce_by_key_impl_wrapped_configILNS1_25lookback_scan_determinismE0ES3_S7_PKiNS0_17constant_iteratorIjlEEPiPlSF_S6_NS0_8equal_toIiEEEE10hipError_tPvRmT2_T3_mT4_T5_T6_T7_T8_P12ihipStream_tbENKUlT_T0_E_clISt17integral_constantIbLb1EESZ_EEDaSU_SV_EUlSU_E_NS1_11comp_targetILNS1_3genE3ELNS1_11target_archE908ELNS1_3gpuE7ELNS1_3repE0EEENS1_30default_config_static_selectorELNS0_4arch9wavefront6targetE1EEEvT1_
                                        ; -- End function
	.section	.AMDGPU.csdata,"",@progbits
; Kernel info:
; codeLenInByte = 0
; NumSgprs: 6
; NumVgprs: 0
; NumAgprs: 0
; TotalNumVgprs: 0
; ScratchSize: 0
; MemoryBound: 0
; FloatMode: 240
; IeeeMode: 1
; LDSByteSize: 0 bytes/workgroup (compile time only)
; SGPRBlocks: 0
; VGPRBlocks: 0
; NumSGPRsForWavesPerEU: 6
; NumVGPRsForWavesPerEU: 1
; AccumOffset: 4
; Occupancy: 8
; WaveLimiterHint : 0
; COMPUTE_PGM_RSRC2:SCRATCH_EN: 0
; COMPUTE_PGM_RSRC2:USER_SGPR: 2
; COMPUTE_PGM_RSRC2:TRAP_HANDLER: 0
; COMPUTE_PGM_RSRC2:TGID_X_EN: 1
; COMPUTE_PGM_RSRC2:TGID_Y_EN: 0
; COMPUTE_PGM_RSRC2:TGID_Z_EN: 0
; COMPUTE_PGM_RSRC2:TIDIG_COMP_CNT: 0
; COMPUTE_PGM_RSRC3_GFX90A:ACCUM_OFFSET: 0
; COMPUTE_PGM_RSRC3_GFX90A:TG_SPLIT: 0
	.section	.text._ZN7rocprim17ROCPRIM_400000_NS6detail17trampoline_kernelINS0_14default_configENS1_33run_length_encode_config_selectorIijNS0_4plusIjEEEEZZNS1_33reduce_by_key_impl_wrapped_configILNS1_25lookback_scan_determinismE0ES3_S7_PKiNS0_17constant_iteratorIjlEEPiPlSF_S6_NS0_8equal_toIiEEEE10hipError_tPvRmT2_T3_mT4_T5_T6_T7_T8_P12ihipStream_tbENKUlT_T0_E_clISt17integral_constantIbLb1EESZ_EEDaSU_SV_EUlSU_E_NS1_11comp_targetILNS1_3genE2ELNS1_11target_archE906ELNS1_3gpuE6ELNS1_3repE0EEENS1_30default_config_static_selectorELNS0_4arch9wavefront6targetE1EEEvT1_,"axG",@progbits,_ZN7rocprim17ROCPRIM_400000_NS6detail17trampoline_kernelINS0_14default_configENS1_33run_length_encode_config_selectorIijNS0_4plusIjEEEEZZNS1_33reduce_by_key_impl_wrapped_configILNS1_25lookback_scan_determinismE0ES3_S7_PKiNS0_17constant_iteratorIjlEEPiPlSF_S6_NS0_8equal_toIiEEEE10hipError_tPvRmT2_T3_mT4_T5_T6_T7_T8_P12ihipStream_tbENKUlT_T0_E_clISt17integral_constantIbLb1EESZ_EEDaSU_SV_EUlSU_E_NS1_11comp_targetILNS1_3genE2ELNS1_11target_archE906ELNS1_3gpuE6ELNS1_3repE0EEENS1_30default_config_static_selectorELNS0_4arch9wavefront6targetE1EEEvT1_,comdat
	.protected	_ZN7rocprim17ROCPRIM_400000_NS6detail17trampoline_kernelINS0_14default_configENS1_33run_length_encode_config_selectorIijNS0_4plusIjEEEEZZNS1_33reduce_by_key_impl_wrapped_configILNS1_25lookback_scan_determinismE0ES3_S7_PKiNS0_17constant_iteratorIjlEEPiPlSF_S6_NS0_8equal_toIiEEEE10hipError_tPvRmT2_T3_mT4_T5_T6_T7_T8_P12ihipStream_tbENKUlT_T0_E_clISt17integral_constantIbLb1EESZ_EEDaSU_SV_EUlSU_E_NS1_11comp_targetILNS1_3genE2ELNS1_11target_archE906ELNS1_3gpuE6ELNS1_3repE0EEENS1_30default_config_static_selectorELNS0_4arch9wavefront6targetE1EEEvT1_ ; -- Begin function _ZN7rocprim17ROCPRIM_400000_NS6detail17trampoline_kernelINS0_14default_configENS1_33run_length_encode_config_selectorIijNS0_4plusIjEEEEZZNS1_33reduce_by_key_impl_wrapped_configILNS1_25lookback_scan_determinismE0ES3_S7_PKiNS0_17constant_iteratorIjlEEPiPlSF_S6_NS0_8equal_toIiEEEE10hipError_tPvRmT2_T3_mT4_T5_T6_T7_T8_P12ihipStream_tbENKUlT_T0_E_clISt17integral_constantIbLb1EESZ_EEDaSU_SV_EUlSU_E_NS1_11comp_targetILNS1_3genE2ELNS1_11target_archE906ELNS1_3gpuE6ELNS1_3repE0EEENS1_30default_config_static_selectorELNS0_4arch9wavefront6targetE1EEEvT1_
	.globl	_ZN7rocprim17ROCPRIM_400000_NS6detail17trampoline_kernelINS0_14default_configENS1_33run_length_encode_config_selectorIijNS0_4plusIjEEEEZZNS1_33reduce_by_key_impl_wrapped_configILNS1_25lookback_scan_determinismE0ES3_S7_PKiNS0_17constant_iteratorIjlEEPiPlSF_S6_NS0_8equal_toIiEEEE10hipError_tPvRmT2_T3_mT4_T5_T6_T7_T8_P12ihipStream_tbENKUlT_T0_E_clISt17integral_constantIbLb1EESZ_EEDaSU_SV_EUlSU_E_NS1_11comp_targetILNS1_3genE2ELNS1_11target_archE906ELNS1_3gpuE6ELNS1_3repE0EEENS1_30default_config_static_selectorELNS0_4arch9wavefront6targetE1EEEvT1_
	.p2align	8
	.type	_ZN7rocprim17ROCPRIM_400000_NS6detail17trampoline_kernelINS0_14default_configENS1_33run_length_encode_config_selectorIijNS0_4plusIjEEEEZZNS1_33reduce_by_key_impl_wrapped_configILNS1_25lookback_scan_determinismE0ES3_S7_PKiNS0_17constant_iteratorIjlEEPiPlSF_S6_NS0_8equal_toIiEEEE10hipError_tPvRmT2_T3_mT4_T5_T6_T7_T8_P12ihipStream_tbENKUlT_T0_E_clISt17integral_constantIbLb1EESZ_EEDaSU_SV_EUlSU_E_NS1_11comp_targetILNS1_3genE2ELNS1_11target_archE906ELNS1_3gpuE6ELNS1_3repE0EEENS1_30default_config_static_selectorELNS0_4arch9wavefront6targetE1EEEvT1_,@function
_ZN7rocprim17ROCPRIM_400000_NS6detail17trampoline_kernelINS0_14default_configENS1_33run_length_encode_config_selectorIijNS0_4plusIjEEEEZZNS1_33reduce_by_key_impl_wrapped_configILNS1_25lookback_scan_determinismE0ES3_S7_PKiNS0_17constant_iteratorIjlEEPiPlSF_S6_NS0_8equal_toIiEEEE10hipError_tPvRmT2_T3_mT4_T5_T6_T7_T8_P12ihipStream_tbENKUlT_T0_E_clISt17integral_constantIbLb1EESZ_EEDaSU_SV_EUlSU_E_NS1_11comp_targetILNS1_3genE2ELNS1_11target_archE906ELNS1_3gpuE6ELNS1_3repE0EEENS1_30default_config_static_selectorELNS0_4arch9wavefront6targetE1EEEvT1_: ; @_ZN7rocprim17ROCPRIM_400000_NS6detail17trampoline_kernelINS0_14default_configENS1_33run_length_encode_config_selectorIijNS0_4plusIjEEEEZZNS1_33reduce_by_key_impl_wrapped_configILNS1_25lookback_scan_determinismE0ES3_S7_PKiNS0_17constant_iteratorIjlEEPiPlSF_S6_NS0_8equal_toIiEEEE10hipError_tPvRmT2_T3_mT4_T5_T6_T7_T8_P12ihipStream_tbENKUlT_T0_E_clISt17integral_constantIbLb1EESZ_EEDaSU_SV_EUlSU_E_NS1_11comp_targetILNS1_3genE2ELNS1_11target_archE906ELNS1_3gpuE6ELNS1_3repE0EEENS1_30default_config_static_selectorELNS0_4arch9wavefront6targetE1EEEvT1_
; %bb.0:
	.section	.rodata,"a",@progbits
	.p2align	6, 0x0
	.amdhsa_kernel _ZN7rocprim17ROCPRIM_400000_NS6detail17trampoline_kernelINS0_14default_configENS1_33run_length_encode_config_selectorIijNS0_4plusIjEEEEZZNS1_33reduce_by_key_impl_wrapped_configILNS1_25lookback_scan_determinismE0ES3_S7_PKiNS0_17constant_iteratorIjlEEPiPlSF_S6_NS0_8equal_toIiEEEE10hipError_tPvRmT2_T3_mT4_T5_T6_T7_T8_P12ihipStream_tbENKUlT_T0_E_clISt17integral_constantIbLb1EESZ_EEDaSU_SV_EUlSU_E_NS1_11comp_targetILNS1_3genE2ELNS1_11target_archE906ELNS1_3gpuE6ELNS1_3repE0EEENS1_30default_config_static_selectorELNS0_4arch9wavefront6targetE1EEEvT1_
		.amdhsa_group_segment_fixed_size 0
		.amdhsa_private_segment_fixed_size 0
		.amdhsa_kernarg_size 128
		.amdhsa_user_sgpr_count 2
		.amdhsa_user_sgpr_dispatch_ptr 0
		.amdhsa_user_sgpr_queue_ptr 0
		.amdhsa_user_sgpr_kernarg_segment_ptr 1
		.amdhsa_user_sgpr_dispatch_id 0
		.amdhsa_user_sgpr_kernarg_preload_length 0
		.amdhsa_user_sgpr_kernarg_preload_offset 0
		.amdhsa_user_sgpr_private_segment_size 0
		.amdhsa_uses_dynamic_stack 0
		.amdhsa_enable_private_segment 0
		.amdhsa_system_sgpr_workgroup_id_x 1
		.amdhsa_system_sgpr_workgroup_id_y 0
		.amdhsa_system_sgpr_workgroup_id_z 0
		.amdhsa_system_sgpr_workgroup_info 0
		.amdhsa_system_vgpr_workitem_id 0
		.amdhsa_next_free_vgpr 1
		.amdhsa_next_free_sgpr 0
		.amdhsa_accum_offset 4
		.amdhsa_reserve_vcc 0
		.amdhsa_float_round_mode_32 0
		.amdhsa_float_round_mode_16_64 0
		.amdhsa_float_denorm_mode_32 3
		.amdhsa_float_denorm_mode_16_64 3
		.amdhsa_dx10_clamp 1
		.amdhsa_ieee_mode 1
		.amdhsa_fp16_overflow 0
		.amdhsa_tg_split 0
		.amdhsa_exception_fp_ieee_invalid_op 0
		.amdhsa_exception_fp_denorm_src 0
		.amdhsa_exception_fp_ieee_div_zero 0
		.amdhsa_exception_fp_ieee_overflow 0
		.amdhsa_exception_fp_ieee_underflow 0
		.amdhsa_exception_fp_ieee_inexact 0
		.amdhsa_exception_int_div_zero 0
	.end_amdhsa_kernel
	.section	.text._ZN7rocprim17ROCPRIM_400000_NS6detail17trampoline_kernelINS0_14default_configENS1_33run_length_encode_config_selectorIijNS0_4plusIjEEEEZZNS1_33reduce_by_key_impl_wrapped_configILNS1_25lookback_scan_determinismE0ES3_S7_PKiNS0_17constant_iteratorIjlEEPiPlSF_S6_NS0_8equal_toIiEEEE10hipError_tPvRmT2_T3_mT4_T5_T6_T7_T8_P12ihipStream_tbENKUlT_T0_E_clISt17integral_constantIbLb1EESZ_EEDaSU_SV_EUlSU_E_NS1_11comp_targetILNS1_3genE2ELNS1_11target_archE906ELNS1_3gpuE6ELNS1_3repE0EEENS1_30default_config_static_selectorELNS0_4arch9wavefront6targetE1EEEvT1_,"axG",@progbits,_ZN7rocprim17ROCPRIM_400000_NS6detail17trampoline_kernelINS0_14default_configENS1_33run_length_encode_config_selectorIijNS0_4plusIjEEEEZZNS1_33reduce_by_key_impl_wrapped_configILNS1_25lookback_scan_determinismE0ES3_S7_PKiNS0_17constant_iteratorIjlEEPiPlSF_S6_NS0_8equal_toIiEEEE10hipError_tPvRmT2_T3_mT4_T5_T6_T7_T8_P12ihipStream_tbENKUlT_T0_E_clISt17integral_constantIbLb1EESZ_EEDaSU_SV_EUlSU_E_NS1_11comp_targetILNS1_3genE2ELNS1_11target_archE906ELNS1_3gpuE6ELNS1_3repE0EEENS1_30default_config_static_selectorELNS0_4arch9wavefront6targetE1EEEvT1_,comdat
.Lfunc_end455:
	.size	_ZN7rocprim17ROCPRIM_400000_NS6detail17trampoline_kernelINS0_14default_configENS1_33run_length_encode_config_selectorIijNS0_4plusIjEEEEZZNS1_33reduce_by_key_impl_wrapped_configILNS1_25lookback_scan_determinismE0ES3_S7_PKiNS0_17constant_iteratorIjlEEPiPlSF_S6_NS0_8equal_toIiEEEE10hipError_tPvRmT2_T3_mT4_T5_T6_T7_T8_P12ihipStream_tbENKUlT_T0_E_clISt17integral_constantIbLb1EESZ_EEDaSU_SV_EUlSU_E_NS1_11comp_targetILNS1_3genE2ELNS1_11target_archE906ELNS1_3gpuE6ELNS1_3repE0EEENS1_30default_config_static_selectorELNS0_4arch9wavefront6targetE1EEEvT1_, .Lfunc_end455-_ZN7rocprim17ROCPRIM_400000_NS6detail17trampoline_kernelINS0_14default_configENS1_33run_length_encode_config_selectorIijNS0_4plusIjEEEEZZNS1_33reduce_by_key_impl_wrapped_configILNS1_25lookback_scan_determinismE0ES3_S7_PKiNS0_17constant_iteratorIjlEEPiPlSF_S6_NS0_8equal_toIiEEEE10hipError_tPvRmT2_T3_mT4_T5_T6_T7_T8_P12ihipStream_tbENKUlT_T0_E_clISt17integral_constantIbLb1EESZ_EEDaSU_SV_EUlSU_E_NS1_11comp_targetILNS1_3genE2ELNS1_11target_archE906ELNS1_3gpuE6ELNS1_3repE0EEENS1_30default_config_static_selectorELNS0_4arch9wavefront6targetE1EEEvT1_
                                        ; -- End function
	.section	.AMDGPU.csdata,"",@progbits
; Kernel info:
; codeLenInByte = 0
; NumSgprs: 6
; NumVgprs: 0
; NumAgprs: 0
; TotalNumVgprs: 0
; ScratchSize: 0
; MemoryBound: 0
; FloatMode: 240
; IeeeMode: 1
; LDSByteSize: 0 bytes/workgroup (compile time only)
; SGPRBlocks: 0
; VGPRBlocks: 0
; NumSGPRsForWavesPerEU: 6
; NumVGPRsForWavesPerEU: 1
; AccumOffset: 4
; Occupancy: 8
; WaveLimiterHint : 0
; COMPUTE_PGM_RSRC2:SCRATCH_EN: 0
; COMPUTE_PGM_RSRC2:USER_SGPR: 2
; COMPUTE_PGM_RSRC2:TRAP_HANDLER: 0
; COMPUTE_PGM_RSRC2:TGID_X_EN: 1
; COMPUTE_PGM_RSRC2:TGID_Y_EN: 0
; COMPUTE_PGM_RSRC2:TGID_Z_EN: 0
; COMPUTE_PGM_RSRC2:TIDIG_COMP_CNT: 0
; COMPUTE_PGM_RSRC3_GFX90A:ACCUM_OFFSET: 0
; COMPUTE_PGM_RSRC3_GFX90A:TG_SPLIT: 0
	.section	.text._ZN7rocprim17ROCPRIM_400000_NS6detail17trampoline_kernelINS0_14default_configENS1_33run_length_encode_config_selectorIijNS0_4plusIjEEEEZZNS1_33reduce_by_key_impl_wrapped_configILNS1_25lookback_scan_determinismE0ES3_S7_PKiNS0_17constant_iteratorIjlEEPiPlSF_S6_NS0_8equal_toIiEEEE10hipError_tPvRmT2_T3_mT4_T5_T6_T7_T8_P12ihipStream_tbENKUlT_T0_E_clISt17integral_constantIbLb1EESZ_EEDaSU_SV_EUlSU_E_NS1_11comp_targetILNS1_3genE10ELNS1_11target_archE1201ELNS1_3gpuE5ELNS1_3repE0EEENS1_30default_config_static_selectorELNS0_4arch9wavefront6targetE1EEEvT1_,"axG",@progbits,_ZN7rocprim17ROCPRIM_400000_NS6detail17trampoline_kernelINS0_14default_configENS1_33run_length_encode_config_selectorIijNS0_4plusIjEEEEZZNS1_33reduce_by_key_impl_wrapped_configILNS1_25lookback_scan_determinismE0ES3_S7_PKiNS0_17constant_iteratorIjlEEPiPlSF_S6_NS0_8equal_toIiEEEE10hipError_tPvRmT2_T3_mT4_T5_T6_T7_T8_P12ihipStream_tbENKUlT_T0_E_clISt17integral_constantIbLb1EESZ_EEDaSU_SV_EUlSU_E_NS1_11comp_targetILNS1_3genE10ELNS1_11target_archE1201ELNS1_3gpuE5ELNS1_3repE0EEENS1_30default_config_static_selectorELNS0_4arch9wavefront6targetE1EEEvT1_,comdat
	.protected	_ZN7rocprim17ROCPRIM_400000_NS6detail17trampoline_kernelINS0_14default_configENS1_33run_length_encode_config_selectorIijNS0_4plusIjEEEEZZNS1_33reduce_by_key_impl_wrapped_configILNS1_25lookback_scan_determinismE0ES3_S7_PKiNS0_17constant_iteratorIjlEEPiPlSF_S6_NS0_8equal_toIiEEEE10hipError_tPvRmT2_T3_mT4_T5_T6_T7_T8_P12ihipStream_tbENKUlT_T0_E_clISt17integral_constantIbLb1EESZ_EEDaSU_SV_EUlSU_E_NS1_11comp_targetILNS1_3genE10ELNS1_11target_archE1201ELNS1_3gpuE5ELNS1_3repE0EEENS1_30default_config_static_selectorELNS0_4arch9wavefront6targetE1EEEvT1_ ; -- Begin function _ZN7rocprim17ROCPRIM_400000_NS6detail17trampoline_kernelINS0_14default_configENS1_33run_length_encode_config_selectorIijNS0_4plusIjEEEEZZNS1_33reduce_by_key_impl_wrapped_configILNS1_25lookback_scan_determinismE0ES3_S7_PKiNS0_17constant_iteratorIjlEEPiPlSF_S6_NS0_8equal_toIiEEEE10hipError_tPvRmT2_T3_mT4_T5_T6_T7_T8_P12ihipStream_tbENKUlT_T0_E_clISt17integral_constantIbLb1EESZ_EEDaSU_SV_EUlSU_E_NS1_11comp_targetILNS1_3genE10ELNS1_11target_archE1201ELNS1_3gpuE5ELNS1_3repE0EEENS1_30default_config_static_selectorELNS0_4arch9wavefront6targetE1EEEvT1_
	.globl	_ZN7rocprim17ROCPRIM_400000_NS6detail17trampoline_kernelINS0_14default_configENS1_33run_length_encode_config_selectorIijNS0_4plusIjEEEEZZNS1_33reduce_by_key_impl_wrapped_configILNS1_25lookback_scan_determinismE0ES3_S7_PKiNS0_17constant_iteratorIjlEEPiPlSF_S6_NS0_8equal_toIiEEEE10hipError_tPvRmT2_T3_mT4_T5_T6_T7_T8_P12ihipStream_tbENKUlT_T0_E_clISt17integral_constantIbLb1EESZ_EEDaSU_SV_EUlSU_E_NS1_11comp_targetILNS1_3genE10ELNS1_11target_archE1201ELNS1_3gpuE5ELNS1_3repE0EEENS1_30default_config_static_selectorELNS0_4arch9wavefront6targetE1EEEvT1_
	.p2align	8
	.type	_ZN7rocprim17ROCPRIM_400000_NS6detail17trampoline_kernelINS0_14default_configENS1_33run_length_encode_config_selectorIijNS0_4plusIjEEEEZZNS1_33reduce_by_key_impl_wrapped_configILNS1_25lookback_scan_determinismE0ES3_S7_PKiNS0_17constant_iteratorIjlEEPiPlSF_S6_NS0_8equal_toIiEEEE10hipError_tPvRmT2_T3_mT4_T5_T6_T7_T8_P12ihipStream_tbENKUlT_T0_E_clISt17integral_constantIbLb1EESZ_EEDaSU_SV_EUlSU_E_NS1_11comp_targetILNS1_3genE10ELNS1_11target_archE1201ELNS1_3gpuE5ELNS1_3repE0EEENS1_30default_config_static_selectorELNS0_4arch9wavefront6targetE1EEEvT1_,@function
_ZN7rocprim17ROCPRIM_400000_NS6detail17trampoline_kernelINS0_14default_configENS1_33run_length_encode_config_selectorIijNS0_4plusIjEEEEZZNS1_33reduce_by_key_impl_wrapped_configILNS1_25lookback_scan_determinismE0ES3_S7_PKiNS0_17constant_iteratorIjlEEPiPlSF_S6_NS0_8equal_toIiEEEE10hipError_tPvRmT2_T3_mT4_T5_T6_T7_T8_P12ihipStream_tbENKUlT_T0_E_clISt17integral_constantIbLb1EESZ_EEDaSU_SV_EUlSU_E_NS1_11comp_targetILNS1_3genE10ELNS1_11target_archE1201ELNS1_3gpuE5ELNS1_3repE0EEENS1_30default_config_static_selectorELNS0_4arch9wavefront6targetE1EEEvT1_: ; @_ZN7rocprim17ROCPRIM_400000_NS6detail17trampoline_kernelINS0_14default_configENS1_33run_length_encode_config_selectorIijNS0_4plusIjEEEEZZNS1_33reduce_by_key_impl_wrapped_configILNS1_25lookback_scan_determinismE0ES3_S7_PKiNS0_17constant_iteratorIjlEEPiPlSF_S6_NS0_8equal_toIiEEEE10hipError_tPvRmT2_T3_mT4_T5_T6_T7_T8_P12ihipStream_tbENKUlT_T0_E_clISt17integral_constantIbLb1EESZ_EEDaSU_SV_EUlSU_E_NS1_11comp_targetILNS1_3genE10ELNS1_11target_archE1201ELNS1_3gpuE5ELNS1_3repE0EEENS1_30default_config_static_selectorELNS0_4arch9wavefront6targetE1EEEvT1_
; %bb.0:
	.section	.rodata,"a",@progbits
	.p2align	6, 0x0
	.amdhsa_kernel _ZN7rocprim17ROCPRIM_400000_NS6detail17trampoline_kernelINS0_14default_configENS1_33run_length_encode_config_selectorIijNS0_4plusIjEEEEZZNS1_33reduce_by_key_impl_wrapped_configILNS1_25lookback_scan_determinismE0ES3_S7_PKiNS0_17constant_iteratorIjlEEPiPlSF_S6_NS0_8equal_toIiEEEE10hipError_tPvRmT2_T3_mT4_T5_T6_T7_T8_P12ihipStream_tbENKUlT_T0_E_clISt17integral_constantIbLb1EESZ_EEDaSU_SV_EUlSU_E_NS1_11comp_targetILNS1_3genE10ELNS1_11target_archE1201ELNS1_3gpuE5ELNS1_3repE0EEENS1_30default_config_static_selectorELNS0_4arch9wavefront6targetE1EEEvT1_
		.amdhsa_group_segment_fixed_size 0
		.amdhsa_private_segment_fixed_size 0
		.amdhsa_kernarg_size 128
		.amdhsa_user_sgpr_count 2
		.amdhsa_user_sgpr_dispatch_ptr 0
		.amdhsa_user_sgpr_queue_ptr 0
		.amdhsa_user_sgpr_kernarg_segment_ptr 1
		.amdhsa_user_sgpr_dispatch_id 0
		.amdhsa_user_sgpr_kernarg_preload_length 0
		.amdhsa_user_sgpr_kernarg_preload_offset 0
		.amdhsa_user_sgpr_private_segment_size 0
		.amdhsa_uses_dynamic_stack 0
		.amdhsa_enable_private_segment 0
		.amdhsa_system_sgpr_workgroup_id_x 1
		.amdhsa_system_sgpr_workgroup_id_y 0
		.amdhsa_system_sgpr_workgroup_id_z 0
		.amdhsa_system_sgpr_workgroup_info 0
		.amdhsa_system_vgpr_workitem_id 0
		.amdhsa_next_free_vgpr 1
		.amdhsa_next_free_sgpr 0
		.amdhsa_accum_offset 4
		.amdhsa_reserve_vcc 0
		.amdhsa_float_round_mode_32 0
		.amdhsa_float_round_mode_16_64 0
		.amdhsa_float_denorm_mode_32 3
		.amdhsa_float_denorm_mode_16_64 3
		.amdhsa_dx10_clamp 1
		.amdhsa_ieee_mode 1
		.amdhsa_fp16_overflow 0
		.amdhsa_tg_split 0
		.amdhsa_exception_fp_ieee_invalid_op 0
		.amdhsa_exception_fp_denorm_src 0
		.amdhsa_exception_fp_ieee_div_zero 0
		.amdhsa_exception_fp_ieee_overflow 0
		.amdhsa_exception_fp_ieee_underflow 0
		.amdhsa_exception_fp_ieee_inexact 0
		.amdhsa_exception_int_div_zero 0
	.end_amdhsa_kernel
	.section	.text._ZN7rocprim17ROCPRIM_400000_NS6detail17trampoline_kernelINS0_14default_configENS1_33run_length_encode_config_selectorIijNS0_4plusIjEEEEZZNS1_33reduce_by_key_impl_wrapped_configILNS1_25lookback_scan_determinismE0ES3_S7_PKiNS0_17constant_iteratorIjlEEPiPlSF_S6_NS0_8equal_toIiEEEE10hipError_tPvRmT2_T3_mT4_T5_T6_T7_T8_P12ihipStream_tbENKUlT_T0_E_clISt17integral_constantIbLb1EESZ_EEDaSU_SV_EUlSU_E_NS1_11comp_targetILNS1_3genE10ELNS1_11target_archE1201ELNS1_3gpuE5ELNS1_3repE0EEENS1_30default_config_static_selectorELNS0_4arch9wavefront6targetE1EEEvT1_,"axG",@progbits,_ZN7rocprim17ROCPRIM_400000_NS6detail17trampoline_kernelINS0_14default_configENS1_33run_length_encode_config_selectorIijNS0_4plusIjEEEEZZNS1_33reduce_by_key_impl_wrapped_configILNS1_25lookback_scan_determinismE0ES3_S7_PKiNS0_17constant_iteratorIjlEEPiPlSF_S6_NS0_8equal_toIiEEEE10hipError_tPvRmT2_T3_mT4_T5_T6_T7_T8_P12ihipStream_tbENKUlT_T0_E_clISt17integral_constantIbLb1EESZ_EEDaSU_SV_EUlSU_E_NS1_11comp_targetILNS1_3genE10ELNS1_11target_archE1201ELNS1_3gpuE5ELNS1_3repE0EEENS1_30default_config_static_selectorELNS0_4arch9wavefront6targetE1EEEvT1_,comdat
.Lfunc_end456:
	.size	_ZN7rocprim17ROCPRIM_400000_NS6detail17trampoline_kernelINS0_14default_configENS1_33run_length_encode_config_selectorIijNS0_4plusIjEEEEZZNS1_33reduce_by_key_impl_wrapped_configILNS1_25lookback_scan_determinismE0ES3_S7_PKiNS0_17constant_iteratorIjlEEPiPlSF_S6_NS0_8equal_toIiEEEE10hipError_tPvRmT2_T3_mT4_T5_T6_T7_T8_P12ihipStream_tbENKUlT_T0_E_clISt17integral_constantIbLb1EESZ_EEDaSU_SV_EUlSU_E_NS1_11comp_targetILNS1_3genE10ELNS1_11target_archE1201ELNS1_3gpuE5ELNS1_3repE0EEENS1_30default_config_static_selectorELNS0_4arch9wavefront6targetE1EEEvT1_, .Lfunc_end456-_ZN7rocprim17ROCPRIM_400000_NS6detail17trampoline_kernelINS0_14default_configENS1_33run_length_encode_config_selectorIijNS0_4plusIjEEEEZZNS1_33reduce_by_key_impl_wrapped_configILNS1_25lookback_scan_determinismE0ES3_S7_PKiNS0_17constant_iteratorIjlEEPiPlSF_S6_NS0_8equal_toIiEEEE10hipError_tPvRmT2_T3_mT4_T5_T6_T7_T8_P12ihipStream_tbENKUlT_T0_E_clISt17integral_constantIbLb1EESZ_EEDaSU_SV_EUlSU_E_NS1_11comp_targetILNS1_3genE10ELNS1_11target_archE1201ELNS1_3gpuE5ELNS1_3repE0EEENS1_30default_config_static_selectorELNS0_4arch9wavefront6targetE1EEEvT1_
                                        ; -- End function
	.section	.AMDGPU.csdata,"",@progbits
; Kernel info:
; codeLenInByte = 0
; NumSgprs: 6
; NumVgprs: 0
; NumAgprs: 0
; TotalNumVgprs: 0
; ScratchSize: 0
; MemoryBound: 0
; FloatMode: 240
; IeeeMode: 1
; LDSByteSize: 0 bytes/workgroup (compile time only)
; SGPRBlocks: 0
; VGPRBlocks: 0
; NumSGPRsForWavesPerEU: 6
; NumVGPRsForWavesPerEU: 1
; AccumOffset: 4
; Occupancy: 8
; WaveLimiterHint : 0
; COMPUTE_PGM_RSRC2:SCRATCH_EN: 0
; COMPUTE_PGM_RSRC2:USER_SGPR: 2
; COMPUTE_PGM_RSRC2:TRAP_HANDLER: 0
; COMPUTE_PGM_RSRC2:TGID_X_EN: 1
; COMPUTE_PGM_RSRC2:TGID_Y_EN: 0
; COMPUTE_PGM_RSRC2:TGID_Z_EN: 0
; COMPUTE_PGM_RSRC2:TIDIG_COMP_CNT: 0
; COMPUTE_PGM_RSRC3_GFX90A:ACCUM_OFFSET: 0
; COMPUTE_PGM_RSRC3_GFX90A:TG_SPLIT: 0
	.section	.text._ZN7rocprim17ROCPRIM_400000_NS6detail17trampoline_kernelINS0_14default_configENS1_33run_length_encode_config_selectorIijNS0_4plusIjEEEEZZNS1_33reduce_by_key_impl_wrapped_configILNS1_25lookback_scan_determinismE0ES3_S7_PKiNS0_17constant_iteratorIjlEEPiPlSF_S6_NS0_8equal_toIiEEEE10hipError_tPvRmT2_T3_mT4_T5_T6_T7_T8_P12ihipStream_tbENKUlT_T0_E_clISt17integral_constantIbLb1EESZ_EEDaSU_SV_EUlSU_E_NS1_11comp_targetILNS1_3genE10ELNS1_11target_archE1200ELNS1_3gpuE4ELNS1_3repE0EEENS1_30default_config_static_selectorELNS0_4arch9wavefront6targetE1EEEvT1_,"axG",@progbits,_ZN7rocprim17ROCPRIM_400000_NS6detail17trampoline_kernelINS0_14default_configENS1_33run_length_encode_config_selectorIijNS0_4plusIjEEEEZZNS1_33reduce_by_key_impl_wrapped_configILNS1_25lookback_scan_determinismE0ES3_S7_PKiNS0_17constant_iteratorIjlEEPiPlSF_S6_NS0_8equal_toIiEEEE10hipError_tPvRmT2_T3_mT4_T5_T6_T7_T8_P12ihipStream_tbENKUlT_T0_E_clISt17integral_constantIbLb1EESZ_EEDaSU_SV_EUlSU_E_NS1_11comp_targetILNS1_3genE10ELNS1_11target_archE1200ELNS1_3gpuE4ELNS1_3repE0EEENS1_30default_config_static_selectorELNS0_4arch9wavefront6targetE1EEEvT1_,comdat
	.protected	_ZN7rocprim17ROCPRIM_400000_NS6detail17trampoline_kernelINS0_14default_configENS1_33run_length_encode_config_selectorIijNS0_4plusIjEEEEZZNS1_33reduce_by_key_impl_wrapped_configILNS1_25lookback_scan_determinismE0ES3_S7_PKiNS0_17constant_iteratorIjlEEPiPlSF_S6_NS0_8equal_toIiEEEE10hipError_tPvRmT2_T3_mT4_T5_T6_T7_T8_P12ihipStream_tbENKUlT_T0_E_clISt17integral_constantIbLb1EESZ_EEDaSU_SV_EUlSU_E_NS1_11comp_targetILNS1_3genE10ELNS1_11target_archE1200ELNS1_3gpuE4ELNS1_3repE0EEENS1_30default_config_static_selectorELNS0_4arch9wavefront6targetE1EEEvT1_ ; -- Begin function _ZN7rocprim17ROCPRIM_400000_NS6detail17trampoline_kernelINS0_14default_configENS1_33run_length_encode_config_selectorIijNS0_4plusIjEEEEZZNS1_33reduce_by_key_impl_wrapped_configILNS1_25lookback_scan_determinismE0ES3_S7_PKiNS0_17constant_iteratorIjlEEPiPlSF_S6_NS0_8equal_toIiEEEE10hipError_tPvRmT2_T3_mT4_T5_T6_T7_T8_P12ihipStream_tbENKUlT_T0_E_clISt17integral_constantIbLb1EESZ_EEDaSU_SV_EUlSU_E_NS1_11comp_targetILNS1_3genE10ELNS1_11target_archE1200ELNS1_3gpuE4ELNS1_3repE0EEENS1_30default_config_static_selectorELNS0_4arch9wavefront6targetE1EEEvT1_
	.globl	_ZN7rocprim17ROCPRIM_400000_NS6detail17trampoline_kernelINS0_14default_configENS1_33run_length_encode_config_selectorIijNS0_4plusIjEEEEZZNS1_33reduce_by_key_impl_wrapped_configILNS1_25lookback_scan_determinismE0ES3_S7_PKiNS0_17constant_iteratorIjlEEPiPlSF_S6_NS0_8equal_toIiEEEE10hipError_tPvRmT2_T3_mT4_T5_T6_T7_T8_P12ihipStream_tbENKUlT_T0_E_clISt17integral_constantIbLb1EESZ_EEDaSU_SV_EUlSU_E_NS1_11comp_targetILNS1_3genE10ELNS1_11target_archE1200ELNS1_3gpuE4ELNS1_3repE0EEENS1_30default_config_static_selectorELNS0_4arch9wavefront6targetE1EEEvT1_
	.p2align	8
	.type	_ZN7rocprim17ROCPRIM_400000_NS6detail17trampoline_kernelINS0_14default_configENS1_33run_length_encode_config_selectorIijNS0_4plusIjEEEEZZNS1_33reduce_by_key_impl_wrapped_configILNS1_25lookback_scan_determinismE0ES3_S7_PKiNS0_17constant_iteratorIjlEEPiPlSF_S6_NS0_8equal_toIiEEEE10hipError_tPvRmT2_T3_mT4_T5_T6_T7_T8_P12ihipStream_tbENKUlT_T0_E_clISt17integral_constantIbLb1EESZ_EEDaSU_SV_EUlSU_E_NS1_11comp_targetILNS1_3genE10ELNS1_11target_archE1200ELNS1_3gpuE4ELNS1_3repE0EEENS1_30default_config_static_selectorELNS0_4arch9wavefront6targetE1EEEvT1_,@function
_ZN7rocprim17ROCPRIM_400000_NS6detail17trampoline_kernelINS0_14default_configENS1_33run_length_encode_config_selectorIijNS0_4plusIjEEEEZZNS1_33reduce_by_key_impl_wrapped_configILNS1_25lookback_scan_determinismE0ES3_S7_PKiNS0_17constant_iteratorIjlEEPiPlSF_S6_NS0_8equal_toIiEEEE10hipError_tPvRmT2_T3_mT4_T5_T6_T7_T8_P12ihipStream_tbENKUlT_T0_E_clISt17integral_constantIbLb1EESZ_EEDaSU_SV_EUlSU_E_NS1_11comp_targetILNS1_3genE10ELNS1_11target_archE1200ELNS1_3gpuE4ELNS1_3repE0EEENS1_30default_config_static_selectorELNS0_4arch9wavefront6targetE1EEEvT1_: ; @_ZN7rocprim17ROCPRIM_400000_NS6detail17trampoline_kernelINS0_14default_configENS1_33run_length_encode_config_selectorIijNS0_4plusIjEEEEZZNS1_33reduce_by_key_impl_wrapped_configILNS1_25lookback_scan_determinismE0ES3_S7_PKiNS0_17constant_iteratorIjlEEPiPlSF_S6_NS0_8equal_toIiEEEE10hipError_tPvRmT2_T3_mT4_T5_T6_T7_T8_P12ihipStream_tbENKUlT_T0_E_clISt17integral_constantIbLb1EESZ_EEDaSU_SV_EUlSU_E_NS1_11comp_targetILNS1_3genE10ELNS1_11target_archE1200ELNS1_3gpuE4ELNS1_3repE0EEENS1_30default_config_static_selectorELNS0_4arch9wavefront6targetE1EEEvT1_
; %bb.0:
	.section	.rodata,"a",@progbits
	.p2align	6, 0x0
	.amdhsa_kernel _ZN7rocprim17ROCPRIM_400000_NS6detail17trampoline_kernelINS0_14default_configENS1_33run_length_encode_config_selectorIijNS0_4plusIjEEEEZZNS1_33reduce_by_key_impl_wrapped_configILNS1_25lookback_scan_determinismE0ES3_S7_PKiNS0_17constant_iteratorIjlEEPiPlSF_S6_NS0_8equal_toIiEEEE10hipError_tPvRmT2_T3_mT4_T5_T6_T7_T8_P12ihipStream_tbENKUlT_T0_E_clISt17integral_constantIbLb1EESZ_EEDaSU_SV_EUlSU_E_NS1_11comp_targetILNS1_3genE10ELNS1_11target_archE1200ELNS1_3gpuE4ELNS1_3repE0EEENS1_30default_config_static_selectorELNS0_4arch9wavefront6targetE1EEEvT1_
		.amdhsa_group_segment_fixed_size 0
		.amdhsa_private_segment_fixed_size 0
		.amdhsa_kernarg_size 128
		.amdhsa_user_sgpr_count 2
		.amdhsa_user_sgpr_dispatch_ptr 0
		.amdhsa_user_sgpr_queue_ptr 0
		.amdhsa_user_sgpr_kernarg_segment_ptr 1
		.amdhsa_user_sgpr_dispatch_id 0
		.amdhsa_user_sgpr_kernarg_preload_length 0
		.amdhsa_user_sgpr_kernarg_preload_offset 0
		.amdhsa_user_sgpr_private_segment_size 0
		.amdhsa_uses_dynamic_stack 0
		.amdhsa_enable_private_segment 0
		.amdhsa_system_sgpr_workgroup_id_x 1
		.amdhsa_system_sgpr_workgroup_id_y 0
		.amdhsa_system_sgpr_workgroup_id_z 0
		.amdhsa_system_sgpr_workgroup_info 0
		.amdhsa_system_vgpr_workitem_id 0
		.amdhsa_next_free_vgpr 1
		.amdhsa_next_free_sgpr 0
		.amdhsa_accum_offset 4
		.amdhsa_reserve_vcc 0
		.amdhsa_float_round_mode_32 0
		.amdhsa_float_round_mode_16_64 0
		.amdhsa_float_denorm_mode_32 3
		.amdhsa_float_denorm_mode_16_64 3
		.amdhsa_dx10_clamp 1
		.amdhsa_ieee_mode 1
		.amdhsa_fp16_overflow 0
		.amdhsa_tg_split 0
		.amdhsa_exception_fp_ieee_invalid_op 0
		.amdhsa_exception_fp_denorm_src 0
		.amdhsa_exception_fp_ieee_div_zero 0
		.amdhsa_exception_fp_ieee_overflow 0
		.amdhsa_exception_fp_ieee_underflow 0
		.amdhsa_exception_fp_ieee_inexact 0
		.amdhsa_exception_int_div_zero 0
	.end_amdhsa_kernel
	.section	.text._ZN7rocprim17ROCPRIM_400000_NS6detail17trampoline_kernelINS0_14default_configENS1_33run_length_encode_config_selectorIijNS0_4plusIjEEEEZZNS1_33reduce_by_key_impl_wrapped_configILNS1_25lookback_scan_determinismE0ES3_S7_PKiNS0_17constant_iteratorIjlEEPiPlSF_S6_NS0_8equal_toIiEEEE10hipError_tPvRmT2_T3_mT4_T5_T6_T7_T8_P12ihipStream_tbENKUlT_T0_E_clISt17integral_constantIbLb1EESZ_EEDaSU_SV_EUlSU_E_NS1_11comp_targetILNS1_3genE10ELNS1_11target_archE1200ELNS1_3gpuE4ELNS1_3repE0EEENS1_30default_config_static_selectorELNS0_4arch9wavefront6targetE1EEEvT1_,"axG",@progbits,_ZN7rocprim17ROCPRIM_400000_NS6detail17trampoline_kernelINS0_14default_configENS1_33run_length_encode_config_selectorIijNS0_4plusIjEEEEZZNS1_33reduce_by_key_impl_wrapped_configILNS1_25lookback_scan_determinismE0ES3_S7_PKiNS0_17constant_iteratorIjlEEPiPlSF_S6_NS0_8equal_toIiEEEE10hipError_tPvRmT2_T3_mT4_T5_T6_T7_T8_P12ihipStream_tbENKUlT_T0_E_clISt17integral_constantIbLb1EESZ_EEDaSU_SV_EUlSU_E_NS1_11comp_targetILNS1_3genE10ELNS1_11target_archE1200ELNS1_3gpuE4ELNS1_3repE0EEENS1_30default_config_static_selectorELNS0_4arch9wavefront6targetE1EEEvT1_,comdat
.Lfunc_end457:
	.size	_ZN7rocprim17ROCPRIM_400000_NS6detail17trampoline_kernelINS0_14default_configENS1_33run_length_encode_config_selectorIijNS0_4plusIjEEEEZZNS1_33reduce_by_key_impl_wrapped_configILNS1_25lookback_scan_determinismE0ES3_S7_PKiNS0_17constant_iteratorIjlEEPiPlSF_S6_NS0_8equal_toIiEEEE10hipError_tPvRmT2_T3_mT4_T5_T6_T7_T8_P12ihipStream_tbENKUlT_T0_E_clISt17integral_constantIbLb1EESZ_EEDaSU_SV_EUlSU_E_NS1_11comp_targetILNS1_3genE10ELNS1_11target_archE1200ELNS1_3gpuE4ELNS1_3repE0EEENS1_30default_config_static_selectorELNS0_4arch9wavefront6targetE1EEEvT1_, .Lfunc_end457-_ZN7rocprim17ROCPRIM_400000_NS6detail17trampoline_kernelINS0_14default_configENS1_33run_length_encode_config_selectorIijNS0_4plusIjEEEEZZNS1_33reduce_by_key_impl_wrapped_configILNS1_25lookback_scan_determinismE0ES3_S7_PKiNS0_17constant_iteratorIjlEEPiPlSF_S6_NS0_8equal_toIiEEEE10hipError_tPvRmT2_T3_mT4_T5_T6_T7_T8_P12ihipStream_tbENKUlT_T0_E_clISt17integral_constantIbLb1EESZ_EEDaSU_SV_EUlSU_E_NS1_11comp_targetILNS1_3genE10ELNS1_11target_archE1200ELNS1_3gpuE4ELNS1_3repE0EEENS1_30default_config_static_selectorELNS0_4arch9wavefront6targetE1EEEvT1_
                                        ; -- End function
	.section	.AMDGPU.csdata,"",@progbits
; Kernel info:
; codeLenInByte = 0
; NumSgprs: 6
; NumVgprs: 0
; NumAgprs: 0
; TotalNumVgprs: 0
; ScratchSize: 0
; MemoryBound: 0
; FloatMode: 240
; IeeeMode: 1
; LDSByteSize: 0 bytes/workgroup (compile time only)
; SGPRBlocks: 0
; VGPRBlocks: 0
; NumSGPRsForWavesPerEU: 6
; NumVGPRsForWavesPerEU: 1
; AccumOffset: 4
; Occupancy: 8
; WaveLimiterHint : 0
; COMPUTE_PGM_RSRC2:SCRATCH_EN: 0
; COMPUTE_PGM_RSRC2:USER_SGPR: 2
; COMPUTE_PGM_RSRC2:TRAP_HANDLER: 0
; COMPUTE_PGM_RSRC2:TGID_X_EN: 1
; COMPUTE_PGM_RSRC2:TGID_Y_EN: 0
; COMPUTE_PGM_RSRC2:TGID_Z_EN: 0
; COMPUTE_PGM_RSRC2:TIDIG_COMP_CNT: 0
; COMPUTE_PGM_RSRC3_GFX90A:ACCUM_OFFSET: 0
; COMPUTE_PGM_RSRC3_GFX90A:TG_SPLIT: 0
	.section	.text._ZN7rocprim17ROCPRIM_400000_NS6detail17trampoline_kernelINS0_14default_configENS1_33run_length_encode_config_selectorIijNS0_4plusIjEEEEZZNS1_33reduce_by_key_impl_wrapped_configILNS1_25lookback_scan_determinismE0ES3_S7_PKiNS0_17constant_iteratorIjlEEPiPlSF_S6_NS0_8equal_toIiEEEE10hipError_tPvRmT2_T3_mT4_T5_T6_T7_T8_P12ihipStream_tbENKUlT_T0_E_clISt17integral_constantIbLb1EESZ_EEDaSU_SV_EUlSU_E_NS1_11comp_targetILNS1_3genE9ELNS1_11target_archE1100ELNS1_3gpuE3ELNS1_3repE0EEENS1_30default_config_static_selectorELNS0_4arch9wavefront6targetE1EEEvT1_,"axG",@progbits,_ZN7rocprim17ROCPRIM_400000_NS6detail17trampoline_kernelINS0_14default_configENS1_33run_length_encode_config_selectorIijNS0_4plusIjEEEEZZNS1_33reduce_by_key_impl_wrapped_configILNS1_25lookback_scan_determinismE0ES3_S7_PKiNS0_17constant_iteratorIjlEEPiPlSF_S6_NS0_8equal_toIiEEEE10hipError_tPvRmT2_T3_mT4_T5_T6_T7_T8_P12ihipStream_tbENKUlT_T0_E_clISt17integral_constantIbLb1EESZ_EEDaSU_SV_EUlSU_E_NS1_11comp_targetILNS1_3genE9ELNS1_11target_archE1100ELNS1_3gpuE3ELNS1_3repE0EEENS1_30default_config_static_selectorELNS0_4arch9wavefront6targetE1EEEvT1_,comdat
	.protected	_ZN7rocprim17ROCPRIM_400000_NS6detail17trampoline_kernelINS0_14default_configENS1_33run_length_encode_config_selectorIijNS0_4plusIjEEEEZZNS1_33reduce_by_key_impl_wrapped_configILNS1_25lookback_scan_determinismE0ES3_S7_PKiNS0_17constant_iteratorIjlEEPiPlSF_S6_NS0_8equal_toIiEEEE10hipError_tPvRmT2_T3_mT4_T5_T6_T7_T8_P12ihipStream_tbENKUlT_T0_E_clISt17integral_constantIbLb1EESZ_EEDaSU_SV_EUlSU_E_NS1_11comp_targetILNS1_3genE9ELNS1_11target_archE1100ELNS1_3gpuE3ELNS1_3repE0EEENS1_30default_config_static_selectorELNS0_4arch9wavefront6targetE1EEEvT1_ ; -- Begin function _ZN7rocprim17ROCPRIM_400000_NS6detail17trampoline_kernelINS0_14default_configENS1_33run_length_encode_config_selectorIijNS0_4plusIjEEEEZZNS1_33reduce_by_key_impl_wrapped_configILNS1_25lookback_scan_determinismE0ES3_S7_PKiNS0_17constant_iteratorIjlEEPiPlSF_S6_NS0_8equal_toIiEEEE10hipError_tPvRmT2_T3_mT4_T5_T6_T7_T8_P12ihipStream_tbENKUlT_T0_E_clISt17integral_constantIbLb1EESZ_EEDaSU_SV_EUlSU_E_NS1_11comp_targetILNS1_3genE9ELNS1_11target_archE1100ELNS1_3gpuE3ELNS1_3repE0EEENS1_30default_config_static_selectorELNS0_4arch9wavefront6targetE1EEEvT1_
	.globl	_ZN7rocprim17ROCPRIM_400000_NS6detail17trampoline_kernelINS0_14default_configENS1_33run_length_encode_config_selectorIijNS0_4plusIjEEEEZZNS1_33reduce_by_key_impl_wrapped_configILNS1_25lookback_scan_determinismE0ES3_S7_PKiNS0_17constant_iteratorIjlEEPiPlSF_S6_NS0_8equal_toIiEEEE10hipError_tPvRmT2_T3_mT4_T5_T6_T7_T8_P12ihipStream_tbENKUlT_T0_E_clISt17integral_constantIbLb1EESZ_EEDaSU_SV_EUlSU_E_NS1_11comp_targetILNS1_3genE9ELNS1_11target_archE1100ELNS1_3gpuE3ELNS1_3repE0EEENS1_30default_config_static_selectorELNS0_4arch9wavefront6targetE1EEEvT1_
	.p2align	8
	.type	_ZN7rocprim17ROCPRIM_400000_NS6detail17trampoline_kernelINS0_14default_configENS1_33run_length_encode_config_selectorIijNS0_4plusIjEEEEZZNS1_33reduce_by_key_impl_wrapped_configILNS1_25lookback_scan_determinismE0ES3_S7_PKiNS0_17constant_iteratorIjlEEPiPlSF_S6_NS0_8equal_toIiEEEE10hipError_tPvRmT2_T3_mT4_T5_T6_T7_T8_P12ihipStream_tbENKUlT_T0_E_clISt17integral_constantIbLb1EESZ_EEDaSU_SV_EUlSU_E_NS1_11comp_targetILNS1_3genE9ELNS1_11target_archE1100ELNS1_3gpuE3ELNS1_3repE0EEENS1_30default_config_static_selectorELNS0_4arch9wavefront6targetE1EEEvT1_,@function
_ZN7rocprim17ROCPRIM_400000_NS6detail17trampoline_kernelINS0_14default_configENS1_33run_length_encode_config_selectorIijNS0_4plusIjEEEEZZNS1_33reduce_by_key_impl_wrapped_configILNS1_25lookback_scan_determinismE0ES3_S7_PKiNS0_17constant_iteratorIjlEEPiPlSF_S6_NS0_8equal_toIiEEEE10hipError_tPvRmT2_T3_mT4_T5_T6_T7_T8_P12ihipStream_tbENKUlT_T0_E_clISt17integral_constantIbLb1EESZ_EEDaSU_SV_EUlSU_E_NS1_11comp_targetILNS1_3genE9ELNS1_11target_archE1100ELNS1_3gpuE3ELNS1_3repE0EEENS1_30default_config_static_selectorELNS0_4arch9wavefront6targetE1EEEvT1_: ; @_ZN7rocprim17ROCPRIM_400000_NS6detail17trampoline_kernelINS0_14default_configENS1_33run_length_encode_config_selectorIijNS0_4plusIjEEEEZZNS1_33reduce_by_key_impl_wrapped_configILNS1_25lookback_scan_determinismE0ES3_S7_PKiNS0_17constant_iteratorIjlEEPiPlSF_S6_NS0_8equal_toIiEEEE10hipError_tPvRmT2_T3_mT4_T5_T6_T7_T8_P12ihipStream_tbENKUlT_T0_E_clISt17integral_constantIbLb1EESZ_EEDaSU_SV_EUlSU_E_NS1_11comp_targetILNS1_3genE9ELNS1_11target_archE1100ELNS1_3gpuE3ELNS1_3repE0EEENS1_30default_config_static_selectorELNS0_4arch9wavefront6targetE1EEEvT1_
; %bb.0:
	.section	.rodata,"a",@progbits
	.p2align	6, 0x0
	.amdhsa_kernel _ZN7rocprim17ROCPRIM_400000_NS6detail17trampoline_kernelINS0_14default_configENS1_33run_length_encode_config_selectorIijNS0_4plusIjEEEEZZNS1_33reduce_by_key_impl_wrapped_configILNS1_25lookback_scan_determinismE0ES3_S7_PKiNS0_17constant_iteratorIjlEEPiPlSF_S6_NS0_8equal_toIiEEEE10hipError_tPvRmT2_T3_mT4_T5_T6_T7_T8_P12ihipStream_tbENKUlT_T0_E_clISt17integral_constantIbLb1EESZ_EEDaSU_SV_EUlSU_E_NS1_11comp_targetILNS1_3genE9ELNS1_11target_archE1100ELNS1_3gpuE3ELNS1_3repE0EEENS1_30default_config_static_selectorELNS0_4arch9wavefront6targetE1EEEvT1_
		.amdhsa_group_segment_fixed_size 0
		.amdhsa_private_segment_fixed_size 0
		.amdhsa_kernarg_size 128
		.amdhsa_user_sgpr_count 2
		.amdhsa_user_sgpr_dispatch_ptr 0
		.amdhsa_user_sgpr_queue_ptr 0
		.amdhsa_user_sgpr_kernarg_segment_ptr 1
		.amdhsa_user_sgpr_dispatch_id 0
		.amdhsa_user_sgpr_kernarg_preload_length 0
		.amdhsa_user_sgpr_kernarg_preload_offset 0
		.amdhsa_user_sgpr_private_segment_size 0
		.amdhsa_uses_dynamic_stack 0
		.amdhsa_enable_private_segment 0
		.amdhsa_system_sgpr_workgroup_id_x 1
		.amdhsa_system_sgpr_workgroup_id_y 0
		.amdhsa_system_sgpr_workgroup_id_z 0
		.amdhsa_system_sgpr_workgroup_info 0
		.amdhsa_system_vgpr_workitem_id 0
		.amdhsa_next_free_vgpr 1
		.amdhsa_next_free_sgpr 0
		.amdhsa_accum_offset 4
		.amdhsa_reserve_vcc 0
		.amdhsa_float_round_mode_32 0
		.amdhsa_float_round_mode_16_64 0
		.amdhsa_float_denorm_mode_32 3
		.amdhsa_float_denorm_mode_16_64 3
		.amdhsa_dx10_clamp 1
		.amdhsa_ieee_mode 1
		.amdhsa_fp16_overflow 0
		.amdhsa_tg_split 0
		.amdhsa_exception_fp_ieee_invalid_op 0
		.amdhsa_exception_fp_denorm_src 0
		.amdhsa_exception_fp_ieee_div_zero 0
		.amdhsa_exception_fp_ieee_overflow 0
		.amdhsa_exception_fp_ieee_underflow 0
		.amdhsa_exception_fp_ieee_inexact 0
		.amdhsa_exception_int_div_zero 0
	.end_amdhsa_kernel
	.section	.text._ZN7rocprim17ROCPRIM_400000_NS6detail17trampoline_kernelINS0_14default_configENS1_33run_length_encode_config_selectorIijNS0_4plusIjEEEEZZNS1_33reduce_by_key_impl_wrapped_configILNS1_25lookback_scan_determinismE0ES3_S7_PKiNS0_17constant_iteratorIjlEEPiPlSF_S6_NS0_8equal_toIiEEEE10hipError_tPvRmT2_T3_mT4_T5_T6_T7_T8_P12ihipStream_tbENKUlT_T0_E_clISt17integral_constantIbLb1EESZ_EEDaSU_SV_EUlSU_E_NS1_11comp_targetILNS1_3genE9ELNS1_11target_archE1100ELNS1_3gpuE3ELNS1_3repE0EEENS1_30default_config_static_selectorELNS0_4arch9wavefront6targetE1EEEvT1_,"axG",@progbits,_ZN7rocprim17ROCPRIM_400000_NS6detail17trampoline_kernelINS0_14default_configENS1_33run_length_encode_config_selectorIijNS0_4plusIjEEEEZZNS1_33reduce_by_key_impl_wrapped_configILNS1_25lookback_scan_determinismE0ES3_S7_PKiNS0_17constant_iteratorIjlEEPiPlSF_S6_NS0_8equal_toIiEEEE10hipError_tPvRmT2_T3_mT4_T5_T6_T7_T8_P12ihipStream_tbENKUlT_T0_E_clISt17integral_constantIbLb1EESZ_EEDaSU_SV_EUlSU_E_NS1_11comp_targetILNS1_3genE9ELNS1_11target_archE1100ELNS1_3gpuE3ELNS1_3repE0EEENS1_30default_config_static_selectorELNS0_4arch9wavefront6targetE1EEEvT1_,comdat
.Lfunc_end458:
	.size	_ZN7rocprim17ROCPRIM_400000_NS6detail17trampoline_kernelINS0_14default_configENS1_33run_length_encode_config_selectorIijNS0_4plusIjEEEEZZNS1_33reduce_by_key_impl_wrapped_configILNS1_25lookback_scan_determinismE0ES3_S7_PKiNS0_17constant_iteratorIjlEEPiPlSF_S6_NS0_8equal_toIiEEEE10hipError_tPvRmT2_T3_mT4_T5_T6_T7_T8_P12ihipStream_tbENKUlT_T0_E_clISt17integral_constantIbLb1EESZ_EEDaSU_SV_EUlSU_E_NS1_11comp_targetILNS1_3genE9ELNS1_11target_archE1100ELNS1_3gpuE3ELNS1_3repE0EEENS1_30default_config_static_selectorELNS0_4arch9wavefront6targetE1EEEvT1_, .Lfunc_end458-_ZN7rocprim17ROCPRIM_400000_NS6detail17trampoline_kernelINS0_14default_configENS1_33run_length_encode_config_selectorIijNS0_4plusIjEEEEZZNS1_33reduce_by_key_impl_wrapped_configILNS1_25lookback_scan_determinismE0ES3_S7_PKiNS0_17constant_iteratorIjlEEPiPlSF_S6_NS0_8equal_toIiEEEE10hipError_tPvRmT2_T3_mT4_T5_T6_T7_T8_P12ihipStream_tbENKUlT_T0_E_clISt17integral_constantIbLb1EESZ_EEDaSU_SV_EUlSU_E_NS1_11comp_targetILNS1_3genE9ELNS1_11target_archE1100ELNS1_3gpuE3ELNS1_3repE0EEENS1_30default_config_static_selectorELNS0_4arch9wavefront6targetE1EEEvT1_
                                        ; -- End function
	.section	.AMDGPU.csdata,"",@progbits
; Kernel info:
; codeLenInByte = 0
; NumSgprs: 6
; NumVgprs: 0
; NumAgprs: 0
; TotalNumVgprs: 0
; ScratchSize: 0
; MemoryBound: 0
; FloatMode: 240
; IeeeMode: 1
; LDSByteSize: 0 bytes/workgroup (compile time only)
; SGPRBlocks: 0
; VGPRBlocks: 0
; NumSGPRsForWavesPerEU: 6
; NumVGPRsForWavesPerEU: 1
; AccumOffset: 4
; Occupancy: 8
; WaveLimiterHint : 0
; COMPUTE_PGM_RSRC2:SCRATCH_EN: 0
; COMPUTE_PGM_RSRC2:USER_SGPR: 2
; COMPUTE_PGM_RSRC2:TRAP_HANDLER: 0
; COMPUTE_PGM_RSRC2:TGID_X_EN: 1
; COMPUTE_PGM_RSRC2:TGID_Y_EN: 0
; COMPUTE_PGM_RSRC2:TGID_Z_EN: 0
; COMPUTE_PGM_RSRC2:TIDIG_COMP_CNT: 0
; COMPUTE_PGM_RSRC3_GFX90A:ACCUM_OFFSET: 0
; COMPUTE_PGM_RSRC3_GFX90A:TG_SPLIT: 0
	.section	.text._ZN7rocprim17ROCPRIM_400000_NS6detail17trampoline_kernelINS0_14default_configENS1_33run_length_encode_config_selectorIijNS0_4plusIjEEEEZZNS1_33reduce_by_key_impl_wrapped_configILNS1_25lookback_scan_determinismE0ES3_S7_PKiNS0_17constant_iteratorIjlEEPiPlSF_S6_NS0_8equal_toIiEEEE10hipError_tPvRmT2_T3_mT4_T5_T6_T7_T8_P12ihipStream_tbENKUlT_T0_E_clISt17integral_constantIbLb1EESZ_EEDaSU_SV_EUlSU_E_NS1_11comp_targetILNS1_3genE8ELNS1_11target_archE1030ELNS1_3gpuE2ELNS1_3repE0EEENS1_30default_config_static_selectorELNS0_4arch9wavefront6targetE1EEEvT1_,"axG",@progbits,_ZN7rocprim17ROCPRIM_400000_NS6detail17trampoline_kernelINS0_14default_configENS1_33run_length_encode_config_selectorIijNS0_4plusIjEEEEZZNS1_33reduce_by_key_impl_wrapped_configILNS1_25lookback_scan_determinismE0ES3_S7_PKiNS0_17constant_iteratorIjlEEPiPlSF_S6_NS0_8equal_toIiEEEE10hipError_tPvRmT2_T3_mT4_T5_T6_T7_T8_P12ihipStream_tbENKUlT_T0_E_clISt17integral_constantIbLb1EESZ_EEDaSU_SV_EUlSU_E_NS1_11comp_targetILNS1_3genE8ELNS1_11target_archE1030ELNS1_3gpuE2ELNS1_3repE0EEENS1_30default_config_static_selectorELNS0_4arch9wavefront6targetE1EEEvT1_,comdat
	.protected	_ZN7rocprim17ROCPRIM_400000_NS6detail17trampoline_kernelINS0_14default_configENS1_33run_length_encode_config_selectorIijNS0_4plusIjEEEEZZNS1_33reduce_by_key_impl_wrapped_configILNS1_25lookback_scan_determinismE0ES3_S7_PKiNS0_17constant_iteratorIjlEEPiPlSF_S6_NS0_8equal_toIiEEEE10hipError_tPvRmT2_T3_mT4_T5_T6_T7_T8_P12ihipStream_tbENKUlT_T0_E_clISt17integral_constantIbLb1EESZ_EEDaSU_SV_EUlSU_E_NS1_11comp_targetILNS1_3genE8ELNS1_11target_archE1030ELNS1_3gpuE2ELNS1_3repE0EEENS1_30default_config_static_selectorELNS0_4arch9wavefront6targetE1EEEvT1_ ; -- Begin function _ZN7rocprim17ROCPRIM_400000_NS6detail17trampoline_kernelINS0_14default_configENS1_33run_length_encode_config_selectorIijNS0_4plusIjEEEEZZNS1_33reduce_by_key_impl_wrapped_configILNS1_25lookback_scan_determinismE0ES3_S7_PKiNS0_17constant_iteratorIjlEEPiPlSF_S6_NS0_8equal_toIiEEEE10hipError_tPvRmT2_T3_mT4_T5_T6_T7_T8_P12ihipStream_tbENKUlT_T0_E_clISt17integral_constantIbLb1EESZ_EEDaSU_SV_EUlSU_E_NS1_11comp_targetILNS1_3genE8ELNS1_11target_archE1030ELNS1_3gpuE2ELNS1_3repE0EEENS1_30default_config_static_selectorELNS0_4arch9wavefront6targetE1EEEvT1_
	.globl	_ZN7rocprim17ROCPRIM_400000_NS6detail17trampoline_kernelINS0_14default_configENS1_33run_length_encode_config_selectorIijNS0_4plusIjEEEEZZNS1_33reduce_by_key_impl_wrapped_configILNS1_25lookback_scan_determinismE0ES3_S7_PKiNS0_17constant_iteratorIjlEEPiPlSF_S6_NS0_8equal_toIiEEEE10hipError_tPvRmT2_T3_mT4_T5_T6_T7_T8_P12ihipStream_tbENKUlT_T0_E_clISt17integral_constantIbLb1EESZ_EEDaSU_SV_EUlSU_E_NS1_11comp_targetILNS1_3genE8ELNS1_11target_archE1030ELNS1_3gpuE2ELNS1_3repE0EEENS1_30default_config_static_selectorELNS0_4arch9wavefront6targetE1EEEvT1_
	.p2align	8
	.type	_ZN7rocprim17ROCPRIM_400000_NS6detail17trampoline_kernelINS0_14default_configENS1_33run_length_encode_config_selectorIijNS0_4plusIjEEEEZZNS1_33reduce_by_key_impl_wrapped_configILNS1_25lookback_scan_determinismE0ES3_S7_PKiNS0_17constant_iteratorIjlEEPiPlSF_S6_NS0_8equal_toIiEEEE10hipError_tPvRmT2_T3_mT4_T5_T6_T7_T8_P12ihipStream_tbENKUlT_T0_E_clISt17integral_constantIbLb1EESZ_EEDaSU_SV_EUlSU_E_NS1_11comp_targetILNS1_3genE8ELNS1_11target_archE1030ELNS1_3gpuE2ELNS1_3repE0EEENS1_30default_config_static_selectorELNS0_4arch9wavefront6targetE1EEEvT1_,@function
_ZN7rocprim17ROCPRIM_400000_NS6detail17trampoline_kernelINS0_14default_configENS1_33run_length_encode_config_selectorIijNS0_4plusIjEEEEZZNS1_33reduce_by_key_impl_wrapped_configILNS1_25lookback_scan_determinismE0ES3_S7_PKiNS0_17constant_iteratorIjlEEPiPlSF_S6_NS0_8equal_toIiEEEE10hipError_tPvRmT2_T3_mT4_T5_T6_T7_T8_P12ihipStream_tbENKUlT_T0_E_clISt17integral_constantIbLb1EESZ_EEDaSU_SV_EUlSU_E_NS1_11comp_targetILNS1_3genE8ELNS1_11target_archE1030ELNS1_3gpuE2ELNS1_3repE0EEENS1_30default_config_static_selectorELNS0_4arch9wavefront6targetE1EEEvT1_: ; @_ZN7rocprim17ROCPRIM_400000_NS6detail17trampoline_kernelINS0_14default_configENS1_33run_length_encode_config_selectorIijNS0_4plusIjEEEEZZNS1_33reduce_by_key_impl_wrapped_configILNS1_25lookback_scan_determinismE0ES3_S7_PKiNS0_17constant_iteratorIjlEEPiPlSF_S6_NS0_8equal_toIiEEEE10hipError_tPvRmT2_T3_mT4_T5_T6_T7_T8_P12ihipStream_tbENKUlT_T0_E_clISt17integral_constantIbLb1EESZ_EEDaSU_SV_EUlSU_E_NS1_11comp_targetILNS1_3genE8ELNS1_11target_archE1030ELNS1_3gpuE2ELNS1_3repE0EEENS1_30default_config_static_selectorELNS0_4arch9wavefront6targetE1EEEvT1_
; %bb.0:
	.section	.rodata,"a",@progbits
	.p2align	6, 0x0
	.amdhsa_kernel _ZN7rocprim17ROCPRIM_400000_NS6detail17trampoline_kernelINS0_14default_configENS1_33run_length_encode_config_selectorIijNS0_4plusIjEEEEZZNS1_33reduce_by_key_impl_wrapped_configILNS1_25lookback_scan_determinismE0ES3_S7_PKiNS0_17constant_iteratorIjlEEPiPlSF_S6_NS0_8equal_toIiEEEE10hipError_tPvRmT2_T3_mT4_T5_T6_T7_T8_P12ihipStream_tbENKUlT_T0_E_clISt17integral_constantIbLb1EESZ_EEDaSU_SV_EUlSU_E_NS1_11comp_targetILNS1_3genE8ELNS1_11target_archE1030ELNS1_3gpuE2ELNS1_3repE0EEENS1_30default_config_static_selectorELNS0_4arch9wavefront6targetE1EEEvT1_
		.amdhsa_group_segment_fixed_size 0
		.amdhsa_private_segment_fixed_size 0
		.amdhsa_kernarg_size 128
		.amdhsa_user_sgpr_count 2
		.amdhsa_user_sgpr_dispatch_ptr 0
		.amdhsa_user_sgpr_queue_ptr 0
		.amdhsa_user_sgpr_kernarg_segment_ptr 1
		.amdhsa_user_sgpr_dispatch_id 0
		.amdhsa_user_sgpr_kernarg_preload_length 0
		.amdhsa_user_sgpr_kernarg_preload_offset 0
		.amdhsa_user_sgpr_private_segment_size 0
		.amdhsa_uses_dynamic_stack 0
		.amdhsa_enable_private_segment 0
		.amdhsa_system_sgpr_workgroup_id_x 1
		.amdhsa_system_sgpr_workgroup_id_y 0
		.amdhsa_system_sgpr_workgroup_id_z 0
		.amdhsa_system_sgpr_workgroup_info 0
		.amdhsa_system_vgpr_workitem_id 0
		.amdhsa_next_free_vgpr 1
		.amdhsa_next_free_sgpr 0
		.amdhsa_accum_offset 4
		.amdhsa_reserve_vcc 0
		.amdhsa_float_round_mode_32 0
		.amdhsa_float_round_mode_16_64 0
		.amdhsa_float_denorm_mode_32 3
		.amdhsa_float_denorm_mode_16_64 3
		.amdhsa_dx10_clamp 1
		.amdhsa_ieee_mode 1
		.amdhsa_fp16_overflow 0
		.amdhsa_tg_split 0
		.amdhsa_exception_fp_ieee_invalid_op 0
		.amdhsa_exception_fp_denorm_src 0
		.amdhsa_exception_fp_ieee_div_zero 0
		.amdhsa_exception_fp_ieee_overflow 0
		.amdhsa_exception_fp_ieee_underflow 0
		.amdhsa_exception_fp_ieee_inexact 0
		.amdhsa_exception_int_div_zero 0
	.end_amdhsa_kernel
	.section	.text._ZN7rocprim17ROCPRIM_400000_NS6detail17trampoline_kernelINS0_14default_configENS1_33run_length_encode_config_selectorIijNS0_4plusIjEEEEZZNS1_33reduce_by_key_impl_wrapped_configILNS1_25lookback_scan_determinismE0ES3_S7_PKiNS0_17constant_iteratorIjlEEPiPlSF_S6_NS0_8equal_toIiEEEE10hipError_tPvRmT2_T3_mT4_T5_T6_T7_T8_P12ihipStream_tbENKUlT_T0_E_clISt17integral_constantIbLb1EESZ_EEDaSU_SV_EUlSU_E_NS1_11comp_targetILNS1_3genE8ELNS1_11target_archE1030ELNS1_3gpuE2ELNS1_3repE0EEENS1_30default_config_static_selectorELNS0_4arch9wavefront6targetE1EEEvT1_,"axG",@progbits,_ZN7rocprim17ROCPRIM_400000_NS6detail17trampoline_kernelINS0_14default_configENS1_33run_length_encode_config_selectorIijNS0_4plusIjEEEEZZNS1_33reduce_by_key_impl_wrapped_configILNS1_25lookback_scan_determinismE0ES3_S7_PKiNS0_17constant_iteratorIjlEEPiPlSF_S6_NS0_8equal_toIiEEEE10hipError_tPvRmT2_T3_mT4_T5_T6_T7_T8_P12ihipStream_tbENKUlT_T0_E_clISt17integral_constantIbLb1EESZ_EEDaSU_SV_EUlSU_E_NS1_11comp_targetILNS1_3genE8ELNS1_11target_archE1030ELNS1_3gpuE2ELNS1_3repE0EEENS1_30default_config_static_selectorELNS0_4arch9wavefront6targetE1EEEvT1_,comdat
.Lfunc_end459:
	.size	_ZN7rocprim17ROCPRIM_400000_NS6detail17trampoline_kernelINS0_14default_configENS1_33run_length_encode_config_selectorIijNS0_4plusIjEEEEZZNS1_33reduce_by_key_impl_wrapped_configILNS1_25lookback_scan_determinismE0ES3_S7_PKiNS0_17constant_iteratorIjlEEPiPlSF_S6_NS0_8equal_toIiEEEE10hipError_tPvRmT2_T3_mT4_T5_T6_T7_T8_P12ihipStream_tbENKUlT_T0_E_clISt17integral_constantIbLb1EESZ_EEDaSU_SV_EUlSU_E_NS1_11comp_targetILNS1_3genE8ELNS1_11target_archE1030ELNS1_3gpuE2ELNS1_3repE0EEENS1_30default_config_static_selectorELNS0_4arch9wavefront6targetE1EEEvT1_, .Lfunc_end459-_ZN7rocprim17ROCPRIM_400000_NS6detail17trampoline_kernelINS0_14default_configENS1_33run_length_encode_config_selectorIijNS0_4plusIjEEEEZZNS1_33reduce_by_key_impl_wrapped_configILNS1_25lookback_scan_determinismE0ES3_S7_PKiNS0_17constant_iteratorIjlEEPiPlSF_S6_NS0_8equal_toIiEEEE10hipError_tPvRmT2_T3_mT4_T5_T6_T7_T8_P12ihipStream_tbENKUlT_T0_E_clISt17integral_constantIbLb1EESZ_EEDaSU_SV_EUlSU_E_NS1_11comp_targetILNS1_3genE8ELNS1_11target_archE1030ELNS1_3gpuE2ELNS1_3repE0EEENS1_30default_config_static_selectorELNS0_4arch9wavefront6targetE1EEEvT1_
                                        ; -- End function
	.section	.AMDGPU.csdata,"",@progbits
; Kernel info:
; codeLenInByte = 0
; NumSgprs: 6
; NumVgprs: 0
; NumAgprs: 0
; TotalNumVgprs: 0
; ScratchSize: 0
; MemoryBound: 0
; FloatMode: 240
; IeeeMode: 1
; LDSByteSize: 0 bytes/workgroup (compile time only)
; SGPRBlocks: 0
; VGPRBlocks: 0
; NumSGPRsForWavesPerEU: 6
; NumVGPRsForWavesPerEU: 1
; AccumOffset: 4
; Occupancy: 8
; WaveLimiterHint : 0
; COMPUTE_PGM_RSRC2:SCRATCH_EN: 0
; COMPUTE_PGM_RSRC2:USER_SGPR: 2
; COMPUTE_PGM_RSRC2:TRAP_HANDLER: 0
; COMPUTE_PGM_RSRC2:TGID_X_EN: 1
; COMPUTE_PGM_RSRC2:TGID_Y_EN: 0
; COMPUTE_PGM_RSRC2:TGID_Z_EN: 0
; COMPUTE_PGM_RSRC2:TIDIG_COMP_CNT: 0
; COMPUTE_PGM_RSRC3_GFX90A:ACCUM_OFFSET: 0
; COMPUTE_PGM_RSRC3_GFX90A:TG_SPLIT: 0
	.section	.text._ZN7rocprim17ROCPRIM_400000_NS6detail17trampoline_kernelINS0_14default_configENS1_33run_length_encode_config_selectorIijNS0_4plusIjEEEEZZNS1_33reduce_by_key_impl_wrapped_configILNS1_25lookback_scan_determinismE0ES3_S7_PKiNS0_17constant_iteratorIjlEEPiPlSF_S6_NS0_8equal_toIiEEEE10hipError_tPvRmT2_T3_mT4_T5_T6_T7_T8_P12ihipStream_tbENKUlT_T0_E_clISt17integral_constantIbLb1EESY_IbLb0EEEEDaSU_SV_EUlSU_E_NS1_11comp_targetILNS1_3genE0ELNS1_11target_archE4294967295ELNS1_3gpuE0ELNS1_3repE0EEENS1_30default_config_static_selectorELNS0_4arch9wavefront6targetE1EEEvT1_,"axG",@progbits,_ZN7rocprim17ROCPRIM_400000_NS6detail17trampoline_kernelINS0_14default_configENS1_33run_length_encode_config_selectorIijNS0_4plusIjEEEEZZNS1_33reduce_by_key_impl_wrapped_configILNS1_25lookback_scan_determinismE0ES3_S7_PKiNS0_17constant_iteratorIjlEEPiPlSF_S6_NS0_8equal_toIiEEEE10hipError_tPvRmT2_T3_mT4_T5_T6_T7_T8_P12ihipStream_tbENKUlT_T0_E_clISt17integral_constantIbLb1EESY_IbLb0EEEEDaSU_SV_EUlSU_E_NS1_11comp_targetILNS1_3genE0ELNS1_11target_archE4294967295ELNS1_3gpuE0ELNS1_3repE0EEENS1_30default_config_static_selectorELNS0_4arch9wavefront6targetE1EEEvT1_,comdat
	.protected	_ZN7rocprim17ROCPRIM_400000_NS6detail17trampoline_kernelINS0_14default_configENS1_33run_length_encode_config_selectorIijNS0_4plusIjEEEEZZNS1_33reduce_by_key_impl_wrapped_configILNS1_25lookback_scan_determinismE0ES3_S7_PKiNS0_17constant_iteratorIjlEEPiPlSF_S6_NS0_8equal_toIiEEEE10hipError_tPvRmT2_T3_mT4_T5_T6_T7_T8_P12ihipStream_tbENKUlT_T0_E_clISt17integral_constantIbLb1EESY_IbLb0EEEEDaSU_SV_EUlSU_E_NS1_11comp_targetILNS1_3genE0ELNS1_11target_archE4294967295ELNS1_3gpuE0ELNS1_3repE0EEENS1_30default_config_static_selectorELNS0_4arch9wavefront6targetE1EEEvT1_ ; -- Begin function _ZN7rocprim17ROCPRIM_400000_NS6detail17trampoline_kernelINS0_14default_configENS1_33run_length_encode_config_selectorIijNS0_4plusIjEEEEZZNS1_33reduce_by_key_impl_wrapped_configILNS1_25lookback_scan_determinismE0ES3_S7_PKiNS0_17constant_iteratorIjlEEPiPlSF_S6_NS0_8equal_toIiEEEE10hipError_tPvRmT2_T3_mT4_T5_T6_T7_T8_P12ihipStream_tbENKUlT_T0_E_clISt17integral_constantIbLb1EESY_IbLb0EEEEDaSU_SV_EUlSU_E_NS1_11comp_targetILNS1_3genE0ELNS1_11target_archE4294967295ELNS1_3gpuE0ELNS1_3repE0EEENS1_30default_config_static_selectorELNS0_4arch9wavefront6targetE1EEEvT1_
	.globl	_ZN7rocprim17ROCPRIM_400000_NS6detail17trampoline_kernelINS0_14default_configENS1_33run_length_encode_config_selectorIijNS0_4plusIjEEEEZZNS1_33reduce_by_key_impl_wrapped_configILNS1_25lookback_scan_determinismE0ES3_S7_PKiNS0_17constant_iteratorIjlEEPiPlSF_S6_NS0_8equal_toIiEEEE10hipError_tPvRmT2_T3_mT4_T5_T6_T7_T8_P12ihipStream_tbENKUlT_T0_E_clISt17integral_constantIbLb1EESY_IbLb0EEEEDaSU_SV_EUlSU_E_NS1_11comp_targetILNS1_3genE0ELNS1_11target_archE4294967295ELNS1_3gpuE0ELNS1_3repE0EEENS1_30default_config_static_selectorELNS0_4arch9wavefront6targetE1EEEvT1_
	.p2align	8
	.type	_ZN7rocprim17ROCPRIM_400000_NS6detail17trampoline_kernelINS0_14default_configENS1_33run_length_encode_config_selectorIijNS0_4plusIjEEEEZZNS1_33reduce_by_key_impl_wrapped_configILNS1_25lookback_scan_determinismE0ES3_S7_PKiNS0_17constant_iteratorIjlEEPiPlSF_S6_NS0_8equal_toIiEEEE10hipError_tPvRmT2_T3_mT4_T5_T6_T7_T8_P12ihipStream_tbENKUlT_T0_E_clISt17integral_constantIbLb1EESY_IbLb0EEEEDaSU_SV_EUlSU_E_NS1_11comp_targetILNS1_3genE0ELNS1_11target_archE4294967295ELNS1_3gpuE0ELNS1_3repE0EEENS1_30default_config_static_selectorELNS0_4arch9wavefront6targetE1EEEvT1_,@function
_ZN7rocprim17ROCPRIM_400000_NS6detail17trampoline_kernelINS0_14default_configENS1_33run_length_encode_config_selectorIijNS0_4plusIjEEEEZZNS1_33reduce_by_key_impl_wrapped_configILNS1_25lookback_scan_determinismE0ES3_S7_PKiNS0_17constant_iteratorIjlEEPiPlSF_S6_NS0_8equal_toIiEEEE10hipError_tPvRmT2_T3_mT4_T5_T6_T7_T8_P12ihipStream_tbENKUlT_T0_E_clISt17integral_constantIbLb1EESY_IbLb0EEEEDaSU_SV_EUlSU_E_NS1_11comp_targetILNS1_3genE0ELNS1_11target_archE4294967295ELNS1_3gpuE0ELNS1_3repE0EEENS1_30default_config_static_selectorELNS0_4arch9wavefront6targetE1EEEvT1_: ; @_ZN7rocprim17ROCPRIM_400000_NS6detail17trampoline_kernelINS0_14default_configENS1_33run_length_encode_config_selectorIijNS0_4plusIjEEEEZZNS1_33reduce_by_key_impl_wrapped_configILNS1_25lookback_scan_determinismE0ES3_S7_PKiNS0_17constant_iteratorIjlEEPiPlSF_S6_NS0_8equal_toIiEEEE10hipError_tPvRmT2_T3_mT4_T5_T6_T7_T8_P12ihipStream_tbENKUlT_T0_E_clISt17integral_constantIbLb1EESY_IbLb0EEEEDaSU_SV_EUlSU_E_NS1_11comp_targetILNS1_3genE0ELNS1_11target_archE4294967295ELNS1_3gpuE0ELNS1_3repE0EEENS1_30default_config_static_selectorELNS0_4arch9wavefront6targetE1EEEvT1_
; %bb.0:
	.section	.rodata,"a",@progbits
	.p2align	6, 0x0
	.amdhsa_kernel _ZN7rocprim17ROCPRIM_400000_NS6detail17trampoline_kernelINS0_14default_configENS1_33run_length_encode_config_selectorIijNS0_4plusIjEEEEZZNS1_33reduce_by_key_impl_wrapped_configILNS1_25lookback_scan_determinismE0ES3_S7_PKiNS0_17constant_iteratorIjlEEPiPlSF_S6_NS0_8equal_toIiEEEE10hipError_tPvRmT2_T3_mT4_T5_T6_T7_T8_P12ihipStream_tbENKUlT_T0_E_clISt17integral_constantIbLb1EESY_IbLb0EEEEDaSU_SV_EUlSU_E_NS1_11comp_targetILNS1_3genE0ELNS1_11target_archE4294967295ELNS1_3gpuE0ELNS1_3repE0EEENS1_30default_config_static_selectorELNS0_4arch9wavefront6targetE1EEEvT1_
		.amdhsa_group_segment_fixed_size 0
		.amdhsa_private_segment_fixed_size 0
		.amdhsa_kernarg_size 128
		.amdhsa_user_sgpr_count 2
		.amdhsa_user_sgpr_dispatch_ptr 0
		.amdhsa_user_sgpr_queue_ptr 0
		.amdhsa_user_sgpr_kernarg_segment_ptr 1
		.amdhsa_user_sgpr_dispatch_id 0
		.amdhsa_user_sgpr_kernarg_preload_length 0
		.amdhsa_user_sgpr_kernarg_preload_offset 0
		.amdhsa_user_sgpr_private_segment_size 0
		.amdhsa_uses_dynamic_stack 0
		.amdhsa_enable_private_segment 0
		.amdhsa_system_sgpr_workgroup_id_x 1
		.amdhsa_system_sgpr_workgroup_id_y 0
		.amdhsa_system_sgpr_workgroup_id_z 0
		.amdhsa_system_sgpr_workgroup_info 0
		.amdhsa_system_vgpr_workitem_id 0
		.amdhsa_next_free_vgpr 1
		.amdhsa_next_free_sgpr 0
		.amdhsa_accum_offset 4
		.amdhsa_reserve_vcc 0
		.amdhsa_float_round_mode_32 0
		.amdhsa_float_round_mode_16_64 0
		.amdhsa_float_denorm_mode_32 3
		.amdhsa_float_denorm_mode_16_64 3
		.amdhsa_dx10_clamp 1
		.amdhsa_ieee_mode 1
		.amdhsa_fp16_overflow 0
		.amdhsa_tg_split 0
		.amdhsa_exception_fp_ieee_invalid_op 0
		.amdhsa_exception_fp_denorm_src 0
		.amdhsa_exception_fp_ieee_div_zero 0
		.amdhsa_exception_fp_ieee_overflow 0
		.amdhsa_exception_fp_ieee_underflow 0
		.amdhsa_exception_fp_ieee_inexact 0
		.amdhsa_exception_int_div_zero 0
	.end_amdhsa_kernel
	.section	.text._ZN7rocprim17ROCPRIM_400000_NS6detail17trampoline_kernelINS0_14default_configENS1_33run_length_encode_config_selectorIijNS0_4plusIjEEEEZZNS1_33reduce_by_key_impl_wrapped_configILNS1_25lookback_scan_determinismE0ES3_S7_PKiNS0_17constant_iteratorIjlEEPiPlSF_S6_NS0_8equal_toIiEEEE10hipError_tPvRmT2_T3_mT4_T5_T6_T7_T8_P12ihipStream_tbENKUlT_T0_E_clISt17integral_constantIbLb1EESY_IbLb0EEEEDaSU_SV_EUlSU_E_NS1_11comp_targetILNS1_3genE0ELNS1_11target_archE4294967295ELNS1_3gpuE0ELNS1_3repE0EEENS1_30default_config_static_selectorELNS0_4arch9wavefront6targetE1EEEvT1_,"axG",@progbits,_ZN7rocprim17ROCPRIM_400000_NS6detail17trampoline_kernelINS0_14default_configENS1_33run_length_encode_config_selectorIijNS0_4plusIjEEEEZZNS1_33reduce_by_key_impl_wrapped_configILNS1_25lookback_scan_determinismE0ES3_S7_PKiNS0_17constant_iteratorIjlEEPiPlSF_S6_NS0_8equal_toIiEEEE10hipError_tPvRmT2_T3_mT4_T5_T6_T7_T8_P12ihipStream_tbENKUlT_T0_E_clISt17integral_constantIbLb1EESY_IbLb0EEEEDaSU_SV_EUlSU_E_NS1_11comp_targetILNS1_3genE0ELNS1_11target_archE4294967295ELNS1_3gpuE0ELNS1_3repE0EEENS1_30default_config_static_selectorELNS0_4arch9wavefront6targetE1EEEvT1_,comdat
.Lfunc_end460:
	.size	_ZN7rocprim17ROCPRIM_400000_NS6detail17trampoline_kernelINS0_14default_configENS1_33run_length_encode_config_selectorIijNS0_4plusIjEEEEZZNS1_33reduce_by_key_impl_wrapped_configILNS1_25lookback_scan_determinismE0ES3_S7_PKiNS0_17constant_iteratorIjlEEPiPlSF_S6_NS0_8equal_toIiEEEE10hipError_tPvRmT2_T3_mT4_T5_T6_T7_T8_P12ihipStream_tbENKUlT_T0_E_clISt17integral_constantIbLb1EESY_IbLb0EEEEDaSU_SV_EUlSU_E_NS1_11comp_targetILNS1_3genE0ELNS1_11target_archE4294967295ELNS1_3gpuE0ELNS1_3repE0EEENS1_30default_config_static_selectorELNS0_4arch9wavefront6targetE1EEEvT1_, .Lfunc_end460-_ZN7rocprim17ROCPRIM_400000_NS6detail17trampoline_kernelINS0_14default_configENS1_33run_length_encode_config_selectorIijNS0_4plusIjEEEEZZNS1_33reduce_by_key_impl_wrapped_configILNS1_25lookback_scan_determinismE0ES3_S7_PKiNS0_17constant_iteratorIjlEEPiPlSF_S6_NS0_8equal_toIiEEEE10hipError_tPvRmT2_T3_mT4_T5_T6_T7_T8_P12ihipStream_tbENKUlT_T0_E_clISt17integral_constantIbLb1EESY_IbLb0EEEEDaSU_SV_EUlSU_E_NS1_11comp_targetILNS1_3genE0ELNS1_11target_archE4294967295ELNS1_3gpuE0ELNS1_3repE0EEENS1_30default_config_static_selectorELNS0_4arch9wavefront6targetE1EEEvT1_
                                        ; -- End function
	.section	.AMDGPU.csdata,"",@progbits
; Kernel info:
; codeLenInByte = 0
; NumSgprs: 6
; NumVgprs: 0
; NumAgprs: 0
; TotalNumVgprs: 0
; ScratchSize: 0
; MemoryBound: 0
; FloatMode: 240
; IeeeMode: 1
; LDSByteSize: 0 bytes/workgroup (compile time only)
; SGPRBlocks: 0
; VGPRBlocks: 0
; NumSGPRsForWavesPerEU: 6
; NumVGPRsForWavesPerEU: 1
; AccumOffset: 4
; Occupancy: 8
; WaveLimiterHint : 0
; COMPUTE_PGM_RSRC2:SCRATCH_EN: 0
; COMPUTE_PGM_RSRC2:USER_SGPR: 2
; COMPUTE_PGM_RSRC2:TRAP_HANDLER: 0
; COMPUTE_PGM_RSRC2:TGID_X_EN: 1
; COMPUTE_PGM_RSRC2:TGID_Y_EN: 0
; COMPUTE_PGM_RSRC2:TGID_Z_EN: 0
; COMPUTE_PGM_RSRC2:TIDIG_COMP_CNT: 0
; COMPUTE_PGM_RSRC3_GFX90A:ACCUM_OFFSET: 0
; COMPUTE_PGM_RSRC3_GFX90A:TG_SPLIT: 0
	.section	.text._ZN7rocprim17ROCPRIM_400000_NS6detail17trampoline_kernelINS0_14default_configENS1_33run_length_encode_config_selectorIijNS0_4plusIjEEEEZZNS1_33reduce_by_key_impl_wrapped_configILNS1_25lookback_scan_determinismE0ES3_S7_PKiNS0_17constant_iteratorIjlEEPiPlSF_S6_NS0_8equal_toIiEEEE10hipError_tPvRmT2_T3_mT4_T5_T6_T7_T8_P12ihipStream_tbENKUlT_T0_E_clISt17integral_constantIbLb1EESY_IbLb0EEEEDaSU_SV_EUlSU_E_NS1_11comp_targetILNS1_3genE5ELNS1_11target_archE942ELNS1_3gpuE9ELNS1_3repE0EEENS1_30default_config_static_selectorELNS0_4arch9wavefront6targetE1EEEvT1_,"axG",@progbits,_ZN7rocprim17ROCPRIM_400000_NS6detail17trampoline_kernelINS0_14default_configENS1_33run_length_encode_config_selectorIijNS0_4plusIjEEEEZZNS1_33reduce_by_key_impl_wrapped_configILNS1_25lookback_scan_determinismE0ES3_S7_PKiNS0_17constant_iteratorIjlEEPiPlSF_S6_NS0_8equal_toIiEEEE10hipError_tPvRmT2_T3_mT4_T5_T6_T7_T8_P12ihipStream_tbENKUlT_T0_E_clISt17integral_constantIbLb1EESY_IbLb0EEEEDaSU_SV_EUlSU_E_NS1_11comp_targetILNS1_3genE5ELNS1_11target_archE942ELNS1_3gpuE9ELNS1_3repE0EEENS1_30default_config_static_selectorELNS0_4arch9wavefront6targetE1EEEvT1_,comdat
	.protected	_ZN7rocprim17ROCPRIM_400000_NS6detail17trampoline_kernelINS0_14default_configENS1_33run_length_encode_config_selectorIijNS0_4plusIjEEEEZZNS1_33reduce_by_key_impl_wrapped_configILNS1_25lookback_scan_determinismE0ES3_S7_PKiNS0_17constant_iteratorIjlEEPiPlSF_S6_NS0_8equal_toIiEEEE10hipError_tPvRmT2_T3_mT4_T5_T6_T7_T8_P12ihipStream_tbENKUlT_T0_E_clISt17integral_constantIbLb1EESY_IbLb0EEEEDaSU_SV_EUlSU_E_NS1_11comp_targetILNS1_3genE5ELNS1_11target_archE942ELNS1_3gpuE9ELNS1_3repE0EEENS1_30default_config_static_selectorELNS0_4arch9wavefront6targetE1EEEvT1_ ; -- Begin function _ZN7rocprim17ROCPRIM_400000_NS6detail17trampoline_kernelINS0_14default_configENS1_33run_length_encode_config_selectorIijNS0_4plusIjEEEEZZNS1_33reduce_by_key_impl_wrapped_configILNS1_25lookback_scan_determinismE0ES3_S7_PKiNS0_17constant_iteratorIjlEEPiPlSF_S6_NS0_8equal_toIiEEEE10hipError_tPvRmT2_T3_mT4_T5_T6_T7_T8_P12ihipStream_tbENKUlT_T0_E_clISt17integral_constantIbLb1EESY_IbLb0EEEEDaSU_SV_EUlSU_E_NS1_11comp_targetILNS1_3genE5ELNS1_11target_archE942ELNS1_3gpuE9ELNS1_3repE0EEENS1_30default_config_static_selectorELNS0_4arch9wavefront6targetE1EEEvT1_
	.globl	_ZN7rocprim17ROCPRIM_400000_NS6detail17trampoline_kernelINS0_14default_configENS1_33run_length_encode_config_selectorIijNS0_4plusIjEEEEZZNS1_33reduce_by_key_impl_wrapped_configILNS1_25lookback_scan_determinismE0ES3_S7_PKiNS0_17constant_iteratorIjlEEPiPlSF_S6_NS0_8equal_toIiEEEE10hipError_tPvRmT2_T3_mT4_T5_T6_T7_T8_P12ihipStream_tbENKUlT_T0_E_clISt17integral_constantIbLb1EESY_IbLb0EEEEDaSU_SV_EUlSU_E_NS1_11comp_targetILNS1_3genE5ELNS1_11target_archE942ELNS1_3gpuE9ELNS1_3repE0EEENS1_30default_config_static_selectorELNS0_4arch9wavefront6targetE1EEEvT1_
	.p2align	8
	.type	_ZN7rocprim17ROCPRIM_400000_NS6detail17trampoline_kernelINS0_14default_configENS1_33run_length_encode_config_selectorIijNS0_4plusIjEEEEZZNS1_33reduce_by_key_impl_wrapped_configILNS1_25lookback_scan_determinismE0ES3_S7_PKiNS0_17constant_iteratorIjlEEPiPlSF_S6_NS0_8equal_toIiEEEE10hipError_tPvRmT2_T3_mT4_T5_T6_T7_T8_P12ihipStream_tbENKUlT_T0_E_clISt17integral_constantIbLb1EESY_IbLb0EEEEDaSU_SV_EUlSU_E_NS1_11comp_targetILNS1_3genE5ELNS1_11target_archE942ELNS1_3gpuE9ELNS1_3repE0EEENS1_30default_config_static_selectorELNS0_4arch9wavefront6targetE1EEEvT1_,@function
_ZN7rocprim17ROCPRIM_400000_NS6detail17trampoline_kernelINS0_14default_configENS1_33run_length_encode_config_selectorIijNS0_4plusIjEEEEZZNS1_33reduce_by_key_impl_wrapped_configILNS1_25lookback_scan_determinismE0ES3_S7_PKiNS0_17constant_iteratorIjlEEPiPlSF_S6_NS0_8equal_toIiEEEE10hipError_tPvRmT2_T3_mT4_T5_T6_T7_T8_P12ihipStream_tbENKUlT_T0_E_clISt17integral_constantIbLb1EESY_IbLb0EEEEDaSU_SV_EUlSU_E_NS1_11comp_targetILNS1_3genE5ELNS1_11target_archE942ELNS1_3gpuE9ELNS1_3repE0EEENS1_30default_config_static_selectorELNS0_4arch9wavefront6targetE1EEEvT1_: ; @_ZN7rocprim17ROCPRIM_400000_NS6detail17trampoline_kernelINS0_14default_configENS1_33run_length_encode_config_selectorIijNS0_4plusIjEEEEZZNS1_33reduce_by_key_impl_wrapped_configILNS1_25lookback_scan_determinismE0ES3_S7_PKiNS0_17constant_iteratorIjlEEPiPlSF_S6_NS0_8equal_toIiEEEE10hipError_tPvRmT2_T3_mT4_T5_T6_T7_T8_P12ihipStream_tbENKUlT_T0_E_clISt17integral_constantIbLb1EESY_IbLb0EEEEDaSU_SV_EUlSU_E_NS1_11comp_targetILNS1_3genE5ELNS1_11target_archE942ELNS1_3gpuE9ELNS1_3repE0EEENS1_30default_config_static_selectorELNS0_4arch9wavefront6targetE1EEEvT1_
; %bb.0:
	s_load_dwordx8 s[36:43], s[0:1], 0x40
	s_load_dwordx4 s[4:7], s[0:1], 0x0
	s_load_dword s3, s[0:1], 0x10
	s_load_dwordx4 s[44:47], s[0:1], 0x60
	s_mov_b64 s[12:13], -1
	s_waitcnt lgkmcnt(0)
	s_mul_i32 s8, s40, s39
	s_mul_hi_u32 s9, s40, s38
	s_add_i32 s8, s9, s8
	s_mul_i32 s9, s41, s38
	s_add_i32 s8, s8, s9
	s_lshl_b64 s[6:7], s[6:7], 2
	s_add_u32 s6, s4, s6
	s_addc_u32 s7, s5, s7
	s_mul_i32 s4, s2, 0x1e00
	s_mov_b32 s5, 0
	s_lshl_b64 s[4:5], s[4:5], 2
	s_add_u32 s4, s6, s4
	s_mul_i32 s9, s40, s38
	s_addc_u32 s5, s7, s5
	s_add_u32 s6, s9, s2
	s_addc_u32 s7, s8, 0
	s_add_u32 s8, s42, -1
	s_addc_u32 s9, s43, -1
	s_cmp_eq_u64 s[6:7], s[8:9]
	s_cselect_b64 s[34:35], -1, 0
	s_cmp_lg_u64 s[6:7], s[8:9]
	s_cselect_b64 s[10:11], -1, 0
	s_mul_i32 s33, s8, 0xffffe200
	s_and_b64 vcc, exec, s[34:35]
	s_cbranch_vccnz .LBB461_2
; %bb.1:
	v_lshlrev_b32_e32 v2, 2, v0
	v_mov_b32_e32 v3, 0
	v_lshl_add_u64 v[4:5], s[4:5], 0, v[2:3]
	v_add_co_u32_e32 v6, vcc, 0x1000, v4
	global_load_dword v1, v2, s[4:5]
	global_load_dword v3, v2, s[4:5] offset:2048
	v_addc_co_u32_e32 v7, vcc, 0, v5, vcc
	v_add_co_u32_e32 v8, vcc, 0x2000, v4
	s_nop 1
	v_addc_co_u32_e32 v9, vcc, 0, v5, vcc
	v_add_co_u32_e32 v10, vcc, 0x3000, v4
	s_mov_b64 s[8:9], -1
	s_nop 0
	v_addc_co_u32_e32 v11, vcc, 0, v5, vcc
	v_add_co_u32_e32 v12, vcc, 0x4000, v4
	s_nop 1
	v_addc_co_u32_e32 v13, vcc, 0, v5, vcc
	global_load_dword v14, v[6:7], off
	global_load_dword v15, v[6:7], off offset:2048
	global_load_dword v16, v[8:9], off
	global_load_dword v17, v[8:9], off offset:2048
	;; [unrolled: 2-line block ×4, first 2 shown]
	v_add_co_u32_e32 v6, vcc, 0x5000, v4
	s_nop 1
	v_addc_co_u32_e32 v7, vcc, 0, v5, vcc
	v_add_co_u32_e32 v8, vcc, 0x6000, v4
	s_nop 1
	v_addc_co_u32_e32 v9, vcc, 0, v5, vcc
	global_load_dword v10, v[6:7], off
	global_load_dword v11, v[6:7], off offset:2048
	global_load_dword v12, v[8:9], off
	global_load_dword v13, v[8:9], off offset:2048
	v_add_co_u32_e32 v4, vcc, 0x7000, v4
	s_nop 1
	v_addc_co_u32_e32 v5, vcc, 0, v5, vcc
	global_load_dword v4, v[4:5], off
	v_mad_u32_u24 v5, v0, 56, v2
	s_waitcnt vmcnt(13)
	ds_write2st64_b32 v2, v1, v3 offset1:8
	s_waitcnt vmcnt(11)
	ds_write2st64_b32 v2, v14, v15 offset0:16 offset1:24
	s_waitcnt vmcnt(9)
	ds_write2st64_b32 v2, v16, v17 offset0:32 offset1:40
	s_waitcnt vmcnt(7)
	ds_write2st64_b32 v2, v18, v19 offset0:48 offset1:56
	s_waitcnt vmcnt(5)
	ds_write2st64_b32 v2, v20, v21 offset0:64 offset1:72
	s_waitcnt vmcnt(3)
	ds_write2st64_b32 v2, v10, v11 offset0:80 offset1:88
	s_waitcnt vmcnt(1)
	ds_write2st64_b32 v2, v12, v13 offset0:96 offset1:104
	s_waitcnt vmcnt(0)
	ds_write_b32 v2, v4 offset:28672
	s_waitcnt lgkmcnt(0)
	s_barrier
	ds_read2_b32 v[20:21], v5 offset1:1
	ds_read2_b32 v[18:19], v5 offset0:2 offset1:3
	ds_read2_b32 v[16:17], v5 offset0:4 offset1:5
	;; [unrolled: 1-line block ×6, first 2 shown]
	ds_read_b32 v1, v5 offset:56
	s_waitcnt lgkmcnt(7)
	v_mov_b32_e32 v22, v20
	s_waitcnt lgkmcnt(6)
	v_mov_b32_e32 v23, v18
	;; [unrolled: 2-line block ×7, first 2 shown]
	s_add_i32 s33, s33, s44
	s_cbranch_execz .LBB461_3
	s_branch .LBB461_34
.LBB461_2:
	s_mov_b64 s[8:9], 0
                                        ; implicit-def: $vgpr1
                                        ; implicit-def: $vgpr8
                                        ; implicit-def: $vgpr10
                                        ; implicit-def: $vgpr12
                                        ; implicit-def: $vgpr14
                                        ; implicit-def: $vgpr16
                                        ; implicit-def: $vgpr18
                                        ; implicit-def: $vgpr20
                                        ; implicit-def: $vgpr2_vgpr3
                                        ; implicit-def: $vgpr4_vgpr5
                                        ; implicit-def: $vgpr22_vgpr23
                                        ; implicit-def: $vgpr6_vgpr7
	s_add_i32 s33, s33, s44
	s_andn2_b64 vcc, exec, s[12:13]
	s_cbranch_vccnz .LBB461_34
.LBB461_3:
	v_cmp_gt_u32_e32 vcc, s33, v0
                                        ; implicit-def: $vgpr1
	s_and_saveexec_b64 s[8:9], vcc
	s_cbranch_execz .LBB461_5
; %bb.4:
	s_waitcnt lgkmcnt(0)
	v_lshlrev_b32_e32 v1, 2, v0
	global_load_dword v1, v1, s[4:5]
.LBB461_5:
	s_or_b64 exec, exec, s[8:9]
	v_or_b32_e32 v2, 0x200, v0
	v_cmp_gt_u32_e32 vcc, s33, v2
                                        ; implicit-def: $vgpr2
	s_and_saveexec_b64 s[8:9], vcc
	s_cbranch_execz .LBB461_7
; %bb.6:
	v_lshlrev_b32_e32 v2, 2, v0
	global_load_dword v2, v2, s[4:5] offset:2048
.LBB461_7:
	s_or_b64 exec, exec, s[8:9]
	v_or_b32_e32 v4, 0x400, v0
	v_cmp_gt_u32_e32 vcc, s33, v4
                                        ; implicit-def: $vgpr3
	s_and_saveexec_b64 s[8:9], vcc
	s_cbranch_execz .LBB461_9
; %bb.8:
	v_lshlrev_b32_e32 v3, 2, v4
	global_load_dword v3, v3, s[4:5]
.LBB461_9:
	s_or_b64 exec, exec, s[8:9]
	v_or_b32_e32 v5, 0x600, v0
	v_cmp_gt_u32_e32 vcc, s33, v5
                                        ; implicit-def: $vgpr4
	s_and_saveexec_b64 s[8:9], vcc
	s_cbranch_execz .LBB461_11
; %bb.10:
	v_lshlrev_b32_e32 v4, 2, v5
	global_load_dword v4, v4, s[4:5]
.LBB461_11:
	s_or_b64 exec, exec, s[8:9]
	v_or_b32_e32 v6, 0x800, v0
	v_cmp_gt_u32_e32 vcc, s33, v6
                                        ; implicit-def: $vgpr5
	s_and_saveexec_b64 s[8:9], vcc
	s_cbranch_execz .LBB461_13
; %bb.12:
	v_lshlrev_b32_e32 v5, 2, v6
	global_load_dword v5, v5, s[4:5]
.LBB461_13:
	s_or_b64 exec, exec, s[8:9]
	v_or_b32_e32 v7, 0xa00, v0
	v_cmp_gt_u32_e32 vcc, s33, v7
                                        ; implicit-def: $vgpr6
	s_and_saveexec_b64 s[8:9], vcc
	s_cbranch_execz .LBB461_15
; %bb.14:
	v_lshlrev_b32_e32 v6, 2, v7
	global_load_dword v6, v6, s[4:5]
.LBB461_15:
	s_or_b64 exec, exec, s[8:9]
	v_or_b32_e32 v8, 0xc00, v0
	v_cmp_gt_u32_e32 vcc, s33, v8
                                        ; implicit-def: $vgpr7
	s_and_saveexec_b64 s[8:9], vcc
	s_cbranch_execz .LBB461_17
; %bb.16:
	v_lshlrev_b32_e32 v7, 2, v8
	global_load_dword v7, v7, s[4:5]
.LBB461_17:
	s_or_b64 exec, exec, s[8:9]
	v_or_b32_e32 v9, 0xe00, v0
	v_cmp_gt_u32_e32 vcc, s33, v9
                                        ; implicit-def: $vgpr8
	s_and_saveexec_b64 s[8:9], vcc
	s_cbranch_execz .LBB461_19
; %bb.18:
	v_lshlrev_b32_e32 v8, 2, v9
	global_load_dword v8, v8, s[4:5]
.LBB461_19:
	s_or_b64 exec, exec, s[8:9]
	v_or_b32_e32 v10, 0x1000, v0
	v_cmp_gt_u32_e32 vcc, s33, v10
                                        ; implicit-def: $vgpr9
	s_and_saveexec_b64 s[8:9], vcc
	s_cbranch_execz .LBB461_21
; %bb.20:
	v_lshlrev_b32_e32 v9, 2, v10
	global_load_dword v9, v9, s[4:5]
.LBB461_21:
	s_or_b64 exec, exec, s[8:9]
	v_or_b32_e32 v11, 0x1200, v0
	v_cmp_gt_u32_e32 vcc, s33, v11
                                        ; implicit-def: $vgpr10
	s_and_saveexec_b64 s[8:9], vcc
	s_cbranch_execz .LBB461_23
; %bb.22:
	v_lshlrev_b32_e32 v10, 2, v11
	global_load_dword v10, v10, s[4:5]
.LBB461_23:
	s_or_b64 exec, exec, s[8:9]
	v_or_b32_e32 v12, 0x1400, v0
	v_cmp_gt_u32_e32 vcc, s33, v12
                                        ; implicit-def: $vgpr11
	s_and_saveexec_b64 s[8:9], vcc
	s_cbranch_execz .LBB461_25
; %bb.24:
	v_lshlrev_b32_e32 v11, 2, v12
	global_load_dword v11, v11, s[4:5]
.LBB461_25:
	s_or_b64 exec, exec, s[8:9]
	v_or_b32_e32 v13, 0x1600, v0
	v_cmp_gt_u32_e32 vcc, s33, v13
                                        ; implicit-def: $vgpr12
	s_and_saveexec_b64 s[8:9], vcc
	s_cbranch_execz .LBB461_27
; %bb.26:
	v_lshlrev_b32_e32 v12, 2, v13
	global_load_dword v12, v12, s[4:5]
.LBB461_27:
	s_or_b64 exec, exec, s[8:9]
	v_or_b32_e32 v14, 0x1800, v0
	v_cmp_gt_u32_e32 vcc, s33, v14
                                        ; implicit-def: $vgpr13
	s_and_saveexec_b64 s[8:9], vcc
	s_cbranch_execz .LBB461_29
; %bb.28:
	v_lshlrev_b32_e32 v13, 2, v14
	global_load_dword v13, v13, s[4:5]
.LBB461_29:
	s_or_b64 exec, exec, s[8:9]
	v_or_b32_e32 v15, 0x1a00, v0
	v_cmp_gt_u32_e32 vcc, s33, v15
                                        ; implicit-def: $vgpr14
	s_and_saveexec_b64 s[8:9], vcc
	s_cbranch_execz .LBB461_31
; %bb.30:
	v_lshlrev_b32_e32 v14, 2, v15
	global_load_dword v14, v14, s[4:5]
.LBB461_31:
	s_or_b64 exec, exec, s[8:9]
	v_or_b32_e32 v16, 0x1c00, v0
	v_cmp_gt_u32_e32 vcc, s33, v16
                                        ; implicit-def: $vgpr15
	s_and_saveexec_b64 s[8:9], vcc
	s_cbranch_execz .LBB461_33
; %bb.32:
	v_lshlrev_b32_e32 v15, 2, v16
	global_load_dword v15, v15, s[4:5]
.LBB461_33:
	s_or_b64 exec, exec, s[8:9]
	v_lshlrev_b32_e32 v16, 2, v0
	s_waitcnt vmcnt(0) lgkmcnt(0)
	ds_write2st64_b32 v16, v1, v2 offset1:8
	ds_write2st64_b32 v16, v3, v4 offset0:16 offset1:24
	ds_write2st64_b32 v16, v5, v6 offset0:32 offset1:40
	;; [unrolled: 1-line block ×6, first 2 shown]
	ds_write_b32 v16, v15 offset:28672
	v_mad_u32_u24 v1, v0, 56, v16
	s_waitcnt lgkmcnt(0)
	s_barrier
	ds_read2_b32 v[20:21], v1 offset1:1
	ds_read2_b32 v[18:19], v1 offset0:2 offset1:3
	ds_read2_b32 v[16:17], v1 offset0:4 offset1:5
	;; [unrolled: 1-line block ×6, first 2 shown]
	ds_read_b32 v1, v1 offset:56
	v_mad_u32_u24 v2, v0, 15, 14
	v_cmp_gt_u32_e64 s[8:9], s33, v2
	s_waitcnt lgkmcnt(7)
	v_mov_b32_e32 v22, v20
	s_waitcnt lgkmcnt(6)
	v_mov_b32_e32 v23, v18
	;; [unrolled: 2-line block ×7, first 2 shown]
.LBB461_34:
	v_mov_b32_e32 v52, s3
                                        ; implicit-def: $vgpr53
	s_and_saveexec_b64 s[12:13], s[8:9]
; %bb.35:
	v_mov_b32_e32 v53, s3
; %bb.36:
	s_or_b64 exec, exec, s[12:13]
	s_load_dwordx2 s[50:51], s[0:1], 0x70
	s_cmp_eq_u64 s[6:7], 0
	s_cselect_b64 s[48:49], -1, 0
	s_cmp_lg_u64 s[6:7], 0
	s_mov_b64 s[8:9], 0
	s_cselect_b64 s[12:13], -1, 0
	s_and_b64 vcc, exec, s[10:11]
	s_waitcnt lgkmcnt(0)
	s_barrier
	s_cbranch_vccz .LBB461_42
; %bb.37:
	s_and_b64 vcc, exec, s[12:13]
	s_cbranch_vccz .LBB461_43
; %bb.38:
	s_add_u32 s8, s4, -4
	s_addc_u32 s9, s5, -1
	s_load_dword s3, s[8:9], 0x0
	v_lshlrev_b32_e32 v24, 2, v0
	v_cmp_ne_u32_e32 vcc, 0, v0
	ds_write_b32 v24, v1
	s_waitcnt lgkmcnt(0)
	v_mov_b32_e32 v7, s3
	s_barrier
	s_and_saveexec_b64 s[8:9], vcc
	s_cbranch_execz .LBB461_40
; %bb.39:
	v_add_u32_e32 v7, -4, v24
	ds_read_b32 v7, v7
.LBB461_40:
	s_or_b64 exec, exec, s[8:9]
	v_cmp_ne_u32_e32 vcc, v22, v21
	s_waitcnt lgkmcnt(0)
	v_cmp_ne_u32_e64 s[10:11], v7, v20
	v_cndmask_b32_e64 v69, 0, 1, vcc
	v_cmp_ne_u32_e32 vcc, v23, v21
	s_mov_b64 s[8:9], -1
	s_nop 0
	v_cndmask_b32_e64 v68, 0, 1, vcc
	v_cmp_ne_u32_e32 vcc, v23, v19
	s_nop 1
	v_cndmask_b32_e64 v67, 0, 1, vcc
	v_cmp_ne_u32_e32 vcc, v4, v19
	;; [unrolled: 3-line block ×12, first 2 shown]
	s_nop 1
	v_cndmask_b32_e64 v56, 0, 1, vcc
.LBB461_41:
                                        ; implicit-def: $sgpr3
	s_branch .LBB461_55
.LBB461_42:
                                        ; implicit-def: $sgpr10_sgpr11
                                        ; implicit-def: $vgpr56
                                        ; implicit-def: $vgpr57
                                        ; implicit-def: $vgpr58
                                        ; implicit-def: $vgpr59
                                        ; implicit-def: $vgpr60
                                        ; implicit-def: $vgpr61
                                        ; implicit-def: $vgpr62
                                        ; implicit-def: $vgpr63
                                        ; implicit-def: $vgpr64
                                        ; implicit-def: $vgpr65
                                        ; implicit-def: $vgpr66
                                        ; implicit-def: $vgpr67
                                        ; implicit-def: $vgpr68
                                        ; implicit-def: $vgpr69
                                        ; implicit-def: $sgpr3
	s_cbranch_execnz .LBB461_47
	s_branch .LBB461_55
.LBB461_43:
                                        ; implicit-def: $sgpr10_sgpr11
                                        ; implicit-def: $vgpr56
                                        ; implicit-def: $vgpr57
                                        ; implicit-def: $vgpr58
                                        ; implicit-def: $vgpr59
                                        ; implicit-def: $vgpr60
                                        ; implicit-def: $vgpr61
                                        ; implicit-def: $vgpr62
                                        ; implicit-def: $vgpr63
                                        ; implicit-def: $vgpr64
                                        ; implicit-def: $vgpr65
                                        ; implicit-def: $vgpr66
                                        ; implicit-def: $vgpr67
                                        ; implicit-def: $vgpr68
                                        ; implicit-def: $vgpr69
	s_cbranch_execz .LBB461_41
; %bb.44:
	v_cmp_ne_u32_e32 vcc, v21, v22
	v_lshlrev_b32_e32 v7, 2, v0
	ds_write_b32 v7, v1
	v_cndmask_b32_e64 v69, 0, 1, vcc
	v_cmp_ne_u32_e32 vcc, v21, v23
	s_waitcnt lgkmcnt(0)
	s_barrier
	v_cndmask_b32_e64 v68, 0, 1, vcc
	v_cmp_ne_u32_e32 vcc, v23, v19
	s_waitcnt lgkmcnt(0)
                                        ; implicit-def: $sgpr10_sgpr11
	s_nop 0
	v_cndmask_b32_e64 v67, 0, 1, vcc
	v_cmp_ne_u32_e32 vcc, v4, v19
	s_nop 1
	v_cndmask_b32_e64 v66, 0, 1, vcc
	v_cmp_ne_u32_e32 vcc, v17, v4
	;; [unrolled: 3-line block ×12, first 2 shown]
	s_and_saveexec_b64 s[14:15], vcc
	s_xor_b64 s[14:15], exec, s[14:15]
	s_cbranch_execz .LBB461_46
; %bb.45:
	v_add_u32_e32 v2, -4, v7
	ds_read_b32 v2, v2
	s_or_b64 s[8:9], s[8:9], exec
	s_waitcnt lgkmcnt(0)
	v_cmp_ne_u32_e32 vcc, v2, v20
	s_and_b64 s[10:11], vcc, exec
.LBB461_46:
	s_or_b64 exec, exec, s[14:15]
	s_mov_b32 s3, 1
	s_branch .LBB461_55
.LBB461_47:
	s_mul_i32 s3, s7, 0xffffe200
	s_mul_hi_u32 s7, s6, 0xffffe200
	s_sub_i32 s7, s7, s6
	s_add_i32 s7, s7, s3
	s_mul_i32 s3, s6, 0xffffe200
	s_add_u32 s6, s3, s44
	s_addc_u32 s7, s7, s45
	s_and_b64 vcc, exec, s[12:13]
	s_cbranch_vccz .LBB461_52
; %bb.48:
	s_add_u32 s4, s4, -4
	s_addc_u32 s5, s5, -1
	v_mad_u32_u24 v4, v0, 15, 14
	v_mov_b32_e32 v5, 0
	s_load_dword s3, s[4:5], 0x0
	v_cmp_gt_u64_e32 vcc, s[6:7], v[4:5]
	v_cmp_ne_u32_e64 s[4:5], v9, v1
	v_mad_u32_u24 v4, v0, 15, 13
	s_and_b64 s[8:9], vcc, s[4:5]
	v_cmp_gt_u64_e32 vcc, s[6:7], v[4:5]
	v_cmp_ne_u32_e64 s[4:5], v8, v9
	v_mad_u32_u24 v4, v0, 15, 12
	s_and_b64 s[10:11], vcc, s[4:5]
	;; [unrolled: 4-line block ×13, first 2 shown]
	v_cmp_gt_u64_e32 vcc, s[6:7], v[4:5]
	v_cmp_ne_u32_e64 s[4:5], v20, v21
	v_lshlrev_b32_e32 v3, 2, v0
	v_mul_u32_u24_e32 v2, 15, v0
	s_and_b64 s[4:5], vcc, s[4:5]
	v_cmp_ne_u32_e32 vcc, 0, v0
	s_waitcnt lgkmcnt(0)
	v_mov_b32_e32 v4, s3
	ds_write_b32 v3, v1
	s_waitcnt lgkmcnt(0)
	s_barrier
	s_and_saveexec_b64 s[42:43], vcc
	s_cbranch_execz .LBB461_50
; %bb.49:
	v_add_u32_e32 v3, -4, v3
	ds_read_b32 v4, v3
.LBB461_50:
	s_or_b64 exec, exec, s[42:43]
	v_mov_b32_e32 v3, v5
	v_cndmask_b32_e64 v69, 0, 1, s[4:5]
	v_cmp_gt_u64_e32 vcc, s[6:7], v[2:3]
	s_waitcnt lgkmcnt(0)
	v_cmp_ne_u32_e64 s[4:5], v4, v20
	v_cndmask_b32_e64 v56, 0, 1, s[8:9]
	v_cndmask_b32_e64 v57, 0, 1, s[10:11]
	;; [unrolled: 1-line block ×13, first 2 shown]
	s_and_b64 s[10:11], vcc, s[4:5]
	s_mov_b64 s[8:9], -1
.LBB461_51:
                                        ; implicit-def: $sgpr3
	v_mov_b32_e32 v70, s3
	s_and_saveexec_b64 s[4:5], s[8:9]
	s_cbranch_execnz .LBB461_56
	s_branch .LBB461_57
.LBB461_52:
                                        ; implicit-def: $sgpr10_sgpr11
                                        ; implicit-def: $vgpr56
                                        ; implicit-def: $vgpr57
                                        ; implicit-def: $vgpr58
                                        ; implicit-def: $vgpr59
                                        ; implicit-def: $vgpr60
                                        ; implicit-def: $vgpr61
                                        ; implicit-def: $vgpr62
                                        ; implicit-def: $vgpr63
                                        ; implicit-def: $vgpr64
                                        ; implicit-def: $vgpr65
                                        ; implicit-def: $vgpr66
                                        ; implicit-def: $vgpr67
                                        ; implicit-def: $vgpr68
                                        ; implicit-def: $vgpr69
	s_cbranch_execz .LBB461_51
; %bb.53:
	v_mad_u32_u24 v2, v0, 15, 14
	v_mov_b32_e32 v3, 0
	v_cmp_gt_u64_e32 vcc, s[6:7], v[2:3]
	v_cmp_ne_u32_e64 s[4:5], v9, v1
	s_and_b64 s[4:5], vcc, s[4:5]
	v_mad_u32_u24 v2, v0, 15, 13
	v_cndmask_b32_e64 v56, 0, 1, s[4:5]
	v_cmp_gt_u64_e32 vcc, s[6:7], v[2:3]
	v_cmp_ne_u32_e64 s[4:5], v8, v9
	s_and_b64 s[4:5], vcc, s[4:5]
	v_mad_u32_u24 v2, v0, 15, 12
	v_cndmask_b32_e64 v57, 0, 1, s[4:5]
	;; [unrolled: 5-line block ×13, first 2 shown]
	v_cmp_gt_u64_e32 vcc, s[6:7], v[2:3]
	v_cmp_ne_u32_e64 s[4:5], v20, v21
	s_and_b64 s[4:5], vcc, s[4:5]
	v_lshlrev_b32_e32 v4, 2, v0
	s_mov_b32 s3, 1
	v_cndmask_b32_e64 v69, 0, 1, s[4:5]
	v_cmp_ne_u32_e32 vcc, 0, v0
	ds_write_b32 v4, v1
	s_waitcnt lgkmcnt(0)
	s_barrier
	s_waitcnt lgkmcnt(0)
                                        ; implicit-def: $sgpr10_sgpr11
	s_and_saveexec_b64 s[12:13], vcc
	s_cbranch_execz .LBB461_150
; %bb.54:
	v_add_u32_e32 v2, -4, v4
	ds_read_b32 v4, v2
	v_mul_u32_u24_e32 v2, 15, v0
	v_cmp_gt_u64_e32 vcc, s[6:7], v[2:3]
	s_or_b64 s[8:9], s[8:9], exec
	s_waitcnt lgkmcnt(0)
	v_cmp_ne_u32_e64 s[4:5], v4, v20
	s_and_b64 s[4:5], vcc, s[4:5]
	s_and_b64 s[10:11], s[4:5], exec
	s_or_b64 exec, exec, s[12:13]
.LBB461_55:
	v_mov_b32_e32 v70, s3
	s_and_saveexec_b64 s[4:5], s[8:9]
.LBB461_56:
	v_cndmask_b32_e64 v70, 0, 1, s[10:11]
.LBB461_57:
	s_or_b64 exec, exec, s[4:5]
	s_load_dwordx4 s[40:43], s[0:1], 0x20
	s_load_dwordx2 s[44:45], s[0:1], 0x30
	s_cmp_eq_u64 s[38:39], 0
	v_add3_u32 v2, v69, v70, v68
	s_cselect_b64 s[38:39], -1, 0
	s_cmp_lg_u32 s2, 0
	v_cmp_eq_u32_e64 s[24:25], 0, v69
	v_cmp_eq_u32_e64 s[22:23], 0, v68
	;; [unrolled: 1-line block ×3, first 2 shown]
	v_add3_u32 v72, v2, v67, v66
	v_cmp_eq_u32_e64 s[18:19], 0, v66
	v_cmp_eq_u32_e64 s[16:17], 0, v65
	;; [unrolled: 1-line block ×10, first 2 shown]
	v_cmp_eq_u32_e32 vcc, 0, v56
	v_mbcnt_lo_u32_b32 v71, -1, 0
	v_lshrrev_b32_e32 v54, 6, v0
	v_or_b32_e32 v55, 63, v0
	s_cbranch_scc0 .LBB461_88
; %bb.58:
	v_cndmask_b32_e64 v2, 0, v52, s[24:25]
	v_add_u32_e32 v2, v2, v52
	v_cndmask_b32_e64 v2, 0, v2, s[22:23]
	v_add_u32_e32 v2, v2, v52
	;; [unrolled: 2-line block ×11, first 2 shown]
	v_cndmask_b32_e64 v2, 0, v2, s[28:29]
	v_add3_u32 v3, v72, v65, v64
	v_add_u32_e32 v2, v2, v52
	v_add3_u32 v3, v3, v63, v62
	v_cndmask_b32_e64 v2, 0, v2, s[0:1]
	v_add3_u32 v3, v3, v61, v60
	v_add_u32_e32 v2, v2, v52
	v_add3_u32 v3, v3, v59, v58
	v_cndmask_b32_e32 v2, 0, v2, vcc
	v_add3_u32 v3, v3, v57, v56
	v_add_u32_e32 v2, v2, v53
	v_mbcnt_hi_u32_b32 v25, -1, v71
	v_and_b32_e32 v4, 15, v25
	v_mov_b32_dpp v6, v2 row_shr:1 row_mask:0xf bank_mask:0xf
	v_cmp_eq_u32_e32 vcc, 0, v3
	v_mov_b32_dpp v5, v3 row_shr:1 row_mask:0xf bank_mask:0xf
	v_cmp_lt_u32_e64 s[26:27], 1, v4
	v_cndmask_b32_e32 v6, 0, v6, vcc
	v_cmp_eq_u32_e32 vcc, 0, v4
	s_nop 1
	v_cndmask_b32_e64 v5, v5, 0, vcc
	v_add_u32_e32 v3, v5, v3
	v_cndmask_b32_e64 v5, v6, 0, vcc
	v_add_u32_e32 v2, v5, v2
	v_cmp_eq_u32_e32 vcc, 0, v3
	v_mov_b32_dpp v5, v3 row_shr:2 row_mask:0xf bank_mask:0xf
	v_mov_b32_dpp v6, v2 row_shr:2 row_mask:0xf bank_mask:0xf
	v_cndmask_b32_e64 v5, 0, v5, s[26:27]
	s_and_b64 vcc, s[26:27], vcc
	v_cndmask_b32_e32 v6, 0, v6, vcc
	v_add_u32_e32 v3, v3, v5
	v_add_u32_e32 v2, v6, v2
	v_cmp_eq_u32_e32 vcc, 0, v3
	v_mov_b32_dpp v5, v3 row_shr:4 row_mask:0xf bank_mask:0xf
	v_cmp_lt_u32_e64 s[26:27], 3, v4
	v_mov_b32_dpp v6, v2 row_shr:4 row_mask:0xf bank_mask:0xf
	s_and_b64 vcc, s[26:27], vcc
	v_cndmask_b32_e64 v5, 0, v5, s[26:27]
	v_cndmask_b32_e32 v6, 0, v6, vcc
	v_add_u32_e32 v3, v5, v3
	v_add_u32_e32 v2, v2, v6
	v_cmp_eq_u32_e32 vcc, 0, v3
	v_cmp_lt_u32_e64 s[26:27], 7, v4
	v_mov_b32_dpp v5, v3 row_shr:8 row_mask:0xf bank_mask:0xf
	v_mov_b32_dpp v6, v2 row_shr:8 row_mask:0xf bank_mask:0xf
	s_and_b64 vcc, s[26:27], vcc
	v_cndmask_b32_e64 v4, 0, v5, s[26:27]
	v_cndmask_b32_e32 v5, 0, v6, vcc
	v_add_u32_e32 v2, v5, v2
	v_add_u32_e32 v3, v4, v3
	v_bfe_i32 v6, v25, 4, 1
	v_mov_b32_dpp v5, v2 row_bcast:15 row_mask:0xf bank_mask:0xf
	v_mov_b32_dpp v4, v3 row_bcast:15 row_mask:0xf bank_mask:0xf
	v_cmp_eq_u32_e32 vcc, 0, v3
	v_and_b32_e32 v4, v6, v4
	v_add_u32_e32 v3, v4, v3
	v_cndmask_b32_e32 v5, 0, v5, vcc
	v_and_b32_e32 v4, v6, v5
	v_add_u32_e32 v4, v4, v2
	v_mov_b32_dpp v2, v3 row_bcast:31 row_mask:0xf bank_mask:0xf
	v_cmp_eq_u32_e32 vcc, 0, v3
	v_cmp_lt_u32_e64 s[26:27], 31, v25
	v_mov_b32_dpp v5, v4 row_bcast:31 row_mask:0xf bank_mask:0xf
	s_and_b64 vcc, s[26:27], vcc
	v_cndmask_b32_e64 v2, 0, v2, s[26:27]
	v_add_u32_e32 v2, v2, v3
	v_cndmask_b32_e32 v3, 0, v5, vcc
	v_add_u32_e32 v3, v3, v4
	v_cmp_eq_u32_e32 vcc, v55, v0
	v_lshlrev_b32_e32 v4, 3, v54
	s_and_saveexec_b64 s[26:27], vcc
	s_cbranch_execz .LBB461_60
; %bb.59:
	ds_write_b64 v4, v[2:3] offset:4112
.LBB461_60:
	s_or_b64 exec, exec, s[26:27]
	v_cmp_gt_u32_e32 vcc, 8, v0
	s_waitcnt lgkmcnt(0)
	s_barrier
	s_and_saveexec_b64 s[30:31], vcc
	s_cbranch_execz .LBB461_62
; %bb.61:
	v_lshlrev_b32_e32 v5, 3, v0
	ds_read_b64 v[6:7], v5 offset:4112
	v_and_b32_e32 v22, 7, v25
	v_cmp_lt_u32_e64 s[26:27], 1, v22
	s_waitcnt lgkmcnt(0)
	v_mov_b32_dpp v24, v7 row_shr:1 row_mask:0xf bank_mask:0xf
	v_cmp_eq_u32_e32 vcc, 0, v6
	v_mov_b32_dpp v23, v6 row_shr:1 row_mask:0xf bank_mask:0xf
	s_nop 0
	v_cndmask_b32_e32 v24, 0, v24, vcc
	v_cmp_eq_u32_e32 vcc, 0, v22
	s_nop 1
	v_cndmask_b32_e64 v23, v23, 0, vcc
	v_add_u32_e32 v6, v23, v6
	v_cndmask_b32_e64 v23, v24, 0, vcc
	v_add_u32_e32 v7, v23, v7
	v_cmp_eq_u32_e32 vcc, 0, v6
	v_mov_b32_dpp v23, v6 row_shr:2 row_mask:0xf bank_mask:0xf
	v_mov_b32_dpp v24, v7 row_shr:2 row_mask:0xf bank_mask:0xf
	v_cndmask_b32_e64 v23, 0, v23, s[26:27]
	s_and_b64 vcc, s[26:27], vcc
	v_cndmask_b32_e32 v24, 0, v24, vcc
	v_add_u32_e32 v6, v23, v6
	v_add_u32_e32 v7, v24, v7
	v_cmp_eq_u32_e32 vcc, 0, v6
	v_mov_b32_dpp v23, v6 row_shr:4 row_mask:0xf bank_mask:0xf
	v_cmp_lt_u32_e64 s[26:27], 3, v22
	v_mov_b32_dpp v24, v7 row_shr:4 row_mask:0xf bank_mask:0xf
	s_and_b64 vcc, s[26:27], vcc
	v_cndmask_b32_e64 v22, 0, v23, s[26:27]
	v_add_u32_e32 v6, v22, v6
	v_cndmask_b32_e32 v22, 0, v24, vcc
	v_add_u32_e32 v7, v22, v7
	ds_write_b64 v5, v[6:7] offset:4112
.LBB461_62:
	s_or_b64 exec, exec, s[30:31]
	v_cmp_gt_u32_e32 vcc, 64, v0
	v_cmp_lt_u32_e64 s[26:27], 63, v0
	v_mov_b32_e32 v22, 0
	v_mov_b32_e32 v23, 0
	s_waitcnt lgkmcnt(0)
	s_barrier
	s_and_saveexec_b64 s[30:31], s[26:27]
	s_cbranch_execz .LBB461_64
; %bb.63:
	ds_read_b64 v[22:23], v4 offset:4104
	v_cmp_eq_u32_e64 s[26:27], 0, v2
	s_waitcnt lgkmcnt(0)
	v_add_u32_e32 v4, v22, v2
	v_cndmask_b32_e64 v2, 0, v23, s[26:27]
	v_add_u32_e32 v3, v2, v3
	v_mov_b32_e32 v2, v4
.LBB461_64:
	s_or_b64 exec, exec, s[30:31]
	v_add_u32_e32 v4, -1, v25
	v_and_b32_e32 v5, 64, v25
	v_cmp_lt_i32_e64 s[26:27], v4, v5
	s_nop 1
	v_cndmask_b32_e64 v4, v4, v25, s[26:27]
	v_lshlrev_b32_e32 v4, 2, v4
	ds_bpermute_b32 v30, v4, v2
	ds_bpermute_b32 v31, v4, v3
	v_cmp_eq_u32_e64 s[26:27], 0, v25
	s_and_saveexec_b64 s[52:53], vcc
	s_cbranch_execz .LBB461_87
; %bb.65:
	v_mov_b32_e32 v7, 0
	ds_read_b64 v[2:3], v7 offset:4168
	s_waitcnt lgkmcnt(0)
	v_readfirstlane_b32 s3, v2
	v_readfirstlane_b32 s56, v3
	s_and_saveexec_b64 s[30:31], s[26:27]
	s_cbranch_execz .LBB461_67
; %bb.66:
	s_add_i32 s54, s2, 64
	s_mov_b32 s55, 0
	s_lshl_b64 s[58:59], s[54:55], 4
	s_add_u32 s58, s36, s58
	s_addc_u32 s59, s37, s59
	s_and_b32 s61, s56, 0xff000000
	s_mov_b32 s60, s55
	s_and_b32 s63, s56, 0xff0000
	s_mov_b32 s62, s55
	s_or_b64 s[60:61], s[62:63], s[60:61]
	s_and_b32 s63, s56, 0xff00
	s_or_b64 s[60:61], s[60:61], s[62:63]
	s_and_b32 s63, s56, 0xff
	s_or_b64 s[54:55], s[60:61], s[62:63]
	v_mov_b32_e32 v4, s3
	v_mov_b32_e32 v5, s55
	;; [unrolled: 1-line block ×3, first 2 shown]
	v_mov_b64_e32 v[2:3], s[58:59]
	;;#ASMSTART
	global_store_dwordx4 v[2:3], v[4:7] off sc1	
s_waitcnt vmcnt(0)
	;;#ASMEND
.LBB461_67:
	s_or_b64 exec, exec, s[30:31]
	v_xad_u32 v24, v25, -1, s2
	v_add_u32_e32 v6, 64, v24
	v_lshl_add_u64 v[26:27], v[6:7], 4, s[36:37]
	;;#ASMSTART
	global_load_dwordx4 v[2:5], v[26:27] off sc1	
s_waitcnt vmcnt(0)
	;;#ASMEND
	s_nop 0
	v_and_b32_e32 v5, 0xff, v3
	v_and_b32_e32 v6, 0xff00, v3
	v_or3_b32 v2, v2, 0, 0
	v_and_b32_e32 v28, 0xff000000, v3
	v_or3_b32 v5, 0, v5, v6
	;; [unrolled: 2-line block ×3, first 2 shown]
	v_or3_b32 v2, v2, 0, 0
	v_cmp_eq_u16_sdwa s[54:55], v4, v7 src0_sel:BYTE_0 src1_sel:DWORD
	s_and_saveexec_b64 s[30:31], s[54:55]
	s_cbranch_execz .LBB461_73
; %bb.68:
	s_mov_b32 s57, 1
	s_mov_b64 s[54:55], 0
	v_mov_b32_e32 v6, 0
.LBB461_69:                             ; =>This Loop Header: Depth=1
                                        ;     Child Loop BB461_70 Depth 2
	s_max_u32 s58, s57, 1
.LBB461_70:                             ;   Parent Loop BB461_69 Depth=1
                                        ; =>  This Inner Loop Header: Depth=2
	s_add_i32 s58, s58, -1
	s_cmp_eq_u32 s58, 0
	s_sleep 1
	s_cbranch_scc0 .LBB461_70
; %bb.71:                               ;   in Loop: Header=BB461_69 Depth=1
	s_cmp_lt_u32 s57, 32
	s_cselect_b64 s[58:59], -1, 0
	s_cmp_lg_u64 s[58:59], 0
	s_addc_u32 s57, s57, 0
	;;#ASMSTART
	global_load_dwordx4 v[2:5], v[26:27] off sc1	
s_waitcnt vmcnt(0)
	;;#ASMEND
	s_nop 0
	v_cmp_ne_u16_sdwa s[58:59], v4, v6 src0_sel:BYTE_0 src1_sel:DWORD
	s_or_b64 s[54:55], s[58:59], s[54:55]
	s_andn2_b64 exec, exec, s[54:55]
	s_cbranch_execnz .LBB461_69
; %bb.72:
	s_or_b64 exec, exec, s[54:55]
.LBB461_73:
	s_or_b64 exec, exec, s[30:31]
	v_mov_b32_e32 v32, 2
	v_cmp_eq_u16_sdwa s[30:31], v4, v32 src0_sel:BYTE_0 src1_sel:DWORD
	v_lshlrev_b64 v[26:27], v25, -1
	v_and_b32_e32 v33, 63, v25
	v_and_b32_e32 v5, s31, v27
	v_or_b32_e32 v5, 0x80000000, v5
	v_cmp_ne_u32_e32 vcc, 63, v33
	v_and_b32_e32 v6, s30, v26
	v_ffbl_b32_e32 v5, v5
	v_addc_co_u32_e32 v7, vcc, 0, v25, vcc
	v_add_u32_e32 v5, 32, v5
	v_ffbl_b32_e32 v6, v6
	v_lshlrev_b32_e32 v34, 2, v7
	v_min_u32_e32 v5, v6, v5
	ds_bpermute_b32 v6, v34, v3
	v_cmp_eq_u32_e32 vcc, 0, v2
	v_cmp_lt_u32_e64 s[30:31], v33, v5
	ds_bpermute_b32 v7, v34, v2
	s_and_b64 vcc, s[30:31], vcc
	s_waitcnt lgkmcnt(1)
	v_cndmask_b32_e32 v6, 0, v6, vcc
	v_cmp_gt_u32_e32 vcc, 62, v33
	v_add_u32_e32 v3, v6, v3
	s_waitcnt lgkmcnt(0)
	v_cndmask_b32_e64 v7, 0, v7, s[30:31]
	v_cndmask_b32_e64 v6, 0, 1, vcc
	v_lshlrev_b32_e32 v6, 1, v6
	v_add_lshl_u32 v35, v6, v25, 2
	ds_bpermute_b32 v6, v35, v3
	v_add_u32_e32 v2, v7, v2
	ds_bpermute_b32 v7, v35, v2
	v_add_u32_e32 v36, 2, v33
	v_cmp_eq_u32_e32 vcc, 0, v2
	v_add_u32_e32 v38, 4, v33
	v_add_u32_e32 v40, 8, v33
	s_waitcnt lgkmcnt(1)
	v_cndmask_b32_e32 v6, 0, v6, vcc
	v_cmp_gt_u32_e32 vcc, v36, v5
	v_add_u32_e32 v42, 16, v33
	v_add_u32_e32 v44, 32, v33
	v_cndmask_b32_e64 v6, v6, 0, vcc
	v_add_u32_e32 v3, v6, v3
	s_waitcnt lgkmcnt(0)
	v_cndmask_b32_e64 v6, v7, 0, vcc
	v_cmp_gt_u32_e32 vcc, 60, v33
	v_add_u32_e32 v2, v2, v6
	s_nop 0
	v_cndmask_b32_e64 v7, 0, 1, vcc
	v_lshlrev_b32_e32 v7, 2, v7
	v_add_lshl_u32 v37, v7, v25, 2
	ds_bpermute_b32 v7, v37, v3
	ds_bpermute_b32 v6, v37, v2
	v_cmp_eq_u32_e32 vcc, 0, v2
	s_waitcnt lgkmcnt(1)
	s_nop 0
	v_cndmask_b32_e32 v7, 0, v7, vcc
	v_cmp_gt_u32_e32 vcc, v38, v5
	s_nop 1
	v_cndmask_b32_e64 v7, v7, 0, vcc
	s_waitcnt lgkmcnt(0)
	v_cndmask_b32_e64 v6, v6, 0, vcc
	v_cmp_gt_u32_e32 vcc, 56, v33
	v_add_u32_e32 v3, v3, v7
	v_add_u32_e32 v2, v2, v6
	v_cndmask_b32_e64 v7, 0, 1, vcc
	v_lshlrev_b32_e32 v7, 3, v7
	v_add_lshl_u32 v39, v7, v25, 2
	ds_bpermute_b32 v7, v39, v3
	ds_bpermute_b32 v6, v39, v2
	v_cmp_eq_u32_e32 vcc, 0, v2
	s_waitcnt lgkmcnt(1)
	s_nop 0
	v_cndmask_b32_e32 v7, 0, v7, vcc
	v_cmp_gt_u32_e32 vcc, v40, v5
	s_nop 1
	v_cndmask_b32_e64 v7, v7, 0, vcc
	s_waitcnt lgkmcnt(0)
	v_cndmask_b32_e64 v6, v6, 0, vcc
	v_cmp_gt_u32_e32 vcc, 48, v33
	v_add_u32_e32 v3, v3, v7
	v_add_u32_e32 v2, v2, v6
	;; [unrolled: 17-line block ×3, first 2 shown]
	v_cndmask_b32_e64 v7, 0, 1, vcc
	v_lshlrev_b32_e32 v7, 5, v7
	v_add_lshl_u32 v43, v7, v25, 2
	ds_bpermute_b32 v7, v43, v3
	ds_bpermute_b32 v6, v43, v2
	v_cmp_eq_u32_e32 vcc, 0, v2
	v_mov_b32_e32 v25, 0
	s_waitcnt lgkmcnt(1)
	v_cndmask_b32_e32 v7, 0, v7, vcc
	v_cmp_gt_u32_e32 vcc, v44, v5
	s_nop 1
	v_cndmask_b32_e64 v5, v7, 0, vcc
	v_add_u32_e32 v3, v5, v3
	s_waitcnt lgkmcnt(0)
	v_cndmask_b32_e64 v5, v6, 0, vcc
	v_add_u32_e32 v2, v5, v2
	s_branch .LBB461_75
.LBB461_74:                             ;   in Loop: Header=BB461_75 Depth=1
	s_or_b64 exec, exec, s[30:31]
	v_cmp_eq_u16_sdwa s[30:31], v4, v32 src0_sel:BYTE_0 src1_sel:DWORD
	v_cmp_eq_u32_e32 vcc, 0, v2
	ds_bpermute_b32 v29, v34, v2
	v_and_b32_e32 v5, s31, v27
	v_or_b32_e32 v5, 0x80000000, v5
	v_and_b32_e32 v28, s30, v26
	v_ffbl_b32_e32 v5, v5
	v_add_u32_e32 v5, 32, v5
	v_ffbl_b32_e32 v28, v28
	v_min_u32_e32 v5, v28, v5
	ds_bpermute_b32 v28, v34, v3
	v_cmp_lt_u32_e64 s[30:31], v33, v5
	s_and_b64 vcc, s[30:31], vcc
	v_subrev_u32_e32 v24, 64, v24
	s_waitcnt lgkmcnt(1)
	v_cndmask_b32_e64 v29, 0, v29, s[30:31]
	s_waitcnt lgkmcnt(0)
	v_cndmask_b32_e32 v28, 0, v28, vcc
	v_add_u32_e32 v3, v28, v3
	ds_bpermute_b32 v28, v35, v3
	v_add_u32_e32 v2, v29, v2
	v_cmp_eq_u32_e32 vcc, 0, v2
	ds_bpermute_b32 v29, v35, v2
	s_waitcnt lgkmcnt(1)
	v_cndmask_b32_e32 v28, 0, v28, vcc
	v_cmp_gt_u32_e32 vcc, v36, v5
	s_nop 1
	v_cndmask_b32_e64 v28, v28, 0, vcc
	v_add_u32_e32 v3, v28, v3
	ds_bpermute_b32 v28, v37, v3
	s_waitcnt lgkmcnt(1)
	v_cndmask_b32_e64 v29, v29, 0, vcc
	v_add_u32_e32 v2, v2, v29
	v_cmp_eq_u32_e32 vcc, 0, v2
	ds_bpermute_b32 v29, v37, v2
	s_waitcnt lgkmcnt(1)
	v_cndmask_b32_e32 v28, 0, v28, vcc
	v_cmp_gt_u32_e32 vcc, v38, v5
	s_nop 1
	v_cndmask_b32_e64 v28, v28, 0, vcc
	v_add_u32_e32 v3, v3, v28
	ds_bpermute_b32 v28, v39, v3
	s_waitcnt lgkmcnt(1)
	v_cndmask_b32_e64 v29, v29, 0, vcc
	v_add_u32_e32 v2, v2, v29
	ds_bpermute_b32 v29, v39, v2
	v_cmp_eq_u32_e32 vcc, 0, v2
	s_waitcnt lgkmcnt(1)
	s_nop 0
	v_cndmask_b32_e32 v28, 0, v28, vcc
	v_cmp_gt_u32_e32 vcc, v40, v5
	s_nop 1
	v_cndmask_b32_e64 v28, v28, 0, vcc
	v_add_u32_e32 v3, v3, v28
	ds_bpermute_b32 v28, v41, v3
	s_waitcnt lgkmcnt(1)
	v_cndmask_b32_e64 v29, v29, 0, vcc
	v_add_u32_e32 v2, v2, v29
	ds_bpermute_b32 v29, v41, v2
	v_cmp_eq_u32_e32 vcc, 0, v2
	s_waitcnt lgkmcnt(1)
	s_nop 0
	;; [unrolled: 13-line block ×3, first 2 shown]
	v_cndmask_b32_e32 v28, 0, v28, vcc
	v_cmp_gt_u32_e32 vcc, v44, v5
	s_nop 1
	v_cndmask_b32_e64 v5, v28, 0, vcc
	v_add_u32_e32 v3, v5, v3
	s_waitcnt lgkmcnt(0)
	v_cndmask_b32_e64 v5, v29, 0, vcc
	v_cmp_eq_u32_e32 vcc, 0, v6
	v_add3_u32 v2, v2, v6, v5
	s_nop 0
	v_cndmask_b32_e32 v3, 0, v3, vcc
	v_add_u32_e32 v3, v3, v7
.LBB461_75:                             ; =>This Loop Header: Depth=1
                                        ;     Child Loop BB461_78 Depth 2
                                        ;       Child Loop BB461_79 Depth 3
	v_cmp_ne_u16_sdwa s[30:31], v4, v32 src0_sel:BYTE_0 src1_sel:DWORD
	v_mov_b32_e32 v7, v3
	v_mov_b32_e32 v6, v2
	v_cndmask_b32_e64 v3, 0, 1, s[30:31]
	;;#ASMSTART
	;;#ASMEND
	s_nop 0
	v_cmp_ne_u32_e32 vcc, 0, v3
	s_cmp_lg_u64 vcc, exec
	s_cbranch_scc1 .LBB461_82
; %bb.76:                               ;   in Loop: Header=BB461_75 Depth=1
	v_lshl_add_u64 v[28:29], v[24:25], 4, s[36:37]
	;;#ASMSTART
	global_load_dwordx4 v[2:5], v[28:29] off sc1	
s_waitcnt vmcnt(0)
	;;#ASMEND
	s_nop 0
	v_and_b32_e32 v5, 0xff, v3
	v_and_b32_e32 v45, 0xff00, v3
	v_or3_b32 v2, v2, 0, 0
	v_and_b32_e32 v46, 0xff000000, v3
	v_or3_b32 v5, 0, v5, v45
	;; [unrolled: 2-line block ×3, first 2 shown]
	v_or3_b32 v2, v2, 0, 0
	v_cmp_eq_u16_sdwa s[54:55], v4, v25 src0_sel:BYTE_0 src1_sel:DWORD
	s_and_saveexec_b64 s[30:31], s[54:55]
	s_cbranch_execz .LBB461_74
; %bb.77:                               ;   in Loop: Header=BB461_75 Depth=1
	s_mov_b32 s57, 1
	s_mov_b64 s[54:55], 0
.LBB461_78:                             ;   Parent Loop BB461_75 Depth=1
                                        ; =>  This Loop Header: Depth=2
                                        ;       Child Loop BB461_79 Depth 3
	s_max_u32 s58, s57, 1
.LBB461_79:                             ;   Parent Loop BB461_75 Depth=1
                                        ;     Parent Loop BB461_78 Depth=2
                                        ; =>    This Inner Loop Header: Depth=3
	s_add_i32 s58, s58, -1
	s_cmp_eq_u32 s58, 0
	s_sleep 1
	s_cbranch_scc0 .LBB461_79
; %bb.80:                               ;   in Loop: Header=BB461_78 Depth=2
	s_cmp_lt_u32 s57, 32
	s_cselect_b64 s[58:59], -1, 0
	s_cmp_lg_u64 s[58:59], 0
	s_addc_u32 s57, s57, 0
	;;#ASMSTART
	global_load_dwordx4 v[2:5], v[28:29] off sc1	
s_waitcnt vmcnt(0)
	;;#ASMEND
	s_nop 0
	v_cmp_ne_u16_sdwa s[58:59], v4, v25 src0_sel:BYTE_0 src1_sel:DWORD
	s_or_b64 s[54:55], s[58:59], s[54:55]
	s_andn2_b64 exec, exec, s[54:55]
	s_cbranch_execnz .LBB461_78
; %bb.81:                               ;   in Loop: Header=BB461_75 Depth=1
	s_or_b64 exec, exec, s[54:55]
	s_branch .LBB461_74
.LBB461_82:                             ;   in Loop: Header=BB461_75 Depth=1
                                        ; implicit-def: $vgpr3
                                        ; implicit-def: $vgpr2
                                        ; implicit-def: $vgpr4
	s_cbranch_execz .LBB461_75
; %bb.83:
	s_and_saveexec_b64 s[30:31], s[26:27]
	s_cbranch_execz .LBB461_85
; %bb.84:
	s_cmp_eq_u32 s3, 0
	s_cselect_b64 vcc, -1, 0
	s_mov_b32 s55, 0
	v_cndmask_b32_e32 v2, 0, v7, vcc
	s_add_i32 s54, s2, 64
	v_add_u32_e32 v2, s56, v2
	s_lshl_b64 s[54:55], s[54:55], 4
	s_add_u32 s54, s36, s54
	v_and_b32_e32 v3, 0xff000000, v2
	v_and_b32_e32 v4, 0xff0000, v2
	s_addc_u32 s55, s37, s55
	v_or_b32_e32 v3, v4, v3
	v_and_b32_e32 v4, 0xff00, v2
	v_and_b32_e32 v2, 0xff, v2
	v_add_u32_e32 v24, s3, v6
	v_mov_b32_e32 v27, 0
	v_or3_b32 v25, v3, v4, v2
	v_mov_b32_e32 v26, 2
	v_mov_b64_e32 v[2:3], s[54:55]
	;;#ASMSTART
	global_store_dwordx4 v[2:3], v[24:27] off sc1	
s_waitcnt vmcnt(0)
	;;#ASMEND
	v_mov_b32_e32 v4, s3
	v_mov_b32_e32 v5, s56
	ds_write_b128 v27, v[4:7] offset:4096
.LBB461_85:
	s_or_b64 exec, exec, s[30:31]
	v_cmp_eq_u32_e32 vcc, 0, v0
	s_and_b64 exec, exec, vcc
	s_cbranch_execz .LBB461_87
; %bb.86:
	v_mov_b32_e32 v2, 0
	ds_write_b64 v2, v[6:7] offset:4168
.LBB461_87:
	s_or_b64 exec, exec, s[52:53]
	v_mov_b32_e32 v4, 0
	s_waitcnt lgkmcnt(0)
	s_barrier
	ds_read_b64 v[2:3], v4 offset:4168
	v_cndmask_b32_e64 v6, v30, v22, s[26:27]
	v_cmp_eq_u32_e32 vcc, 0, v6
	v_cndmask_b32_e64 v5, v31, v23, s[26:27]
	s_waitcnt lgkmcnt(0)
	v_cndmask_b32_e32 v7, 0, v3, vcc
	v_add_u32_e32 v5, v7, v5
	v_cmp_eq_u32_e32 vcc, 0, v0
	s_barrier
	s_nop 0
	v_cndmask_b32_e32 v51, v5, v3, vcc
	v_cndmask_b32_e64 v3, v6, 0, vcc
	v_cmp_eq_u32_e32 vcc, 0, v70
	v_add_u32_e32 v50, v2, v3
	v_add_u32_e32 v48, v50, v70
	v_cndmask_b32_e32 v2, 0, v51, vcc
	v_add_u32_e32 v49, v2, v52
	v_cndmask_b32_e64 v2, 0, v49, s[24:25]
	v_add_u32_e32 v47, v2, v52
	v_cndmask_b32_e64 v2, 0, v47, s[22:23]
	;; [unrolled: 2-line block ×8, first 2 shown]
	v_add_u32_e32 v33, v2, v52
	v_add_u32_e32 v46, v48, v69
	v_cndmask_b32_e64 v2, 0, v33, s[8:9]
	v_add_u32_e32 v44, v46, v68
	v_add_u32_e32 v31, v2, v52
	v_add_u32_e32 v42, v44, v67
	v_cndmask_b32_e64 v2, 0, v31, s[6:7]
	v_add_u32_e32 v40, v42, v66
	;; [unrolled: 4-line block ×3, first 2 shown]
	v_add_u32_e32 v27, v2, v52
	ds_read_b128 v[2:5], v4 offset:4096
	v_add_u32_e32 v34, v36, v63
	v_add_u32_e32 v32, v34, v62
	v_add_u32_e32 v30, v32, v61
	v_add_u32_e32 v28, v30, v60
	v_cndmask_b32_e64 v6, 0, v27, s[28:29]
	v_add_u32_e32 v26, v28, v59
	v_add_u32_e32 v23, v6, v52
	s_waitcnt lgkmcnt(0)
	v_cmp_eq_u32_e32 vcc, 0, v2
	v_add_u32_e32 v22, v26, v58
	v_cndmask_b32_e64 v6, 0, v23, s[0:1]
	v_cndmask_b32_e32 v5, 0, v5, vcc
	v_add_u32_e32 v24, v22, v57
	v_add_u32_e32 v25, v6, v52
	;; [unrolled: 1-line block ×3, first 2 shown]
	s_branch .LBB461_100
.LBB461_88:
                                        ; implicit-def: $vgpr2
                                        ; implicit-def: $vgpr6
                                        ; implicit-def: $vgpr24_vgpr25
                                        ; implicit-def: $vgpr22_vgpr23
                                        ; implicit-def: $vgpr26_vgpr27
                                        ; implicit-def: $vgpr28_vgpr29
                                        ; implicit-def: $vgpr50_vgpr51
                                        ; implicit-def: $vgpr48_vgpr49
                                        ; implicit-def: $vgpr46_vgpr47
                                        ; implicit-def: $vgpr44_vgpr45
                                        ; implicit-def: $vgpr42_vgpr43
                                        ; implicit-def: $vgpr40_vgpr41
                                        ; implicit-def: $vgpr38_vgpr39
                                        ; implicit-def: $vgpr36_vgpr37
                                        ; implicit-def: $vgpr34_vgpr35
                                        ; implicit-def: $vgpr32_vgpr33
                                        ; implicit-def: $vgpr30_vgpr31
	s_cbranch_execz .LBB461_100
; %bb.89:
	s_and_b64 s[0:1], s[38:39], exec
	s_cselect_b32 s1, 0, s51
	s_cselect_b32 s0, 0, s50
	s_cmp_eq_u64 s[0:1], 0
	v_mov_b32_e32 v6, v52
	s_cbranch_scc1 .LBB461_91
; %bb.90:
	v_mov_b32_e32 v2, 0
	global_load_dword v6, v2, s[0:1]
.LBB461_91:
	v_cmp_eq_u32_e64 s[0:1], 0, v69
	v_cmp_eq_u32_e64 s[2:3], 0, v68
	v_cmp_eq_u32_e64 s[4:5], 0, v67
	v_cndmask_b32_e64 v2, 0, v52, s[0:1]
	v_add_u32_e32 v2, v2, v52
	v_cndmask_b32_e64 v2, 0, v2, s[2:3]
	v_add_u32_e32 v2, v2, v52
	v_cndmask_b32_e64 v2, 0, v2, s[4:5]
	v_add_u32_e32 v2, v2, v52
	v_cmp_eq_u32_e64 s[6:7], 0, v66
	v_cmp_eq_u32_e64 s[8:9], 0, v65
	v_cmp_eq_u32_e64 s[10:11], 0, v64
	v_cndmask_b32_e64 v2, 0, v2, s[6:7]
	v_add_u32_e32 v2, v2, v52
	v_cndmask_b32_e64 v2, 0, v2, s[8:9]
	v_add_u32_e32 v2, v2, v52
	v_cndmask_b32_e64 v2, 0, v2, s[10:11]
	v_add_u32_e32 v2, v2, v52
	;; [unrolled: 9-line block ×3, first 2 shown]
	v_cmp_eq_u32_e64 s[18:19], 0, v60
	v_cmp_eq_u32_e64 s[20:21], 0, v59
	;; [unrolled: 1-line block ×3, first 2 shown]
	v_cndmask_b32_e64 v2, 0, v2, s[18:19]
	v_add_u32_e32 v2, v2, v52
	v_cndmask_b32_e64 v2, 0, v2, s[20:21]
	v_add_u32_e32 v2, v2, v52
	v_cndmask_b32_e64 v2, 0, v2, s[22:23]
	v_add3_u32 v3, v72, v65, v64
	v_add_u32_e32 v2, v2, v52
	v_cmp_eq_u32_e32 vcc, 0, v57
	v_add3_u32 v3, v3, v63, v62
	v_add3_u32 v3, v3, v61, v60
	v_cndmask_b32_e32 v2, 0, v2, vcc
	v_add_u32_e32 v2, v2, v52
	v_cmp_eq_u32_e64 s[24:25], 0, v56
	v_add3_u32 v3, v3, v59, v58
	v_add3_u32 v3, v3, v57, v56
	v_cndmask_b32_e64 v2, 0, v2, s[24:25]
	v_add_u32_e32 v2, v2, v53
	v_mbcnt_hi_u32_b32 v7, -1, v71
	v_and_b32_e32 v4, 15, v7
	v_mov_b32_dpp v22, v2 row_shr:1 row_mask:0xf bank_mask:0xf
	v_cmp_eq_u32_e64 s[24:25], 0, v3
	v_mov_b32_dpp v5, v3 row_shr:1 row_mask:0xf bank_mask:0xf
	v_cmp_lt_u32_e64 s[26:27], 1, v4
	v_cndmask_b32_e64 v22, 0, v22, s[24:25]
	v_cmp_eq_u32_e64 s[24:25], 0, v4
	s_nop 1
	v_cndmask_b32_e64 v5, v5, 0, s[24:25]
	v_add_u32_e32 v3, v5, v3
	v_cndmask_b32_e64 v5, v22, 0, s[24:25]
	v_add_u32_e32 v2, v5, v2
	v_cmp_eq_u32_e64 s[24:25], 0, v3
	v_mov_b32_dpp v5, v3 row_shr:2 row_mask:0xf bank_mask:0xf
	v_mov_b32_dpp v22, v2 row_shr:2 row_mask:0xf bank_mask:0xf
	v_cndmask_b32_e64 v5, 0, v5, s[26:27]
	s_and_b64 s[24:25], s[26:27], s[24:25]
	v_cndmask_b32_e64 v22, 0, v22, s[24:25]
	v_add_u32_e32 v3, v3, v5
	v_add_u32_e32 v2, v22, v2
	v_cmp_eq_u32_e64 s[24:25], 0, v3
	v_mov_b32_dpp v5, v3 row_shr:4 row_mask:0xf bank_mask:0xf
	v_cmp_lt_u32_e64 s[26:27], 3, v4
	v_mov_b32_dpp v22, v2 row_shr:4 row_mask:0xf bank_mask:0xf
	s_and_b64 s[24:25], s[26:27], s[24:25]
	v_cndmask_b32_e64 v5, 0, v5, s[26:27]
	v_cndmask_b32_e64 v22, 0, v22, s[24:25]
	v_add_u32_e32 v3, v5, v3
	v_add_u32_e32 v2, v2, v22
	v_cmp_eq_u32_e64 s[24:25], 0, v3
	v_cmp_lt_u32_e64 s[26:27], 7, v4
	v_mov_b32_dpp v5, v3 row_shr:8 row_mask:0xf bank_mask:0xf
	v_mov_b32_dpp v22, v2 row_shr:8 row_mask:0xf bank_mask:0xf
	s_and_b64 s[24:25], s[26:27], s[24:25]
	v_cndmask_b32_e64 v4, 0, v5, s[26:27]
	v_cndmask_b32_e64 v5, 0, v22, s[24:25]
	v_add_u32_e32 v2, v5, v2
	v_add_u32_e32 v3, v4, v3
	v_bfe_i32 v22, v7, 4, 1
	v_mov_b32_dpp v5, v2 row_bcast:15 row_mask:0xf bank_mask:0xf
	v_mov_b32_dpp v4, v3 row_bcast:15 row_mask:0xf bank_mask:0xf
	v_cmp_eq_u32_e64 s[24:25], 0, v3
	v_and_b32_e32 v4, v22, v4
	v_add_u32_e32 v3, v4, v3
	v_cndmask_b32_e64 v5, 0, v5, s[24:25]
	v_and_b32_e32 v4, v22, v5
	v_add_u32_e32 v4, v4, v2
	v_mov_b32_dpp v2, v3 row_bcast:31 row_mask:0xf bank_mask:0xf
	v_cmp_eq_u32_e64 s[24:25], 0, v3
	v_cmp_lt_u32_e64 s[26:27], 31, v7
	v_mov_b32_dpp v5, v4 row_bcast:31 row_mask:0xf bank_mask:0xf
	s_and_b64 s[24:25], s[26:27], s[24:25]
	v_cndmask_b32_e64 v2, 0, v2, s[26:27]
	v_add_u32_e32 v2, v2, v3
	v_cndmask_b32_e64 v3, 0, v5, s[24:25]
	v_add_u32_e32 v3, v3, v4
	v_cmp_eq_u32_e64 s[24:25], v55, v0
	s_and_saveexec_b64 s[26:27], s[24:25]
	s_cbranch_execz .LBB461_93
; %bb.92:
	v_lshlrev_b32_e32 v4, 3, v54
	ds_write_b64 v4, v[2:3] offset:4112
.LBB461_93:
	s_or_b64 exec, exec, s[26:27]
	v_cmp_gt_u32_e64 s[24:25], 8, v0
	s_waitcnt lgkmcnt(0)
	s_barrier
	s_and_saveexec_b64 s[28:29], s[24:25]
	s_cbranch_execz .LBB461_95
; %bb.94:
	v_lshlrev_b32_e32 v22, 3, v0
	ds_read_b64 v[4:5], v22 offset:4112
	v_and_b32_e32 v23, 7, v7
	v_cmp_lt_u32_e64 s[26:27], 1, v23
	s_waitcnt lgkmcnt(0)
	v_mov_b32_dpp v25, v5 row_shr:1 row_mask:0xf bank_mask:0xf
	v_cmp_eq_u32_e64 s[24:25], 0, v4
	v_mov_b32_dpp v24, v4 row_shr:1 row_mask:0xf bank_mask:0xf
	s_nop 0
	v_cndmask_b32_e64 v25, 0, v25, s[24:25]
	v_cmp_eq_u32_e64 s[24:25], 0, v23
	s_nop 1
	v_cndmask_b32_e64 v24, v24, 0, s[24:25]
	v_add_u32_e32 v4, v24, v4
	v_cndmask_b32_e64 v24, v25, 0, s[24:25]
	v_add_u32_e32 v5, v24, v5
	v_cmp_eq_u32_e64 s[24:25], 0, v4
	v_mov_b32_dpp v24, v4 row_shr:2 row_mask:0xf bank_mask:0xf
	v_mov_b32_dpp v25, v5 row_shr:2 row_mask:0xf bank_mask:0xf
	v_cndmask_b32_e64 v24, 0, v24, s[26:27]
	s_and_b64 s[24:25], s[26:27], s[24:25]
	v_cndmask_b32_e64 v25, 0, v25, s[24:25]
	v_add_u32_e32 v4, v24, v4
	v_add_u32_e32 v5, v25, v5
	v_cmp_eq_u32_e64 s[24:25], 0, v4
	v_mov_b32_dpp v24, v4 row_shr:4 row_mask:0xf bank_mask:0xf
	v_cmp_lt_u32_e64 s[26:27], 3, v23
	v_mov_b32_dpp v25, v5 row_shr:4 row_mask:0xf bank_mask:0xf
	s_and_b64 s[24:25], s[26:27], s[24:25]
	v_cndmask_b32_e64 v23, 0, v24, s[26:27]
	v_add_u32_e32 v4, v23, v4
	v_cndmask_b32_e64 v23, 0, v25, s[24:25]
	v_add_u32_e32 v5, v23, v5
	ds_write_b64 v22, v[4:5] offset:4112
.LBB461_95:
	s_or_b64 exec, exec, s[28:29]
	v_cmp_lt_u32_e64 s[24:25], 63, v0
	v_mov_b32_e32 v23, 0
	v_mov_b32_e32 v4, 0
	s_waitcnt vmcnt(0)
	v_mov_b32_e32 v5, v6
	s_waitcnt lgkmcnt(0)
	s_barrier
	s_and_saveexec_b64 s[26:27], s[24:25]
	s_cbranch_execz .LBB461_97
; %bb.96:
	v_lshlrev_b32_e32 v4, 3, v54
	ds_read_b64 v[4:5], v4 offset:4104
	s_waitcnt lgkmcnt(0)
	v_cmp_eq_u32_e64 s[24:25], 0, v4
	s_nop 1
	v_cndmask_b32_e64 v22, 0, v6, s[24:25]
	v_add_u32_e32 v5, v22, v5
.LBB461_97:
	s_or_b64 exec, exec, s[26:27]
	v_cmp_eq_u32_e64 s[24:25], 0, v2
	v_add_u32_e32 v22, v4, v2
	v_and_b32_e32 v24, 64, v7
	v_cndmask_b32_e64 v2, 0, v5, s[24:25]
	v_add_u32_e32 v2, v2, v3
	v_add_u32_e32 v3, -1, v7
	v_cmp_lt_i32_e64 s[24:25], v3, v24
	v_cmp_eq_u32_e64 s[26:27], 0, v70
	s_nop 0
	v_cndmask_b32_e64 v3, v3, v7, s[24:25]
	v_lshlrev_b32_e32 v3, 2, v3
	ds_bpermute_b32 v22, v3, v22
	ds_bpermute_b32 v2, v3, v2
	v_cmp_eq_u32_e64 s[24:25], 0, v7
	s_waitcnt lgkmcnt(1)
	s_nop 0
	v_cndmask_b32_e64 v3, v22, v4, s[24:25]
	s_waitcnt lgkmcnt(0)
	v_cndmask_b32_e64 v2, v2, v5, s[24:25]
	v_cmp_eq_u32_e64 s[24:25], 0, v0
	s_nop 1
	v_cndmask_b32_e64 v51, v2, v6, s[24:25]
	v_cndmask_b32_e64 v2, 0, v51, s[26:27]
	v_add_u32_e32 v49, v2, v52
	v_cndmask_b32_e64 v2, 0, v49, s[0:1]
	v_add_u32_e32 v47, v2, v52
	;; [unrolled: 2-line block ×8, first 2 shown]
	v_cndmask_b32_e64 v50, v3, 0, s[24:25]
	v_cndmask_b32_e64 v2, 0, v35, s[14:15]
	v_add_u32_e32 v48, v50, v70
	v_add_u32_e32 v33, v2, v52
	v_add_u32_e32 v46, v48, v69
	v_cndmask_b32_e64 v2, 0, v33, s[16:17]
	v_add_u32_e32 v44, v46, v68
	v_add_u32_e32 v31, v2, v52
	v_add_u32_e32 v42, v44, v67
	;; [unrolled: 4-line block ×3, first 2 shown]
	v_cndmask_b32_e64 v2, 0, v29, s[20:21]
	v_add_u32_e32 v36, v38, v64
	v_add_u32_e32 v27, v2, v52
	ds_read_b64 v[2:3], v23 offset:4168
	v_add_u32_e32 v34, v36, v63
	v_add_u32_e32 v32, v34, v62
	;; [unrolled: 1-line block ×3, first 2 shown]
	v_cndmask_b32_e64 v4, 0, v27, s[22:23]
	v_add_u32_e32 v28, v30, v60
	v_add_u32_e32 v23, v4, v52
	;; [unrolled: 1-line block ×3, first 2 shown]
	v_cndmask_b32_e32 v4, 0, v23, vcc
	s_waitcnt lgkmcnt(0)
	v_cmp_eq_u32_e32 vcc, 0, v2
	v_add_u32_e32 v22, v26, v58
	v_add_u32_e32 v25, v4, v52
	v_cndmask_b32_e32 v4, 0, v6, vcc
	v_add_u32_e32 v24, v22, v57
	v_add_u32_e32 v6, v4, v3
	s_and_saveexec_b64 s[0:1], s[24:25]
	s_cbranch_execz .LBB461_99
; %bb.98:
	s_add_u32 s2, s36, 0x400
	v_and_b32_e32 v3, 0xff000000, v6
	v_and_b32_e32 v4, 0xff0000, v6
	s_addc_u32 s3, s37, 0
	v_or_b32_e32 v3, v4, v3
	v_and_b32_e32 v4, 0xff00, v6
	v_and_b32_e32 v7, 0xff, v6
	v_mov_b32_e32 v5, 0
	v_or3_b32 v3, v3, v4, v7
	v_mov_b32_e32 v4, 2
	v_mov_b64_e32 v[52:53], s[2:3]
	;;#ASMSTART
	global_store_dwordx4 v[52:53], v[2:5] off sc1	
s_waitcnt vmcnt(0)
	;;#ASMEND
.LBB461_99:
	s_or_b64 exec, exec, s[0:1]
	v_mov_b32_e32 v4, 0
.LBB461_100:
	s_and_b64 s[0:1], s[38:39], exec
	s_cselect_b32 s1, 0, s47
	s_cselect_b32 s0, 0, s46
	s_cmp_eq_u64 s[0:1], 0
	v_mov_b64_e32 v[52:53], 0
	s_waitcnt lgkmcnt(0)
	s_barrier
	s_cbranch_scc1 .LBB461_102
; %bb.101:
	v_mov_b32_e32 v3, 0
	global_load_dwordx2 v[52:53], v3, s[0:1]
.LBB461_102:
	v_cmp_eq_u32_e32 vcc, 0, v70
	s_waitcnt vmcnt(0)
	v_lshlrev_b64 v[54:55], 2, v[52:53]
	v_mov_b32_e32 v5, 0
	v_cndmask_b32_e64 v3, 1, 2, vcc
	v_cmp_eq_u32_e32 vcc, 0, v69
	s_movk_i32 s30, 0x200
	v_lshl_add_u64 v[54:55], s[40:41], 0, v[54:55]
	v_cndmask_b32_e64 v7, 1, 2, vcc
	v_cmp_eq_u32_e32 vcc, 0, v68
	v_and_b32_e32 v3, v7, v3
	v_lshlrev_b64 v[72:73], 2, v[4:5]
	v_cndmask_b32_e64 v7, 1, 2, vcc
	v_cmp_eq_u32_e32 vcc, 0, v67
	v_and_b32_e32 v3, v3, v7
	v_lshl_add_u64 v[54:55], v[54:55], 0, v[72:73]
	v_cndmask_b32_e64 v7, 1, 2, vcc
	v_cmp_eq_u32_e32 vcc, 0, v66
	v_and_b32_e32 v3, v3, v7
	v_cmp_ne_u32_e64 s[28:29], 0, v70
	v_cndmask_b32_e64 v7, 1, 2, vcc
	v_cmp_eq_u32_e32 vcc, 0, v65
	v_and_b32_e32 v3, v3, v7
	v_cmp_ne_u32_e64 s[26:27], 0, v69
	;; [unrolled: 4-line block ×11, first 2 shown]
	v_cndmask_b32_e64 v7, 1, 2, vcc
	v_and_b32_e32 v3, v3, v7
	v_cmp_gt_u32_e32 vcc, s30, v2
	v_cmp_ne_u32_e64 s[6:7], 0, v59
	v_cmp_ne_u32_e64 s[4:5], 0, v58
	;; [unrolled: 1-line block ×4, first 2 shown]
	s_mov_b64 s[36:37], -1
	v_cmp_gt_i16_e64 s[30:31], 2, v3
	s_cbranch_vccz .LBB461_109
; %bb.103:
	s_and_saveexec_b64 s[36:37], s[30:31]
	s_cbranch_execz .LBB461_108
; %bb.104:
	v_cmp_ne_u16_e32 vcc, 1, v3
	s_mov_b64 s[38:39], 0
	s_and_saveexec_b64 s[30:31], vcc
	s_xor_b64 s[30:31], exec, s[30:31]
	s_cbranch_execnz .LBB461_151
; %bb.105:
	s_andn2_saveexec_b64 s[30:31], s[30:31]
	s_cbranch_execnz .LBB461_167
.LBB461_106:
	s_or_b64 exec, exec, s[30:31]
	s_and_b64 exec, exec, s[38:39]
	s_cbranch_execz .LBB461_108
.LBB461_107:
	v_sub_u32_e32 v72, v24, v4
	v_mov_b32_e32 v73, 0
	v_lshl_add_u64 v[72:73], v[72:73], 2, v[54:55]
	global_store_dword v[72:73], v1, off
.LBB461_108:
	s_or_b64 exec, exec, s[36:37]
	s_mov_b64 s[36:37], 0
.LBB461_109:
	s_and_b64 vcc, exec, s[36:37]
	s_cbranch_vccz .LBB461_129
; %bb.110:
	v_cmp_gt_i16_e32 vcc, 2, v3
	s_and_saveexec_b64 s[30:31], vcc
	s_cbranch_execz .LBB461_115
; %bb.111:
	v_cmp_ne_u16_e32 vcc, 1, v3
	s_mov_b64 s[38:39], 0
	s_and_saveexec_b64 s[36:37], vcc
	s_xor_b64 s[36:37], exec, s[36:37]
	s_cbranch_execnz .LBB461_168
; %bb.112:
	s_andn2_saveexec_b64 s[0:1], s[36:37]
	s_cbranch_execnz .LBB461_184
.LBB461_113:
	s_or_b64 exec, exec, s[0:1]
	s_and_b64 exec, exec, s[38:39]
	s_cbranch_execz .LBB461_115
.LBB461_114:
	v_sub_u32_e32 v3, v24, v4
	v_lshlrev_b32_e32 v3, 2, v3
	ds_write_b32 v3, v1
.LBB461_115:
	s_or_b64 exec, exec, s[30:31]
	v_cmp_lt_u32_e32 vcc, v0, v2
	s_waitcnt lgkmcnt(0)
	s_barrier
	s_and_saveexec_b64 s[0:1], vcc
	s_cbranch_execz .LBB461_128
; %bb.116:
	v_xad_u32 v1, v0, -1, v2
	s_movk_i32 s2, 0x1ff
	v_cmp_lt_u32_e32 vcc, s2, v1
	s_mov_b64 s[4:5], -1
	v_mov_b32_e32 v8, v0
	s_and_saveexec_b64 s[2:3], vcc
	s_cbranch_execz .LBB461_125
; %bb.117:
	v_lshrrev_b32_e32 v3, 9, v1
	v_add_u32_e32 v8, -1, v3
	v_or_b32_e32 v1, 0x200, v0
	v_lshrrev_b32_e32 v7, 1, v8
	v_add_u32_e32 v7, 1, v7
	v_cmp_lt_u32_e32 vcc, 13, v8
	v_mov_b32_e32 v14, 0
	v_mov_b64_e32 v[8:9], v[0:1]
	s_and_saveexec_b64 s[4:5], vcc
	s_cbranch_execz .LBB461_121
; %bb.118:
	v_and_b32_e32 v12, -8, v7
	v_lshlrev_b32_e32 v13, 2, v0
	s_mov_b32 s8, 0
	s_mov_b64 s[6:7], 0
	v_mov_b32_e32 v11, 0
	v_mov_b64_e32 v[8:9], v[0:1]
.LBB461_119:                            ; =>This Inner Loop Header: Depth=1
	ds_read2st64_b32 v[16:17], v13 offset1:8
	v_mov_b32_e32 v10, v8
	ds_read2st64_b32 v[76:77], v13 offset0:48 offset1:56
	v_lshl_add_u64 v[94:95], v[10:11], 2, v[54:55]
	v_mov_b32_e32 v10, v9
	ds_read2st64_b32 v[18:19], v13 offset0:16 offset1:24
	ds_read2st64_b32 v[80:81], v13 offset0:64 offset1:72
	v_lshl_add_u64 v[98:99], v[10:11], 2, v[54:55]
	v_add_u32_e32 v10, 0x400, v8
	ds_read2st64_b32 v[84:85], v13 offset0:80 offset1:88
	v_lshl_add_u64 v[100:101], v[10:11], 2, v[54:55]
	v_add_u32_e32 v10, 0x800, v8
	v_add_u32_e32 v14, 0x400, v9
	v_mov_b32_e32 v15, v11
	v_add_u32_e32 v20, 0x800, v9
	ds_read2st64_b32 v[72:73], v13 offset0:32 offset1:40
	v_mov_b32_e32 v21, v11
	ds_read2st64_b32 v[88:89], v13 offset0:96 offset1:104
	v_lshl_add_u64 v[102:103], v[10:11], 2, v[54:55]
	v_add_u32_e32 v10, 0xc00, v8
	v_add_u32_e32 v74, 0xc00, v9
	v_mov_b32_e32 v75, v11
	ds_read2st64_b32 v[92:93], v13 offset0:112 offset1:120
	v_lshl_add_u64 v[96:97], v[14:15], 2, v[54:55]
	v_lshl_add_u64 v[20:21], v[20:21], 2, v[54:55]
	s_waitcnt lgkmcnt(7)
	global_store_dword v[94:95], v16, off
	global_store_dword v[98:99], v17, off
	s_waitcnt lgkmcnt(5)
	global_store_dword v[100:101], v18, off
	global_store_dword v[96:97], v19, off
	s_waitcnt lgkmcnt(2)
	global_store_dword v[102:103], v72, off
	global_store_dword v[20:21], v73, off
	v_lshl_add_u64 v[16:17], v[10:11], 2, v[54:55]
	v_add_u32_e32 v10, 0x1000, v8
	v_add_u32_e32 v78, 0x1000, v9
	v_mov_b32_e32 v79, v11
	v_lshl_add_u64 v[74:75], v[74:75], 2, v[54:55]
	global_store_dword v[16:17], v76, off
	global_store_dword v[74:75], v77, off
	v_lshl_add_u64 v[16:17], v[10:11], 2, v[54:55]
	v_add_u32_e32 v10, 0x1400, v8
	v_add_u32_e32 v82, 0x1400, v9
	v_mov_b32_e32 v83, v11
	v_add_u32_e32 v12, -8, v12
	v_lshl_add_u64 v[78:79], v[78:79], 2, v[54:55]
	global_store_dword v[16:17], v80, off
	global_store_dword v[78:79], v81, off
	v_lshl_add_u64 v[16:17], v[10:11], 2, v[54:55]
	v_add_u32_e32 v10, 0x1800, v8
	v_add_u32_e32 v86, 0x1800, v9
	v_mov_b32_e32 v87, v11
	s_add_i32 s8, s8, 16
	v_lshl_add_u64 v[82:83], v[82:83], 2, v[54:55]
	v_cmp_eq_u32_e32 vcc, 0, v12
	global_store_dword v[16:17], v84, off
	global_store_dword v[82:83], v85, off
	v_lshl_add_u64 v[16:17], v[10:11], 2, v[54:55]
	v_add_u32_e32 v10, 0x1c00, v8
	v_add_u32_e32 v90, 0x1c00, v9
	v_mov_b32_e32 v91, v11
	v_add_u32_e32 v13, 0x8000, v13
	v_lshl_add_u64 v[86:87], v[86:87], 2, v[54:55]
	v_add_u32_e32 v9, 0x2000, v9
	v_mov_b32_e32 v14, s8
	s_or_b64 s[6:7], vcc, s[6:7]
	v_add_u32_e32 v8, 0x2000, v8
	s_waitcnt lgkmcnt(1)
	global_store_dword v[16:17], v88, off
	global_store_dword v[86:87], v89, off
	v_lshl_add_u64 v[16:17], v[10:11], 2, v[54:55]
	v_lshl_add_u64 v[90:91], v[90:91], 2, v[54:55]
	s_waitcnt lgkmcnt(0)
	global_store_dword v[16:17], v92, off
	global_store_dword v[90:91], v93, off
	s_andn2_b64 exec, exec, s[6:7]
	s_cbranch_execnz .LBB461_119
; %bb.120:
	s_or_b64 exec, exec, s[6:7]
.LBB461_121:
	s_or_b64 exec, exec, s[4:5]
	v_and_b32_e32 v1, 7, v7
	v_cmp_ne_u32_e32 vcc, 0, v1
	s_and_saveexec_b64 s[4:5], vcc
	s_cbranch_execz .LBB461_124
; %bb.122:
	v_lshlrev_b32_e32 v7, 2, v0
	v_lshl_or_b32 v7, v14, 11, v7
	s_mov_b64 s[6:7], 0
	v_mov_b32_e32 v11, 0
.LBB461_123:                            ; =>This Inner Loop Header: Depth=1
	ds_read2st64_b32 v[12:13], v7 offset1:8
	v_add_u32_e32 v1, -1, v1
	v_mov_b32_e32 v10, v8
	v_cmp_eq_u32_e32 vcc, 0, v1
	v_add_u32_e32 v8, 0x400, v8
	v_add_u32_e32 v7, 0x1000, v7
	v_lshl_add_u64 v[14:15], v[10:11], 2, v[54:55]
	v_mov_b32_e32 v10, v9
	v_add_u32_e32 v9, 0x400, v9
	s_or_b64 s[6:7], vcc, s[6:7]
	v_lshl_add_u64 v[16:17], v[10:11], 2, v[54:55]
	s_waitcnt lgkmcnt(0)
	global_store_dword v[14:15], v12, off
	global_store_dword v[16:17], v13, off
	s_andn2_b64 exec, exec, s[6:7]
	s_cbranch_execnz .LBB461_123
.LBB461_124:
	s_or_b64 exec, exec, s[4:5]
	v_add_u32_e32 v1, 1, v3
	v_and_b32_e32 v3, 0xfffffe, v1
	v_cmp_ne_u32_e32 vcc, v1, v3
	v_lshl_or_b32 v8, v3, 9, v0
	s_orn2_b64 s[4:5], vcc, exec
.LBB461_125:
	s_or_b64 exec, exec, s[2:3]
	s_and_b64 exec, exec, s[4:5]
	s_cbranch_execz .LBB461_128
; %bb.126:
	v_lshlrev_b32_e32 v1, 2, v8
	s_mov_b64 s[2:3], 0
	v_mov_b32_e32 v9, 0
.LBB461_127:                            ; =>This Inner Loop Header: Depth=1
	ds_read_b32 v3, v1
	v_lshl_add_u64 v[10:11], v[8:9], 2, v[54:55]
	v_add_u32_e32 v8, 0x200, v8
	v_cmp_ge_u32_e32 vcc, v8, v2
	v_add_u32_e32 v1, 0x800, v1
	s_or_b64 s[2:3], vcc, s[2:3]
	s_waitcnt lgkmcnt(0)
	global_store_dword v[10:11], v3, off
	s_andn2_b64 exec, exec, s[2:3]
	s_cbranch_execnz .LBB461_127
.LBB461_128:
	s_or_b64 exec, exec, s[0:1]
.LBB461_129:
	s_cmpk_lg_i32 s33, 0x1e00
	s_cselect_b64 s[0:1], -1, 0
	v_cndmask_b32_e64 v16, 0, 1, s[48:49]
	s_and_b64 s[0:1], s[34:35], s[0:1]
	v_cmp_eq_u32_e32 vcc, 0, v0
	v_sub_u32_e32 v1, v2, v16
	v_cndmask_b32_e64 v3, 0, 1, s[0:1]
	s_and_b64 s[0:1], vcc, s[48:49]
	v_add_u32_e32 v1, v1, v3
	v_cndmask_b32_e64 v3, v70, 0, s[0:1]
	s_mul_hi_u32 s0, s33, 0x88888889
	s_lshr_b32 s0, s0, 3
	v_mad_i32_i24 v7, v0, -15, s33
	v_cmp_eq_u32_e32 vcc, s0, v0
	v_cmp_ne_u32_e64 s[0:1], 0, v7
	s_and_b64 vcc, s[34:35], vcc
	s_mov_b32 s2, 0
	v_cndmask_b32_e64 v8, 1, v3, s[0:1]
	v_cmp_ne_u32_e64 s[0:1], 1, v7
	s_movk_i32 s30, 0x200
	s_mov_b64 s[36:37], -1
	v_cndmask_b32_e64 v9, 1, v69, s[0:1]
	v_cmp_ne_u32_e64 s[0:1], 2, v7
	s_barrier
	s_nop 0
	v_cndmask_b32_e64 v10, 1, v68, s[0:1]
	v_cmp_ne_u32_e64 s[0:1], 3, v7
	s_nop 1
	v_cndmask_b32_e64 v11, 1, v67, s[0:1]
	v_cmp_ne_u32_e64 s[0:1], 4, v7
	;; [unrolled: 3-line block ×7, first 2 shown]
	v_cndmask_b32_e32 v55, v62, v17, vcc
	v_cndmask_b32_e32 v62, v69, v9, vcc
	v_cndmask_b32_e64 v18, 1, v61, s[0:1]
	v_cmp_ne_u32_e64 s[0:1], 10, v7
	v_cndmask_b32_e32 v18, v61, v18, vcc
	v_cndmask_b32_e32 v61, v68, v10, vcc
	v_cndmask_b32_e64 v19, 1, v60, s[0:1]
	v_cmp_ne_u32_e64 s[0:1], 11, v7
	;; [unrolled: 4-line block ×5, first 2 shown]
	v_cndmask_b32_e32 v54, v57, v54, vcc
	v_cndmask_b32_e32 v57, v64, v14, vcc
	v_cndmask_b32_e64 v7, 1, v56, s[0:1]
	v_cndmask_b32_e32 v7, v56, v7, vcc
	v_cndmask_b32_e32 v56, v63, v15, vcc
	;; [unrolled: 1-line block ×3, first 2 shown]
	v_mov_b32_e32 v17, s2
	v_cmp_eq_u32_e32 vcc, 0, v63
	v_lshl_add_u64 v[14:15], v[16:17], 0, -1
	v_add_u32_e32 v3, v4, v16
	v_cndmask_b32_e64 v16, 1, 2, vcc
	v_cmp_eq_u32_e32 vcc, 0, v62
	v_lshlrev_b64 v[10:11], 3, v[52:53]
	v_cmp_ne_u32_e64 s[0:1], 0, v7
	v_cndmask_b32_e64 v17, 1, 2, vcc
	v_cmp_eq_u32_e32 vcc, 0, v61
	v_and_b32_e32 v16, v17, v16
	v_lshl_add_u64 v[8:9], s[42:43], 0, v[10:11]
	v_cndmask_b32_e64 v17, 1, 2, vcc
	v_cmp_eq_u32_e32 vcc, 0, v60
	v_and_b32_e32 v16, v16, v17
	v_lshlrev_b64 v[12:13], 3, v[4:5]
	v_cndmask_b32_e64 v17, 1, 2, vcc
	v_cmp_eq_u32_e32 vcc, 0, v59
	v_and_b32_e32 v16, v16, v17
	v_lshl_add_u64 v[8:9], v[8:9], 0, v[12:13]
	v_cndmask_b32_e64 v17, 1, 2, vcc
	v_cmp_eq_u32_e32 vcc, 0, v58
	v_and_b32_e32 v16, v16, v17
	v_cmp_ne_u32_e64 s[28:29], 0, v63
	v_cndmask_b32_e64 v17, 1, 2, vcc
	v_cmp_eq_u32_e32 vcc, 0, v57
	v_and_b32_e32 v16, v16, v17
	v_cmp_ne_u32_e64 s[26:27], 0, v62
	;; [unrolled: 4-line block ×10, first 2 shown]
	v_cndmask_b32_e64 v7, 1, 2, vcc
	v_and_b32_e32 v7, v16, v7
	v_cmp_gt_u32_e32 vcc, s30, v1
	v_cmp_ne_u32_e64 s[8:9], 0, v19
	v_cmp_ne_u32_e64 s[6:7], 0, v20
	;; [unrolled: 1-line block ×4, first 2 shown]
	v_cmp_gt_i16_e64 s[30:31], 2, v7
	s_cbranch_vccz .LBB461_136
; %bb.130:
	s_and_saveexec_b64 s[36:37], s[30:31]
	s_cbranch_execz .LBB461_135
; %bb.131:
	v_lshlrev_b64 v[16:17], 3, v[14:15]
	v_lshl_add_u64 v[16:17], v[8:9], 0, v[16:17]
	v_cmp_ne_u16_e32 vcc, 1, v7
	s_mov_b64 s[38:39], 0
	s_and_saveexec_b64 s[30:31], vcc
	s_xor_b64 s[30:31], exec, s[30:31]
	s_cbranch_execnz .LBB461_185
; %bb.132:
	s_andn2_saveexec_b64 s[30:31], s[30:31]
	s_cbranch_execnz .LBB461_201
.LBB461_133:
	s_or_b64 exec, exec, s[30:31]
	s_and_b64 exec, exec, s[38:39]
	s_cbranch_execz .LBB461_135
.LBB461_134:
	v_mov_b32_e32 v19, 0
	v_sub_u32_e32 v20, v24, v3
	v_mov_b32_e32 v21, v19
	v_mov_b32_e32 v18, v25
	v_lshl_add_u64 v[16:17], v[20:21], 3, v[16:17]
	global_store_dwordx2 v[16:17], v[18:19], off
.LBB461_135:
	s_or_b64 exec, exec, s[36:37]
	s_mov_b64 s[36:37], 0
.LBB461_136:
	s_and_b64 vcc, exec, s[36:37]
	s_cbranch_vccz .LBB461_146
; %bb.137:
	v_cmp_gt_i16_e32 vcc, 2, v7
	s_and_saveexec_b64 s[30:31], vcc
	s_cbranch_execz .LBB461_142
; %bb.138:
	v_cmp_ne_u16_e32 vcc, 1, v7
	s_mov_b64 s[38:39], 0
	s_and_saveexec_b64 s[36:37], vcc
	s_xor_b64 s[36:37], exec, s[36:37]
	s_cbranch_execnz .LBB461_202
; %bb.139:
	s_andn2_saveexec_b64 s[0:1], s[36:37]
	s_cbranch_execnz .LBB461_218
.LBB461_140:
	s_or_b64 exec, exec, s[0:1]
	s_and_b64 exec, exec, s[38:39]
	s_cbranch_execz .LBB461_142
.LBB461_141:
	v_sub_u32_e32 v3, v24, v3
	v_lshlrev_b32_e32 v3, 2, v3
	ds_write_b32 v3, v25
.LBB461_142:
	s_or_b64 exec, exec, s[30:31]
	v_cmp_lt_u32_e32 vcc, v0, v1
	s_waitcnt lgkmcnt(0)
	s_barrier
	s_and_saveexec_b64 s[0:1], vcc
	s_cbranch_execz .LBB461_145
; %bb.143:
	v_lshlrev_b64 v[14:15], 3, v[14:15]
	v_lshl_add_u64 v[10:11], v[10:11], 0, v[14:15]
	v_lshl_add_u64 v[12:13], v[10:11], 0, v[12:13]
	v_lshlrev_b32_e32 v10, 3, v0
	v_mov_b32_e32 v11, 0
	v_lshl_add_u64 v[12:13], s[42:43], 0, v[12:13]
	v_lshlrev_b32_e32 v3, 2, v0
	v_lshl_add_u64 v[12:13], v[12:13], 0, v[10:11]
	s_mov_b64 s[2:3], 0
	s_mov_b64 s[4:5], 0x1000
	v_mov_b32_e32 v7, v0
.LBB461_144:                            ; =>This Inner Loop Header: Depth=1
	ds_read_b32 v10, v3
	v_add_u32_e32 v7, 0x200, v7
	v_cmp_ge_u32_e32 vcc, v7, v1
	v_add_u32_e32 v3, 0x800, v3
	s_or_b64 s[2:3], vcc, s[2:3]
	s_waitcnt lgkmcnt(0)
	global_store_dwordx2 v[12:13], v[10:11], off
	v_lshl_add_u64 v[12:13], v[12:13], 0, s[4:5]
	s_andn2_b64 exec, exec, s[2:3]
	s_cbranch_execnz .LBB461_144
.LBB461_145:
	s_or_b64 exec, exec, s[0:1]
.LBB461_146:
	s_movk_i32 s0, 0x1ff
	v_cmp_eq_u32_e32 vcc, s0, v0
	s_and_b64 s[0:1], vcc, s[34:35]
	s_and_saveexec_b64 s[2:3], s[0:1]
	s_cbranch_execz .LBB461_149
; %bb.147:
	v_mov_b32_e32 v3, 0
	v_lshl_add_u64 v[0:1], v[2:3], 0, v[4:5]
	v_lshl_add_u64 v[0:1], v[0:1], 0, v[52:53]
	s_cmpk_lg_i32 s33, 0x1e00
	global_store_dwordx2 v3, v[0:1], s[44:45]
	s_cbranch_scc1 .LBB461_149
; %bb.148:
	v_lshlrev_b64 v[0:1], 3, v[2:3]
	v_mov_b32_e32 v7, v3
	v_lshl_add_u64 v[0:1], v[8:9], 0, v[0:1]
	global_store_dwordx2 v[0:1], v[6:7], off offset:-8
.LBB461_149:
	s_endpgm
.LBB461_150:
	s_or_b64 exec, exec, s[12:13]
	v_mov_b32_e32 v70, s3
	s_and_saveexec_b64 s[4:5], s[8:9]
	s_cbranch_execnz .LBB461_56
	s_branch .LBB461_57
.LBB461_151:
	s_and_saveexec_b64 s[38:39], s[28:29]
	s_cbranch_execnz .LBB461_219
; %bb.152:
	s_or_b64 exec, exec, s[38:39]
	s_and_saveexec_b64 s[38:39], s[26:27]
	s_cbranch_execnz .LBB461_220
.LBB461_153:
	s_or_b64 exec, exec, s[38:39]
	s_and_saveexec_b64 s[38:39], s[24:25]
	s_cbranch_execnz .LBB461_221
.LBB461_154:
	s_or_b64 exec, exec, s[38:39]
	s_and_saveexec_b64 s[38:39], s[22:23]
	s_cbranch_execnz .LBB461_222
.LBB461_155:
	s_or_b64 exec, exec, s[38:39]
	s_and_saveexec_b64 s[38:39], s[20:21]
	s_cbranch_execnz .LBB461_223
.LBB461_156:
	s_or_b64 exec, exec, s[38:39]
	s_and_saveexec_b64 s[38:39], s[18:19]
	s_cbranch_execnz .LBB461_224
.LBB461_157:
	s_or_b64 exec, exec, s[38:39]
	s_and_saveexec_b64 s[38:39], s[16:17]
	s_cbranch_execnz .LBB461_225
.LBB461_158:
	s_or_b64 exec, exec, s[38:39]
	s_and_saveexec_b64 s[38:39], s[14:15]
	s_cbranch_execnz .LBB461_226
.LBB461_159:
	s_or_b64 exec, exec, s[38:39]
	s_and_saveexec_b64 s[38:39], s[12:13]
	s_cbranch_execnz .LBB461_227
.LBB461_160:
	s_or_b64 exec, exec, s[38:39]
	s_and_saveexec_b64 s[38:39], s[10:11]
	s_cbranch_execnz .LBB461_228
.LBB461_161:
	s_or_b64 exec, exec, s[38:39]
	s_and_saveexec_b64 s[38:39], s[8:9]
	s_cbranch_execnz .LBB461_229
.LBB461_162:
	s_or_b64 exec, exec, s[38:39]
	s_and_saveexec_b64 s[38:39], s[6:7]
	s_cbranch_execnz .LBB461_230
.LBB461_163:
	s_or_b64 exec, exec, s[38:39]
	s_and_saveexec_b64 s[38:39], s[4:5]
	s_cbranch_execnz .LBB461_231
.LBB461_164:
	s_or_b64 exec, exec, s[38:39]
	s_and_saveexec_b64 s[38:39], s[2:3]
	s_cbranch_execz .LBB461_166
.LBB461_165:
	v_sub_u32_e32 v72, v22, v4
	v_mov_b32_e32 v73, 0
	v_lshl_add_u64 v[72:73], v[72:73], 2, v[54:55]
	global_store_dword v[72:73], v9, off
.LBB461_166:
	s_or_b64 exec, exec, s[38:39]
	s_and_b64 s[38:39], s[0:1], exec
	s_andn2_saveexec_b64 s[30:31], s[30:31]
	s_cbranch_execz .LBB461_106
.LBB461_167:
	v_sub_u32_e32 v72, v50, v4
	v_mov_b32_e32 v73, 0
	v_lshl_add_u64 v[74:75], v[72:73], 2, v[54:55]
	v_sub_u32_e32 v72, v48, v4
	global_store_dword v[74:75], v20, off
	v_lshl_add_u64 v[74:75], v[72:73], 2, v[54:55]
	v_sub_u32_e32 v72, v46, v4
	global_store_dword v[74:75], v21, off
	;; [unrolled: 3-line block ×12, first 2 shown]
	v_lshl_add_u64 v[74:75], v[72:73], 2, v[54:55]
	v_sub_u32_e32 v72, v22, v4
	v_lshl_add_u64 v[72:73], v[72:73], 2, v[54:55]
	s_or_b64 s[38:39], s[38:39], exec
	global_store_dword v[74:75], v8, off
	global_store_dword v[72:73], v9, off
	s_or_b64 exec, exec, s[30:31]
	s_and_b64 exec, exec, s[38:39]
	s_cbranch_execnz .LBB461_107
	s_branch .LBB461_108
.LBB461_168:
	s_and_saveexec_b64 s[38:39], s[28:29]
	s_cbranch_execnz .LBB461_232
; %bb.169:
	s_or_b64 exec, exec, s[38:39]
	s_and_saveexec_b64 s[28:29], s[26:27]
	s_cbranch_execnz .LBB461_233
.LBB461_170:
	s_or_b64 exec, exec, s[28:29]
	s_and_saveexec_b64 s[26:27], s[24:25]
	s_cbranch_execnz .LBB461_234
.LBB461_171:
	s_or_b64 exec, exec, s[26:27]
	s_and_saveexec_b64 s[24:25], s[22:23]
	s_cbranch_execnz .LBB461_235
.LBB461_172:
	s_or_b64 exec, exec, s[24:25]
	s_and_saveexec_b64 s[22:23], s[20:21]
	s_cbranch_execnz .LBB461_236
.LBB461_173:
	s_or_b64 exec, exec, s[22:23]
	s_and_saveexec_b64 s[20:21], s[18:19]
	s_cbranch_execnz .LBB461_237
.LBB461_174:
	s_or_b64 exec, exec, s[20:21]
	s_and_saveexec_b64 s[18:19], s[16:17]
	s_cbranch_execnz .LBB461_238
.LBB461_175:
	s_or_b64 exec, exec, s[18:19]
	s_and_saveexec_b64 s[16:17], s[14:15]
	s_cbranch_execnz .LBB461_239
.LBB461_176:
	s_or_b64 exec, exec, s[16:17]
	s_and_saveexec_b64 s[14:15], s[12:13]
	s_cbranch_execnz .LBB461_240
.LBB461_177:
	s_or_b64 exec, exec, s[14:15]
	s_and_saveexec_b64 s[12:13], s[10:11]
	s_cbranch_execnz .LBB461_241
.LBB461_178:
	s_or_b64 exec, exec, s[12:13]
	s_and_saveexec_b64 s[10:11], s[8:9]
	s_cbranch_execnz .LBB461_242
.LBB461_179:
	s_or_b64 exec, exec, s[10:11]
	s_and_saveexec_b64 s[8:9], s[6:7]
	s_cbranch_execnz .LBB461_243
.LBB461_180:
	s_or_b64 exec, exec, s[8:9]
	s_and_saveexec_b64 s[6:7], s[4:5]
	s_cbranch_execnz .LBB461_244
.LBB461_181:
	s_or_b64 exec, exec, s[6:7]
	s_and_saveexec_b64 s[4:5], s[2:3]
	s_cbranch_execz .LBB461_183
.LBB461_182:
	v_sub_u32_e32 v3, v22, v4
	v_lshlrev_b32_e32 v3, 2, v3
	ds_write_b32 v3, v9
.LBB461_183:
	s_or_b64 exec, exec, s[4:5]
	s_and_b64 s[38:39], s[0:1], exec
                                        ; implicit-def: $vgpr9
                                        ; implicit-def: $vgpr11
                                        ; implicit-def: $vgpr13
                                        ; implicit-def: $vgpr15
                                        ; implicit-def: $vgpr17
                                        ; implicit-def: $vgpr19
                                        ; implicit-def: $vgpr21
	s_andn2_saveexec_b64 s[0:1], s[36:37]
	s_cbranch_execz .LBB461_113
.LBB461_184:
	v_sub_u32_e32 v3, v50, v4
	v_lshlrev_b32_e32 v3, 2, v3
	ds_write_b32 v3, v20
	v_sub_u32_e32 v3, v48, v4
	v_lshlrev_b32_e32 v3, 2, v3
	ds_write_b32 v3, v21
	;; [unrolled: 3-line block ×13, first 2 shown]
	v_sub_u32_e32 v3, v22, v4
	v_lshlrev_b32_e32 v3, 2, v3
	s_or_b64 s[38:39], s[38:39], exec
	ds_write_b32 v3, v9
	s_or_b64 exec, exec, s[0:1]
	s_and_b64 exec, exec, s[38:39]
	s_cbranch_execnz .LBB461_114
	s_branch .LBB461_115
.LBB461_185:
	s_and_saveexec_b64 s[38:39], s[28:29]
	s_cbranch_execnz .LBB461_245
; %bb.186:
	s_or_b64 exec, exec, s[38:39]
	s_and_saveexec_b64 s[38:39], s[26:27]
	s_cbranch_execnz .LBB461_246
.LBB461_187:
	s_or_b64 exec, exec, s[38:39]
	s_and_saveexec_b64 s[38:39], s[24:25]
	s_cbranch_execnz .LBB461_247
.LBB461_188:
	s_or_b64 exec, exec, s[38:39]
	s_and_saveexec_b64 s[38:39], s[22:23]
	s_cbranch_execnz .LBB461_248
.LBB461_189:
	s_or_b64 exec, exec, s[38:39]
	s_and_saveexec_b64 s[38:39], s[20:21]
	s_cbranch_execnz .LBB461_249
.LBB461_190:
	s_or_b64 exec, exec, s[38:39]
	s_and_saveexec_b64 s[38:39], s[18:19]
	s_cbranch_execnz .LBB461_250
.LBB461_191:
	s_or_b64 exec, exec, s[38:39]
	s_and_saveexec_b64 s[38:39], s[16:17]
	s_cbranch_execnz .LBB461_251
.LBB461_192:
	s_or_b64 exec, exec, s[38:39]
	s_and_saveexec_b64 s[38:39], s[14:15]
	s_cbranch_execnz .LBB461_252
.LBB461_193:
	s_or_b64 exec, exec, s[38:39]
	s_and_saveexec_b64 s[38:39], s[12:13]
	s_cbranch_execnz .LBB461_253
.LBB461_194:
	s_or_b64 exec, exec, s[38:39]
	s_and_saveexec_b64 s[38:39], s[10:11]
	s_cbranch_execnz .LBB461_254
.LBB461_195:
	s_or_b64 exec, exec, s[38:39]
	s_and_saveexec_b64 s[38:39], s[8:9]
	s_cbranch_execnz .LBB461_255
.LBB461_196:
	s_or_b64 exec, exec, s[38:39]
	s_and_saveexec_b64 s[38:39], s[6:7]
	s_cbranch_execnz .LBB461_256
.LBB461_197:
	s_or_b64 exec, exec, s[38:39]
	s_and_saveexec_b64 s[38:39], s[4:5]
	s_cbranch_execnz .LBB461_257
.LBB461_198:
	s_or_b64 exec, exec, s[38:39]
	s_and_saveexec_b64 s[38:39], s[2:3]
	s_cbranch_execz .LBB461_200
.LBB461_199:
	v_sub_u32_e32 v18, v22, v3
	v_mov_b32_e32 v19, 0
	v_lshl_add_u64 v[20:21], v[18:19], 3, v[16:17]
	v_mov_b32_e32 v18, v23
	global_store_dwordx2 v[20:21], v[18:19], off
.LBB461_200:
	s_or_b64 exec, exec, s[38:39]
	s_and_b64 s[38:39], s[0:1], exec
	s_andn2_saveexec_b64 s[30:31], s[30:31]
	s_cbranch_execz .LBB461_133
.LBB461_201:
	v_mov_b32_e32 v19, 0
	v_sub_u32_e32 v20, v50, v3
	v_mov_b32_e32 v21, v19
	v_mov_b32_e32 v18, v51
	v_lshl_add_u64 v[20:21], v[20:21], 3, v[16:17]
	global_store_dwordx2 v[20:21], v[18:19], off
	v_sub_u32_e32 v20, v48, v3
	v_mov_b32_e32 v21, v19
	v_mov_b32_e32 v18, v49
	v_lshl_add_u64 v[20:21], v[20:21], 3, v[16:17]
	global_store_dwordx2 v[20:21], v[18:19], off
	;; [unrolled: 5-line block ×13, first 2 shown]
	v_sub_u32_e32 v20, v22, v3
	v_mov_b32_e32 v21, v19
	v_mov_b32_e32 v18, v23
	v_lshl_add_u64 v[20:21], v[20:21], 3, v[16:17]
	s_or_b64 s[38:39], s[38:39], exec
	global_store_dwordx2 v[20:21], v[18:19], off
	s_or_b64 exec, exec, s[30:31]
	s_and_b64 exec, exec, s[38:39]
	s_cbranch_execnz .LBB461_134
	s_branch .LBB461_135
.LBB461_202:
	s_and_saveexec_b64 s[38:39], s[28:29]
	s_cbranch_execnz .LBB461_258
; %bb.203:
	s_or_b64 exec, exec, s[38:39]
	s_and_saveexec_b64 s[28:29], s[26:27]
	s_cbranch_execnz .LBB461_259
.LBB461_204:
	s_or_b64 exec, exec, s[28:29]
	s_and_saveexec_b64 s[26:27], s[24:25]
	s_cbranch_execnz .LBB461_260
.LBB461_205:
	s_or_b64 exec, exec, s[26:27]
	s_and_saveexec_b64 s[24:25], s[22:23]
	s_cbranch_execnz .LBB461_261
.LBB461_206:
	s_or_b64 exec, exec, s[24:25]
	s_and_saveexec_b64 s[22:23], s[20:21]
	s_cbranch_execnz .LBB461_262
.LBB461_207:
	s_or_b64 exec, exec, s[22:23]
	s_and_saveexec_b64 s[20:21], s[18:19]
	s_cbranch_execnz .LBB461_263
.LBB461_208:
	s_or_b64 exec, exec, s[20:21]
	s_and_saveexec_b64 s[18:19], s[16:17]
	s_cbranch_execnz .LBB461_264
.LBB461_209:
	s_or_b64 exec, exec, s[18:19]
	s_and_saveexec_b64 s[16:17], s[14:15]
	s_cbranch_execnz .LBB461_265
.LBB461_210:
	s_or_b64 exec, exec, s[16:17]
	s_and_saveexec_b64 s[14:15], s[12:13]
	s_cbranch_execnz .LBB461_266
.LBB461_211:
	s_or_b64 exec, exec, s[14:15]
	s_and_saveexec_b64 s[12:13], s[10:11]
	s_cbranch_execnz .LBB461_267
.LBB461_212:
	s_or_b64 exec, exec, s[12:13]
	s_and_saveexec_b64 s[10:11], s[8:9]
	s_cbranch_execnz .LBB461_268
.LBB461_213:
	s_or_b64 exec, exec, s[10:11]
	s_and_saveexec_b64 s[8:9], s[6:7]
	s_cbranch_execnz .LBB461_269
.LBB461_214:
	s_or_b64 exec, exec, s[8:9]
	s_and_saveexec_b64 s[6:7], s[4:5]
	s_cbranch_execnz .LBB461_270
.LBB461_215:
	s_or_b64 exec, exec, s[6:7]
	s_and_saveexec_b64 s[4:5], s[2:3]
	s_cbranch_execz .LBB461_217
.LBB461_216:
	v_sub_u32_e32 v7, v22, v3
	v_lshlrev_b32_e32 v7, 2, v7
	ds_write_b32 v7, v23
.LBB461_217:
	s_or_b64 exec, exec, s[4:5]
	s_and_b64 s[38:39], s[0:1], exec
                                        ; implicit-def: $vgpr22_vgpr23
                                        ; implicit-def: $vgpr26_vgpr27
                                        ; implicit-def: $vgpr28_vgpr29
                                        ; implicit-def: $vgpr50_vgpr51
                                        ; implicit-def: $vgpr48_vgpr49
                                        ; implicit-def: $vgpr46_vgpr47
                                        ; implicit-def: $vgpr44_vgpr45
                                        ; implicit-def: $vgpr42_vgpr43
                                        ; implicit-def: $vgpr40_vgpr41
                                        ; implicit-def: $vgpr38_vgpr39
                                        ; implicit-def: $vgpr36_vgpr37
                                        ; implicit-def: $vgpr34_vgpr35
                                        ; implicit-def: $vgpr32_vgpr33
                                        ; implicit-def: $vgpr30_vgpr31
	s_andn2_saveexec_b64 s[0:1], s[36:37]
	s_cbranch_execz .LBB461_140
.LBB461_218:
	v_sub_u32_e32 v7, v50, v3
	v_lshlrev_b32_e32 v7, 2, v7
	ds_write_b32 v7, v51
	v_sub_u32_e32 v7, v48, v3
	v_lshlrev_b32_e32 v7, 2, v7
	ds_write_b32 v7, v49
	;; [unrolled: 3-line block ×13, first 2 shown]
	v_sub_u32_e32 v7, v22, v3
	v_lshlrev_b32_e32 v7, 2, v7
	s_or_b64 s[38:39], s[38:39], exec
	ds_write_b32 v7, v23
	s_or_b64 exec, exec, s[0:1]
	s_and_b64 exec, exec, s[38:39]
	s_cbranch_execnz .LBB461_141
	s_branch .LBB461_142
.LBB461_219:
	v_sub_u32_e32 v72, v50, v4
	v_mov_b32_e32 v73, 0
	v_lshl_add_u64 v[72:73], v[72:73], 2, v[54:55]
	global_store_dword v[72:73], v20, off
	s_or_b64 exec, exec, s[38:39]
	s_and_saveexec_b64 s[38:39], s[26:27]
	s_cbranch_execz .LBB461_153
.LBB461_220:
	v_sub_u32_e32 v72, v48, v4
	v_mov_b32_e32 v73, 0
	v_lshl_add_u64 v[72:73], v[72:73], 2, v[54:55]
	global_store_dword v[72:73], v21, off
	s_or_b64 exec, exec, s[38:39]
	s_and_saveexec_b64 s[38:39], s[24:25]
	s_cbranch_execz .LBB461_154
.LBB461_221:
	v_sub_u32_e32 v72, v46, v4
	v_mov_b32_e32 v73, 0
	v_lshl_add_u64 v[72:73], v[72:73], 2, v[54:55]
	global_store_dword v[72:73], v18, off
	s_or_b64 exec, exec, s[38:39]
	s_and_saveexec_b64 s[38:39], s[22:23]
	s_cbranch_execz .LBB461_155
.LBB461_222:
	v_sub_u32_e32 v72, v44, v4
	v_mov_b32_e32 v73, 0
	v_lshl_add_u64 v[72:73], v[72:73], 2, v[54:55]
	global_store_dword v[72:73], v19, off
	s_or_b64 exec, exec, s[38:39]
	s_and_saveexec_b64 s[38:39], s[20:21]
	s_cbranch_execz .LBB461_156
.LBB461_223:
	v_sub_u32_e32 v72, v42, v4
	v_mov_b32_e32 v73, 0
	v_lshl_add_u64 v[72:73], v[72:73], 2, v[54:55]
	global_store_dword v[72:73], v16, off
	s_or_b64 exec, exec, s[38:39]
	s_and_saveexec_b64 s[38:39], s[18:19]
	s_cbranch_execz .LBB461_157
.LBB461_224:
	v_sub_u32_e32 v72, v40, v4
	v_mov_b32_e32 v73, 0
	v_lshl_add_u64 v[72:73], v[72:73], 2, v[54:55]
	global_store_dword v[72:73], v17, off
	s_or_b64 exec, exec, s[38:39]
	s_and_saveexec_b64 s[38:39], s[16:17]
	s_cbranch_execz .LBB461_158
.LBB461_225:
	v_sub_u32_e32 v72, v38, v4
	v_mov_b32_e32 v73, 0
	v_lshl_add_u64 v[72:73], v[72:73], 2, v[54:55]
	global_store_dword v[72:73], v14, off
	s_or_b64 exec, exec, s[38:39]
	s_and_saveexec_b64 s[38:39], s[14:15]
	s_cbranch_execz .LBB461_159
.LBB461_226:
	v_sub_u32_e32 v72, v36, v4
	v_mov_b32_e32 v73, 0
	v_lshl_add_u64 v[72:73], v[72:73], 2, v[54:55]
	global_store_dword v[72:73], v15, off
	s_or_b64 exec, exec, s[38:39]
	s_and_saveexec_b64 s[38:39], s[12:13]
	s_cbranch_execz .LBB461_160
.LBB461_227:
	v_sub_u32_e32 v72, v34, v4
	v_mov_b32_e32 v73, 0
	v_lshl_add_u64 v[72:73], v[72:73], 2, v[54:55]
	global_store_dword v[72:73], v12, off
	s_or_b64 exec, exec, s[38:39]
	s_and_saveexec_b64 s[38:39], s[10:11]
	s_cbranch_execz .LBB461_161
.LBB461_228:
	v_sub_u32_e32 v72, v32, v4
	v_mov_b32_e32 v73, 0
	v_lshl_add_u64 v[72:73], v[72:73], 2, v[54:55]
	global_store_dword v[72:73], v13, off
	s_or_b64 exec, exec, s[38:39]
	s_and_saveexec_b64 s[38:39], s[8:9]
	s_cbranch_execz .LBB461_162
.LBB461_229:
	v_sub_u32_e32 v72, v30, v4
	v_mov_b32_e32 v73, 0
	v_lshl_add_u64 v[72:73], v[72:73], 2, v[54:55]
	global_store_dword v[72:73], v10, off
	s_or_b64 exec, exec, s[38:39]
	s_and_saveexec_b64 s[38:39], s[6:7]
	s_cbranch_execz .LBB461_163
.LBB461_230:
	v_sub_u32_e32 v72, v28, v4
	v_mov_b32_e32 v73, 0
	v_lshl_add_u64 v[72:73], v[72:73], 2, v[54:55]
	global_store_dword v[72:73], v11, off
	s_or_b64 exec, exec, s[38:39]
	s_and_saveexec_b64 s[38:39], s[4:5]
	s_cbranch_execz .LBB461_164
.LBB461_231:
	v_sub_u32_e32 v72, v26, v4
	v_mov_b32_e32 v73, 0
	v_lshl_add_u64 v[72:73], v[72:73], 2, v[54:55]
	global_store_dword v[72:73], v8, off
	s_or_b64 exec, exec, s[38:39]
	s_and_saveexec_b64 s[38:39], s[2:3]
	s_cbranch_execnz .LBB461_165
	s_branch .LBB461_166
.LBB461_232:
	v_sub_u32_e32 v3, v50, v4
	v_lshlrev_b32_e32 v3, 2, v3
	ds_write_b32 v3, v20
	s_or_b64 exec, exec, s[38:39]
	s_and_saveexec_b64 s[28:29], s[26:27]
	s_cbranch_execz .LBB461_170
.LBB461_233:
	v_sub_u32_e32 v3, v48, v4
	v_lshlrev_b32_e32 v3, 2, v3
	ds_write_b32 v3, v21
	s_or_b64 exec, exec, s[28:29]
	s_and_saveexec_b64 s[26:27], s[24:25]
	s_cbranch_execz .LBB461_171
.LBB461_234:
	v_sub_u32_e32 v3, v46, v4
	v_lshlrev_b32_e32 v3, 2, v3
	ds_write_b32 v3, v18
	s_or_b64 exec, exec, s[26:27]
	s_and_saveexec_b64 s[24:25], s[22:23]
	s_cbranch_execz .LBB461_172
.LBB461_235:
	v_sub_u32_e32 v3, v44, v4
	v_lshlrev_b32_e32 v3, 2, v3
	ds_write_b32 v3, v19
	s_or_b64 exec, exec, s[24:25]
	s_and_saveexec_b64 s[22:23], s[20:21]
	s_cbranch_execz .LBB461_173
.LBB461_236:
	v_sub_u32_e32 v3, v42, v4
	v_lshlrev_b32_e32 v3, 2, v3
	ds_write_b32 v3, v16
	s_or_b64 exec, exec, s[22:23]
	s_and_saveexec_b64 s[20:21], s[18:19]
	s_cbranch_execz .LBB461_174
.LBB461_237:
	v_sub_u32_e32 v3, v40, v4
	v_lshlrev_b32_e32 v3, 2, v3
	ds_write_b32 v3, v17
	s_or_b64 exec, exec, s[20:21]
	s_and_saveexec_b64 s[18:19], s[16:17]
	s_cbranch_execz .LBB461_175
.LBB461_238:
	v_sub_u32_e32 v3, v38, v4
	v_lshlrev_b32_e32 v3, 2, v3
	ds_write_b32 v3, v14
	s_or_b64 exec, exec, s[18:19]
	s_and_saveexec_b64 s[16:17], s[14:15]
	s_cbranch_execz .LBB461_176
.LBB461_239:
	v_sub_u32_e32 v3, v36, v4
	v_lshlrev_b32_e32 v3, 2, v3
	ds_write_b32 v3, v15
	s_or_b64 exec, exec, s[16:17]
	s_and_saveexec_b64 s[14:15], s[12:13]
	s_cbranch_execz .LBB461_177
.LBB461_240:
	v_sub_u32_e32 v3, v34, v4
	v_lshlrev_b32_e32 v3, 2, v3
	ds_write_b32 v3, v12
	s_or_b64 exec, exec, s[14:15]
	s_and_saveexec_b64 s[12:13], s[10:11]
	s_cbranch_execz .LBB461_178
.LBB461_241:
	v_sub_u32_e32 v3, v32, v4
	v_lshlrev_b32_e32 v3, 2, v3
	ds_write_b32 v3, v13
	s_or_b64 exec, exec, s[12:13]
	s_and_saveexec_b64 s[10:11], s[8:9]
	s_cbranch_execz .LBB461_179
.LBB461_242:
	v_sub_u32_e32 v3, v30, v4
	v_lshlrev_b32_e32 v3, 2, v3
	ds_write_b32 v3, v10
	s_or_b64 exec, exec, s[10:11]
	s_and_saveexec_b64 s[8:9], s[6:7]
	s_cbranch_execz .LBB461_180
.LBB461_243:
	v_sub_u32_e32 v3, v28, v4
	v_lshlrev_b32_e32 v3, 2, v3
	ds_write_b32 v3, v11
	s_or_b64 exec, exec, s[8:9]
	s_and_saveexec_b64 s[6:7], s[4:5]
	s_cbranch_execz .LBB461_181
.LBB461_244:
	v_sub_u32_e32 v3, v26, v4
	v_lshlrev_b32_e32 v3, 2, v3
	ds_write_b32 v3, v8
	s_or_b64 exec, exec, s[6:7]
	s_and_saveexec_b64 s[4:5], s[2:3]
	s_cbranch_execnz .LBB461_182
	s_branch .LBB461_183
.LBB461_245:
	v_sub_u32_e32 v18, v50, v3
	v_mov_b32_e32 v19, 0
	v_lshl_add_u64 v[20:21], v[18:19], 3, v[16:17]
	v_mov_b32_e32 v18, v51
	global_store_dwordx2 v[20:21], v[18:19], off
	s_or_b64 exec, exec, s[38:39]
	s_and_saveexec_b64 s[38:39], s[26:27]
	s_cbranch_execz .LBB461_187
.LBB461_246:
	v_sub_u32_e32 v18, v48, v3
	v_mov_b32_e32 v19, 0
	v_lshl_add_u64 v[20:21], v[18:19], 3, v[16:17]
	v_mov_b32_e32 v18, v49
	global_store_dwordx2 v[20:21], v[18:19], off
	s_or_b64 exec, exec, s[38:39]
	s_and_saveexec_b64 s[38:39], s[24:25]
	s_cbranch_execz .LBB461_188
.LBB461_247:
	v_sub_u32_e32 v18, v46, v3
	v_mov_b32_e32 v19, 0
	v_lshl_add_u64 v[20:21], v[18:19], 3, v[16:17]
	v_mov_b32_e32 v18, v47
	global_store_dwordx2 v[20:21], v[18:19], off
	s_or_b64 exec, exec, s[38:39]
	s_and_saveexec_b64 s[38:39], s[22:23]
	s_cbranch_execz .LBB461_189
.LBB461_248:
	v_sub_u32_e32 v18, v44, v3
	v_mov_b32_e32 v19, 0
	v_lshl_add_u64 v[20:21], v[18:19], 3, v[16:17]
	v_mov_b32_e32 v18, v45
	global_store_dwordx2 v[20:21], v[18:19], off
	s_or_b64 exec, exec, s[38:39]
	s_and_saveexec_b64 s[38:39], s[20:21]
	s_cbranch_execz .LBB461_190
.LBB461_249:
	v_sub_u32_e32 v18, v42, v3
	v_mov_b32_e32 v19, 0
	v_lshl_add_u64 v[20:21], v[18:19], 3, v[16:17]
	v_mov_b32_e32 v18, v43
	global_store_dwordx2 v[20:21], v[18:19], off
	s_or_b64 exec, exec, s[38:39]
	s_and_saveexec_b64 s[38:39], s[18:19]
	s_cbranch_execz .LBB461_191
.LBB461_250:
	v_sub_u32_e32 v18, v40, v3
	v_mov_b32_e32 v19, 0
	v_lshl_add_u64 v[20:21], v[18:19], 3, v[16:17]
	v_mov_b32_e32 v18, v41
	global_store_dwordx2 v[20:21], v[18:19], off
	s_or_b64 exec, exec, s[38:39]
	s_and_saveexec_b64 s[38:39], s[16:17]
	s_cbranch_execz .LBB461_192
.LBB461_251:
	v_sub_u32_e32 v18, v38, v3
	v_mov_b32_e32 v19, 0
	v_lshl_add_u64 v[20:21], v[18:19], 3, v[16:17]
	v_mov_b32_e32 v18, v39
	global_store_dwordx2 v[20:21], v[18:19], off
	s_or_b64 exec, exec, s[38:39]
	s_and_saveexec_b64 s[38:39], s[14:15]
	s_cbranch_execz .LBB461_193
.LBB461_252:
	v_sub_u32_e32 v18, v36, v3
	v_mov_b32_e32 v19, 0
	v_lshl_add_u64 v[20:21], v[18:19], 3, v[16:17]
	v_mov_b32_e32 v18, v37
	global_store_dwordx2 v[20:21], v[18:19], off
	s_or_b64 exec, exec, s[38:39]
	s_and_saveexec_b64 s[38:39], s[12:13]
	s_cbranch_execz .LBB461_194
.LBB461_253:
	v_sub_u32_e32 v18, v34, v3
	v_mov_b32_e32 v19, 0
	v_lshl_add_u64 v[20:21], v[18:19], 3, v[16:17]
	v_mov_b32_e32 v18, v35
	global_store_dwordx2 v[20:21], v[18:19], off
	s_or_b64 exec, exec, s[38:39]
	s_and_saveexec_b64 s[38:39], s[10:11]
	s_cbranch_execz .LBB461_195
.LBB461_254:
	v_sub_u32_e32 v18, v32, v3
	v_mov_b32_e32 v19, 0
	v_lshl_add_u64 v[20:21], v[18:19], 3, v[16:17]
	v_mov_b32_e32 v18, v33
	global_store_dwordx2 v[20:21], v[18:19], off
	s_or_b64 exec, exec, s[38:39]
	s_and_saveexec_b64 s[38:39], s[8:9]
	s_cbranch_execz .LBB461_196
.LBB461_255:
	v_sub_u32_e32 v18, v30, v3
	v_mov_b32_e32 v19, 0
	v_lshl_add_u64 v[20:21], v[18:19], 3, v[16:17]
	v_mov_b32_e32 v18, v31
	global_store_dwordx2 v[20:21], v[18:19], off
	s_or_b64 exec, exec, s[38:39]
	s_and_saveexec_b64 s[38:39], s[6:7]
	s_cbranch_execz .LBB461_197
.LBB461_256:
	v_sub_u32_e32 v18, v28, v3
	v_mov_b32_e32 v19, 0
	v_lshl_add_u64 v[20:21], v[18:19], 3, v[16:17]
	v_mov_b32_e32 v18, v29
	global_store_dwordx2 v[20:21], v[18:19], off
	s_or_b64 exec, exec, s[38:39]
	s_and_saveexec_b64 s[38:39], s[4:5]
	s_cbranch_execz .LBB461_198
.LBB461_257:
	v_sub_u32_e32 v18, v26, v3
	v_mov_b32_e32 v19, 0
	v_lshl_add_u64 v[20:21], v[18:19], 3, v[16:17]
	v_mov_b32_e32 v18, v27
	global_store_dwordx2 v[20:21], v[18:19], off
	s_or_b64 exec, exec, s[38:39]
	s_and_saveexec_b64 s[38:39], s[2:3]
	s_cbranch_execnz .LBB461_199
	s_branch .LBB461_200
.LBB461_258:
	v_sub_u32_e32 v7, v50, v3
	v_lshlrev_b32_e32 v7, 2, v7
	ds_write_b32 v7, v51
	s_or_b64 exec, exec, s[38:39]
	s_and_saveexec_b64 s[28:29], s[26:27]
	s_cbranch_execz .LBB461_204
.LBB461_259:
	v_sub_u32_e32 v7, v48, v3
	v_lshlrev_b32_e32 v7, 2, v7
	ds_write_b32 v7, v49
	s_or_b64 exec, exec, s[28:29]
	s_and_saveexec_b64 s[26:27], s[24:25]
	s_cbranch_execz .LBB461_205
.LBB461_260:
	v_sub_u32_e32 v7, v46, v3
	v_lshlrev_b32_e32 v7, 2, v7
	ds_write_b32 v7, v47
	s_or_b64 exec, exec, s[26:27]
	s_and_saveexec_b64 s[24:25], s[22:23]
	s_cbranch_execz .LBB461_206
.LBB461_261:
	v_sub_u32_e32 v7, v44, v3
	v_lshlrev_b32_e32 v7, 2, v7
	ds_write_b32 v7, v45
	s_or_b64 exec, exec, s[24:25]
	s_and_saveexec_b64 s[22:23], s[20:21]
	s_cbranch_execz .LBB461_207
.LBB461_262:
	v_sub_u32_e32 v7, v42, v3
	v_lshlrev_b32_e32 v7, 2, v7
	ds_write_b32 v7, v43
	s_or_b64 exec, exec, s[22:23]
	s_and_saveexec_b64 s[20:21], s[18:19]
	s_cbranch_execz .LBB461_208
.LBB461_263:
	v_sub_u32_e32 v7, v40, v3
	v_lshlrev_b32_e32 v7, 2, v7
	ds_write_b32 v7, v41
	s_or_b64 exec, exec, s[20:21]
	s_and_saveexec_b64 s[18:19], s[16:17]
	s_cbranch_execz .LBB461_209
.LBB461_264:
	v_sub_u32_e32 v7, v38, v3
	v_lshlrev_b32_e32 v7, 2, v7
	ds_write_b32 v7, v39
	s_or_b64 exec, exec, s[18:19]
	s_and_saveexec_b64 s[16:17], s[14:15]
	s_cbranch_execz .LBB461_210
.LBB461_265:
	v_sub_u32_e32 v7, v36, v3
	v_lshlrev_b32_e32 v7, 2, v7
	ds_write_b32 v7, v37
	s_or_b64 exec, exec, s[16:17]
	s_and_saveexec_b64 s[14:15], s[12:13]
	s_cbranch_execz .LBB461_211
.LBB461_266:
	v_sub_u32_e32 v7, v34, v3
	v_lshlrev_b32_e32 v7, 2, v7
	ds_write_b32 v7, v35
	s_or_b64 exec, exec, s[14:15]
	s_and_saveexec_b64 s[12:13], s[10:11]
	s_cbranch_execz .LBB461_212
.LBB461_267:
	v_sub_u32_e32 v7, v32, v3
	v_lshlrev_b32_e32 v7, 2, v7
	ds_write_b32 v7, v33
	s_or_b64 exec, exec, s[12:13]
	s_and_saveexec_b64 s[10:11], s[8:9]
	s_cbranch_execz .LBB461_213
.LBB461_268:
	v_sub_u32_e32 v7, v30, v3
	v_lshlrev_b32_e32 v7, 2, v7
	ds_write_b32 v7, v31
	s_or_b64 exec, exec, s[10:11]
	s_and_saveexec_b64 s[8:9], s[6:7]
	s_cbranch_execz .LBB461_214
.LBB461_269:
	v_sub_u32_e32 v7, v28, v3
	v_lshlrev_b32_e32 v7, 2, v7
	ds_write_b32 v7, v29
	s_or_b64 exec, exec, s[8:9]
	s_and_saveexec_b64 s[6:7], s[4:5]
	s_cbranch_execz .LBB461_215
.LBB461_270:
	v_sub_u32_e32 v7, v26, v3
	v_lshlrev_b32_e32 v7, 2, v7
	ds_write_b32 v7, v27
	s_or_b64 exec, exec, s[6:7]
	s_and_saveexec_b64 s[4:5], s[2:3]
	s_cbranch_execnz .LBB461_216
	s_branch .LBB461_217
	.section	.rodata,"a",@progbits
	.p2align	6, 0x0
	.amdhsa_kernel _ZN7rocprim17ROCPRIM_400000_NS6detail17trampoline_kernelINS0_14default_configENS1_33run_length_encode_config_selectorIijNS0_4plusIjEEEEZZNS1_33reduce_by_key_impl_wrapped_configILNS1_25lookback_scan_determinismE0ES3_S7_PKiNS0_17constant_iteratorIjlEEPiPlSF_S6_NS0_8equal_toIiEEEE10hipError_tPvRmT2_T3_mT4_T5_T6_T7_T8_P12ihipStream_tbENKUlT_T0_E_clISt17integral_constantIbLb1EESY_IbLb0EEEEDaSU_SV_EUlSU_E_NS1_11comp_targetILNS1_3genE5ELNS1_11target_archE942ELNS1_3gpuE9ELNS1_3repE0EEENS1_30default_config_static_selectorELNS0_4arch9wavefront6targetE1EEEvT1_
		.amdhsa_group_segment_fixed_size 30720
		.amdhsa_private_segment_fixed_size 0
		.amdhsa_kernarg_size 128
		.amdhsa_user_sgpr_count 2
		.amdhsa_user_sgpr_dispatch_ptr 0
		.amdhsa_user_sgpr_queue_ptr 0
		.amdhsa_user_sgpr_kernarg_segment_ptr 1
		.amdhsa_user_sgpr_dispatch_id 0
		.amdhsa_user_sgpr_kernarg_preload_length 0
		.amdhsa_user_sgpr_kernarg_preload_offset 0
		.amdhsa_user_sgpr_private_segment_size 0
		.amdhsa_uses_dynamic_stack 0
		.amdhsa_enable_private_segment 0
		.amdhsa_system_sgpr_workgroup_id_x 1
		.amdhsa_system_sgpr_workgroup_id_y 0
		.amdhsa_system_sgpr_workgroup_id_z 0
		.amdhsa_system_sgpr_workgroup_info 0
		.amdhsa_system_vgpr_workitem_id 0
		.amdhsa_next_free_vgpr 104
		.amdhsa_next_free_sgpr 64
		.amdhsa_accum_offset 104
		.amdhsa_reserve_vcc 1
		.amdhsa_float_round_mode_32 0
		.amdhsa_float_round_mode_16_64 0
		.amdhsa_float_denorm_mode_32 3
		.amdhsa_float_denorm_mode_16_64 3
		.amdhsa_dx10_clamp 1
		.amdhsa_ieee_mode 1
		.amdhsa_fp16_overflow 0
		.amdhsa_tg_split 0
		.amdhsa_exception_fp_ieee_invalid_op 0
		.amdhsa_exception_fp_denorm_src 0
		.amdhsa_exception_fp_ieee_div_zero 0
		.amdhsa_exception_fp_ieee_overflow 0
		.amdhsa_exception_fp_ieee_underflow 0
		.amdhsa_exception_fp_ieee_inexact 0
		.amdhsa_exception_int_div_zero 0
	.end_amdhsa_kernel
	.section	.text._ZN7rocprim17ROCPRIM_400000_NS6detail17trampoline_kernelINS0_14default_configENS1_33run_length_encode_config_selectorIijNS0_4plusIjEEEEZZNS1_33reduce_by_key_impl_wrapped_configILNS1_25lookback_scan_determinismE0ES3_S7_PKiNS0_17constant_iteratorIjlEEPiPlSF_S6_NS0_8equal_toIiEEEE10hipError_tPvRmT2_T3_mT4_T5_T6_T7_T8_P12ihipStream_tbENKUlT_T0_E_clISt17integral_constantIbLb1EESY_IbLb0EEEEDaSU_SV_EUlSU_E_NS1_11comp_targetILNS1_3genE5ELNS1_11target_archE942ELNS1_3gpuE9ELNS1_3repE0EEENS1_30default_config_static_selectorELNS0_4arch9wavefront6targetE1EEEvT1_,"axG",@progbits,_ZN7rocprim17ROCPRIM_400000_NS6detail17trampoline_kernelINS0_14default_configENS1_33run_length_encode_config_selectorIijNS0_4plusIjEEEEZZNS1_33reduce_by_key_impl_wrapped_configILNS1_25lookback_scan_determinismE0ES3_S7_PKiNS0_17constant_iteratorIjlEEPiPlSF_S6_NS0_8equal_toIiEEEE10hipError_tPvRmT2_T3_mT4_T5_T6_T7_T8_P12ihipStream_tbENKUlT_T0_E_clISt17integral_constantIbLb1EESY_IbLb0EEEEDaSU_SV_EUlSU_E_NS1_11comp_targetILNS1_3genE5ELNS1_11target_archE942ELNS1_3gpuE9ELNS1_3repE0EEENS1_30default_config_static_selectorELNS0_4arch9wavefront6targetE1EEEvT1_,comdat
.Lfunc_end461:
	.size	_ZN7rocprim17ROCPRIM_400000_NS6detail17trampoline_kernelINS0_14default_configENS1_33run_length_encode_config_selectorIijNS0_4plusIjEEEEZZNS1_33reduce_by_key_impl_wrapped_configILNS1_25lookback_scan_determinismE0ES3_S7_PKiNS0_17constant_iteratorIjlEEPiPlSF_S6_NS0_8equal_toIiEEEE10hipError_tPvRmT2_T3_mT4_T5_T6_T7_T8_P12ihipStream_tbENKUlT_T0_E_clISt17integral_constantIbLb1EESY_IbLb0EEEEDaSU_SV_EUlSU_E_NS1_11comp_targetILNS1_3genE5ELNS1_11target_archE942ELNS1_3gpuE9ELNS1_3repE0EEENS1_30default_config_static_selectorELNS0_4arch9wavefront6targetE1EEEvT1_, .Lfunc_end461-_ZN7rocprim17ROCPRIM_400000_NS6detail17trampoline_kernelINS0_14default_configENS1_33run_length_encode_config_selectorIijNS0_4plusIjEEEEZZNS1_33reduce_by_key_impl_wrapped_configILNS1_25lookback_scan_determinismE0ES3_S7_PKiNS0_17constant_iteratorIjlEEPiPlSF_S6_NS0_8equal_toIiEEEE10hipError_tPvRmT2_T3_mT4_T5_T6_T7_T8_P12ihipStream_tbENKUlT_T0_E_clISt17integral_constantIbLb1EESY_IbLb0EEEEDaSU_SV_EUlSU_E_NS1_11comp_targetILNS1_3genE5ELNS1_11target_archE942ELNS1_3gpuE9ELNS1_3repE0EEENS1_30default_config_static_selectorELNS0_4arch9wavefront6targetE1EEEvT1_
                                        ; -- End function
	.section	.AMDGPU.csdata,"",@progbits
; Kernel info:
; codeLenInByte = 14696
; NumSgprs: 70
; NumVgprs: 104
; NumAgprs: 0
; TotalNumVgprs: 104
; ScratchSize: 0
; MemoryBound: 0
; FloatMode: 240
; IeeeMode: 1
; LDSByteSize: 30720 bytes/workgroup (compile time only)
; SGPRBlocks: 8
; VGPRBlocks: 12
; NumSGPRsForWavesPerEU: 70
; NumVGPRsForWavesPerEU: 104
; AccumOffset: 104
; Occupancy: 4
; WaveLimiterHint : 1
; COMPUTE_PGM_RSRC2:SCRATCH_EN: 0
; COMPUTE_PGM_RSRC2:USER_SGPR: 2
; COMPUTE_PGM_RSRC2:TRAP_HANDLER: 0
; COMPUTE_PGM_RSRC2:TGID_X_EN: 1
; COMPUTE_PGM_RSRC2:TGID_Y_EN: 0
; COMPUTE_PGM_RSRC2:TGID_Z_EN: 0
; COMPUTE_PGM_RSRC2:TIDIG_COMP_CNT: 0
; COMPUTE_PGM_RSRC3_GFX90A:ACCUM_OFFSET: 25
; COMPUTE_PGM_RSRC3_GFX90A:TG_SPLIT: 0
	.section	.text._ZN7rocprim17ROCPRIM_400000_NS6detail17trampoline_kernelINS0_14default_configENS1_33run_length_encode_config_selectorIijNS0_4plusIjEEEEZZNS1_33reduce_by_key_impl_wrapped_configILNS1_25lookback_scan_determinismE0ES3_S7_PKiNS0_17constant_iteratorIjlEEPiPlSF_S6_NS0_8equal_toIiEEEE10hipError_tPvRmT2_T3_mT4_T5_T6_T7_T8_P12ihipStream_tbENKUlT_T0_E_clISt17integral_constantIbLb1EESY_IbLb0EEEEDaSU_SV_EUlSU_E_NS1_11comp_targetILNS1_3genE4ELNS1_11target_archE910ELNS1_3gpuE8ELNS1_3repE0EEENS1_30default_config_static_selectorELNS0_4arch9wavefront6targetE1EEEvT1_,"axG",@progbits,_ZN7rocprim17ROCPRIM_400000_NS6detail17trampoline_kernelINS0_14default_configENS1_33run_length_encode_config_selectorIijNS0_4plusIjEEEEZZNS1_33reduce_by_key_impl_wrapped_configILNS1_25lookback_scan_determinismE0ES3_S7_PKiNS0_17constant_iteratorIjlEEPiPlSF_S6_NS0_8equal_toIiEEEE10hipError_tPvRmT2_T3_mT4_T5_T6_T7_T8_P12ihipStream_tbENKUlT_T0_E_clISt17integral_constantIbLb1EESY_IbLb0EEEEDaSU_SV_EUlSU_E_NS1_11comp_targetILNS1_3genE4ELNS1_11target_archE910ELNS1_3gpuE8ELNS1_3repE0EEENS1_30default_config_static_selectorELNS0_4arch9wavefront6targetE1EEEvT1_,comdat
	.protected	_ZN7rocprim17ROCPRIM_400000_NS6detail17trampoline_kernelINS0_14default_configENS1_33run_length_encode_config_selectorIijNS0_4plusIjEEEEZZNS1_33reduce_by_key_impl_wrapped_configILNS1_25lookback_scan_determinismE0ES3_S7_PKiNS0_17constant_iteratorIjlEEPiPlSF_S6_NS0_8equal_toIiEEEE10hipError_tPvRmT2_T3_mT4_T5_T6_T7_T8_P12ihipStream_tbENKUlT_T0_E_clISt17integral_constantIbLb1EESY_IbLb0EEEEDaSU_SV_EUlSU_E_NS1_11comp_targetILNS1_3genE4ELNS1_11target_archE910ELNS1_3gpuE8ELNS1_3repE0EEENS1_30default_config_static_selectorELNS0_4arch9wavefront6targetE1EEEvT1_ ; -- Begin function _ZN7rocprim17ROCPRIM_400000_NS6detail17trampoline_kernelINS0_14default_configENS1_33run_length_encode_config_selectorIijNS0_4plusIjEEEEZZNS1_33reduce_by_key_impl_wrapped_configILNS1_25lookback_scan_determinismE0ES3_S7_PKiNS0_17constant_iteratorIjlEEPiPlSF_S6_NS0_8equal_toIiEEEE10hipError_tPvRmT2_T3_mT4_T5_T6_T7_T8_P12ihipStream_tbENKUlT_T0_E_clISt17integral_constantIbLb1EESY_IbLb0EEEEDaSU_SV_EUlSU_E_NS1_11comp_targetILNS1_3genE4ELNS1_11target_archE910ELNS1_3gpuE8ELNS1_3repE0EEENS1_30default_config_static_selectorELNS0_4arch9wavefront6targetE1EEEvT1_
	.globl	_ZN7rocprim17ROCPRIM_400000_NS6detail17trampoline_kernelINS0_14default_configENS1_33run_length_encode_config_selectorIijNS0_4plusIjEEEEZZNS1_33reduce_by_key_impl_wrapped_configILNS1_25lookback_scan_determinismE0ES3_S7_PKiNS0_17constant_iteratorIjlEEPiPlSF_S6_NS0_8equal_toIiEEEE10hipError_tPvRmT2_T3_mT4_T5_T6_T7_T8_P12ihipStream_tbENKUlT_T0_E_clISt17integral_constantIbLb1EESY_IbLb0EEEEDaSU_SV_EUlSU_E_NS1_11comp_targetILNS1_3genE4ELNS1_11target_archE910ELNS1_3gpuE8ELNS1_3repE0EEENS1_30default_config_static_selectorELNS0_4arch9wavefront6targetE1EEEvT1_
	.p2align	8
	.type	_ZN7rocprim17ROCPRIM_400000_NS6detail17trampoline_kernelINS0_14default_configENS1_33run_length_encode_config_selectorIijNS0_4plusIjEEEEZZNS1_33reduce_by_key_impl_wrapped_configILNS1_25lookback_scan_determinismE0ES3_S7_PKiNS0_17constant_iteratorIjlEEPiPlSF_S6_NS0_8equal_toIiEEEE10hipError_tPvRmT2_T3_mT4_T5_T6_T7_T8_P12ihipStream_tbENKUlT_T0_E_clISt17integral_constantIbLb1EESY_IbLb0EEEEDaSU_SV_EUlSU_E_NS1_11comp_targetILNS1_3genE4ELNS1_11target_archE910ELNS1_3gpuE8ELNS1_3repE0EEENS1_30default_config_static_selectorELNS0_4arch9wavefront6targetE1EEEvT1_,@function
_ZN7rocprim17ROCPRIM_400000_NS6detail17trampoline_kernelINS0_14default_configENS1_33run_length_encode_config_selectorIijNS0_4plusIjEEEEZZNS1_33reduce_by_key_impl_wrapped_configILNS1_25lookback_scan_determinismE0ES3_S7_PKiNS0_17constant_iteratorIjlEEPiPlSF_S6_NS0_8equal_toIiEEEE10hipError_tPvRmT2_T3_mT4_T5_T6_T7_T8_P12ihipStream_tbENKUlT_T0_E_clISt17integral_constantIbLb1EESY_IbLb0EEEEDaSU_SV_EUlSU_E_NS1_11comp_targetILNS1_3genE4ELNS1_11target_archE910ELNS1_3gpuE8ELNS1_3repE0EEENS1_30default_config_static_selectorELNS0_4arch9wavefront6targetE1EEEvT1_: ; @_ZN7rocprim17ROCPRIM_400000_NS6detail17trampoline_kernelINS0_14default_configENS1_33run_length_encode_config_selectorIijNS0_4plusIjEEEEZZNS1_33reduce_by_key_impl_wrapped_configILNS1_25lookback_scan_determinismE0ES3_S7_PKiNS0_17constant_iteratorIjlEEPiPlSF_S6_NS0_8equal_toIiEEEE10hipError_tPvRmT2_T3_mT4_T5_T6_T7_T8_P12ihipStream_tbENKUlT_T0_E_clISt17integral_constantIbLb1EESY_IbLb0EEEEDaSU_SV_EUlSU_E_NS1_11comp_targetILNS1_3genE4ELNS1_11target_archE910ELNS1_3gpuE8ELNS1_3repE0EEENS1_30default_config_static_selectorELNS0_4arch9wavefront6targetE1EEEvT1_
; %bb.0:
	.section	.rodata,"a",@progbits
	.p2align	6, 0x0
	.amdhsa_kernel _ZN7rocprim17ROCPRIM_400000_NS6detail17trampoline_kernelINS0_14default_configENS1_33run_length_encode_config_selectorIijNS0_4plusIjEEEEZZNS1_33reduce_by_key_impl_wrapped_configILNS1_25lookback_scan_determinismE0ES3_S7_PKiNS0_17constant_iteratorIjlEEPiPlSF_S6_NS0_8equal_toIiEEEE10hipError_tPvRmT2_T3_mT4_T5_T6_T7_T8_P12ihipStream_tbENKUlT_T0_E_clISt17integral_constantIbLb1EESY_IbLb0EEEEDaSU_SV_EUlSU_E_NS1_11comp_targetILNS1_3genE4ELNS1_11target_archE910ELNS1_3gpuE8ELNS1_3repE0EEENS1_30default_config_static_selectorELNS0_4arch9wavefront6targetE1EEEvT1_
		.amdhsa_group_segment_fixed_size 0
		.amdhsa_private_segment_fixed_size 0
		.amdhsa_kernarg_size 128
		.amdhsa_user_sgpr_count 2
		.amdhsa_user_sgpr_dispatch_ptr 0
		.amdhsa_user_sgpr_queue_ptr 0
		.amdhsa_user_sgpr_kernarg_segment_ptr 1
		.amdhsa_user_sgpr_dispatch_id 0
		.amdhsa_user_sgpr_kernarg_preload_length 0
		.amdhsa_user_sgpr_kernarg_preload_offset 0
		.amdhsa_user_sgpr_private_segment_size 0
		.amdhsa_uses_dynamic_stack 0
		.amdhsa_enable_private_segment 0
		.amdhsa_system_sgpr_workgroup_id_x 1
		.amdhsa_system_sgpr_workgroup_id_y 0
		.amdhsa_system_sgpr_workgroup_id_z 0
		.amdhsa_system_sgpr_workgroup_info 0
		.amdhsa_system_vgpr_workitem_id 0
		.amdhsa_next_free_vgpr 1
		.amdhsa_next_free_sgpr 0
		.amdhsa_accum_offset 4
		.amdhsa_reserve_vcc 0
		.amdhsa_float_round_mode_32 0
		.amdhsa_float_round_mode_16_64 0
		.amdhsa_float_denorm_mode_32 3
		.amdhsa_float_denorm_mode_16_64 3
		.amdhsa_dx10_clamp 1
		.amdhsa_ieee_mode 1
		.amdhsa_fp16_overflow 0
		.amdhsa_tg_split 0
		.amdhsa_exception_fp_ieee_invalid_op 0
		.amdhsa_exception_fp_denorm_src 0
		.amdhsa_exception_fp_ieee_div_zero 0
		.amdhsa_exception_fp_ieee_overflow 0
		.amdhsa_exception_fp_ieee_underflow 0
		.amdhsa_exception_fp_ieee_inexact 0
		.amdhsa_exception_int_div_zero 0
	.end_amdhsa_kernel
	.section	.text._ZN7rocprim17ROCPRIM_400000_NS6detail17trampoline_kernelINS0_14default_configENS1_33run_length_encode_config_selectorIijNS0_4plusIjEEEEZZNS1_33reduce_by_key_impl_wrapped_configILNS1_25lookback_scan_determinismE0ES3_S7_PKiNS0_17constant_iteratorIjlEEPiPlSF_S6_NS0_8equal_toIiEEEE10hipError_tPvRmT2_T3_mT4_T5_T6_T7_T8_P12ihipStream_tbENKUlT_T0_E_clISt17integral_constantIbLb1EESY_IbLb0EEEEDaSU_SV_EUlSU_E_NS1_11comp_targetILNS1_3genE4ELNS1_11target_archE910ELNS1_3gpuE8ELNS1_3repE0EEENS1_30default_config_static_selectorELNS0_4arch9wavefront6targetE1EEEvT1_,"axG",@progbits,_ZN7rocprim17ROCPRIM_400000_NS6detail17trampoline_kernelINS0_14default_configENS1_33run_length_encode_config_selectorIijNS0_4plusIjEEEEZZNS1_33reduce_by_key_impl_wrapped_configILNS1_25lookback_scan_determinismE0ES3_S7_PKiNS0_17constant_iteratorIjlEEPiPlSF_S6_NS0_8equal_toIiEEEE10hipError_tPvRmT2_T3_mT4_T5_T6_T7_T8_P12ihipStream_tbENKUlT_T0_E_clISt17integral_constantIbLb1EESY_IbLb0EEEEDaSU_SV_EUlSU_E_NS1_11comp_targetILNS1_3genE4ELNS1_11target_archE910ELNS1_3gpuE8ELNS1_3repE0EEENS1_30default_config_static_selectorELNS0_4arch9wavefront6targetE1EEEvT1_,comdat
.Lfunc_end462:
	.size	_ZN7rocprim17ROCPRIM_400000_NS6detail17trampoline_kernelINS0_14default_configENS1_33run_length_encode_config_selectorIijNS0_4plusIjEEEEZZNS1_33reduce_by_key_impl_wrapped_configILNS1_25lookback_scan_determinismE0ES3_S7_PKiNS0_17constant_iteratorIjlEEPiPlSF_S6_NS0_8equal_toIiEEEE10hipError_tPvRmT2_T3_mT4_T5_T6_T7_T8_P12ihipStream_tbENKUlT_T0_E_clISt17integral_constantIbLb1EESY_IbLb0EEEEDaSU_SV_EUlSU_E_NS1_11comp_targetILNS1_3genE4ELNS1_11target_archE910ELNS1_3gpuE8ELNS1_3repE0EEENS1_30default_config_static_selectorELNS0_4arch9wavefront6targetE1EEEvT1_, .Lfunc_end462-_ZN7rocprim17ROCPRIM_400000_NS6detail17trampoline_kernelINS0_14default_configENS1_33run_length_encode_config_selectorIijNS0_4plusIjEEEEZZNS1_33reduce_by_key_impl_wrapped_configILNS1_25lookback_scan_determinismE0ES3_S7_PKiNS0_17constant_iteratorIjlEEPiPlSF_S6_NS0_8equal_toIiEEEE10hipError_tPvRmT2_T3_mT4_T5_T6_T7_T8_P12ihipStream_tbENKUlT_T0_E_clISt17integral_constantIbLb1EESY_IbLb0EEEEDaSU_SV_EUlSU_E_NS1_11comp_targetILNS1_3genE4ELNS1_11target_archE910ELNS1_3gpuE8ELNS1_3repE0EEENS1_30default_config_static_selectorELNS0_4arch9wavefront6targetE1EEEvT1_
                                        ; -- End function
	.section	.AMDGPU.csdata,"",@progbits
; Kernel info:
; codeLenInByte = 0
; NumSgprs: 6
; NumVgprs: 0
; NumAgprs: 0
; TotalNumVgprs: 0
; ScratchSize: 0
; MemoryBound: 0
; FloatMode: 240
; IeeeMode: 1
; LDSByteSize: 0 bytes/workgroup (compile time only)
; SGPRBlocks: 0
; VGPRBlocks: 0
; NumSGPRsForWavesPerEU: 6
; NumVGPRsForWavesPerEU: 1
; AccumOffset: 4
; Occupancy: 8
; WaveLimiterHint : 0
; COMPUTE_PGM_RSRC2:SCRATCH_EN: 0
; COMPUTE_PGM_RSRC2:USER_SGPR: 2
; COMPUTE_PGM_RSRC2:TRAP_HANDLER: 0
; COMPUTE_PGM_RSRC2:TGID_X_EN: 1
; COMPUTE_PGM_RSRC2:TGID_Y_EN: 0
; COMPUTE_PGM_RSRC2:TGID_Z_EN: 0
; COMPUTE_PGM_RSRC2:TIDIG_COMP_CNT: 0
; COMPUTE_PGM_RSRC3_GFX90A:ACCUM_OFFSET: 0
; COMPUTE_PGM_RSRC3_GFX90A:TG_SPLIT: 0
	.section	.text._ZN7rocprim17ROCPRIM_400000_NS6detail17trampoline_kernelINS0_14default_configENS1_33run_length_encode_config_selectorIijNS0_4plusIjEEEEZZNS1_33reduce_by_key_impl_wrapped_configILNS1_25lookback_scan_determinismE0ES3_S7_PKiNS0_17constant_iteratorIjlEEPiPlSF_S6_NS0_8equal_toIiEEEE10hipError_tPvRmT2_T3_mT4_T5_T6_T7_T8_P12ihipStream_tbENKUlT_T0_E_clISt17integral_constantIbLb1EESY_IbLb0EEEEDaSU_SV_EUlSU_E_NS1_11comp_targetILNS1_3genE3ELNS1_11target_archE908ELNS1_3gpuE7ELNS1_3repE0EEENS1_30default_config_static_selectorELNS0_4arch9wavefront6targetE1EEEvT1_,"axG",@progbits,_ZN7rocprim17ROCPRIM_400000_NS6detail17trampoline_kernelINS0_14default_configENS1_33run_length_encode_config_selectorIijNS0_4plusIjEEEEZZNS1_33reduce_by_key_impl_wrapped_configILNS1_25lookback_scan_determinismE0ES3_S7_PKiNS0_17constant_iteratorIjlEEPiPlSF_S6_NS0_8equal_toIiEEEE10hipError_tPvRmT2_T3_mT4_T5_T6_T7_T8_P12ihipStream_tbENKUlT_T0_E_clISt17integral_constantIbLb1EESY_IbLb0EEEEDaSU_SV_EUlSU_E_NS1_11comp_targetILNS1_3genE3ELNS1_11target_archE908ELNS1_3gpuE7ELNS1_3repE0EEENS1_30default_config_static_selectorELNS0_4arch9wavefront6targetE1EEEvT1_,comdat
	.protected	_ZN7rocprim17ROCPRIM_400000_NS6detail17trampoline_kernelINS0_14default_configENS1_33run_length_encode_config_selectorIijNS0_4plusIjEEEEZZNS1_33reduce_by_key_impl_wrapped_configILNS1_25lookback_scan_determinismE0ES3_S7_PKiNS0_17constant_iteratorIjlEEPiPlSF_S6_NS0_8equal_toIiEEEE10hipError_tPvRmT2_T3_mT4_T5_T6_T7_T8_P12ihipStream_tbENKUlT_T0_E_clISt17integral_constantIbLb1EESY_IbLb0EEEEDaSU_SV_EUlSU_E_NS1_11comp_targetILNS1_3genE3ELNS1_11target_archE908ELNS1_3gpuE7ELNS1_3repE0EEENS1_30default_config_static_selectorELNS0_4arch9wavefront6targetE1EEEvT1_ ; -- Begin function _ZN7rocprim17ROCPRIM_400000_NS6detail17trampoline_kernelINS0_14default_configENS1_33run_length_encode_config_selectorIijNS0_4plusIjEEEEZZNS1_33reduce_by_key_impl_wrapped_configILNS1_25lookback_scan_determinismE0ES3_S7_PKiNS0_17constant_iteratorIjlEEPiPlSF_S6_NS0_8equal_toIiEEEE10hipError_tPvRmT2_T3_mT4_T5_T6_T7_T8_P12ihipStream_tbENKUlT_T0_E_clISt17integral_constantIbLb1EESY_IbLb0EEEEDaSU_SV_EUlSU_E_NS1_11comp_targetILNS1_3genE3ELNS1_11target_archE908ELNS1_3gpuE7ELNS1_3repE0EEENS1_30default_config_static_selectorELNS0_4arch9wavefront6targetE1EEEvT1_
	.globl	_ZN7rocprim17ROCPRIM_400000_NS6detail17trampoline_kernelINS0_14default_configENS1_33run_length_encode_config_selectorIijNS0_4plusIjEEEEZZNS1_33reduce_by_key_impl_wrapped_configILNS1_25lookback_scan_determinismE0ES3_S7_PKiNS0_17constant_iteratorIjlEEPiPlSF_S6_NS0_8equal_toIiEEEE10hipError_tPvRmT2_T3_mT4_T5_T6_T7_T8_P12ihipStream_tbENKUlT_T0_E_clISt17integral_constantIbLb1EESY_IbLb0EEEEDaSU_SV_EUlSU_E_NS1_11comp_targetILNS1_3genE3ELNS1_11target_archE908ELNS1_3gpuE7ELNS1_3repE0EEENS1_30default_config_static_selectorELNS0_4arch9wavefront6targetE1EEEvT1_
	.p2align	8
	.type	_ZN7rocprim17ROCPRIM_400000_NS6detail17trampoline_kernelINS0_14default_configENS1_33run_length_encode_config_selectorIijNS0_4plusIjEEEEZZNS1_33reduce_by_key_impl_wrapped_configILNS1_25lookback_scan_determinismE0ES3_S7_PKiNS0_17constant_iteratorIjlEEPiPlSF_S6_NS0_8equal_toIiEEEE10hipError_tPvRmT2_T3_mT4_T5_T6_T7_T8_P12ihipStream_tbENKUlT_T0_E_clISt17integral_constantIbLb1EESY_IbLb0EEEEDaSU_SV_EUlSU_E_NS1_11comp_targetILNS1_3genE3ELNS1_11target_archE908ELNS1_3gpuE7ELNS1_3repE0EEENS1_30default_config_static_selectorELNS0_4arch9wavefront6targetE1EEEvT1_,@function
_ZN7rocprim17ROCPRIM_400000_NS6detail17trampoline_kernelINS0_14default_configENS1_33run_length_encode_config_selectorIijNS0_4plusIjEEEEZZNS1_33reduce_by_key_impl_wrapped_configILNS1_25lookback_scan_determinismE0ES3_S7_PKiNS0_17constant_iteratorIjlEEPiPlSF_S6_NS0_8equal_toIiEEEE10hipError_tPvRmT2_T3_mT4_T5_T6_T7_T8_P12ihipStream_tbENKUlT_T0_E_clISt17integral_constantIbLb1EESY_IbLb0EEEEDaSU_SV_EUlSU_E_NS1_11comp_targetILNS1_3genE3ELNS1_11target_archE908ELNS1_3gpuE7ELNS1_3repE0EEENS1_30default_config_static_selectorELNS0_4arch9wavefront6targetE1EEEvT1_: ; @_ZN7rocprim17ROCPRIM_400000_NS6detail17trampoline_kernelINS0_14default_configENS1_33run_length_encode_config_selectorIijNS0_4plusIjEEEEZZNS1_33reduce_by_key_impl_wrapped_configILNS1_25lookback_scan_determinismE0ES3_S7_PKiNS0_17constant_iteratorIjlEEPiPlSF_S6_NS0_8equal_toIiEEEE10hipError_tPvRmT2_T3_mT4_T5_T6_T7_T8_P12ihipStream_tbENKUlT_T0_E_clISt17integral_constantIbLb1EESY_IbLb0EEEEDaSU_SV_EUlSU_E_NS1_11comp_targetILNS1_3genE3ELNS1_11target_archE908ELNS1_3gpuE7ELNS1_3repE0EEENS1_30default_config_static_selectorELNS0_4arch9wavefront6targetE1EEEvT1_
; %bb.0:
	.section	.rodata,"a",@progbits
	.p2align	6, 0x0
	.amdhsa_kernel _ZN7rocprim17ROCPRIM_400000_NS6detail17trampoline_kernelINS0_14default_configENS1_33run_length_encode_config_selectorIijNS0_4plusIjEEEEZZNS1_33reduce_by_key_impl_wrapped_configILNS1_25lookback_scan_determinismE0ES3_S7_PKiNS0_17constant_iteratorIjlEEPiPlSF_S6_NS0_8equal_toIiEEEE10hipError_tPvRmT2_T3_mT4_T5_T6_T7_T8_P12ihipStream_tbENKUlT_T0_E_clISt17integral_constantIbLb1EESY_IbLb0EEEEDaSU_SV_EUlSU_E_NS1_11comp_targetILNS1_3genE3ELNS1_11target_archE908ELNS1_3gpuE7ELNS1_3repE0EEENS1_30default_config_static_selectorELNS0_4arch9wavefront6targetE1EEEvT1_
		.amdhsa_group_segment_fixed_size 0
		.amdhsa_private_segment_fixed_size 0
		.amdhsa_kernarg_size 128
		.amdhsa_user_sgpr_count 2
		.amdhsa_user_sgpr_dispatch_ptr 0
		.amdhsa_user_sgpr_queue_ptr 0
		.amdhsa_user_sgpr_kernarg_segment_ptr 1
		.amdhsa_user_sgpr_dispatch_id 0
		.amdhsa_user_sgpr_kernarg_preload_length 0
		.amdhsa_user_sgpr_kernarg_preload_offset 0
		.amdhsa_user_sgpr_private_segment_size 0
		.amdhsa_uses_dynamic_stack 0
		.amdhsa_enable_private_segment 0
		.amdhsa_system_sgpr_workgroup_id_x 1
		.amdhsa_system_sgpr_workgroup_id_y 0
		.amdhsa_system_sgpr_workgroup_id_z 0
		.amdhsa_system_sgpr_workgroup_info 0
		.amdhsa_system_vgpr_workitem_id 0
		.amdhsa_next_free_vgpr 1
		.amdhsa_next_free_sgpr 0
		.amdhsa_accum_offset 4
		.amdhsa_reserve_vcc 0
		.amdhsa_float_round_mode_32 0
		.amdhsa_float_round_mode_16_64 0
		.amdhsa_float_denorm_mode_32 3
		.amdhsa_float_denorm_mode_16_64 3
		.amdhsa_dx10_clamp 1
		.amdhsa_ieee_mode 1
		.amdhsa_fp16_overflow 0
		.amdhsa_tg_split 0
		.amdhsa_exception_fp_ieee_invalid_op 0
		.amdhsa_exception_fp_denorm_src 0
		.amdhsa_exception_fp_ieee_div_zero 0
		.amdhsa_exception_fp_ieee_overflow 0
		.amdhsa_exception_fp_ieee_underflow 0
		.amdhsa_exception_fp_ieee_inexact 0
		.amdhsa_exception_int_div_zero 0
	.end_amdhsa_kernel
	.section	.text._ZN7rocprim17ROCPRIM_400000_NS6detail17trampoline_kernelINS0_14default_configENS1_33run_length_encode_config_selectorIijNS0_4plusIjEEEEZZNS1_33reduce_by_key_impl_wrapped_configILNS1_25lookback_scan_determinismE0ES3_S7_PKiNS0_17constant_iteratorIjlEEPiPlSF_S6_NS0_8equal_toIiEEEE10hipError_tPvRmT2_T3_mT4_T5_T6_T7_T8_P12ihipStream_tbENKUlT_T0_E_clISt17integral_constantIbLb1EESY_IbLb0EEEEDaSU_SV_EUlSU_E_NS1_11comp_targetILNS1_3genE3ELNS1_11target_archE908ELNS1_3gpuE7ELNS1_3repE0EEENS1_30default_config_static_selectorELNS0_4arch9wavefront6targetE1EEEvT1_,"axG",@progbits,_ZN7rocprim17ROCPRIM_400000_NS6detail17trampoline_kernelINS0_14default_configENS1_33run_length_encode_config_selectorIijNS0_4plusIjEEEEZZNS1_33reduce_by_key_impl_wrapped_configILNS1_25lookback_scan_determinismE0ES3_S7_PKiNS0_17constant_iteratorIjlEEPiPlSF_S6_NS0_8equal_toIiEEEE10hipError_tPvRmT2_T3_mT4_T5_T6_T7_T8_P12ihipStream_tbENKUlT_T0_E_clISt17integral_constantIbLb1EESY_IbLb0EEEEDaSU_SV_EUlSU_E_NS1_11comp_targetILNS1_3genE3ELNS1_11target_archE908ELNS1_3gpuE7ELNS1_3repE0EEENS1_30default_config_static_selectorELNS0_4arch9wavefront6targetE1EEEvT1_,comdat
.Lfunc_end463:
	.size	_ZN7rocprim17ROCPRIM_400000_NS6detail17trampoline_kernelINS0_14default_configENS1_33run_length_encode_config_selectorIijNS0_4plusIjEEEEZZNS1_33reduce_by_key_impl_wrapped_configILNS1_25lookback_scan_determinismE0ES3_S7_PKiNS0_17constant_iteratorIjlEEPiPlSF_S6_NS0_8equal_toIiEEEE10hipError_tPvRmT2_T3_mT4_T5_T6_T7_T8_P12ihipStream_tbENKUlT_T0_E_clISt17integral_constantIbLb1EESY_IbLb0EEEEDaSU_SV_EUlSU_E_NS1_11comp_targetILNS1_3genE3ELNS1_11target_archE908ELNS1_3gpuE7ELNS1_3repE0EEENS1_30default_config_static_selectorELNS0_4arch9wavefront6targetE1EEEvT1_, .Lfunc_end463-_ZN7rocprim17ROCPRIM_400000_NS6detail17trampoline_kernelINS0_14default_configENS1_33run_length_encode_config_selectorIijNS0_4plusIjEEEEZZNS1_33reduce_by_key_impl_wrapped_configILNS1_25lookback_scan_determinismE0ES3_S7_PKiNS0_17constant_iteratorIjlEEPiPlSF_S6_NS0_8equal_toIiEEEE10hipError_tPvRmT2_T3_mT4_T5_T6_T7_T8_P12ihipStream_tbENKUlT_T0_E_clISt17integral_constantIbLb1EESY_IbLb0EEEEDaSU_SV_EUlSU_E_NS1_11comp_targetILNS1_3genE3ELNS1_11target_archE908ELNS1_3gpuE7ELNS1_3repE0EEENS1_30default_config_static_selectorELNS0_4arch9wavefront6targetE1EEEvT1_
                                        ; -- End function
	.section	.AMDGPU.csdata,"",@progbits
; Kernel info:
; codeLenInByte = 0
; NumSgprs: 6
; NumVgprs: 0
; NumAgprs: 0
; TotalNumVgprs: 0
; ScratchSize: 0
; MemoryBound: 0
; FloatMode: 240
; IeeeMode: 1
; LDSByteSize: 0 bytes/workgroup (compile time only)
; SGPRBlocks: 0
; VGPRBlocks: 0
; NumSGPRsForWavesPerEU: 6
; NumVGPRsForWavesPerEU: 1
; AccumOffset: 4
; Occupancy: 8
; WaveLimiterHint : 0
; COMPUTE_PGM_RSRC2:SCRATCH_EN: 0
; COMPUTE_PGM_RSRC2:USER_SGPR: 2
; COMPUTE_PGM_RSRC2:TRAP_HANDLER: 0
; COMPUTE_PGM_RSRC2:TGID_X_EN: 1
; COMPUTE_PGM_RSRC2:TGID_Y_EN: 0
; COMPUTE_PGM_RSRC2:TGID_Z_EN: 0
; COMPUTE_PGM_RSRC2:TIDIG_COMP_CNT: 0
; COMPUTE_PGM_RSRC3_GFX90A:ACCUM_OFFSET: 0
; COMPUTE_PGM_RSRC3_GFX90A:TG_SPLIT: 0
	.section	.text._ZN7rocprim17ROCPRIM_400000_NS6detail17trampoline_kernelINS0_14default_configENS1_33run_length_encode_config_selectorIijNS0_4plusIjEEEEZZNS1_33reduce_by_key_impl_wrapped_configILNS1_25lookback_scan_determinismE0ES3_S7_PKiNS0_17constant_iteratorIjlEEPiPlSF_S6_NS0_8equal_toIiEEEE10hipError_tPvRmT2_T3_mT4_T5_T6_T7_T8_P12ihipStream_tbENKUlT_T0_E_clISt17integral_constantIbLb1EESY_IbLb0EEEEDaSU_SV_EUlSU_E_NS1_11comp_targetILNS1_3genE2ELNS1_11target_archE906ELNS1_3gpuE6ELNS1_3repE0EEENS1_30default_config_static_selectorELNS0_4arch9wavefront6targetE1EEEvT1_,"axG",@progbits,_ZN7rocprim17ROCPRIM_400000_NS6detail17trampoline_kernelINS0_14default_configENS1_33run_length_encode_config_selectorIijNS0_4plusIjEEEEZZNS1_33reduce_by_key_impl_wrapped_configILNS1_25lookback_scan_determinismE0ES3_S7_PKiNS0_17constant_iteratorIjlEEPiPlSF_S6_NS0_8equal_toIiEEEE10hipError_tPvRmT2_T3_mT4_T5_T6_T7_T8_P12ihipStream_tbENKUlT_T0_E_clISt17integral_constantIbLb1EESY_IbLb0EEEEDaSU_SV_EUlSU_E_NS1_11comp_targetILNS1_3genE2ELNS1_11target_archE906ELNS1_3gpuE6ELNS1_3repE0EEENS1_30default_config_static_selectorELNS0_4arch9wavefront6targetE1EEEvT1_,comdat
	.protected	_ZN7rocprim17ROCPRIM_400000_NS6detail17trampoline_kernelINS0_14default_configENS1_33run_length_encode_config_selectorIijNS0_4plusIjEEEEZZNS1_33reduce_by_key_impl_wrapped_configILNS1_25lookback_scan_determinismE0ES3_S7_PKiNS0_17constant_iteratorIjlEEPiPlSF_S6_NS0_8equal_toIiEEEE10hipError_tPvRmT2_T3_mT4_T5_T6_T7_T8_P12ihipStream_tbENKUlT_T0_E_clISt17integral_constantIbLb1EESY_IbLb0EEEEDaSU_SV_EUlSU_E_NS1_11comp_targetILNS1_3genE2ELNS1_11target_archE906ELNS1_3gpuE6ELNS1_3repE0EEENS1_30default_config_static_selectorELNS0_4arch9wavefront6targetE1EEEvT1_ ; -- Begin function _ZN7rocprim17ROCPRIM_400000_NS6detail17trampoline_kernelINS0_14default_configENS1_33run_length_encode_config_selectorIijNS0_4plusIjEEEEZZNS1_33reduce_by_key_impl_wrapped_configILNS1_25lookback_scan_determinismE0ES3_S7_PKiNS0_17constant_iteratorIjlEEPiPlSF_S6_NS0_8equal_toIiEEEE10hipError_tPvRmT2_T3_mT4_T5_T6_T7_T8_P12ihipStream_tbENKUlT_T0_E_clISt17integral_constantIbLb1EESY_IbLb0EEEEDaSU_SV_EUlSU_E_NS1_11comp_targetILNS1_3genE2ELNS1_11target_archE906ELNS1_3gpuE6ELNS1_3repE0EEENS1_30default_config_static_selectorELNS0_4arch9wavefront6targetE1EEEvT1_
	.globl	_ZN7rocprim17ROCPRIM_400000_NS6detail17trampoline_kernelINS0_14default_configENS1_33run_length_encode_config_selectorIijNS0_4plusIjEEEEZZNS1_33reduce_by_key_impl_wrapped_configILNS1_25lookback_scan_determinismE0ES3_S7_PKiNS0_17constant_iteratorIjlEEPiPlSF_S6_NS0_8equal_toIiEEEE10hipError_tPvRmT2_T3_mT4_T5_T6_T7_T8_P12ihipStream_tbENKUlT_T0_E_clISt17integral_constantIbLb1EESY_IbLb0EEEEDaSU_SV_EUlSU_E_NS1_11comp_targetILNS1_3genE2ELNS1_11target_archE906ELNS1_3gpuE6ELNS1_3repE0EEENS1_30default_config_static_selectorELNS0_4arch9wavefront6targetE1EEEvT1_
	.p2align	8
	.type	_ZN7rocprim17ROCPRIM_400000_NS6detail17trampoline_kernelINS0_14default_configENS1_33run_length_encode_config_selectorIijNS0_4plusIjEEEEZZNS1_33reduce_by_key_impl_wrapped_configILNS1_25lookback_scan_determinismE0ES3_S7_PKiNS0_17constant_iteratorIjlEEPiPlSF_S6_NS0_8equal_toIiEEEE10hipError_tPvRmT2_T3_mT4_T5_T6_T7_T8_P12ihipStream_tbENKUlT_T0_E_clISt17integral_constantIbLb1EESY_IbLb0EEEEDaSU_SV_EUlSU_E_NS1_11comp_targetILNS1_3genE2ELNS1_11target_archE906ELNS1_3gpuE6ELNS1_3repE0EEENS1_30default_config_static_selectorELNS0_4arch9wavefront6targetE1EEEvT1_,@function
_ZN7rocprim17ROCPRIM_400000_NS6detail17trampoline_kernelINS0_14default_configENS1_33run_length_encode_config_selectorIijNS0_4plusIjEEEEZZNS1_33reduce_by_key_impl_wrapped_configILNS1_25lookback_scan_determinismE0ES3_S7_PKiNS0_17constant_iteratorIjlEEPiPlSF_S6_NS0_8equal_toIiEEEE10hipError_tPvRmT2_T3_mT4_T5_T6_T7_T8_P12ihipStream_tbENKUlT_T0_E_clISt17integral_constantIbLb1EESY_IbLb0EEEEDaSU_SV_EUlSU_E_NS1_11comp_targetILNS1_3genE2ELNS1_11target_archE906ELNS1_3gpuE6ELNS1_3repE0EEENS1_30default_config_static_selectorELNS0_4arch9wavefront6targetE1EEEvT1_: ; @_ZN7rocprim17ROCPRIM_400000_NS6detail17trampoline_kernelINS0_14default_configENS1_33run_length_encode_config_selectorIijNS0_4plusIjEEEEZZNS1_33reduce_by_key_impl_wrapped_configILNS1_25lookback_scan_determinismE0ES3_S7_PKiNS0_17constant_iteratorIjlEEPiPlSF_S6_NS0_8equal_toIiEEEE10hipError_tPvRmT2_T3_mT4_T5_T6_T7_T8_P12ihipStream_tbENKUlT_T0_E_clISt17integral_constantIbLb1EESY_IbLb0EEEEDaSU_SV_EUlSU_E_NS1_11comp_targetILNS1_3genE2ELNS1_11target_archE906ELNS1_3gpuE6ELNS1_3repE0EEENS1_30default_config_static_selectorELNS0_4arch9wavefront6targetE1EEEvT1_
; %bb.0:
	.section	.rodata,"a",@progbits
	.p2align	6, 0x0
	.amdhsa_kernel _ZN7rocprim17ROCPRIM_400000_NS6detail17trampoline_kernelINS0_14default_configENS1_33run_length_encode_config_selectorIijNS0_4plusIjEEEEZZNS1_33reduce_by_key_impl_wrapped_configILNS1_25lookback_scan_determinismE0ES3_S7_PKiNS0_17constant_iteratorIjlEEPiPlSF_S6_NS0_8equal_toIiEEEE10hipError_tPvRmT2_T3_mT4_T5_T6_T7_T8_P12ihipStream_tbENKUlT_T0_E_clISt17integral_constantIbLb1EESY_IbLb0EEEEDaSU_SV_EUlSU_E_NS1_11comp_targetILNS1_3genE2ELNS1_11target_archE906ELNS1_3gpuE6ELNS1_3repE0EEENS1_30default_config_static_selectorELNS0_4arch9wavefront6targetE1EEEvT1_
		.amdhsa_group_segment_fixed_size 0
		.amdhsa_private_segment_fixed_size 0
		.amdhsa_kernarg_size 128
		.amdhsa_user_sgpr_count 2
		.amdhsa_user_sgpr_dispatch_ptr 0
		.amdhsa_user_sgpr_queue_ptr 0
		.amdhsa_user_sgpr_kernarg_segment_ptr 1
		.amdhsa_user_sgpr_dispatch_id 0
		.amdhsa_user_sgpr_kernarg_preload_length 0
		.amdhsa_user_sgpr_kernarg_preload_offset 0
		.amdhsa_user_sgpr_private_segment_size 0
		.amdhsa_uses_dynamic_stack 0
		.amdhsa_enable_private_segment 0
		.amdhsa_system_sgpr_workgroup_id_x 1
		.amdhsa_system_sgpr_workgroup_id_y 0
		.amdhsa_system_sgpr_workgroup_id_z 0
		.amdhsa_system_sgpr_workgroup_info 0
		.amdhsa_system_vgpr_workitem_id 0
		.amdhsa_next_free_vgpr 1
		.amdhsa_next_free_sgpr 0
		.amdhsa_accum_offset 4
		.amdhsa_reserve_vcc 0
		.amdhsa_float_round_mode_32 0
		.amdhsa_float_round_mode_16_64 0
		.amdhsa_float_denorm_mode_32 3
		.amdhsa_float_denorm_mode_16_64 3
		.amdhsa_dx10_clamp 1
		.amdhsa_ieee_mode 1
		.amdhsa_fp16_overflow 0
		.amdhsa_tg_split 0
		.amdhsa_exception_fp_ieee_invalid_op 0
		.amdhsa_exception_fp_denorm_src 0
		.amdhsa_exception_fp_ieee_div_zero 0
		.amdhsa_exception_fp_ieee_overflow 0
		.amdhsa_exception_fp_ieee_underflow 0
		.amdhsa_exception_fp_ieee_inexact 0
		.amdhsa_exception_int_div_zero 0
	.end_amdhsa_kernel
	.section	.text._ZN7rocprim17ROCPRIM_400000_NS6detail17trampoline_kernelINS0_14default_configENS1_33run_length_encode_config_selectorIijNS0_4plusIjEEEEZZNS1_33reduce_by_key_impl_wrapped_configILNS1_25lookback_scan_determinismE0ES3_S7_PKiNS0_17constant_iteratorIjlEEPiPlSF_S6_NS0_8equal_toIiEEEE10hipError_tPvRmT2_T3_mT4_T5_T6_T7_T8_P12ihipStream_tbENKUlT_T0_E_clISt17integral_constantIbLb1EESY_IbLb0EEEEDaSU_SV_EUlSU_E_NS1_11comp_targetILNS1_3genE2ELNS1_11target_archE906ELNS1_3gpuE6ELNS1_3repE0EEENS1_30default_config_static_selectorELNS0_4arch9wavefront6targetE1EEEvT1_,"axG",@progbits,_ZN7rocprim17ROCPRIM_400000_NS6detail17trampoline_kernelINS0_14default_configENS1_33run_length_encode_config_selectorIijNS0_4plusIjEEEEZZNS1_33reduce_by_key_impl_wrapped_configILNS1_25lookback_scan_determinismE0ES3_S7_PKiNS0_17constant_iteratorIjlEEPiPlSF_S6_NS0_8equal_toIiEEEE10hipError_tPvRmT2_T3_mT4_T5_T6_T7_T8_P12ihipStream_tbENKUlT_T0_E_clISt17integral_constantIbLb1EESY_IbLb0EEEEDaSU_SV_EUlSU_E_NS1_11comp_targetILNS1_3genE2ELNS1_11target_archE906ELNS1_3gpuE6ELNS1_3repE0EEENS1_30default_config_static_selectorELNS0_4arch9wavefront6targetE1EEEvT1_,comdat
.Lfunc_end464:
	.size	_ZN7rocprim17ROCPRIM_400000_NS6detail17trampoline_kernelINS0_14default_configENS1_33run_length_encode_config_selectorIijNS0_4plusIjEEEEZZNS1_33reduce_by_key_impl_wrapped_configILNS1_25lookback_scan_determinismE0ES3_S7_PKiNS0_17constant_iteratorIjlEEPiPlSF_S6_NS0_8equal_toIiEEEE10hipError_tPvRmT2_T3_mT4_T5_T6_T7_T8_P12ihipStream_tbENKUlT_T0_E_clISt17integral_constantIbLb1EESY_IbLb0EEEEDaSU_SV_EUlSU_E_NS1_11comp_targetILNS1_3genE2ELNS1_11target_archE906ELNS1_3gpuE6ELNS1_3repE0EEENS1_30default_config_static_selectorELNS0_4arch9wavefront6targetE1EEEvT1_, .Lfunc_end464-_ZN7rocprim17ROCPRIM_400000_NS6detail17trampoline_kernelINS0_14default_configENS1_33run_length_encode_config_selectorIijNS0_4plusIjEEEEZZNS1_33reduce_by_key_impl_wrapped_configILNS1_25lookback_scan_determinismE0ES3_S7_PKiNS0_17constant_iteratorIjlEEPiPlSF_S6_NS0_8equal_toIiEEEE10hipError_tPvRmT2_T3_mT4_T5_T6_T7_T8_P12ihipStream_tbENKUlT_T0_E_clISt17integral_constantIbLb1EESY_IbLb0EEEEDaSU_SV_EUlSU_E_NS1_11comp_targetILNS1_3genE2ELNS1_11target_archE906ELNS1_3gpuE6ELNS1_3repE0EEENS1_30default_config_static_selectorELNS0_4arch9wavefront6targetE1EEEvT1_
                                        ; -- End function
	.section	.AMDGPU.csdata,"",@progbits
; Kernel info:
; codeLenInByte = 0
; NumSgprs: 6
; NumVgprs: 0
; NumAgprs: 0
; TotalNumVgprs: 0
; ScratchSize: 0
; MemoryBound: 0
; FloatMode: 240
; IeeeMode: 1
; LDSByteSize: 0 bytes/workgroup (compile time only)
; SGPRBlocks: 0
; VGPRBlocks: 0
; NumSGPRsForWavesPerEU: 6
; NumVGPRsForWavesPerEU: 1
; AccumOffset: 4
; Occupancy: 8
; WaveLimiterHint : 0
; COMPUTE_PGM_RSRC2:SCRATCH_EN: 0
; COMPUTE_PGM_RSRC2:USER_SGPR: 2
; COMPUTE_PGM_RSRC2:TRAP_HANDLER: 0
; COMPUTE_PGM_RSRC2:TGID_X_EN: 1
; COMPUTE_PGM_RSRC2:TGID_Y_EN: 0
; COMPUTE_PGM_RSRC2:TGID_Z_EN: 0
; COMPUTE_PGM_RSRC2:TIDIG_COMP_CNT: 0
; COMPUTE_PGM_RSRC3_GFX90A:ACCUM_OFFSET: 0
; COMPUTE_PGM_RSRC3_GFX90A:TG_SPLIT: 0
	.section	.text._ZN7rocprim17ROCPRIM_400000_NS6detail17trampoline_kernelINS0_14default_configENS1_33run_length_encode_config_selectorIijNS0_4plusIjEEEEZZNS1_33reduce_by_key_impl_wrapped_configILNS1_25lookback_scan_determinismE0ES3_S7_PKiNS0_17constant_iteratorIjlEEPiPlSF_S6_NS0_8equal_toIiEEEE10hipError_tPvRmT2_T3_mT4_T5_T6_T7_T8_P12ihipStream_tbENKUlT_T0_E_clISt17integral_constantIbLb1EESY_IbLb0EEEEDaSU_SV_EUlSU_E_NS1_11comp_targetILNS1_3genE10ELNS1_11target_archE1201ELNS1_3gpuE5ELNS1_3repE0EEENS1_30default_config_static_selectorELNS0_4arch9wavefront6targetE1EEEvT1_,"axG",@progbits,_ZN7rocprim17ROCPRIM_400000_NS6detail17trampoline_kernelINS0_14default_configENS1_33run_length_encode_config_selectorIijNS0_4plusIjEEEEZZNS1_33reduce_by_key_impl_wrapped_configILNS1_25lookback_scan_determinismE0ES3_S7_PKiNS0_17constant_iteratorIjlEEPiPlSF_S6_NS0_8equal_toIiEEEE10hipError_tPvRmT2_T3_mT4_T5_T6_T7_T8_P12ihipStream_tbENKUlT_T0_E_clISt17integral_constantIbLb1EESY_IbLb0EEEEDaSU_SV_EUlSU_E_NS1_11comp_targetILNS1_3genE10ELNS1_11target_archE1201ELNS1_3gpuE5ELNS1_3repE0EEENS1_30default_config_static_selectorELNS0_4arch9wavefront6targetE1EEEvT1_,comdat
	.protected	_ZN7rocprim17ROCPRIM_400000_NS6detail17trampoline_kernelINS0_14default_configENS1_33run_length_encode_config_selectorIijNS0_4plusIjEEEEZZNS1_33reduce_by_key_impl_wrapped_configILNS1_25lookback_scan_determinismE0ES3_S7_PKiNS0_17constant_iteratorIjlEEPiPlSF_S6_NS0_8equal_toIiEEEE10hipError_tPvRmT2_T3_mT4_T5_T6_T7_T8_P12ihipStream_tbENKUlT_T0_E_clISt17integral_constantIbLb1EESY_IbLb0EEEEDaSU_SV_EUlSU_E_NS1_11comp_targetILNS1_3genE10ELNS1_11target_archE1201ELNS1_3gpuE5ELNS1_3repE0EEENS1_30default_config_static_selectorELNS0_4arch9wavefront6targetE1EEEvT1_ ; -- Begin function _ZN7rocprim17ROCPRIM_400000_NS6detail17trampoline_kernelINS0_14default_configENS1_33run_length_encode_config_selectorIijNS0_4plusIjEEEEZZNS1_33reduce_by_key_impl_wrapped_configILNS1_25lookback_scan_determinismE0ES3_S7_PKiNS0_17constant_iteratorIjlEEPiPlSF_S6_NS0_8equal_toIiEEEE10hipError_tPvRmT2_T3_mT4_T5_T6_T7_T8_P12ihipStream_tbENKUlT_T0_E_clISt17integral_constantIbLb1EESY_IbLb0EEEEDaSU_SV_EUlSU_E_NS1_11comp_targetILNS1_3genE10ELNS1_11target_archE1201ELNS1_3gpuE5ELNS1_3repE0EEENS1_30default_config_static_selectorELNS0_4arch9wavefront6targetE1EEEvT1_
	.globl	_ZN7rocprim17ROCPRIM_400000_NS6detail17trampoline_kernelINS0_14default_configENS1_33run_length_encode_config_selectorIijNS0_4plusIjEEEEZZNS1_33reduce_by_key_impl_wrapped_configILNS1_25lookback_scan_determinismE0ES3_S7_PKiNS0_17constant_iteratorIjlEEPiPlSF_S6_NS0_8equal_toIiEEEE10hipError_tPvRmT2_T3_mT4_T5_T6_T7_T8_P12ihipStream_tbENKUlT_T0_E_clISt17integral_constantIbLb1EESY_IbLb0EEEEDaSU_SV_EUlSU_E_NS1_11comp_targetILNS1_3genE10ELNS1_11target_archE1201ELNS1_3gpuE5ELNS1_3repE0EEENS1_30default_config_static_selectorELNS0_4arch9wavefront6targetE1EEEvT1_
	.p2align	8
	.type	_ZN7rocprim17ROCPRIM_400000_NS6detail17trampoline_kernelINS0_14default_configENS1_33run_length_encode_config_selectorIijNS0_4plusIjEEEEZZNS1_33reduce_by_key_impl_wrapped_configILNS1_25lookback_scan_determinismE0ES3_S7_PKiNS0_17constant_iteratorIjlEEPiPlSF_S6_NS0_8equal_toIiEEEE10hipError_tPvRmT2_T3_mT4_T5_T6_T7_T8_P12ihipStream_tbENKUlT_T0_E_clISt17integral_constantIbLb1EESY_IbLb0EEEEDaSU_SV_EUlSU_E_NS1_11comp_targetILNS1_3genE10ELNS1_11target_archE1201ELNS1_3gpuE5ELNS1_3repE0EEENS1_30default_config_static_selectorELNS0_4arch9wavefront6targetE1EEEvT1_,@function
_ZN7rocprim17ROCPRIM_400000_NS6detail17trampoline_kernelINS0_14default_configENS1_33run_length_encode_config_selectorIijNS0_4plusIjEEEEZZNS1_33reduce_by_key_impl_wrapped_configILNS1_25lookback_scan_determinismE0ES3_S7_PKiNS0_17constant_iteratorIjlEEPiPlSF_S6_NS0_8equal_toIiEEEE10hipError_tPvRmT2_T3_mT4_T5_T6_T7_T8_P12ihipStream_tbENKUlT_T0_E_clISt17integral_constantIbLb1EESY_IbLb0EEEEDaSU_SV_EUlSU_E_NS1_11comp_targetILNS1_3genE10ELNS1_11target_archE1201ELNS1_3gpuE5ELNS1_3repE0EEENS1_30default_config_static_selectorELNS0_4arch9wavefront6targetE1EEEvT1_: ; @_ZN7rocprim17ROCPRIM_400000_NS6detail17trampoline_kernelINS0_14default_configENS1_33run_length_encode_config_selectorIijNS0_4plusIjEEEEZZNS1_33reduce_by_key_impl_wrapped_configILNS1_25lookback_scan_determinismE0ES3_S7_PKiNS0_17constant_iteratorIjlEEPiPlSF_S6_NS0_8equal_toIiEEEE10hipError_tPvRmT2_T3_mT4_T5_T6_T7_T8_P12ihipStream_tbENKUlT_T0_E_clISt17integral_constantIbLb1EESY_IbLb0EEEEDaSU_SV_EUlSU_E_NS1_11comp_targetILNS1_3genE10ELNS1_11target_archE1201ELNS1_3gpuE5ELNS1_3repE0EEENS1_30default_config_static_selectorELNS0_4arch9wavefront6targetE1EEEvT1_
; %bb.0:
	.section	.rodata,"a",@progbits
	.p2align	6, 0x0
	.amdhsa_kernel _ZN7rocprim17ROCPRIM_400000_NS6detail17trampoline_kernelINS0_14default_configENS1_33run_length_encode_config_selectorIijNS0_4plusIjEEEEZZNS1_33reduce_by_key_impl_wrapped_configILNS1_25lookback_scan_determinismE0ES3_S7_PKiNS0_17constant_iteratorIjlEEPiPlSF_S6_NS0_8equal_toIiEEEE10hipError_tPvRmT2_T3_mT4_T5_T6_T7_T8_P12ihipStream_tbENKUlT_T0_E_clISt17integral_constantIbLb1EESY_IbLb0EEEEDaSU_SV_EUlSU_E_NS1_11comp_targetILNS1_3genE10ELNS1_11target_archE1201ELNS1_3gpuE5ELNS1_3repE0EEENS1_30default_config_static_selectorELNS0_4arch9wavefront6targetE1EEEvT1_
		.amdhsa_group_segment_fixed_size 0
		.amdhsa_private_segment_fixed_size 0
		.amdhsa_kernarg_size 128
		.amdhsa_user_sgpr_count 2
		.amdhsa_user_sgpr_dispatch_ptr 0
		.amdhsa_user_sgpr_queue_ptr 0
		.amdhsa_user_sgpr_kernarg_segment_ptr 1
		.amdhsa_user_sgpr_dispatch_id 0
		.amdhsa_user_sgpr_kernarg_preload_length 0
		.amdhsa_user_sgpr_kernarg_preload_offset 0
		.amdhsa_user_sgpr_private_segment_size 0
		.amdhsa_uses_dynamic_stack 0
		.amdhsa_enable_private_segment 0
		.amdhsa_system_sgpr_workgroup_id_x 1
		.amdhsa_system_sgpr_workgroup_id_y 0
		.amdhsa_system_sgpr_workgroup_id_z 0
		.amdhsa_system_sgpr_workgroup_info 0
		.amdhsa_system_vgpr_workitem_id 0
		.amdhsa_next_free_vgpr 1
		.amdhsa_next_free_sgpr 0
		.amdhsa_accum_offset 4
		.amdhsa_reserve_vcc 0
		.amdhsa_float_round_mode_32 0
		.amdhsa_float_round_mode_16_64 0
		.amdhsa_float_denorm_mode_32 3
		.amdhsa_float_denorm_mode_16_64 3
		.amdhsa_dx10_clamp 1
		.amdhsa_ieee_mode 1
		.amdhsa_fp16_overflow 0
		.amdhsa_tg_split 0
		.amdhsa_exception_fp_ieee_invalid_op 0
		.amdhsa_exception_fp_denorm_src 0
		.amdhsa_exception_fp_ieee_div_zero 0
		.amdhsa_exception_fp_ieee_overflow 0
		.amdhsa_exception_fp_ieee_underflow 0
		.amdhsa_exception_fp_ieee_inexact 0
		.amdhsa_exception_int_div_zero 0
	.end_amdhsa_kernel
	.section	.text._ZN7rocprim17ROCPRIM_400000_NS6detail17trampoline_kernelINS0_14default_configENS1_33run_length_encode_config_selectorIijNS0_4plusIjEEEEZZNS1_33reduce_by_key_impl_wrapped_configILNS1_25lookback_scan_determinismE0ES3_S7_PKiNS0_17constant_iteratorIjlEEPiPlSF_S6_NS0_8equal_toIiEEEE10hipError_tPvRmT2_T3_mT4_T5_T6_T7_T8_P12ihipStream_tbENKUlT_T0_E_clISt17integral_constantIbLb1EESY_IbLb0EEEEDaSU_SV_EUlSU_E_NS1_11comp_targetILNS1_3genE10ELNS1_11target_archE1201ELNS1_3gpuE5ELNS1_3repE0EEENS1_30default_config_static_selectorELNS0_4arch9wavefront6targetE1EEEvT1_,"axG",@progbits,_ZN7rocprim17ROCPRIM_400000_NS6detail17trampoline_kernelINS0_14default_configENS1_33run_length_encode_config_selectorIijNS0_4plusIjEEEEZZNS1_33reduce_by_key_impl_wrapped_configILNS1_25lookback_scan_determinismE0ES3_S7_PKiNS0_17constant_iteratorIjlEEPiPlSF_S6_NS0_8equal_toIiEEEE10hipError_tPvRmT2_T3_mT4_T5_T6_T7_T8_P12ihipStream_tbENKUlT_T0_E_clISt17integral_constantIbLb1EESY_IbLb0EEEEDaSU_SV_EUlSU_E_NS1_11comp_targetILNS1_3genE10ELNS1_11target_archE1201ELNS1_3gpuE5ELNS1_3repE0EEENS1_30default_config_static_selectorELNS0_4arch9wavefront6targetE1EEEvT1_,comdat
.Lfunc_end465:
	.size	_ZN7rocprim17ROCPRIM_400000_NS6detail17trampoline_kernelINS0_14default_configENS1_33run_length_encode_config_selectorIijNS0_4plusIjEEEEZZNS1_33reduce_by_key_impl_wrapped_configILNS1_25lookback_scan_determinismE0ES3_S7_PKiNS0_17constant_iteratorIjlEEPiPlSF_S6_NS0_8equal_toIiEEEE10hipError_tPvRmT2_T3_mT4_T5_T6_T7_T8_P12ihipStream_tbENKUlT_T0_E_clISt17integral_constantIbLb1EESY_IbLb0EEEEDaSU_SV_EUlSU_E_NS1_11comp_targetILNS1_3genE10ELNS1_11target_archE1201ELNS1_3gpuE5ELNS1_3repE0EEENS1_30default_config_static_selectorELNS0_4arch9wavefront6targetE1EEEvT1_, .Lfunc_end465-_ZN7rocprim17ROCPRIM_400000_NS6detail17trampoline_kernelINS0_14default_configENS1_33run_length_encode_config_selectorIijNS0_4plusIjEEEEZZNS1_33reduce_by_key_impl_wrapped_configILNS1_25lookback_scan_determinismE0ES3_S7_PKiNS0_17constant_iteratorIjlEEPiPlSF_S6_NS0_8equal_toIiEEEE10hipError_tPvRmT2_T3_mT4_T5_T6_T7_T8_P12ihipStream_tbENKUlT_T0_E_clISt17integral_constantIbLb1EESY_IbLb0EEEEDaSU_SV_EUlSU_E_NS1_11comp_targetILNS1_3genE10ELNS1_11target_archE1201ELNS1_3gpuE5ELNS1_3repE0EEENS1_30default_config_static_selectorELNS0_4arch9wavefront6targetE1EEEvT1_
                                        ; -- End function
	.section	.AMDGPU.csdata,"",@progbits
; Kernel info:
; codeLenInByte = 0
; NumSgprs: 6
; NumVgprs: 0
; NumAgprs: 0
; TotalNumVgprs: 0
; ScratchSize: 0
; MemoryBound: 0
; FloatMode: 240
; IeeeMode: 1
; LDSByteSize: 0 bytes/workgroup (compile time only)
; SGPRBlocks: 0
; VGPRBlocks: 0
; NumSGPRsForWavesPerEU: 6
; NumVGPRsForWavesPerEU: 1
; AccumOffset: 4
; Occupancy: 8
; WaveLimiterHint : 0
; COMPUTE_PGM_RSRC2:SCRATCH_EN: 0
; COMPUTE_PGM_RSRC2:USER_SGPR: 2
; COMPUTE_PGM_RSRC2:TRAP_HANDLER: 0
; COMPUTE_PGM_RSRC2:TGID_X_EN: 1
; COMPUTE_PGM_RSRC2:TGID_Y_EN: 0
; COMPUTE_PGM_RSRC2:TGID_Z_EN: 0
; COMPUTE_PGM_RSRC2:TIDIG_COMP_CNT: 0
; COMPUTE_PGM_RSRC3_GFX90A:ACCUM_OFFSET: 0
; COMPUTE_PGM_RSRC3_GFX90A:TG_SPLIT: 0
	.section	.text._ZN7rocprim17ROCPRIM_400000_NS6detail17trampoline_kernelINS0_14default_configENS1_33run_length_encode_config_selectorIijNS0_4plusIjEEEEZZNS1_33reduce_by_key_impl_wrapped_configILNS1_25lookback_scan_determinismE0ES3_S7_PKiNS0_17constant_iteratorIjlEEPiPlSF_S6_NS0_8equal_toIiEEEE10hipError_tPvRmT2_T3_mT4_T5_T6_T7_T8_P12ihipStream_tbENKUlT_T0_E_clISt17integral_constantIbLb1EESY_IbLb0EEEEDaSU_SV_EUlSU_E_NS1_11comp_targetILNS1_3genE10ELNS1_11target_archE1200ELNS1_3gpuE4ELNS1_3repE0EEENS1_30default_config_static_selectorELNS0_4arch9wavefront6targetE1EEEvT1_,"axG",@progbits,_ZN7rocprim17ROCPRIM_400000_NS6detail17trampoline_kernelINS0_14default_configENS1_33run_length_encode_config_selectorIijNS0_4plusIjEEEEZZNS1_33reduce_by_key_impl_wrapped_configILNS1_25lookback_scan_determinismE0ES3_S7_PKiNS0_17constant_iteratorIjlEEPiPlSF_S6_NS0_8equal_toIiEEEE10hipError_tPvRmT2_T3_mT4_T5_T6_T7_T8_P12ihipStream_tbENKUlT_T0_E_clISt17integral_constantIbLb1EESY_IbLb0EEEEDaSU_SV_EUlSU_E_NS1_11comp_targetILNS1_3genE10ELNS1_11target_archE1200ELNS1_3gpuE4ELNS1_3repE0EEENS1_30default_config_static_selectorELNS0_4arch9wavefront6targetE1EEEvT1_,comdat
	.protected	_ZN7rocprim17ROCPRIM_400000_NS6detail17trampoline_kernelINS0_14default_configENS1_33run_length_encode_config_selectorIijNS0_4plusIjEEEEZZNS1_33reduce_by_key_impl_wrapped_configILNS1_25lookback_scan_determinismE0ES3_S7_PKiNS0_17constant_iteratorIjlEEPiPlSF_S6_NS0_8equal_toIiEEEE10hipError_tPvRmT2_T3_mT4_T5_T6_T7_T8_P12ihipStream_tbENKUlT_T0_E_clISt17integral_constantIbLb1EESY_IbLb0EEEEDaSU_SV_EUlSU_E_NS1_11comp_targetILNS1_3genE10ELNS1_11target_archE1200ELNS1_3gpuE4ELNS1_3repE0EEENS1_30default_config_static_selectorELNS0_4arch9wavefront6targetE1EEEvT1_ ; -- Begin function _ZN7rocprim17ROCPRIM_400000_NS6detail17trampoline_kernelINS0_14default_configENS1_33run_length_encode_config_selectorIijNS0_4plusIjEEEEZZNS1_33reduce_by_key_impl_wrapped_configILNS1_25lookback_scan_determinismE0ES3_S7_PKiNS0_17constant_iteratorIjlEEPiPlSF_S6_NS0_8equal_toIiEEEE10hipError_tPvRmT2_T3_mT4_T5_T6_T7_T8_P12ihipStream_tbENKUlT_T0_E_clISt17integral_constantIbLb1EESY_IbLb0EEEEDaSU_SV_EUlSU_E_NS1_11comp_targetILNS1_3genE10ELNS1_11target_archE1200ELNS1_3gpuE4ELNS1_3repE0EEENS1_30default_config_static_selectorELNS0_4arch9wavefront6targetE1EEEvT1_
	.globl	_ZN7rocprim17ROCPRIM_400000_NS6detail17trampoline_kernelINS0_14default_configENS1_33run_length_encode_config_selectorIijNS0_4plusIjEEEEZZNS1_33reduce_by_key_impl_wrapped_configILNS1_25lookback_scan_determinismE0ES3_S7_PKiNS0_17constant_iteratorIjlEEPiPlSF_S6_NS0_8equal_toIiEEEE10hipError_tPvRmT2_T3_mT4_T5_T6_T7_T8_P12ihipStream_tbENKUlT_T0_E_clISt17integral_constantIbLb1EESY_IbLb0EEEEDaSU_SV_EUlSU_E_NS1_11comp_targetILNS1_3genE10ELNS1_11target_archE1200ELNS1_3gpuE4ELNS1_3repE0EEENS1_30default_config_static_selectorELNS0_4arch9wavefront6targetE1EEEvT1_
	.p2align	8
	.type	_ZN7rocprim17ROCPRIM_400000_NS6detail17trampoline_kernelINS0_14default_configENS1_33run_length_encode_config_selectorIijNS0_4plusIjEEEEZZNS1_33reduce_by_key_impl_wrapped_configILNS1_25lookback_scan_determinismE0ES3_S7_PKiNS0_17constant_iteratorIjlEEPiPlSF_S6_NS0_8equal_toIiEEEE10hipError_tPvRmT2_T3_mT4_T5_T6_T7_T8_P12ihipStream_tbENKUlT_T0_E_clISt17integral_constantIbLb1EESY_IbLb0EEEEDaSU_SV_EUlSU_E_NS1_11comp_targetILNS1_3genE10ELNS1_11target_archE1200ELNS1_3gpuE4ELNS1_3repE0EEENS1_30default_config_static_selectorELNS0_4arch9wavefront6targetE1EEEvT1_,@function
_ZN7rocprim17ROCPRIM_400000_NS6detail17trampoline_kernelINS0_14default_configENS1_33run_length_encode_config_selectorIijNS0_4plusIjEEEEZZNS1_33reduce_by_key_impl_wrapped_configILNS1_25lookback_scan_determinismE0ES3_S7_PKiNS0_17constant_iteratorIjlEEPiPlSF_S6_NS0_8equal_toIiEEEE10hipError_tPvRmT2_T3_mT4_T5_T6_T7_T8_P12ihipStream_tbENKUlT_T0_E_clISt17integral_constantIbLb1EESY_IbLb0EEEEDaSU_SV_EUlSU_E_NS1_11comp_targetILNS1_3genE10ELNS1_11target_archE1200ELNS1_3gpuE4ELNS1_3repE0EEENS1_30default_config_static_selectorELNS0_4arch9wavefront6targetE1EEEvT1_: ; @_ZN7rocprim17ROCPRIM_400000_NS6detail17trampoline_kernelINS0_14default_configENS1_33run_length_encode_config_selectorIijNS0_4plusIjEEEEZZNS1_33reduce_by_key_impl_wrapped_configILNS1_25lookback_scan_determinismE0ES3_S7_PKiNS0_17constant_iteratorIjlEEPiPlSF_S6_NS0_8equal_toIiEEEE10hipError_tPvRmT2_T3_mT4_T5_T6_T7_T8_P12ihipStream_tbENKUlT_T0_E_clISt17integral_constantIbLb1EESY_IbLb0EEEEDaSU_SV_EUlSU_E_NS1_11comp_targetILNS1_3genE10ELNS1_11target_archE1200ELNS1_3gpuE4ELNS1_3repE0EEENS1_30default_config_static_selectorELNS0_4arch9wavefront6targetE1EEEvT1_
; %bb.0:
	.section	.rodata,"a",@progbits
	.p2align	6, 0x0
	.amdhsa_kernel _ZN7rocprim17ROCPRIM_400000_NS6detail17trampoline_kernelINS0_14default_configENS1_33run_length_encode_config_selectorIijNS0_4plusIjEEEEZZNS1_33reduce_by_key_impl_wrapped_configILNS1_25lookback_scan_determinismE0ES3_S7_PKiNS0_17constant_iteratorIjlEEPiPlSF_S6_NS0_8equal_toIiEEEE10hipError_tPvRmT2_T3_mT4_T5_T6_T7_T8_P12ihipStream_tbENKUlT_T0_E_clISt17integral_constantIbLb1EESY_IbLb0EEEEDaSU_SV_EUlSU_E_NS1_11comp_targetILNS1_3genE10ELNS1_11target_archE1200ELNS1_3gpuE4ELNS1_3repE0EEENS1_30default_config_static_selectorELNS0_4arch9wavefront6targetE1EEEvT1_
		.amdhsa_group_segment_fixed_size 0
		.amdhsa_private_segment_fixed_size 0
		.amdhsa_kernarg_size 128
		.amdhsa_user_sgpr_count 2
		.amdhsa_user_sgpr_dispatch_ptr 0
		.amdhsa_user_sgpr_queue_ptr 0
		.amdhsa_user_sgpr_kernarg_segment_ptr 1
		.amdhsa_user_sgpr_dispatch_id 0
		.amdhsa_user_sgpr_kernarg_preload_length 0
		.amdhsa_user_sgpr_kernarg_preload_offset 0
		.amdhsa_user_sgpr_private_segment_size 0
		.amdhsa_uses_dynamic_stack 0
		.amdhsa_enable_private_segment 0
		.amdhsa_system_sgpr_workgroup_id_x 1
		.amdhsa_system_sgpr_workgroup_id_y 0
		.amdhsa_system_sgpr_workgroup_id_z 0
		.amdhsa_system_sgpr_workgroup_info 0
		.amdhsa_system_vgpr_workitem_id 0
		.amdhsa_next_free_vgpr 1
		.amdhsa_next_free_sgpr 0
		.amdhsa_accum_offset 4
		.amdhsa_reserve_vcc 0
		.amdhsa_float_round_mode_32 0
		.amdhsa_float_round_mode_16_64 0
		.amdhsa_float_denorm_mode_32 3
		.amdhsa_float_denorm_mode_16_64 3
		.amdhsa_dx10_clamp 1
		.amdhsa_ieee_mode 1
		.amdhsa_fp16_overflow 0
		.amdhsa_tg_split 0
		.amdhsa_exception_fp_ieee_invalid_op 0
		.amdhsa_exception_fp_denorm_src 0
		.amdhsa_exception_fp_ieee_div_zero 0
		.amdhsa_exception_fp_ieee_overflow 0
		.amdhsa_exception_fp_ieee_underflow 0
		.amdhsa_exception_fp_ieee_inexact 0
		.amdhsa_exception_int_div_zero 0
	.end_amdhsa_kernel
	.section	.text._ZN7rocprim17ROCPRIM_400000_NS6detail17trampoline_kernelINS0_14default_configENS1_33run_length_encode_config_selectorIijNS0_4plusIjEEEEZZNS1_33reduce_by_key_impl_wrapped_configILNS1_25lookback_scan_determinismE0ES3_S7_PKiNS0_17constant_iteratorIjlEEPiPlSF_S6_NS0_8equal_toIiEEEE10hipError_tPvRmT2_T3_mT4_T5_T6_T7_T8_P12ihipStream_tbENKUlT_T0_E_clISt17integral_constantIbLb1EESY_IbLb0EEEEDaSU_SV_EUlSU_E_NS1_11comp_targetILNS1_3genE10ELNS1_11target_archE1200ELNS1_3gpuE4ELNS1_3repE0EEENS1_30default_config_static_selectorELNS0_4arch9wavefront6targetE1EEEvT1_,"axG",@progbits,_ZN7rocprim17ROCPRIM_400000_NS6detail17trampoline_kernelINS0_14default_configENS1_33run_length_encode_config_selectorIijNS0_4plusIjEEEEZZNS1_33reduce_by_key_impl_wrapped_configILNS1_25lookback_scan_determinismE0ES3_S7_PKiNS0_17constant_iteratorIjlEEPiPlSF_S6_NS0_8equal_toIiEEEE10hipError_tPvRmT2_T3_mT4_T5_T6_T7_T8_P12ihipStream_tbENKUlT_T0_E_clISt17integral_constantIbLb1EESY_IbLb0EEEEDaSU_SV_EUlSU_E_NS1_11comp_targetILNS1_3genE10ELNS1_11target_archE1200ELNS1_3gpuE4ELNS1_3repE0EEENS1_30default_config_static_selectorELNS0_4arch9wavefront6targetE1EEEvT1_,comdat
.Lfunc_end466:
	.size	_ZN7rocprim17ROCPRIM_400000_NS6detail17trampoline_kernelINS0_14default_configENS1_33run_length_encode_config_selectorIijNS0_4plusIjEEEEZZNS1_33reduce_by_key_impl_wrapped_configILNS1_25lookback_scan_determinismE0ES3_S7_PKiNS0_17constant_iteratorIjlEEPiPlSF_S6_NS0_8equal_toIiEEEE10hipError_tPvRmT2_T3_mT4_T5_T6_T7_T8_P12ihipStream_tbENKUlT_T0_E_clISt17integral_constantIbLb1EESY_IbLb0EEEEDaSU_SV_EUlSU_E_NS1_11comp_targetILNS1_3genE10ELNS1_11target_archE1200ELNS1_3gpuE4ELNS1_3repE0EEENS1_30default_config_static_selectorELNS0_4arch9wavefront6targetE1EEEvT1_, .Lfunc_end466-_ZN7rocprim17ROCPRIM_400000_NS6detail17trampoline_kernelINS0_14default_configENS1_33run_length_encode_config_selectorIijNS0_4plusIjEEEEZZNS1_33reduce_by_key_impl_wrapped_configILNS1_25lookback_scan_determinismE0ES3_S7_PKiNS0_17constant_iteratorIjlEEPiPlSF_S6_NS0_8equal_toIiEEEE10hipError_tPvRmT2_T3_mT4_T5_T6_T7_T8_P12ihipStream_tbENKUlT_T0_E_clISt17integral_constantIbLb1EESY_IbLb0EEEEDaSU_SV_EUlSU_E_NS1_11comp_targetILNS1_3genE10ELNS1_11target_archE1200ELNS1_3gpuE4ELNS1_3repE0EEENS1_30default_config_static_selectorELNS0_4arch9wavefront6targetE1EEEvT1_
                                        ; -- End function
	.section	.AMDGPU.csdata,"",@progbits
; Kernel info:
; codeLenInByte = 0
; NumSgprs: 6
; NumVgprs: 0
; NumAgprs: 0
; TotalNumVgprs: 0
; ScratchSize: 0
; MemoryBound: 0
; FloatMode: 240
; IeeeMode: 1
; LDSByteSize: 0 bytes/workgroup (compile time only)
; SGPRBlocks: 0
; VGPRBlocks: 0
; NumSGPRsForWavesPerEU: 6
; NumVGPRsForWavesPerEU: 1
; AccumOffset: 4
; Occupancy: 8
; WaveLimiterHint : 0
; COMPUTE_PGM_RSRC2:SCRATCH_EN: 0
; COMPUTE_PGM_RSRC2:USER_SGPR: 2
; COMPUTE_PGM_RSRC2:TRAP_HANDLER: 0
; COMPUTE_PGM_RSRC2:TGID_X_EN: 1
; COMPUTE_PGM_RSRC2:TGID_Y_EN: 0
; COMPUTE_PGM_RSRC2:TGID_Z_EN: 0
; COMPUTE_PGM_RSRC2:TIDIG_COMP_CNT: 0
; COMPUTE_PGM_RSRC3_GFX90A:ACCUM_OFFSET: 0
; COMPUTE_PGM_RSRC3_GFX90A:TG_SPLIT: 0
	.section	.text._ZN7rocprim17ROCPRIM_400000_NS6detail17trampoline_kernelINS0_14default_configENS1_33run_length_encode_config_selectorIijNS0_4plusIjEEEEZZNS1_33reduce_by_key_impl_wrapped_configILNS1_25lookback_scan_determinismE0ES3_S7_PKiNS0_17constant_iteratorIjlEEPiPlSF_S6_NS0_8equal_toIiEEEE10hipError_tPvRmT2_T3_mT4_T5_T6_T7_T8_P12ihipStream_tbENKUlT_T0_E_clISt17integral_constantIbLb1EESY_IbLb0EEEEDaSU_SV_EUlSU_E_NS1_11comp_targetILNS1_3genE9ELNS1_11target_archE1100ELNS1_3gpuE3ELNS1_3repE0EEENS1_30default_config_static_selectorELNS0_4arch9wavefront6targetE1EEEvT1_,"axG",@progbits,_ZN7rocprim17ROCPRIM_400000_NS6detail17trampoline_kernelINS0_14default_configENS1_33run_length_encode_config_selectorIijNS0_4plusIjEEEEZZNS1_33reduce_by_key_impl_wrapped_configILNS1_25lookback_scan_determinismE0ES3_S7_PKiNS0_17constant_iteratorIjlEEPiPlSF_S6_NS0_8equal_toIiEEEE10hipError_tPvRmT2_T3_mT4_T5_T6_T7_T8_P12ihipStream_tbENKUlT_T0_E_clISt17integral_constantIbLb1EESY_IbLb0EEEEDaSU_SV_EUlSU_E_NS1_11comp_targetILNS1_3genE9ELNS1_11target_archE1100ELNS1_3gpuE3ELNS1_3repE0EEENS1_30default_config_static_selectorELNS0_4arch9wavefront6targetE1EEEvT1_,comdat
	.protected	_ZN7rocprim17ROCPRIM_400000_NS6detail17trampoline_kernelINS0_14default_configENS1_33run_length_encode_config_selectorIijNS0_4plusIjEEEEZZNS1_33reduce_by_key_impl_wrapped_configILNS1_25lookback_scan_determinismE0ES3_S7_PKiNS0_17constant_iteratorIjlEEPiPlSF_S6_NS0_8equal_toIiEEEE10hipError_tPvRmT2_T3_mT4_T5_T6_T7_T8_P12ihipStream_tbENKUlT_T0_E_clISt17integral_constantIbLb1EESY_IbLb0EEEEDaSU_SV_EUlSU_E_NS1_11comp_targetILNS1_3genE9ELNS1_11target_archE1100ELNS1_3gpuE3ELNS1_3repE0EEENS1_30default_config_static_selectorELNS0_4arch9wavefront6targetE1EEEvT1_ ; -- Begin function _ZN7rocprim17ROCPRIM_400000_NS6detail17trampoline_kernelINS0_14default_configENS1_33run_length_encode_config_selectorIijNS0_4plusIjEEEEZZNS1_33reduce_by_key_impl_wrapped_configILNS1_25lookback_scan_determinismE0ES3_S7_PKiNS0_17constant_iteratorIjlEEPiPlSF_S6_NS0_8equal_toIiEEEE10hipError_tPvRmT2_T3_mT4_T5_T6_T7_T8_P12ihipStream_tbENKUlT_T0_E_clISt17integral_constantIbLb1EESY_IbLb0EEEEDaSU_SV_EUlSU_E_NS1_11comp_targetILNS1_3genE9ELNS1_11target_archE1100ELNS1_3gpuE3ELNS1_3repE0EEENS1_30default_config_static_selectorELNS0_4arch9wavefront6targetE1EEEvT1_
	.globl	_ZN7rocprim17ROCPRIM_400000_NS6detail17trampoline_kernelINS0_14default_configENS1_33run_length_encode_config_selectorIijNS0_4plusIjEEEEZZNS1_33reduce_by_key_impl_wrapped_configILNS1_25lookback_scan_determinismE0ES3_S7_PKiNS0_17constant_iteratorIjlEEPiPlSF_S6_NS0_8equal_toIiEEEE10hipError_tPvRmT2_T3_mT4_T5_T6_T7_T8_P12ihipStream_tbENKUlT_T0_E_clISt17integral_constantIbLb1EESY_IbLb0EEEEDaSU_SV_EUlSU_E_NS1_11comp_targetILNS1_3genE9ELNS1_11target_archE1100ELNS1_3gpuE3ELNS1_3repE0EEENS1_30default_config_static_selectorELNS0_4arch9wavefront6targetE1EEEvT1_
	.p2align	8
	.type	_ZN7rocprim17ROCPRIM_400000_NS6detail17trampoline_kernelINS0_14default_configENS1_33run_length_encode_config_selectorIijNS0_4plusIjEEEEZZNS1_33reduce_by_key_impl_wrapped_configILNS1_25lookback_scan_determinismE0ES3_S7_PKiNS0_17constant_iteratorIjlEEPiPlSF_S6_NS0_8equal_toIiEEEE10hipError_tPvRmT2_T3_mT4_T5_T6_T7_T8_P12ihipStream_tbENKUlT_T0_E_clISt17integral_constantIbLb1EESY_IbLb0EEEEDaSU_SV_EUlSU_E_NS1_11comp_targetILNS1_3genE9ELNS1_11target_archE1100ELNS1_3gpuE3ELNS1_3repE0EEENS1_30default_config_static_selectorELNS0_4arch9wavefront6targetE1EEEvT1_,@function
_ZN7rocprim17ROCPRIM_400000_NS6detail17trampoline_kernelINS0_14default_configENS1_33run_length_encode_config_selectorIijNS0_4plusIjEEEEZZNS1_33reduce_by_key_impl_wrapped_configILNS1_25lookback_scan_determinismE0ES3_S7_PKiNS0_17constant_iteratorIjlEEPiPlSF_S6_NS0_8equal_toIiEEEE10hipError_tPvRmT2_T3_mT4_T5_T6_T7_T8_P12ihipStream_tbENKUlT_T0_E_clISt17integral_constantIbLb1EESY_IbLb0EEEEDaSU_SV_EUlSU_E_NS1_11comp_targetILNS1_3genE9ELNS1_11target_archE1100ELNS1_3gpuE3ELNS1_3repE0EEENS1_30default_config_static_selectorELNS0_4arch9wavefront6targetE1EEEvT1_: ; @_ZN7rocprim17ROCPRIM_400000_NS6detail17trampoline_kernelINS0_14default_configENS1_33run_length_encode_config_selectorIijNS0_4plusIjEEEEZZNS1_33reduce_by_key_impl_wrapped_configILNS1_25lookback_scan_determinismE0ES3_S7_PKiNS0_17constant_iteratorIjlEEPiPlSF_S6_NS0_8equal_toIiEEEE10hipError_tPvRmT2_T3_mT4_T5_T6_T7_T8_P12ihipStream_tbENKUlT_T0_E_clISt17integral_constantIbLb1EESY_IbLb0EEEEDaSU_SV_EUlSU_E_NS1_11comp_targetILNS1_3genE9ELNS1_11target_archE1100ELNS1_3gpuE3ELNS1_3repE0EEENS1_30default_config_static_selectorELNS0_4arch9wavefront6targetE1EEEvT1_
; %bb.0:
	.section	.rodata,"a",@progbits
	.p2align	6, 0x0
	.amdhsa_kernel _ZN7rocprim17ROCPRIM_400000_NS6detail17trampoline_kernelINS0_14default_configENS1_33run_length_encode_config_selectorIijNS0_4plusIjEEEEZZNS1_33reduce_by_key_impl_wrapped_configILNS1_25lookback_scan_determinismE0ES3_S7_PKiNS0_17constant_iteratorIjlEEPiPlSF_S6_NS0_8equal_toIiEEEE10hipError_tPvRmT2_T3_mT4_T5_T6_T7_T8_P12ihipStream_tbENKUlT_T0_E_clISt17integral_constantIbLb1EESY_IbLb0EEEEDaSU_SV_EUlSU_E_NS1_11comp_targetILNS1_3genE9ELNS1_11target_archE1100ELNS1_3gpuE3ELNS1_3repE0EEENS1_30default_config_static_selectorELNS0_4arch9wavefront6targetE1EEEvT1_
		.amdhsa_group_segment_fixed_size 0
		.amdhsa_private_segment_fixed_size 0
		.amdhsa_kernarg_size 128
		.amdhsa_user_sgpr_count 2
		.amdhsa_user_sgpr_dispatch_ptr 0
		.amdhsa_user_sgpr_queue_ptr 0
		.amdhsa_user_sgpr_kernarg_segment_ptr 1
		.amdhsa_user_sgpr_dispatch_id 0
		.amdhsa_user_sgpr_kernarg_preload_length 0
		.amdhsa_user_sgpr_kernarg_preload_offset 0
		.amdhsa_user_sgpr_private_segment_size 0
		.amdhsa_uses_dynamic_stack 0
		.amdhsa_enable_private_segment 0
		.amdhsa_system_sgpr_workgroup_id_x 1
		.amdhsa_system_sgpr_workgroup_id_y 0
		.amdhsa_system_sgpr_workgroup_id_z 0
		.amdhsa_system_sgpr_workgroup_info 0
		.amdhsa_system_vgpr_workitem_id 0
		.amdhsa_next_free_vgpr 1
		.amdhsa_next_free_sgpr 0
		.amdhsa_accum_offset 4
		.amdhsa_reserve_vcc 0
		.amdhsa_float_round_mode_32 0
		.amdhsa_float_round_mode_16_64 0
		.amdhsa_float_denorm_mode_32 3
		.amdhsa_float_denorm_mode_16_64 3
		.amdhsa_dx10_clamp 1
		.amdhsa_ieee_mode 1
		.amdhsa_fp16_overflow 0
		.amdhsa_tg_split 0
		.amdhsa_exception_fp_ieee_invalid_op 0
		.amdhsa_exception_fp_denorm_src 0
		.amdhsa_exception_fp_ieee_div_zero 0
		.amdhsa_exception_fp_ieee_overflow 0
		.amdhsa_exception_fp_ieee_underflow 0
		.amdhsa_exception_fp_ieee_inexact 0
		.amdhsa_exception_int_div_zero 0
	.end_amdhsa_kernel
	.section	.text._ZN7rocprim17ROCPRIM_400000_NS6detail17trampoline_kernelINS0_14default_configENS1_33run_length_encode_config_selectorIijNS0_4plusIjEEEEZZNS1_33reduce_by_key_impl_wrapped_configILNS1_25lookback_scan_determinismE0ES3_S7_PKiNS0_17constant_iteratorIjlEEPiPlSF_S6_NS0_8equal_toIiEEEE10hipError_tPvRmT2_T3_mT4_T5_T6_T7_T8_P12ihipStream_tbENKUlT_T0_E_clISt17integral_constantIbLb1EESY_IbLb0EEEEDaSU_SV_EUlSU_E_NS1_11comp_targetILNS1_3genE9ELNS1_11target_archE1100ELNS1_3gpuE3ELNS1_3repE0EEENS1_30default_config_static_selectorELNS0_4arch9wavefront6targetE1EEEvT1_,"axG",@progbits,_ZN7rocprim17ROCPRIM_400000_NS6detail17trampoline_kernelINS0_14default_configENS1_33run_length_encode_config_selectorIijNS0_4plusIjEEEEZZNS1_33reduce_by_key_impl_wrapped_configILNS1_25lookback_scan_determinismE0ES3_S7_PKiNS0_17constant_iteratorIjlEEPiPlSF_S6_NS0_8equal_toIiEEEE10hipError_tPvRmT2_T3_mT4_T5_T6_T7_T8_P12ihipStream_tbENKUlT_T0_E_clISt17integral_constantIbLb1EESY_IbLb0EEEEDaSU_SV_EUlSU_E_NS1_11comp_targetILNS1_3genE9ELNS1_11target_archE1100ELNS1_3gpuE3ELNS1_3repE0EEENS1_30default_config_static_selectorELNS0_4arch9wavefront6targetE1EEEvT1_,comdat
.Lfunc_end467:
	.size	_ZN7rocprim17ROCPRIM_400000_NS6detail17trampoline_kernelINS0_14default_configENS1_33run_length_encode_config_selectorIijNS0_4plusIjEEEEZZNS1_33reduce_by_key_impl_wrapped_configILNS1_25lookback_scan_determinismE0ES3_S7_PKiNS0_17constant_iteratorIjlEEPiPlSF_S6_NS0_8equal_toIiEEEE10hipError_tPvRmT2_T3_mT4_T5_T6_T7_T8_P12ihipStream_tbENKUlT_T0_E_clISt17integral_constantIbLb1EESY_IbLb0EEEEDaSU_SV_EUlSU_E_NS1_11comp_targetILNS1_3genE9ELNS1_11target_archE1100ELNS1_3gpuE3ELNS1_3repE0EEENS1_30default_config_static_selectorELNS0_4arch9wavefront6targetE1EEEvT1_, .Lfunc_end467-_ZN7rocprim17ROCPRIM_400000_NS6detail17trampoline_kernelINS0_14default_configENS1_33run_length_encode_config_selectorIijNS0_4plusIjEEEEZZNS1_33reduce_by_key_impl_wrapped_configILNS1_25lookback_scan_determinismE0ES3_S7_PKiNS0_17constant_iteratorIjlEEPiPlSF_S6_NS0_8equal_toIiEEEE10hipError_tPvRmT2_T3_mT4_T5_T6_T7_T8_P12ihipStream_tbENKUlT_T0_E_clISt17integral_constantIbLb1EESY_IbLb0EEEEDaSU_SV_EUlSU_E_NS1_11comp_targetILNS1_3genE9ELNS1_11target_archE1100ELNS1_3gpuE3ELNS1_3repE0EEENS1_30default_config_static_selectorELNS0_4arch9wavefront6targetE1EEEvT1_
                                        ; -- End function
	.section	.AMDGPU.csdata,"",@progbits
; Kernel info:
; codeLenInByte = 0
; NumSgprs: 6
; NumVgprs: 0
; NumAgprs: 0
; TotalNumVgprs: 0
; ScratchSize: 0
; MemoryBound: 0
; FloatMode: 240
; IeeeMode: 1
; LDSByteSize: 0 bytes/workgroup (compile time only)
; SGPRBlocks: 0
; VGPRBlocks: 0
; NumSGPRsForWavesPerEU: 6
; NumVGPRsForWavesPerEU: 1
; AccumOffset: 4
; Occupancy: 8
; WaveLimiterHint : 0
; COMPUTE_PGM_RSRC2:SCRATCH_EN: 0
; COMPUTE_PGM_RSRC2:USER_SGPR: 2
; COMPUTE_PGM_RSRC2:TRAP_HANDLER: 0
; COMPUTE_PGM_RSRC2:TGID_X_EN: 1
; COMPUTE_PGM_RSRC2:TGID_Y_EN: 0
; COMPUTE_PGM_RSRC2:TGID_Z_EN: 0
; COMPUTE_PGM_RSRC2:TIDIG_COMP_CNT: 0
; COMPUTE_PGM_RSRC3_GFX90A:ACCUM_OFFSET: 0
; COMPUTE_PGM_RSRC3_GFX90A:TG_SPLIT: 0
	.section	.text._ZN7rocprim17ROCPRIM_400000_NS6detail17trampoline_kernelINS0_14default_configENS1_33run_length_encode_config_selectorIijNS0_4plusIjEEEEZZNS1_33reduce_by_key_impl_wrapped_configILNS1_25lookback_scan_determinismE0ES3_S7_PKiNS0_17constant_iteratorIjlEEPiPlSF_S6_NS0_8equal_toIiEEEE10hipError_tPvRmT2_T3_mT4_T5_T6_T7_T8_P12ihipStream_tbENKUlT_T0_E_clISt17integral_constantIbLb1EESY_IbLb0EEEEDaSU_SV_EUlSU_E_NS1_11comp_targetILNS1_3genE8ELNS1_11target_archE1030ELNS1_3gpuE2ELNS1_3repE0EEENS1_30default_config_static_selectorELNS0_4arch9wavefront6targetE1EEEvT1_,"axG",@progbits,_ZN7rocprim17ROCPRIM_400000_NS6detail17trampoline_kernelINS0_14default_configENS1_33run_length_encode_config_selectorIijNS0_4plusIjEEEEZZNS1_33reduce_by_key_impl_wrapped_configILNS1_25lookback_scan_determinismE0ES3_S7_PKiNS0_17constant_iteratorIjlEEPiPlSF_S6_NS0_8equal_toIiEEEE10hipError_tPvRmT2_T3_mT4_T5_T6_T7_T8_P12ihipStream_tbENKUlT_T0_E_clISt17integral_constantIbLb1EESY_IbLb0EEEEDaSU_SV_EUlSU_E_NS1_11comp_targetILNS1_3genE8ELNS1_11target_archE1030ELNS1_3gpuE2ELNS1_3repE0EEENS1_30default_config_static_selectorELNS0_4arch9wavefront6targetE1EEEvT1_,comdat
	.protected	_ZN7rocprim17ROCPRIM_400000_NS6detail17trampoline_kernelINS0_14default_configENS1_33run_length_encode_config_selectorIijNS0_4plusIjEEEEZZNS1_33reduce_by_key_impl_wrapped_configILNS1_25lookback_scan_determinismE0ES3_S7_PKiNS0_17constant_iteratorIjlEEPiPlSF_S6_NS0_8equal_toIiEEEE10hipError_tPvRmT2_T3_mT4_T5_T6_T7_T8_P12ihipStream_tbENKUlT_T0_E_clISt17integral_constantIbLb1EESY_IbLb0EEEEDaSU_SV_EUlSU_E_NS1_11comp_targetILNS1_3genE8ELNS1_11target_archE1030ELNS1_3gpuE2ELNS1_3repE0EEENS1_30default_config_static_selectorELNS0_4arch9wavefront6targetE1EEEvT1_ ; -- Begin function _ZN7rocprim17ROCPRIM_400000_NS6detail17trampoline_kernelINS0_14default_configENS1_33run_length_encode_config_selectorIijNS0_4plusIjEEEEZZNS1_33reduce_by_key_impl_wrapped_configILNS1_25lookback_scan_determinismE0ES3_S7_PKiNS0_17constant_iteratorIjlEEPiPlSF_S6_NS0_8equal_toIiEEEE10hipError_tPvRmT2_T3_mT4_T5_T6_T7_T8_P12ihipStream_tbENKUlT_T0_E_clISt17integral_constantIbLb1EESY_IbLb0EEEEDaSU_SV_EUlSU_E_NS1_11comp_targetILNS1_3genE8ELNS1_11target_archE1030ELNS1_3gpuE2ELNS1_3repE0EEENS1_30default_config_static_selectorELNS0_4arch9wavefront6targetE1EEEvT1_
	.globl	_ZN7rocprim17ROCPRIM_400000_NS6detail17trampoline_kernelINS0_14default_configENS1_33run_length_encode_config_selectorIijNS0_4plusIjEEEEZZNS1_33reduce_by_key_impl_wrapped_configILNS1_25lookback_scan_determinismE0ES3_S7_PKiNS0_17constant_iteratorIjlEEPiPlSF_S6_NS0_8equal_toIiEEEE10hipError_tPvRmT2_T3_mT4_T5_T6_T7_T8_P12ihipStream_tbENKUlT_T0_E_clISt17integral_constantIbLb1EESY_IbLb0EEEEDaSU_SV_EUlSU_E_NS1_11comp_targetILNS1_3genE8ELNS1_11target_archE1030ELNS1_3gpuE2ELNS1_3repE0EEENS1_30default_config_static_selectorELNS0_4arch9wavefront6targetE1EEEvT1_
	.p2align	8
	.type	_ZN7rocprim17ROCPRIM_400000_NS6detail17trampoline_kernelINS0_14default_configENS1_33run_length_encode_config_selectorIijNS0_4plusIjEEEEZZNS1_33reduce_by_key_impl_wrapped_configILNS1_25lookback_scan_determinismE0ES3_S7_PKiNS0_17constant_iteratorIjlEEPiPlSF_S6_NS0_8equal_toIiEEEE10hipError_tPvRmT2_T3_mT4_T5_T6_T7_T8_P12ihipStream_tbENKUlT_T0_E_clISt17integral_constantIbLb1EESY_IbLb0EEEEDaSU_SV_EUlSU_E_NS1_11comp_targetILNS1_3genE8ELNS1_11target_archE1030ELNS1_3gpuE2ELNS1_3repE0EEENS1_30default_config_static_selectorELNS0_4arch9wavefront6targetE1EEEvT1_,@function
_ZN7rocprim17ROCPRIM_400000_NS6detail17trampoline_kernelINS0_14default_configENS1_33run_length_encode_config_selectorIijNS0_4plusIjEEEEZZNS1_33reduce_by_key_impl_wrapped_configILNS1_25lookback_scan_determinismE0ES3_S7_PKiNS0_17constant_iteratorIjlEEPiPlSF_S6_NS0_8equal_toIiEEEE10hipError_tPvRmT2_T3_mT4_T5_T6_T7_T8_P12ihipStream_tbENKUlT_T0_E_clISt17integral_constantIbLb1EESY_IbLb0EEEEDaSU_SV_EUlSU_E_NS1_11comp_targetILNS1_3genE8ELNS1_11target_archE1030ELNS1_3gpuE2ELNS1_3repE0EEENS1_30default_config_static_selectorELNS0_4arch9wavefront6targetE1EEEvT1_: ; @_ZN7rocprim17ROCPRIM_400000_NS6detail17trampoline_kernelINS0_14default_configENS1_33run_length_encode_config_selectorIijNS0_4plusIjEEEEZZNS1_33reduce_by_key_impl_wrapped_configILNS1_25lookback_scan_determinismE0ES3_S7_PKiNS0_17constant_iteratorIjlEEPiPlSF_S6_NS0_8equal_toIiEEEE10hipError_tPvRmT2_T3_mT4_T5_T6_T7_T8_P12ihipStream_tbENKUlT_T0_E_clISt17integral_constantIbLb1EESY_IbLb0EEEEDaSU_SV_EUlSU_E_NS1_11comp_targetILNS1_3genE8ELNS1_11target_archE1030ELNS1_3gpuE2ELNS1_3repE0EEENS1_30default_config_static_selectorELNS0_4arch9wavefront6targetE1EEEvT1_
; %bb.0:
	.section	.rodata,"a",@progbits
	.p2align	6, 0x0
	.amdhsa_kernel _ZN7rocprim17ROCPRIM_400000_NS6detail17trampoline_kernelINS0_14default_configENS1_33run_length_encode_config_selectorIijNS0_4plusIjEEEEZZNS1_33reduce_by_key_impl_wrapped_configILNS1_25lookback_scan_determinismE0ES3_S7_PKiNS0_17constant_iteratorIjlEEPiPlSF_S6_NS0_8equal_toIiEEEE10hipError_tPvRmT2_T3_mT4_T5_T6_T7_T8_P12ihipStream_tbENKUlT_T0_E_clISt17integral_constantIbLb1EESY_IbLb0EEEEDaSU_SV_EUlSU_E_NS1_11comp_targetILNS1_3genE8ELNS1_11target_archE1030ELNS1_3gpuE2ELNS1_3repE0EEENS1_30default_config_static_selectorELNS0_4arch9wavefront6targetE1EEEvT1_
		.amdhsa_group_segment_fixed_size 0
		.amdhsa_private_segment_fixed_size 0
		.amdhsa_kernarg_size 128
		.amdhsa_user_sgpr_count 2
		.amdhsa_user_sgpr_dispatch_ptr 0
		.amdhsa_user_sgpr_queue_ptr 0
		.amdhsa_user_sgpr_kernarg_segment_ptr 1
		.amdhsa_user_sgpr_dispatch_id 0
		.amdhsa_user_sgpr_kernarg_preload_length 0
		.amdhsa_user_sgpr_kernarg_preload_offset 0
		.amdhsa_user_sgpr_private_segment_size 0
		.amdhsa_uses_dynamic_stack 0
		.amdhsa_enable_private_segment 0
		.amdhsa_system_sgpr_workgroup_id_x 1
		.amdhsa_system_sgpr_workgroup_id_y 0
		.amdhsa_system_sgpr_workgroup_id_z 0
		.amdhsa_system_sgpr_workgroup_info 0
		.amdhsa_system_vgpr_workitem_id 0
		.amdhsa_next_free_vgpr 1
		.amdhsa_next_free_sgpr 0
		.amdhsa_accum_offset 4
		.amdhsa_reserve_vcc 0
		.amdhsa_float_round_mode_32 0
		.amdhsa_float_round_mode_16_64 0
		.amdhsa_float_denorm_mode_32 3
		.amdhsa_float_denorm_mode_16_64 3
		.amdhsa_dx10_clamp 1
		.amdhsa_ieee_mode 1
		.amdhsa_fp16_overflow 0
		.amdhsa_tg_split 0
		.amdhsa_exception_fp_ieee_invalid_op 0
		.amdhsa_exception_fp_denorm_src 0
		.amdhsa_exception_fp_ieee_div_zero 0
		.amdhsa_exception_fp_ieee_overflow 0
		.amdhsa_exception_fp_ieee_underflow 0
		.amdhsa_exception_fp_ieee_inexact 0
		.amdhsa_exception_int_div_zero 0
	.end_amdhsa_kernel
	.section	.text._ZN7rocprim17ROCPRIM_400000_NS6detail17trampoline_kernelINS0_14default_configENS1_33run_length_encode_config_selectorIijNS0_4plusIjEEEEZZNS1_33reduce_by_key_impl_wrapped_configILNS1_25lookback_scan_determinismE0ES3_S7_PKiNS0_17constant_iteratorIjlEEPiPlSF_S6_NS0_8equal_toIiEEEE10hipError_tPvRmT2_T3_mT4_T5_T6_T7_T8_P12ihipStream_tbENKUlT_T0_E_clISt17integral_constantIbLb1EESY_IbLb0EEEEDaSU_SV_EUlSU_E_NS1_11comp_targetILNS1_3genE8ELNS1_11target_archE1030ELNS1_3gpuE2ELNS1_3repE0EEENS1_30default_config_static_selectorELNS0_4arch9wavefront6targetE1EEEvT1_,"axG",@progbits,_ZN7rocprim17ROCPRIM_400000_NS6detail17trampoline_kernelINS0_14default_configENS1_33run_length_encode_config_selectorIijNS0_4plusIjEEEEZZNS1_33reduce_by_key_impl_wrapped_configILNS1_25lookback_scan_determinismE0ES3_S7_PKiNS0_17constant_iteratorIjlEEPiPlSF_S6_NS0_8equal_toIiEEEE10hipError_tPvRmT2_T3_mT4_T5_T6_T7_T8_P12ihipStream_tbENKUlT_T0_E_clISt17integral_constantIbLb1EESY_IbLb0EEEEDaSU_SV_EUlSU_E_NS1_11comp_targetILNS1_3genE8ELNS1_11target_archE1030ELNS1_3gpuE2ELNS1_3repE0EEENS1_30default_config_static_selectorELNS0_4arch9wavefront6targetE1EEEvT1_,comdat
.Lfunc_end468:
	.size	_ZN7rocprim17ROCPRIM_400000_NS6detail17trampoline_kernelINS0_14default_configENS1_33run_length_encode_config_selectorIijNS0_4plusIjEEEEZZNS1_33reduce_by_key_impl_wrapped_configILNS1_25lookback_scan_determinismE0ES3_S7_PKiNS0_17constant_iteratorIjlEEPiPlSF_S6_NS0_8equal_toIiEEEE10hipError_tPvRmT2_T3_mT4_T5_T6_T7_T8_P12ihipStream_tbENKUlT_T0_E_clISt17integral_constantIbLb1EESY_IbLb0EEEEDaSU_SV_EUlSU_E_NS1_11comp_targetILNS1_3genE8ELNS1_11target_archE1030ELNS1_3gpuE2ELNS1_3repE0EEENS1_30default_config_static_selectorELNS0_4arch9wavefront6targetE1EEEvT1_, .Lfunc_end468-_ZN7rocprim17ROCPRIM_400000_NS6detail17trampoline_kernelINS0_14default_configENS1_33run_length_encode_config_selectorIijNS0_4plusIjEEEEZZNS1_33reduce_by_key_impl_wrapped_configILNS1_25lookback_scan_determinismE0ES3_S7_PKiNS0_17constant_iteratorIjlEEPiPlSF_S6_NS0_8equal_toIiEEEE10hipError_tPvRmT2_T3_mT4_T5_T6_T7_T8_P12ihipStream_tbENKUlT_T0_E_clISt17integral_constantIbLb1EESY_IbLb0EEEEDaSU_SV_EUlSU_E_NS1_11comp_targetILNS1_3genE8ELNS1_11target_archE1030ELNS1_3gpuE2ELNS1_3repE0EEENS1_30default_config_static_selectorELNS0_4arch9wavefront6targetE1EEEvT1_
                                        ; -- End function
	.section	.AMDGPU.csdata,"",@progbits
; Kernel info:
; codeLenInByte = 0
; NumSgprs: 6
; NumVgprs: 0
; NumAgprs: 0
; TotalNumVgprs: 0
; ScratchSize: 0
; MemoryBound: 0
; FloatMode: 240
; IeeeMode: 1
; LDSByteSize: 0 bytes/workgroup (compile time only)
; SGPRBlocks: 0
; VGPRBlocks: 0
; NumSGPRsForWavesPerEU: 6
; NumVGPRsForWavesPerEU: 1
; AccumOffset: 4
; Occupancy: 8
; WaveLimiterHint : 0
; COMPUTE_PGM_RSRC2:SCRATCH_EN: 0
; COMPUTE_PGM_RSRC2:USER_SGPR: 2
; COMPUTE_PGM_RSRC2:TRAP_HANDLER: 0
; COMPUTE_PGM_RSRC2:TGID_X_EN: 1
; COMPUTE_PGM_RSRC2:TGID_Y_EN: 0
; COMPUTE_PGM_RSRC2:TGID_Z_EN: 0
; COMPUTE_PGM_RSRC2:TIDIG_COMP_CNT: 0
; COMPUTE_PGM_RSRC3_GFX90A:ACCUM_OFFSET: 0
; COMPUTE_PGM_RSRC3_GFX90A:TG_SPLIT: 0
	.section	.text._ZN7rocprim17ROCPRIM_400000_NS6detail17trampoline_kernelINS0_14default_configENS1_33run_length_encode_config_selectorIijNS0_4plusIjEEEEZZNS1_33reduce_by_key_impl_wrapped_configILNS1_25lookback_scan_determinismE0ES3_S7_PKiNS0_17constant_iteratorIjlEEPiPlSF_S6_NS0_8equal_toIiEEEE10hipError_tPvRmT2_T3_mT4_T5_T6_T7_T8_P12ihipStream_tbENKUlT_T0_E_clISt17integral_constantIbLb0EESY_IbLb1EEEEDaSU_SV_EUlSU_E_NS1_11comp_targetILNS1_3genE0ELNS1_11target_archE4294967295ELNS1_3gpuE0ELNS1_3repE0EEENS1_30default_config_static_selectorELNS0_4arch9wavefront6targetE1EEEvT1_,"axG",@progbits,_ZN7rocprim17ROCPRIM_400000_NS6detail17trampoline_kernelINS0_14default_configENS1_33run_length_encode_config_selectorIijNS0_4plusIjEEEEZZNS1_33reduce_by_key_impl_wrapped_configILNS1_25lookback_scan_determinismE0ES3_S7_PKiNS0_17constant_iteratorIjlEEPiPlSF_S6_NS0_8equal_toIiEEEE10hipError_tPvRmT2_T3_mT4_T5_T6_T7_T8_P12ihipStream_tbENKUlT_T0_E_clISt17integral_constantIbLb0EESY_IbLb1EEEEDaSU_SV_EUlSU_E_NS1_11comp_targetILNS1_3genE0ELNS1_11target_archE4294967295ELNS1_3gpuE0ELNS1_3repE0EEENS1_30default_config_static_selectorELNS0_4arch9wavefront6targetE1EEEvT1_,comdat
	.protected	_ZN7rocprim17ROCPRIM_400000_NS6detail17trampoline_kernelINS0_14default_configENS1_33run_length_encode_config_selectorIijNS0_4plusIjEEEEZZNS1_33reduce_by_key_impl_wrapped_configILNS1_25lookback_scan_determinismE0ES3_S7_PKiNS0_17constant_iteratorIjlEEPiPlSF_S6_NS0_8equal_toIiEEEE10hipError_tPvRmT2_T3_mT4_T5_T6_T7_T8_P12ihipStream_tbENKUlT_T0_E_clISt17integral_constantIbLb0EESY_IbLb1EEEEDaSU_SV_EUlSU_E_NS1_11comp_targetILNS1_3genE0ELNS1_11target_archE4294967295ELNS1_3gpuE0ELNS1_3repE0EEENS1_30default_config_static_selectorELNS0_4arch9wavefront6targetE1EEEvT1_ ; -- Begin function _ZN7rocprim17ROCPRIM_400000_NS6detail17trampoline_kernelINS0_14default_configENS1_33run_length_encode_config_selectorIijNS0_4plusIjEEEEZZNS1_33reduce_by_key_impl_wrapped_configILNS1_25lookback_scan_determinismE0ES3_S7_PKiNS0_17constant_iteratorIjlEEPiPlSF_S6_NS0_8equal_toIiEEEE10hipError_tPvRmT2_T3_mT4_T5_T6_T7_T8_P12ihipStream_tbENKUlT_T0_E_clISt17integral_constantIbLb0EESY_IbLb1EEEEDaSU_SV_EUlSU_E_NS1_11comp_targetILNS1_3genE0ELNS1_11target_archE4294967295ELNS1_3gpuE0ELNS1_3repE0EEENS1_30default_config_static_selectorELNS0_4arch9wavefront6targetE1EEEvT1_
	.globl	_ZN7rocprim17ROCPRIM_400000_NS6detail17trampoline_kernelINS0_14default_configENS1_33run_length_encode_config_selectorIijNS0_4plusIjEEEEZZNS1_33reduce_by_key_impl_wrapped_configILNS1_25lookback_scan_determinismE0ES3_S7_PKiNS0_17constant_iteratorIjlEEPiPlSF_S6_NS0_8equal_toIiEEEE10hipError_tPvRmT2_T3_mT4_T5_T6_T7_T8_P12ihipStream_tbENKUlT_T0_E_clISt17integral_constantIbLb0EESY_IbLb1EEEEDaSU_SV_EUlSU_E_NS1_11comp_targetILNS1_3genE0ELNS1_11target_archE4294967295ELNS1_3gpuE0ELNS1_3repE0EEENS1_30default_config_static_selectorELNS0_4arch9wavefront6targetE1EEEvT1_
	.p2align	8
	.type	_ZN7rocprim17ROCPRIM_400000_NS6detail17trampoline_kernelINS0_14default_configENS1_33run_length_encode_config_selectorIijNS0_4plusIjEEEEZZNS1_33reduce_by_key_impl_wrapped_configILNS1_25lookback_scan_determinismE0ES3_S7_PKiNS0_17constant_iteratorIjlEEPiPlSF_S6_NS0_8equal_toIiEEEE10hipError_tPvRmT2_T3_mT4_T5_T6_T7_T8_P12ihipStream_tbENKUlT_T0_E_clISt17integral_constantIbLb0EESY_IbLb1EEEEDaSU_SV_EUlSU_E_NS1_11comp_targetILNS1_3genE0ELNS1_11target_archE4294967295ELNS1_3gpuE0ELNS1_3repE0EEENS1_30default_config_static_selectorELNS0_4arch9wavefront6targetE1EEEvT1_,@function
_ZN7rocprim17ROCPRIM_400000_NS6detail17trampoline_kernelINS0_14default_configENS1_33run_length_encode_config_selectorIijNS0_4plusIjEEEEZZNS1_33reduce_by_key_impl_wrapped_configILNS1_25lookback_scan_determinismE0ES3_S7_PKiNS0_17constant_iteratorIjlEEPiPlSF_S6_NS0_8equal_toIiEEEE10hipError_tPvRmT2_T3_mT4_T5_T6_T7_T8_P12ihipStream_tbENKUlT_T0_E_clISt17integral_constantIbLb0EESY_IbLb1EEEEDaSU_SV_EUlSU_E_NS1_11comp_targetILNS1_3genE0ELNS1_11target_archE4294967295ELNS1_3gpuE0ELNS1_3repE0EEENS1_30default_config_static_selectorELNS0_4arch9wavefront6targetE1EEEvT1_: ; @_ZN7rocprim17ROCPRIM_400000_NS6detail17trampoline_kernelINS0_14default_configENS1_33run_length_encode_config_selectorIijNS0_4plusIjEEEEZZNS1_33reduce_by_key_impl_wrapped_configILNS1_25lookback_scan_determinismE0ES3_S7_PKiNS0_17constant_iteratorIjlEEPiPlSF_S6_NS0_8equal_toIiEEEE10hipError_tPvRmT2_T3_mT4_T5_T6_T7_T8_P12ihipStream_tbENKUlT_T0_E_clISt17integral_constantIbLb0EESY_IbLb1EEEEDaSU_SV_EUlSU_E_NS1_11comp_targetILNS1_3genE0ELNS1_11target_archE4294967295ELNS1_3gpuE0ELNS1_3repE0EEENS1_30default_config_static_selectorELNS0_4arch9wavefront6targetE1EEEvT1_
; %bb.0:
	.section	.rodata,"a",@progbits
	.p2align	6, 0x0
	.amdhsa_kernel _ZN7rocprim17ROCPRIM_400000_NS6detail17trampoline_kernelINS0_14default_configENS1_33run_length_encode_config_selectorIijNS0_4plusIjEEEEZZNS1_33reduce_by_key_impl_wrapped_configILNS1_25lookback_scan_determinismE0ES3_S7_PKiNS0_17constant_iteratorIjlEEPiPlSF_S6_NS0_8equal_toIiEEEE10hipError_tPvRmT2_T3_mT4_T5_T6_T7_T8_P12ihipStream_tbENKUlT_T0_E_clISt17integral_constantIbLb0EESY_IbLb1EEEEDaSU_SV_EUlSU_E_NS1_11comp_targetILNS1_3genE0ELNS1_11target_archE4294967295ELNS1_3gpuE0ELNS1_3repE0EEENS1_30default_config_static_selectorELNS0_4arch9wavefront6targetE1EEEvT1_
		.amdhsa_group_segment_fixed_size 0
		.amdhsa_private_segment_fixed_size 0
		.amdhsa_kernarg_size 128
		.amdhsa_user_sgpr_count 2
		.amdhsa_user_sgpr_dispatch_ptr 0
		.amdhsa_user_sgpr_queue_ptr 0
		.amdhsa_user_sgpr_kernarg_segment_ptr 1
		.amdhsa_user_sgpr_dispatch_id 0
		.amdhsa_user_sgpr_kernarg_preload_length 0
		.amdhsa_user_sgpr_kernarg_preload_offset 0
		.amdhsa_user_sgpr_private_segment_size 0
		.amdhsa_uses_dynamic_stack 0
		.amdhsa_enable_private_segment 0
		.amdhsa_system_sgpr_workgroup_id_x 1
		.amdhsa_system_sgpr_workgroup_id_y 0
		.amdhsa_system_sgpr_workgroup_id_z 0
		.amdhsa_system_sgpr_workgroup_info 0
		.amdhsa_system_vgpr_workitem_id 0
		.amdhsa_next_free_vgpr 1
		.amdhsa_next_free_sgpr 0
		.amdhsa_accum_offset 4
		.amdhsa_reserve_vcc 0
		.amdhsa_float_round_mode_32 0
		.amdhsa_float_round_mode_16_64 0
		.amdhsa_float_denorm_mode_32 3
		.amdhsa_float_denorm_mode_16_64 3
		.amdhsa_dx10_clamp 1
		.amdhsa_ieee_mode 1
		.amdhsa_fp16_overflow 0
		.amdhsa_tg_split 0
		.amdhsa_exception_fp_ieee_invalid_op 0
		.amdhsa_exception_fp_denorm_src 0
		.amdhsa_exception_fp_ieee_div_zero 0
		.amdhsa_exception_fp_ieee_overflow 0
		.amdhsa_exception_fp_ieee_underflow 0
		.amdhsa_exception_fp_ieee_inexact 0
		.amdhsa_exception_int_div_zero 0
	.end_amdhsa_kernel
	.section	.text._ZN7rocprim17ROCPRIM_400000_NS6detail17trampoline_kernelINS0_14default_configENS1_33run_length_encode_config_selectorIijNS0_4plusIjEEEEZZNS1_33reduce_by_key_impl_wrapped_configILNS1_25lookback_scan_determinismE0ES3_S7_PKiNS0_17constant_iteratorIjlEEPiPlSF_S6_NS0_8equal_toIiEEEE10hipError_tPvRmT2_T3_mT4_T5_T6_T7_T8_P12ihipStream_tbENKUlT_T0_E_clISt17integral_constantIbLb0EESY_IbLb1EEEEDaSU_SV_EUlSU_E_NS1_11comp_targetILNS1_3genE0ELNS1_11target_archE4294967295ELNS1_3gpuE0ELNS1_3repE0EEENS1_30default_config_static_selectorELNS0_4arch9wavefront6targetE1EEEvT1_,"axG",@progbits,_ZN7rocprim17ROCPRIM_400000_NS6detail17trampoline_kernelINS0_14default_configENS1_33run_length_encode_config_selectorIijNS0_4plusIjEEEEZZNS1_33reduce_by_key_impl_wrapped_configILNS1_25lookback_scan_determinismE0ES3_S7_PKiNS0_17constant_iteratorIjlEEPiPlSF_S6_NS0_8equal_toIiEEEE10hipError_tPvRmT2_T3_mT4_T5_T6_T7_T8_P12ihipStream_tbENKUlT_T0_E_clISt17integral_constantIbLb0EESY_IbLb1EEEEDaSU_SV_EUlSU_E_NS1_11comp_targetILNS1_3genE0ELNS1_11target_archE4294967295ELNS1_3gpuE0ELNS1_3repE0EEENS1_30default_config_static_selectorELNS0_4arch9wavefront6targetE1EEEvT1_,comdat
.Lfunc_end469:
	.size	_ZN7rocprim17ROCPRIM_400000_NS6detail17trampoline_kernelINS0_14default_configENS1_33run_length_encode_config_selectorIijNS0_4plusIjEEEEZZNS1_33reduce_by_key_impl_wrapped_configILNS1_25lookback_scan_determinismE0ES3_S7_PKiNS0_17constant_iteratorIjlEEPiPlSF_S6_NS0_8equal_toIiEEEE10hipError_tPvRmT2_T3_mT4_T5_T6_T7_T8_P12ihipStream_tbENKUlT_T0_E_clISt17integral_constantIbLb0EESY_IbLb1EEEEDaSU_SV_EUlSU_E_NS1_11comp_targetILNS1_3genE0ELNS1_11target_archE4294967295ELNS1_3gpuE0ELNS1_3repE0EEENS1_30default_config_static_selectorELNS0_4arch9wavefront6targetE1EEEvT1_, .Lfunc_end469-_ZN7rocprim17ROCPRIM_400000_NS6detail17trampoline_kernelINS0_14default_configENS1_33run_length_encode_config_selectorIijNS0_4plusIjEEEEZZNS1_33reduce_by_key_impl_wrapped_configILNS1_25lookback_scan_determinismE0ES3_S7_PKiNS0_17constant_iteratorIjlEEPiPlSF_S6_NS0_8equal_toIiEEEE10hipError_tPvRmT2_T3_mT4_T5_T6_T7_T8_P12ihipStream_tbENKUlT_T0_E_clISt17integral_constantIbLb0EESY_IbLb1EEEEDaSU_SV_EUlSU_E_NS1_11comp_targetILNS1_3genE0ELNS1_11target_archE4294967295ELNS1_3gpuE0ELNS1_3repE0EEENS1_30default_config_static_selectorELNS0_4arch9wavefront6targetE1EEEvT1_
                                        ; -- End function
	.section	.AMDGPU.csdata,"",@progbits
; Kernel info:
; codeLenInByte = 0
; NumSgprs: 6
; NumVgprs: 0
; NumAgprs: 0
; TotalNumVgprs: 0
; ScratchSize: 0
; MemoryBound: 0
; FloatMode: 240
; IeeeMode: 1
; LDSByteSize: 0 bytes/workgroup (compile time only)
; SGPRBlocks: 0
; VGPRBlocks: 0
; NumSGPRsForWavesPerEU: 6
; NumVGPRsForWavesPerEU: 1
; AccumOffset: 4
; Occupancy: 8
; WaveLimiterHint : 0
; COMPUTE_PGM_RSRC2:SCRATCH_EN: 0
; COMPUTE_PGM_RSRC2:USER_SGPR: 2
; COMPUTE_PGM_RSRC2:TRAP_HANDLER: 0
; COMPUTE_PGM_RSRC2:TGID_X_EN: 1
; COMPUTE_PGM_RSRC2:TGID_Y_EN: 0
; COMPUTE_PGM_RSRC2:TGID_Z_EN: 0
; COMPUTE_PGM_RSRC2:TIDIG_COMP_CNT: 0
; COMPUTE_PGM_RSRC3_GFX90A:ACCUM_OFFSET: 0
; COMPUTE_PGM_RSRC3_GFX90A:TG_SPLIT: 0
	.section	.text._ZN7rocprim17ROCPRIM_400000_NS6detail17trampoline_kernelINS0_14default_configENS1_33run_length_encode_config_selectorIijNS0_4plusIjEEEEZZNS1_33reduce_by_key_impl_wrapped_configILNS1_25lookback_scan_determinismE0ES3_S7_PKiNS0_17constant_iteratorIjlEEPiPlSF_S6_NS0_8equal_toIiEEEE10hipError_tPvRmT2_T3_mT4_T5_T6_T7_T8_P12ihipStream_tbENKUlT_T0_E_clISt17integral_constantIbLb0EESY_IbLb1EEEEDaSU_SV_EUlSU_E_NS1_11comp_targetILNS1_3genE5ELNS1_11target_archE942ELNS1_3gpuE9ELNS1_3repE0EEENS1_30default_config_static_selectorELNS0_4arch9wavefront6targetE1EEEvT1_,"axG",@progbits,_ZN7rocprim17ROCPRIM_400000_NS6detail17trampoline_kernelINS0_14default_configENS1_33run_length_encode_config_selectorIijNS0_4plusIjEEEEZZNS1_33reduce_by_key_impl_wrapped_configILNS1_25lookback_scan_determinismE0ES3_S7_PKiNS0_17constant_iteratorIjlEEPiPlSF_S6_NS0_8equal_toIiEEEE10hipError_tPvRmT2_T3_mT4_T5_T6_T7_T8_P12ihipStream_tbENKUlT_T0_E_clISt17integral_constantIbLb0EESY_IbLb1EEEEDaSU_SV_EUlSU_E_NS1_11comp_targetILNS1_3genE5ELNS1_11target_archE942ELNS1_3gpuE9ELNS1_3repE0EEENS1_30default_config_static_selectorELNS0_4arch9wavefront6targetE1EEEvT1_,comdat
	.protected	_ZN7rocprim17ROCPRIM_400000_NS6detail17trampoline_kernelINS0_14default_configENS1_33run_length_encode_config_selectorIijNS0_4plusIjEEEEZZNS1_33reduce_by_key_impl_wrapped_configILNS1_25lookback_scan_determinismE0ES3_S7_PKiNS0_17constant_iteratorIjlEEPiPlSF_S6_NS0_8equal_toIiEEEE10hipError_tPvRmT2_T3_mT4_T5_T6_T7_T8_P12ihipStream_tbENKUlT_T0_E_clISt17integral_constantIbLb0EESY_IbLb1EEEEDaSU_SV_EUlSU_E_NS1_11comp_targetILNS1_3genE5ELNS1_11target_archE942ELNS1_3gpuE9ELNS1_3repE0EEENS1_30default_config_static_selectorELNS0_4arch9wavefront6targetE1EEEvT1_ ; -- Begin function _ZN7rocprim17ROCPRIM_400000_NS6detail17trampoline_kernelINS0_14default_configENS1_33run_length_encode_config_selectorIijNS0_4plusIjEEEEZZNS1_33reduce_by_key_impl_wrapped_configILNS1_25lookback_scan_determinismE0ES3_S7_PKiNS0_17constant_iteratorIjlEEPiPlSF_S6_NS0_8equal_toIiEEEE10hipError_tPvRmT2_T3_mT4_T5_T6_T7_T8_P12ihipStream_tbENKUlT_T0_E_clISt17integral_constantIbLb0EESY_IbLb1EEEEDaSU_SV_EUlSU_E_NS1_11comp_targetILNS1_3genE5ELNS1_11target_archE942ELNS1_3gpuE9ELNS1_3repE0EEENS1_30default_config_static_selectorELNS0_4arch9wavefront6targetE1EEEvT1_
	.globl	_ZN7rocprim17ROCPRIM_400000_NS6detail17trampoline_kernelINS0_14default_configENS1_33run_length_encode_config_selectorIijNS0_4plusIjEEEEZZNS1_33reduce_by_key_impl_wrapped_configILNS1_25lookback_scan_determinismE0ES3_S7_PKiNS0_17constant_iteratorIjlEEPiPlSF_S6_NS0_8equal_toIiEEEE10hipError_tPvRmT2_T3_mT4_T5_T6_T7_T8_P12ihipStream_tbENKUlT_T0_E_clISt17integral_constantIbLb0EESY_IbLb1EEEEDaSU_SV_EUlSU_E_NS1_11comp_targetILNS1_3genE5ELNS1_11target_archE942ELNS1_3gpuE9ELNS1_3repE0EEENS1_30default_config_static_selectorELNS0_4arch9wavefront6targetE1EEEvT1_
	.p2align	8
	.type	_ZN7rocprim17ROCPRIM_400000_NS6detail17trampoline_kernelINS0_14default_configENS1_33run_length_encode_config_selectorIijNS0_4plusIjEEEEZZNS1_33reduce_by_key_impl_wrapped_configILNS1_25lookback_scan_determinismE0ES3_S7_PKiNS0_17constant_iteratorIjlEEPiPlSF_S6_NS0_8equal_toIiEEEE10hipError_tPvRmT2_T3_mT4_T5_T6_T7_T8_P12ihipStream_tbENKUlT_T0_E_clISt17integral_constantIbLb0EESY_IbLb1EEEEDaSU_SV_EUlSU_E_NS1_11comp_targetILNS1_3genE5ELNS1_11target_archE942ELNS1_3gpuE9ELNS1_3repE0EEENS1_30default_config_static_selectorELNS0_4arch9wavefront6targetE1EEEvT1_,@function
_ZN7rocprim17ROCPRIM_400000_NS6detail17trampoline_kernelINS0_14default_configENS1_33run_length_encode_config_selectorIijNS0_4plusIjEEEEZZNS1_33reduce_by_key_impl_wrapped_configILNS1_25lookback_scan_determinismE0ES3_S7_PKiNS0_17constant_iteratorIjlEEPiPlSF_S6_NS0_8equal_toIiEEEE10hipError_tPvRmT2_T3_mT4_T5_T6_T7_T8_P12ihipStream_tbENKUlT_T0_E_clISt17integral_constantIbLb0EESY_IbLb1EEEEDaSU_SV_EUlSU_E_NS1_11comp_targetILNS1_3genE5ELNS1_11target_archE942ELNS1_3gpuE9ELNS1_3repE0EEENS1_30default_config_static_selectorELNS0_4arch9wavefront6targetE1EEEvT1_: ; @_ZN7rocprim17ROCPRIM_400000_NS6detail17trampoline_kernelINS0_14default_configENS1_33run_length_encode_config_selectorIijNS0_4plusIjEEEEZZNS1_33reduce_by_key_impl_wrapped_configILNS1_25lookback_scan_determinismE0ES3_S7_PKiNS0_17constant_iteratorIjlEEPiPlSF_S6_NS0_8equal_toIiEEEE10hipError_tPvRmT2_T3_mT4_T5_T6_T7_T8_P12ihipStream_tbENKUlT_T0_E_clISt17integral_constantIbLb0EESY_IbLb1EEEEDaSU_SV_EUlSU_E_NS1_11comp_targetILNS1_3genE5ELNS1_11target_archE942ELNS1_3gpuE9ELNS1_3repE0EEENS1_30default_config_static_selectorELNS0_4arch9wavefront6targetE1EEEvT1_
; %bb.0:
	s_load_dword s10, s[0:1], 0x10
	s_load_dwordx4 s[44:47], s[0:1], 0x20
	s_load_dwordx2 s[48:49], s[0:1], 0x30
	s_load_dwordx2 s[50:51], s[0:1], 0x70
	s_load_dwordx4 s[28:31], s[0:1], 0x60
	s_load_dwordx8 s[36:43], s[0:1], 0x40
	v_cmp_ne_u32_e64 s[2:3], 0, v0
	v_cmp_eq_u32_e64 s[34:35], 0, v0
	s_and_saveexec_b64 s[4:5], s[34:35]
	s_cbranch_execz .LBB470_4
; %bb.1:
	s_mov_b64 s[8:9], exec
	v_mbcnt_lo_u32_b32 v1, s8, 0
	v_mbcnt_hi_u32_b32 v1, s9, v1
	v_cmp_eq_u32_e32 vcc, 0, v1
                                        ; implicit-def: $vgpr2
	s_and_saveexec_b64 s[6:7], vcc
	s_cbranch_execz .LBB470_3
; %bb.2:
	s_load_dwordx2 s[12:13], s[0:1], 0x78
	s_bcnt1_i32_b64 s8, s[8:9]
	v_mov_b32_e32 v2, 0
	v_mov_b32_e32 v3, s8
	s_waitcnt lgkmcnt(0)
	global_atomic_add v2, v2, v3, s[12:13] sc0
.LBB470_3:
	s_or_b64 exec, exec, s[6:7]
	s_waitcnt vmcnt(0)
	v_readfirstlane_b32 s6, v2
	v_mov_b32_e32 v2, 0
	s_nop 0
	v_add_u32_e32 v1, s6, v1
	ds_write_b32 v2, v1
.LBB470_4:
	s_or_b64 exec, exec, s[4:5]
	s_load_dwordx4 s[4:7], s[0:1], 0x0
	v_mov_b32_e32 v5, 0
	s_waitcnt lgkmcnt(0)
	s_barrier
	ds_read_b32 v1, v5
	s_mul_i32 s0, s40, s39
	s_mul_hi_u32 s1, s40, s38
	s_add_i32 s0, s1, s0
	s_mul_i32 s1, s41, s38
	s_add_i32 s8, s0, s1
	s_lshl_b64 s[0:1], s[6:7], 2
	s_add_u32 s0, s4, s0
	s_movk_i32 s4, 0x1e00
	s_waitcnt lgkmcnt(0)
	v_mul_lo_u32 v4, v1, s4
	s_mul_i32 s9, s40, s38
	s_addc_u32 s1, s5, s1
	v_readfirstlane_b32 s56, v1
	v_lshlrev_b64 v[2:3], 2, v[4:5]
	v_lshl_add_u64 v[2:3], s[0:1], 0, v[2:3]
	s_add_u32 s0, s9, s56
	s_addc_u32 s1, s8, 0
	s_add_u32 s6, s42, -1
	s_addc_u32 s7, s43, -1
	s_cmp_eq_u64 s[0:1], s[6:7]
	s_cselect_b64 s[40:41], -1, 0
	s_cmp_lg_u64 s[0:1], s[6:7]
	s_mov_b64 s[8:9], -1
	s_cselect_b64 s[4:5], -1, 0
	s_mul_i32 s33, s6, 0xffffe200
	s_and_b64 vcc, exec, s[40:41]
	s_barrier
	s_cbranch_vccnz .LBB470_6
; %bb.5:
	v_lshlrev_b32_e32 v4, 2, v0
	v_lshl_add_u64 v[6:7], v[2:3], 0, v[4:5]
	v_add_co_u32_e32 v8, vcc, 0x1000, v6
	v_readfirstlane_b32 s6, v2
	s_nop 0
	v_addc_co_u32_e32 v9, vcc, 0, v7, vcc
	v_add_co_u32_e32 v10, vcc, 0x2000, v6
	v_readfirstlane_b32 s7, v3
	s_nop 0
	v_addc_co_u32_e32 v11, vcc, 0, v7, vcc
	v_add_co_u32_e32 v12, vcc, 0x3000, v6
	s_nop 1
	global_load_dword v1, v4, s[6:7]
	global_load_dword v5, v4, s[6:7] offset:2048
	v_addc_co_u32_e32 v13, vcc, 0, v7, vcc
	v_add_co_u32_e32 v14, vcc, 0x4000, v6
	s_nop 1
	v_addc_co_u32_e32 v15, vcc, 0, v7, vcc
	global_load_dword v16, v[8:9], off
	global_load_dword v17, v[8:9], off offset:2048
	global_load_dword v18, v[10:11], off
	global_load_dword v19, v[10:11], off offset:2048
	global_load_dword v20, v[12:13], off
	global_load_dword v21, v[12:13], off offset:2048
	global_load_dword v22, v[14:15], off
	global_load_dword v23, v[14:15], off offset:2048
	v_add_co_u32_e32 v8, vcc, 0x5000, v6
	s_mov_b64 s[6:7], -1
	s_nop 0
	v_addc_co_u32_e32 v9, vcc, 0, v7, vcc
	v_add_co_u32_e32 v10, vcc, 0x6000, v6
	s_nop 1
	v_addc_co_u32_e32 v11, vcc, 0, v7, vcc
	global_load_dword v12, v[8:9], off
	global_load_dword v13, v[8:9], off offset:2048
	global_load_dword v14, v[10:11], off
	global_load_dword v15, v[10:11], off offset:2048
	v_add_co_u32_e32 v6, vcc, 0x7000, v6
	s_nop 1
	v_addc_co_u32_e32 v7, vcc, 0, v7, vcc
	global_load_dword v6, v[6:7], off
	v_mad_u32_u24 v7, v0, 56, v4
	s_waitcnt vmcnt(13)
	ds_write2st64_b32 v4, v1, v5 offset1:8
	s_waitcnt vmcnt(11)
	ds_write2st64_b32 v4, v16, v17 offset0:16 offset1:24
	s_waitcnt vmcnt(9)
	ds_write2st64_b32 v4, v18, v19 offset0:32 offset1:40
	;; [unrolled: 2-line block ×6, first 2 shown]
	s_waitcnt vmcnt(0)
	ds_write_b32 v4, v6 offset:28672
	s_waitcnt lgkmcnt(0)
	s_barrier
	ds_read2_b32 v[20:21], v7 offset1:1
	ds_read2_b32 v[18:19], v7 offset0:2 offset1:3
	ds_read2_b32 v[16:17], v7 offset0:4 offset1:5
	;; [unrolled: 1-line block ×6, first 2 shown]
	ds_read_b32 v1, v7 offset:56
	s_waitcnt lgkmcnt(7)
	v_mov_b32_e32 v24, v20
	s_waitcnt lgkmcnt(6)
	v_mov_b32_e32 v25, v18
	;; [unrolled: 2-line block ×7, first 2 shown]
	s_add_i32 s33, s33, s28
	s_cbranch_execz .LBB470_7
	s_branch .LBB470_38
.LBB470_6:
	s_mov_b64 s[6:7], 0
                                        ; implicit-def: $vgpr1
                                        ; implicit-def: $vgpr8
                                        ; implicit-def: $vgpr10
                                        ; implicit-def: $vgpr12
                                        ; implicit-def: $vgpr14
                                        ; implicit-def: $vgpr16
                                        ; implicit-def: $vgpr18
                                        ; implicit-def: $vgpr20
                                        ; implicit-def: $vgpr4_vgpr5
                                        ; implicit-def: $vgpr6_vgpr7
                                        ; implicit-def: $vgpr24_vgpr25
                                        ; implicit-def: $vgpr22_vgpr23
	s_add_i32 s33, s33, s28
	s_andn2_b64 vcc, exec, s[8:9]
	s_cbranch_vccnz .LBB470_38
.LBB470_7:
	v_cmp_gt_u32_e32 vcc, s33, v0
                                        ; implicit-def: $vgpr1
	s_and_saveexec_b64 s[6:7], vcc
	s_cbranch_execz .LBB470_9
; %bb.8:
	s_waitcnt lgkmcnt(0)
	v_lshlrev_b32_e32 v1, 2, v0
	v_readfirstlane_b32 s8, v2
	v_readfirstlane_b32 s9, v3
	s_nop 4
	global_load_dword v1, v1, s[8:9]
.LBB470_9:
	s_or_b64 exec, exec, s[6:7]
	v_or_b32_e32 v4, 0x200, v0
	v_cmp_gt_u32_e32 vcc, s33, v4
                                        ; implicit-def: $vgpr4
	s_and_saveexec_b64 s[6:7], vcc
	s_cbranch_execz .LBB470_11
; %bb.10:
	v_lshlrev_b32_e32 v4, 2, v0
	v_readfirstlane_b32 s8, v2
	v_readfirstlane_b32 s9, v3
	s_nop 4
	global_load_dword v4, v4, s[8:9] offset:2048
.LBB470_11:
	s_or_b64 exec, exec, s[6:7]
	v_or_b32_e32 v6, 0x400, v0
	v_cmp_gt_u32_e32 vcc, s33, v6
                                        ; implicit-def: $vgpr5
	s_and_saveexec_b64 s[6:7], vcc
	s_cbranch_execz .LBB470_13
; %bb.12:
	v_lshlrev_b32_e32 v5, 2, v6
	v_readfirstlane_b32 s8, v2
	v_readfirstlane_b32 s9, v3
	s_nop 4
	global_load_dword v5, v5, s[8:9]
.LBB470_13:
	s_or_b64 exec, exec, s[6:7]
	v_or_b32_e32 v7, 0x600, v0
	v_cmp_gt_u32_e32 vcc, s33, v7
                                        ; implicit-def: $vgpr6
	s_and_saveexec_b64 s[6:7], vcc
	s_cbranch_execz .LBB470_15
; %bb.14:
	v_lshlrev_b32_e32 v6, 2, v7
	v_readfirstlane_b32 s8, v2
	v_readfirstlane_b32 s9, v3
	s_nop 4
	global_load_dword v6, v6, s[8:9]
.LBB470_15:
	s_or_b64 exec, exec, s[6:7]
	v_or_b32_e32 v8, 0x800, v0
	v_cmp_gt_u32_e32 vcc, s33, v8
                                        ; implicit-def: $vgpr7
	s_and_saveexec_b64 s[6:7], vcc
	s_cbranch_execz .LBB470_17
; %bb.16:
	v_lshlrev_b32_e32 v7, 2, v8
	v_readfirstlane_b32 s8, v2
	v_readfirstlane_b32 s9, v3
	s_nop 4
	global_load_dword v7, v7, s[8:9]
.LBB470_17:
	s_or_b64 exec, exec, s[6:7]
	v_or_b32_e32 v9, 0xa00, v0
	v_cmp_gt_u32_e32 vcc, s33, v9
                                        ; implicit-def: $vgpr8
	s_and_saveexec_b64 s[6:7], vcc
	s_cbranch_execz .LBB470_19
; %bb.18:
	v_lshlrev_b32_e32 v8, 2, v9
	v_readfirstlane_b32 s8, v2
	v_readfirstlane_b32 s9, v3
	s_nop 4
	global_load_dword v8, v8, s[8:9]
.LBB470_19:
	s_or_b64 exec, exec, s[6:7]
	v_or_b32_e32 v10, 0xc00, v0
	v_cmp_gt_u32_e32 vcc, s33, v10
                                        ; implicit-def: $vgpr9
	s_and_saveexec_b64 s[6:7], vcc
	s_cbranch_execz .LBB470_21
; %bb.20:
	v_lshlrev_b32_e32 v9, 2, v10
	v_readfirstlane_b32 s8, v2
	v_readfirstlane_b32 s9, v3
	s_nop 4
	global_load_dword v9, v9, s[8:9]
.LBB470_21:
	s_or_b64 exec, exec, s[6:7]
	v_or_b32_e32 v11, 0xe00, v0
	v_cmp_gt_u32_e32 vcc, s33, v11
                                        ; implicit-def: $vgpr10
	s_and_saveexec_b64 s[6:7], vcc
	s_cbranch_execz .LBB470_23
; %bb.22:
	v_lshlrev_b32_e32 v10, 2, v11
	v_readfirstlane_b32 s8, v2
	v_readfirstlane_b32 s9, v3
	s_nop 4
	global_load_dword v10, v10, s[8:9]
.LBB470_23:
	s_or_b64 exec, exec, s[6:7]
	v_or_b32_e32 v12, 0x1000, v0
	v_cmp_gt_u32_e32 vcc, s33, v12
                                        ; implicit-def: $vgpr11
	s_and_saveexec_b64 s[6:7], vcc
	s_cbranch_execz .LBB470_25
; %bb.24:
	v_lshlrev_b32_e32 v11, 2, v12
	v_readfirstlane_b32 s8, v2
	v_readfirstlane_b32 s9, v3
	s_nop 4
	global_load_dword v11, v11, s[8:9]
.LBB470_25:
	s_or_b64 exec, exec, s[6:7]
	v_or_b32_e32 v13, 0x1200, v0
	v_cmp_gt_u32_e32 vcc, s33, v13
                                        ; implicit-def: $vgpr12
	s_and_saveexec_b64 s[6:7], vcc
	s_cbranch_execz .LBB470_27
; %bb.26:
	v_lshlrev_b32_e32 v12, 2, v13
	v_readfirstlane_b32 s8, v2
	v_readfirstlane_b32 s9, v3
	s_nop 4
	global_load_dword v12, v12, s[8:9]
.LBB470_27:
	s_or_b64 exec, exec, s[6:7]
	v_or_b32_e32 v14, 0x1400, v0
	v_cmp_gt_u32_e32 vcc, s33, v14
                                        ; implicit-def: $vgpr13
	s_and_saveexec_b64 s[6:7], vcc
	s_cbranch_execz .LBB470_29
; %bb.28:
	v_lshlrev_b32_e32 v13, 2, v14
	v_readfirstlane_b32 s8, v2
	v_readfirstlane_b32 s9, v3
	s_nop 4
	global_load_dword v13, v13, s[8:9]
.LBB470_29:
	s_or_b64 exec, exec, s[6:7]
	v_or_b32_e32 v15, 0x1600, v0
	v_cmp_gt_u32_e32 vcc, s33, v15
                                        ; implicit-def: $vgpr14
	s_and_saveexec_b64 s[6:7], vcc
	s_cbranch_execz .LBB470_31
; %bb.30:
	v_lshlrev_b32_e32 v14, 2, v15
	v_readfirstlane_b32 s8, v2
	v_readfirstlane_b32 s9, v3
	s_nop 4
	global_load_dword v14, v14, s[8:9]
.LBB470_31:
	s_or_b64 exec, exec, s[6:7]
	v_or_b32_e32 v16, 0x1800, v0
	v_cmp_gt_u32_e32 vcc, s33, v16
                                        ; implicit-def: $vgpr15
	s_and_saveexec_b64 s[6:7], vcc
	s_cbranch_execz .LBB470_33
; %bb.32:
	v_lshlrev_b32_e32 v15, 2, v16
	v_readfirstlane_b32 s8, v2
	v_readfirstlane_b32 s9, v3
	s_nop 4
	global_load_dword v15, v15, s[8:9]
.LBB470_33:
	s_or_b64 exec, exec, s[6:7]
	v_or_b32_e32 v17, 0x1a00, v0
	v_cmp_gt_u32_e32 vcc, s33, v17
                                        ; implicit-def: $vgpr16
	s_and_saveexec_b64 s[6:7], vcc
	s_cbranch_execz .LBB470_35
; %bb.34:
	v_lshlrev_b32_e32 v16, 2, v17
	v_readfirstlane_b32 s8, v2
	v_readfirstlane_b32 s9, v3
	s_nop 4
	global_load_dword v16, v16, s[8:9]
.LBB470_35:
	s_or_b64 exec, exec, s[6:7]
	v_or_b32_e32 v18, 0x1c00, v0
	v_cmp_gt_u32_e32 vcc, s33, v18
                                        ; implicit-def: $vgpr17
	s_and_saveexec_b64 s[6:7], vcc
	s_cbranch_execz .LBB470_37
; %bb.36:
	v_lshlrev_b32_e32 v17, 2, v18
	v_readfirstlane_b32 s8, v2
	v_readfirstlane_b32 s9, v3
	s_nop 4
	global_load_dword v17, v17, s[8:9]
.LBB470_37:
	s_or_b64 exec, exec, s[6:7]
	v_lshlrev_b32_e32 v18, 2, v0
	s_waitcnt vmcnt(0) lgkmcnt(0)
	ds_write2st64_b32 v18, v1, v4 offset1:8
	ds_write2st64_b32 v18, v5, v6 offset0:16 offset1:24
	ds_write2st64_b32 v18, v7, v8 offset0:32 offset1:40
	;; [unrolled: 1-line block ×6, first 2 shown]
	ds_write_b32 v18, v17 offset:28672
	v_mad_u32_u24 v1, v0, 56, v18
	s_waitcnt lgkmcnt(0)
	s_barrier
	ds_read2_b32 v[20:21], v1 offset1:1
	ds_read2_b32 v[18:19], v1 offset0:2 offset1:3
	ds_read2_b32 v[16:17], v1 offset0:4 offset1:5
	;; [unrolled: 1-line block ×6, first 2 shown]
	ds_read_b32 v1, v1 offset:56
	v_mad_u32_u24 v4, v0, 15, 14
	v_cmp_gt_u32_e64 s[6:7], s33, v4
	s_waitcnt lgkmcnt(7)
	v_mov_b32_e32 v24, v20
	s_waitcnt lgkmcnt(6)
	v_mov_b32_e32 v25, v18
	;; [unrolled: 2-line block ×7, first 2 shown]
.LBB470_38:
	v_mov_b32_e32 v52, s10
                                        ; implicit-def: $vgpr53
	s_and_saveexec_b64 s[8:9], s[6:7]
; %bb.39:
	v_mov_b32_e32 v53, s10
; %bb.40:
	s_or_b64 exec, exec, s[8:9]
	s_cmp_eq_u64 s[0:1], 0
	s_cselect_b64 s[42:43], -1, 0
	s_cmp_lg_u64 s[0:1], 0
	s_mov_b64 s[52:53], 0
	s_cselect_b64 s[6:7], -1, 0
	s_and_b64 vcc, exec, s[4:5]
	s_waitcnt lgkmcnt(0)
	s_barrier
	s_cbranch_vccz .LBB470_46
; %bb.41:
	s_and_b64 vcc, exec, s[6:7]
	s_cbranch_vccz .LBB470_47
; %bb.42:
	global_load_dword v23, v[2:3], off offset:-4
	v_lshlrev_b32_e32 v26, 2, v0
	ds_write_b32 v26, v1
	s_waitcnt lgkmcnt(0)
	s_barrier
	s_and_saveexec_b64 s[4:5], s[2:3]
	s_cbranch_execz .LBB470_44
; %bb.43:
	s_waitcnt vmcnt(0)
	v_add_u32_e32 v23, -4, v26
	ds_read_b32 v23, v23
.LBB470_44:
	s_or_b64 exec, exec, s[4:5]
	v_cmp_ne_u32_e32 vcc, v24, v21
	s_waitcnt vmcnt(0) lgkmcnt(0)
	v_cmp_ne_u32_e64 s[4:5], v23, v20
	v_cndmask_b32_e64 v69, 0, 1, vcc
	v_cmp_ne_u32_e32 vcc, v25, v21
	s_mov_b64 s[52:53], -1
	s_nop 0
	v_cndmask_b32_e64 v68, 0, 1, vcc
	v_cmp_ne_u32_e32 vcc, v25, v19
	s_nop 1
	v_cndmask_b32_e64 v67, 0, 1, vcc
	v_cmp_ne_u32_e32 vcc, v6, v19
	;; [unrolled: 3-line block ×12, first 2 shown]
	s_nop 1
	v_cndmask_b32_e64 v56, 0, 1, vcc
.LBB470_45:
                                        ; implicit-def: $sgpr10
	s_branch .LBB470_59
.LBB470_46:
                                        ; implicit-def: $sgpr4_sgpr5
                                        ; implicit-def: $vgpr56
                                        ; implicit-def: $vgpr57
                                        ; implicit-def: $vgpr58
                                        ; implicit-def: $vgpr59
                                        ; implicit-def: $vgpr60
                                        ; implicit-def: $vgpr61
                                        ; implicit-def: $vgpr62
                                        ; implicit-def: $vgpr63
                                        ; implicit-def: $vgpr64
                                        ; implicit-def: $vgpr65
                                        ; implicit-def: $vgpr66
                                        ; implicit-def: $vgpr67
                                        ; implicit-def: $vgpr68
                                        ; implicit-def: $vgpr69
                                        ; implicit-def: $sgpr10
	s_cbranch_execnz .LBB470_51
	s_branch .LBB470_59
.LBB470_47:
                                        ; implicit-def: $sgpr4_sgpr5
                                        ; implicit-def: $vgpr56
                                        ; implicit-def: $vgpr57
                                        ; implicit-def: $vgpr58
                                        ; implicit-def: $vgpr59
                                        ; implicit-def: $vgpr60
                                        ; implicit-def: $vgpr61
                                        ; implicit-def: $vgpr62
                                        ; implicit-def: $vgpr63
                                        ; implicit-def: $vgpr64
                                        ; implicit-def: $vgpr65
                                        ; implicit-def: $vgpr66
                                        ; implicit-def: $vgpr67
                                        ; implicit-def: $vgpr68
                                        ; implicit-def: $vgpr69
	s_cbranch_execz .LBB470_45
; %bb.48:
	v_cmp_ne_u32_e32 vcc, v21, v24
	v_lshlrev_b32_e32 v23, 2, v0
	ds_write_b32 v23, v1
	v_cndmask_b32_e64 v69, 0, 1, vcc
	v_cmp_ne_u32_e32 vcc, v21, v25
	s_waitcnt lgkmcnt(0)
	s_barrier
	v_cndmask_b32_e64 v68, 0, 1, vcc
	v_cmp_ne_u32_e32 vcc, v25, v19
	s_waitcnt lgkmcnt(0)
                                        ; implicit-def: $sgpr4_sgpr5
	s_nop 0
	v_cndmask_b32_e64 v67, 0, 1, vcc
	v_cmp_ne_u32_e32 vcc, v6, v19
	s_nop 1
	v_cndmask_b32_e64 v66, 0, 1, vcc
	v_cmp_ne_u32_e32 vcc, v17, v6
	;; [unrolled: 3-line block ×11, first 2 shown]
	s_nop 1
	v_cndmask_b32_e64 v56, 0, 1, vcc
	s_and_saveexec_b64 s[8:9], s[2:3]
	s_xor_b64 s[8:9], exec, s[8:9]
	s_cbranch_execz .LBB470_50
; %bb.49:
	v_add_u32_e32 v4, -4, v23
	ds_read_b32 v4, v4
	s_or_b64 s[52:53], s[52:53], exec
	s_waitcnt lgkmcnt(0)
	v_cmp_ne_u32_e32 vcc, v4, v20
	s_and_b64 s[4:5], vcc, exec
.LBB470_50:
	s_or_b64 exec, exec, s[8:9]
	s_mov_b32 s10, 1
	s_branch .LBB470_59
.LBB470_51:
	s_mul_hi_u32 s4, s0, 0xffffe200
	s_mulk_i32 s1, 0xe200
	s_sub_i32 s4, s4, s0
	s_add_i32 s4, s4, s1
	s_mulk_i32 s0, 0xe200
	s_add_u32 s54, s0, s28
	s_addc_u32 s55, s4, s29
	s_and_b64 vcc, exec, s[6:7]
	v_cmp_ne_u32_e64 s[28:29], v9, v1
	v_cmp_ne_u32_e64 s[0:1], v8, v9
	;; [unrolled: 1-line block ×14, first 2 shown]
	v_mad_u32_u24 v4, v0, 15, 14
	v_mad_u32_u24 v44, v0, 15, 13
	;; [unrolled: 1-line block ×14, first 2 shown]
	s_cbranch_vccz .LBB470_56
; %bb.52:
	global_load_dword v46, v[2:3], off offset:-4
	v_mov_b32_e32 v5, 0
	v_cmp_gt_u64_e32 vcc, s[54:55], v[4:5]
	v_mov_b32_e32 v45, v5
	s_and_b64 s[28:29], vcc, s[28:29]
	v_cmp_gt_u64_e32 vcc, s[54:55], v[44:45]
	v_mov_b32_e32 v43, v5
	s_and_b64 s[0:1], vcc, s[0:1]
	;; [unrolled: 3-line block ×13, first 2 shown]
	v_cmp_gt_u64_e32 vcc, s[54:55], v[6:7]
	v_lshlrev_b32_e32 v3, 2, v0
	v_mul_u32_u24_e32 v2, 15, v0
	s_and_b64 s[4:5], vcc, s[4:5]
	ds_write_b32 v3, v1
	s_waitcnt lgkmcnt(0)
	s_barrier
	s_and_saveexec_b64 s[52:53], s[2:3]
	s_cbranch_execz .LBB470_54
; %bb.53:
	v_add_u32_e32 v3, -4, v3
	s_waitcnt vmcnt(0)
	ds_read_b32 v46, v3
.LBB470_54:
	s_or_b64 exec, exec, s[52:53]
	v_mov_b32_e32 v3, v5
	v_cndmask_b32_e64 v57, 0, 1, s[0:1]
	v_cmp_gt_u64_e32 vcc, s[54:55], v[2:3]
	s_waitcnt vmcnt(0) lgkmcnt(0)
	v_cmp_ne_u32_e64 s[0:1], v46, v20
	v_cndmask_b32_e64 v56, 0, 1, s[28:29]
	v_cndmask_b32_e64 v58, 0, 1, s[26:27]
	;; [unrolled: 1-line block ×13, first 2 shown]
	s_and_b64 s[4:5], vcc, s[0:1]
	s_mov_b64 s[52:53], -1
.LBB470_55:
                                        ; implicit-def: $sgpr10
	v_mov_b32_e32 v70, s10
	s_and_saveexec_b64 s[0:1], s[52:53]
	s_cbranch_execnz .LBB470_60
	s_branch .LBB470_61
.LBB470_56:
                                        ; implicit-def: $sgpr4_sgpr5
                                        ; implicit-def: $vgpr56
                                        ; implicit-def: $vgpr57
                                        ; implicit-def: $vgpr58
                                        ; implicit-def: $vgpr59
                                        ; implicit-def: $vgpr60
                                        ; implicit-def: $vgpr61
                                        ; implicit-def: $vgpr62
                                        ; implicit-def: $vgpr63
                                        ; implicit-def: $vgpr64
                                        ; implicit-def: $vgpr65
                                        ; implicit-def: $vgpr66
                                        ; implicit-def: $vgpr67
                                        ; implicit-def: $vgpr68
                                        ; implicit-def: $vgpr69
	s_cbranch_execz .LBB470_55
; %bb.57:
	v_mov_b32_e32 v5, 0
	v_cmp_gt_u64_e32 vcc, s[54:55], v[4:5]
	v_cmp_ne_u32_e64 s[0:1], v9, v1
	s_and_b64 s[0:1], vcc, s[0:1]
	v_mov_b32_e32 v45, v5
	v_cndmask_b32_e64 v56, 0, 1, s[0:1]
	v_cmp_gt_u64_e32 vcc, s[54:55], v[44:45]
	v_cmp_ne_u32_e64 s[0:1], v8, v9
	s_and_b64 s[0:1], vcc, s[0:1]
	v_mov_b32_e32 v43, v5
	v_cndmask_b32_e64 v57, 0, 1, s[0:1]
	v_cmp_gt_u64_e32 vcc, s[54:55], v[42:43]
	v_cmp_ne_u32_e64 s[0:1], v11, v8
	s_and_b64 s[0:1], vcc, s[0:1]
	v_mov_b32_e32 v41, v5
	v_cndmask_b32_e64 v58, 0, 1, s[0:1]
	v_cmp_gt_u64_e32 vcc, s[54:55], v[40:41]
	v_cmp_ne_u32_e64 s[0:1], v10, v11
	s_and_b64 s[0:1], vcc, s[0:1]
	v_mov_b32_e32 v39, v5
	v_cndmask_b32_e64 v59, 0, 1, s[0:1]
	v_cmp_gt_u64_e32 vcc, s[54:55], v[38:39]
	v_cmp_ne_u32_e64 s[0:1], v13, v10
	s_and_b64 s[0:1], vcc, s[0:1]
	v_mov_b32_e32 v37, v5
	v_cndmask_b32_e64 v60, 0, 1, s[0:1]
	v_cmp_gt_u64_e32 vcc, s[54:55], v[36:37]
	v_cmp_ne_u32_e64 s[0:1], v12, v13
	s_and_b64 s[0:1], vcc, s[0:1]
	v_mov_b32_e32 v35, v5
	v_cndmask_b32_e64 v61, 0, 1, s[0:1]
	v_cmp_gt_u64_e32 vcc, s[54:55], v[34:35]
	v_cmp_ne_u32_e64 s[0:1], v15, v12
	s_and_b64 s[0:1], vcc, s[0:1]
	v_mov_b32_e32 v33, v5
	v_cndmask_b32_e64 v62, 0, 1, s[0:1]
	v_cmp_gt_u64_e32 vcc, s[54:55], v[32:33]
	v_cmp_ne_u32_e64 s[0:1], v14, v15
	s_and_b64 s[0:1], vcc, s[0:1]
	v_mov_b32_e32 v31, v5
	v_cndmask_b32_e64 v63, 0, 1, s[0:1]
	v_cmp_gt_u64_e32 vcc, s[54:55], v[30:31]
	v_cmp_ne_u32_e64 s[0:1], v17, v14
	s_and_b64 s[0:1], vcc, s[0:1]
	v_mov_b32_e32 v29, v5
	v_cndmask_b32_e64 v64, 0, 1, s[0:1]
	v_cmp_gt_u64_e32 vcc, s[54:55], v[28:29]
	v_cmp_ne_u32_e64 s[0:1], v16, v17
	s_and_b64 s[0:1], vcc, s[0:1]
	v_mov_b32_e32 v27, v5
	v_cndmask_b32_e64 v65, 0, 1, s[0:1]
	v_cmp_gt_u64_e32 vcc, s[54:55], v[26:27]
	v_cmp_ne_u32_e64 s[0:1], v19, v16
	s_and_b64 s[0:1], vcc, s[0:1]
	v_mov_b32_e32 v25, v5
	v_cndmask_b32_e64 v66, 0, 1, s[0:1]
	v_cmp_gt_u64_e32 vcc, s[54:55], v[24:25]
	v_cmp_ne_u32_e64 s[0:1], v18, v19
	s_and_b64 s[0:1], vcc, s[0:1]
	v_mov_b32_e32 v23, v5
	v_cndmask_b32_e64 v67, 0, 1, s[0:1]
	v_cmp_gt_u64_e32 vcc, s[54:55], v[22:23]
	v_cmp_ne_u32_e64 s[0:1], v21, v18
	s_and_b64 s[0:1], vcc, s[0:1]
	v_mov_b32_e32 v7, v5
	v_cndmask_b32_e64 v68, 0, 1, s[0:1]
	v_cmp_gt_u64_e32 vcc, s[54:55], v[6:7]
	v_cmp_ne_u32_e64 s[0:1], v20, v21
	s_and_b64 s[0:1], vcc, s[0:1]
	v_lshlrev_b32_e32 v2, 2, v0
	s_mov_b32 s10, 1
	v_cndmask_b32_e64 v69, 0, 1, s[0:1]
	ds_write_b32 v2, v1
	s_waitcnt lgkmcnt(0)
	s_barrier
	s_waitcnt lgkmcnt(0)
                                        ; implicit-def: $sgpr4_sgpr5
	s_and_saveexec_b64 s[6:7], s[2:3]
	s_cbranch_execz .LBB470_150
; %bb.58:
	v_add_u32_e32 v2, -4, v2
	ds_read_b32 v2, v2
	v_mul_u32_u24_e32 v4, 15, v0
	v_cmp_gt_u64_e32 vcc, s[54:55], v[4:5]
	s_or_b64 s[52:53], s[52:53], exec
	s_waitcnt lgkmcnt(0)
	v_cmp_ne_u32_e64 s[0:1], v2, v20
	s_and_b64 s[0:1], vcc, s[0:1]
	s_and_b64 s[4:5], s[0:1], exec
	s_or_b64 exec, exec, s[6:7]
.LBB470_59:
	v_mov_b32_e32 v70, s10
	s_and_saveexec_b64 s[0:1], s[52:53]
.LBB470_60:
	v_cndmask_b32_e64 v70, 0, 1, s[4:5]
.LBB470_61:
	s_or_b64 exec, exec, s[0:1]
	s_cmp_eq_u64 s[38:39], 0
	v_add3_u32 v2, v69, v70, v68
	s_cselect_b64 s[38:39], -1, 0
	s_cmp_lg_u32 s56, 0
	v_cmp_eq_u32_e64 s[26:27], 0, v69
	v_cmp_eq_u32_e64 s[24:25], 0, v68
	;; [unrolled: 1-line block ×3, first 2 shown]
	v_add3_u32 v72, v2, v67, v66
	v_cmp_eq_u32_e64 s[20:21], 0, v66
	v_cmp_eq_u32_e64 s[18:19], 0, v65
	;; [unrolled: 1-line block ×10, first 2 shown]
	v_cmp_eq_u32_e32 vcc, 0, v56
	v_mbcnt_lo_u32_b32 v71, -1, 0
	v_lshrrev_b32_e32 v54, 6, v0
	v_or_b32_e32 v55, 63, v0
	s_cbranch_scc0 .LBB470_88
; %bb.62:
	v_cndmask_b32_e64 v2, 0, v52, s[26:27]
	v_add_u32_e32 v2, v2, v52
	v_cndmask_b32_e64 v2, 0, v2, s[24:25]
	v_add_u32_e32 v2, v2, v52
	;; [unrolled: 2-line block ×11, first 2 shown]
	v_cndmask_b32_e64 v2, 0, v2, s[4:5]
	v_add3_u32 v3, v72, v65, v64
	v_add_u32_e32 v2, v2, v52
	v_add3_u32 v3, v3, v63, v62
	v_cndmask_b32_e64 v2, 0, v2, s[2:3]
	v_add3_u32 v3, v3, v61, v60
	v_add_u32_e32 v2, v2, v52
	v_add3_u32 v3, v3, v59, v58
	v_cndmask_b32_e32 v2, 0, v2, vcc
	v_add3_u32 v3, v3, v57, v56
	v_add_u32_e32 v2, v2, v53
	v_mbcnt_hi_u32_b32 v25, -1, v71
	v_and_b32_e32 v4, 15, v25
	v_mov_b32_dpp v6, v2 row_shr:1 row_mask:0xf bank_mask:0xf
	v_cmp_eq_u32_e32 vcc, 0, v3
	v_mov_b32_dpp v5, v3 row_shr:1 row_mask:0xf bank_mask:0xf
	v_cmp_lt_u32_e64 s[0:1], 1, v4
	v_cndmask_b32_e32 v6, 0, v6, vcc
	v_cmp_eq_u32_e32 vcc, 0, v4
	s_nop 1
	v_cndmask_b32_e64 v5, v5, 0, vcc
	v_add_u32_e32 v3, v5, v3
	v_cndmask_b32_e64 v5, v6, 0, vcc
	v_add_u32_e32 v2, v5, v2
	v_cmp_eq_u32_e32 vcc, 0, v3
	v_mov_b32_dpp v5, v3 row_shr:2 row_mask:0xf bank_mask:0xf
	v_mov_b32_dpp v6, v2 row_shr:2 row_mask:0xf bank_mask:0xf
	v_cndmask_b32_e64 v5, 0, v5, s[0:1]
	s_and_b64 vcc, s[0:1], vcc
	v_cndmask_b32_e32 v6, 0, v6, vcc
	v_add_u32_e32 v3, v3, v5
	v_add_u32_e32 v2, v6, v2
	v_cmp_eq_u32_e32 vcc, 0, v3
	v_mov_b32_dpp v5, v3 row_shr:4 row_mask:0xf bank_mask:0xf
	v_cmp_lt_u32_e64 s[0:1], 3, v4
	v_mov_b32_dpp v6, v2 row_shr:4 row_mask:0xf bank_mask:0xf
	s_and_b64 vcc, s[0:1], vcc
	v_cndmask_b32_e64 v5, 0, v5, s[0:1]
	v_cndmask_b32_e32 v6, 0, v6, vcc
	v_add_u32_e32 v3, v5, v3
	v_add_u32_e32 v2, v2, v6
	v_cmp_eq_u32_e32 vcc, 0, v3
	v_cmp_lt_u32_e64 s[0:1], 7, v4
	v_mov_b32_dpp v5, v3 row_shr:8 row_mask:0xf bank_mask:0xf
	v_mov_b32_dpp v6, v2 row_shr:8 row_mask:0xf bank_mask:0xf
	s_and_b64 vcc, s[0:1], vcc
	v_cndmask_b32_e64 v4, 0, v5, s[0:1]
	v_cndmask_b32_e32 v5, 0, v6, vcc
	v_add_u32_e32 v2, v5, v2
	v_add_u32_e32 v3, v4, v3
	v_bfe_i32 v6, v25, 4, 1
	v_mov_b32_dpp v5, v2 row_bcast:15 row_mask:0xf bank_mask:0xf
	v_mov_b32_dpp v4, v3 row_bcast:15 row_mask:0xf bank_mask:0xf
	v_cmp_eq_u32_e32 vcc, 0, v3
	v_and_b32_e32 v4, v6, v4
	v_add_u32_e32 v3, v4, v3
	v_cndmask_b32_e32 v5, 0, v5, vcc
	v_and_b32_e32 v4, v6, v5
	v_add_u32_e32 v4, v4, v2
	v_mov_b32_dpp v2, v3 row_bcast:31 row_mask:0xf bank_mask:0xf
	v_cmp_eq_u32_e32 vcc, 0, v3
	v_cmp_lt_u32_e64 s[0:1], 31, v25
	v_mov_b32_dpp v5, v4 row_bcast:31 row_mask:0xf bank_mask:0xf
	s_and_b64 vcc, s[0:1], vcc
	v_cndmask_b32_e64 v2, 0, v2, s[0:1]
	v_add_u32_e32 v2, v2, v3
	v_cndmask_b32_e32 v3, 0, v5, vcc
	v_add_u32_e32 v3, v3, v4
	v_cmp_eq_u32_e32 vcc, v55, v0
	v_lshlrev_b32_e32 v4, 3, v54
	s_and_saveexec_b64 s[0:1], vcc
	s_cbranch_execz .LBB470_64
; %bb.63:
	ds_write_b64 v4, v[2:3] offset:4112
.LBB470_64:
	s_or_b64 exec, exec, s[0:1]
	v_cmp_gt_u32_e32 vcc, 8, v0
	s_waitcnt lgkmcnt(0)
	s_barrier
	s_and_saveexec_b64 s[28:29], vcc
	s_cbranch_execz .LBB470_66
; %bb.65:
	v_lshlrev_b32_e32 v5, 3, v0
	ds_read_b64 v[6:7], v5 offset:4112
	v_and_b32_e32 v22, 7, v25
	v_cmp_lt_u32_e64 s[0:1], 1, v22
	s_waitcnt lgkmcnt(0)
	v_mov_b32_dpp v24, v7 row_shr:1 row_mask:0xf bank_mask:0xf
	v_cmp_eq_u32_e32 vcc, 0, v6
	v_mov_b32_dpp v23, v6 row_shr:1 row_mask:0xf bank_mask:0xf
	s_nop 0
	v_cndmask_b32_e32 v24, 0, v24, vcc
	v_cmp_eq_u32_e32 vcc, 0, v22
	s_nop 1
	v_cndmask_b32_e64 v23, v23, 0, vcc
	v_add_u32_e32 v6, v23, v6
	v_cndmask_b32_e64 v23, v24, 0, vcc
	v_add_u32_e32 v7, v23, v7
	v_cmp_eq_u32_e32 vcc, 0, v6
	v_mov_b32_dpp v23, v6 row_shr:2 row_mask:0xf bank_mask:0xf
	v_mov_b32_dpp v24, v7 row_shr:2 row_mask:0xf bank_mask:0xf
	v_cndmask_b32_e64 v23, 0, v23, s[0:1]
	s_and_b64 vcc, s[0:1], vcc
	v_cndmask_b32_e32 v24, 0, v24, vcc
	v_add_u32_e32 v6, v23, v6
	v_add_u32_e32 v7, v24, v7
	v_cmp_eq_u32_e32 vcc, 0, v6
	v_mov_b32_dpp v23, v6 row_shr:4 row_mask:0xf bank_mask:0xf
	v_cmp_lt_u32_e64 s[0:1], 3, v22
	v_mov_b32_dpp v24, v7 row_shr:4 row_mask:0xf bank_mask:0xf
	s_and_b64 vcc, s[0:1], vcc
	v_cndmask_b32_e64 v22, 0, v23, s[0:1]
	v_add_u32_e32 v6, v22, v6
	v_cndmask_b32_e32 v22, 0, v24, vcc
	v_add_u32_e32 v7, v22, v7
	ds_write_b64 v5, v[6:7] offset:4112
.LBB470_66:
	s_or_b64 exec, exec, s[28:29]
	v_cmp_gt_u32_e32 vcc, 64, v0
	v_cmp_lt_u32_e64 s[0:1], 63, v0
	v_mov_b32_e32 v22, 0
	v_mov_b32_e32 v23, 0
	s_waitcnt lgkmcnt(0)
	s_barrier
	s_and_saveexec_b64 s[28:29], s[0:1]
	s_cbranch_execz .LBB470_68
; %bb.67:
	ds_read_b64 v[22:23], v4 offset:4104
	v_cmp_eq_u32_e64 s[0:1], 0, v2
	s_waitcnt lgkmcnt(0)
	v_add_u32_e32 v4, v22, v2
	v_cndmask_b32_e64 v2, 0, v23, s[0:1]
	v_add_u32_e32 v3, v2, v3
	v_mov_b32_e32 v2, v4
.LBB470_68:
	s_or_b64 exec, exec, s[28:29]
	v_add_u32_e32 v4, -1, v25
	v_and_b32_e32 v5, 64, v25
	v_cmp_lt_i32_e64 s[0:1], v4, v5
	v_cmp_eq_u32_e64 s[28:29], 0, v25
	s_nop 0
	v_cndmask_b32_e64 v4, v4, v25, s[0:1]
	v_lshlrev_b32_e32 v4, 2, v4
	ds_bpermute_b32 v30, v4, v2
	ds_bpermute_b32 v31, v4, v3
	s_and_saveexec_b64 s[52:53], vcc
	s_cbranch_execz .LBB470_87
; %bb.69:
	v_mov_b32_e32 v7, 0
	ds_read_b64 v[2:3], v7 offset:4168
	s_waitcnt lgkmcnt(0)
	v_readfirstlane_b32 s57, v2
	v_readfirstlane_b32 s58, v3
	s_and_saveexec_b64 s[0:1], s[28:29]
	s_cbranch_execz .LBB470_71
; %bb.70:
	s_add_i32 s54, s56, 64
	s_mov_b32 s55, 0
	s_lshl_b64 s[60:61], s[54:55], 4
	s_add_u32 s60, s36, s60
	s_addc_u32 s61, s37, s61
	s_and_b32 s63, s58, 0xff000000
	s_mov_b32 s62, s55
	s_and_b32 s65, s58, 0xff0000
	s_mov_b32 s64, s55
	s_or_b64 s[62:63], s[64:65], s[62:63]
	s_and_b32 s65, s58, 0xff00
	s_or_b64 s[62:63], s[62:63], s[64:65]
	s_and_b32 s65, s58, 0xff
	s_or_b64 s[54:55], s[62:63], s[64:65]
	v_mov_b32_e32 v4, s57
	v_mov_b32_e32 v5, s55
	;; [unrolled: 1-line block ×3, first 2 shown]
	v_mov_b64_e32 v[2:3], s[60:61]
	;;#ASMSTART
	global_store_dwordx4 v[2:3], v[4:7] off sc1	
s_waitcnt vmcnt(0)
	;;#ASMEND
.LBB470_71:
	s_or_b64 exec, exec, s[0:1]
	v_xad_u32 v24, v25, -1, s56
	v_add_u32_e32 v6, 64, v24
	v_lshl_add_u64 v[26:27], v[6:7], 4, s[36:37]
	;;#ASMSTART
	global_load_dwordx4 v[2:5], v[26:27] off sc1	
s_waitcnt vmcnt(0)
	;;#ASMEND
	s_nop 0
	v_and_b32_e32 v5, 0xff, v3
	v_and_b32_e32 v6, 0xff00, v3
	v_or3_b32 v2, v2, 0, 0
	v_and_b32_e32 v28, 0xff000000, v3
	v_or3_b32 v5, 0, v5, v6
	v_and_b32_e32 v3, 0xff0000, v3
	v_or3_b32 v3, v5, v3, v28
	v_or3_b32 v2, v2, 0, 0
	v_cmp_eq_u16_sdwa s[54:55], v4, v7 src0_sel:BYTE_0 src1_sel:DWORD
	s_and_saveexec_b64 s[0:1], s[54:55]
	s_cbranch_execz .LBB470_75
; %bb.72:
	s_mov_b64 s[54:55], 0
	v_mov_b32_e32 v6, 0
.LBB470_73:                             ; =>This Inner Loop Header: Depth=1
	;;#ASMSTART
	global_load_dwordx4 v[2:5], v[26:27] off sc1	
s_waitcnt vmcnt(0)
	;;#ASMEND
	s_nop 0
	v_cmp_ne_u16_sdwa s[60:61], v4, v6 src0_sel:BYTE_0 src1_sel:DWORD
	s_or_b64 s[54:55], s[60:61], s[54:55]
	s_andn2_b64 exec, exec, s[54:55]
	s_cbranch_execnz .LBB470_73
; %bb.74:
	s_or_b64 exec, exec, s[54:55]
.LBB470_75:
	s_or_b64 exec, exec, s[0:1]
	v_mov_b32_e32 v32, 2
	v_cmp_eq_u16_sdwa s[0:1], v4, v32 src0_sel:BYTE_0 src1_sel:DWORD
	v_lshlrev_b64 v[26:27], v25, -1
	v_and_b32_e32 v33, 63, v25
	v_and_b32_e32 v5, s1, v27
	v_or_b32_e32 v5, 0x80000000, v5
	v_cmp_ne_u32_e32 vcc, 63, v33
	v_and_b32_e32 v6, s0, v26
	v_ffbl_b32_e32 v5, v5
	v_addc_co_u32_e32 v7, vcc, 0, v25, vcc
	v_add_u32_e32 v5, 32, v5
	v_ffbl_b32_e32 v6, v6
	v_lshlrev_b32_e32 v34, 2, v7
	v_min_u32_e32 v5, v6, v5
	ds_bpermute_b32 v6, v34, v3
	v_cmp_eq_u32_e32 vcc, 0, v2
	v_cmp_lt_u32_e64 s[0:1], v33, v5
	ds_bpermute_b32 v7, v34, v2
	s_and_b64 vcc, s[0:1], vcc
	s_waitcnt lgkmcnt(1)
	v_cndmask_b32_e32 v6, 0, v6, vcc
	v_cmp_gt_u32_e32 vcc, 62, v33
	v_add_u32_e32 v3, v6, v3
	s_waitcnt lgkmcnt(0)
	v_cndmask_b32_e64 v7, 0, v7, s[0:1]
	v_cndmask_b32_e64 v6, 0, 1, vcc
	v_lshlrev_b32_e32 v6, 1, v6
	v_add_lshl_u32 v35, v6, v25, 2
	ds_bpermute_b32 v6, v35, v3
	v_add_u32_e32 v2, v7, v2
	ds_bpermute_b32 v7, v35, v2
	v_add_u32_e32 v36, 2, v33
	v_cmp_eq_u32_e32 vcc, 0, v2
	v_add_u32_e32 v38, 4, v33
	v_add_u32_e32 v40, 8, v33
	s_waitcnt lgkmcnt(1)
	v_cndmask_b32_e32 v6, 0, v6, vcc
	v_cmp_gt_u32_e32 vcc, v36, v5
	v_add_u32_e32 v42, 16, v33
	v_add_u32_e32 v44, 32, v33
	v_cndmask_b32_e64 v6, v6, 0, vcc
	v_add_u32_e32 v3, v6, v3
	s_waitcnt lgkmcnt(0)
	v_cndmask_b32_e64 v6, v7, 0, vcc
	v_cmp_gt_u32_e32 vcc, 60, v33
	v_add_u32_e32 v2, v2, v6
	s_nop 0
	v_cndmask_b32_e64 v7, 0, 1, vcc
	v_lshlrev_b32_e32 v7, 2, v7
	v_add_lshl_u32 v37, v7, v25, 2
	ds_bpermute_b32 v7, v37, v3
	ds_bpermute_b32 v6, v37, v2
	v_cmp_eq_u32_e32 vcc, 0, v2
	s_waitcnt lgkmcnt(1)
	s_nop 0
	v_cndmask_b32_e32 v7, 0, v7, vcc
	v_cmp_gt_u32_e32 vcc, v38, v5
	s_nop 1
	v_cndmask_b32_e64 v7, v7, 0, vcc
	s_waitcnt lgkmcnt(0)
	v_cndmask_b32_e64 v6, v6, 0, vcc
	v_cmp_gt_u32_e32 vcc, 56, v33
	v_add_u32_e32 v3, v3, v7
	v_add_u32_e32 v2, v2, v6
	v_cndmask_b32_e64 v7, 0, 1, vcc
	v_lshlrev_b32_e32 v7, 3, v7
	v_add_lshl_u32 v39, v7, v25, 2
	ds_bpermute_b32 v7, v39, v3
	ds_bpermute_b32 v6, v39, v2
	v_cmp_eq_u32_e32 vcc, 0, v2
	s_waitcnt lgkmcnt(1)
	s_nop 0
	v_cndmask_b32_e32 v7, 0, v7, vcc
	v_cmp_gt_u32_e32 vcc, v40, v5
	s_nop 1
	v_cndmask_b32_e64 v7, v7, 0, vcc
	s_waitcnt lgkmcnt(0)
	v_cndmask_b32_e64 v6, v6, 0, vcc
	v_cmp_gt_u32_e32 vcc, 48, v33
	v_add_u32_e32 v3, v3, v7
	v_add_u32_e32 v2, v2, v6
	;; [unrolled: 17-line block ×3, first 2 shown]
	v_cndmask_b32_e64 v7, 0, 1, vcc
	v_lshlrev_b32_e32 v7, 5, v7
	v_add_lshl_u32 v43, v7, v25, 2
	ds_bpermute_b32 v7, v43, v3
	ds_bpermute_b32 v6, v43, v2
	v_cmp_eq_u32_e32 vcc, 0, v2
	v_mov_b32_e32 v25, 0
	s_waitcnt lgkmcnt(1)
	v_cndmask_b32_e32 v7, 0, v7, vcc
	v_cmp_gt_u32_e32 vcc, v44, v5
	s_nop 1
	v_cndmask_b32_e64 v5, v7, 0, vcc
	v_add_u32_e32 v3, v5, v3
	s_waitcnt lgkmcnt(0)
	v_cndmask_b32_e64 v5, v6, 0, vcc
	v_add_u32_e32 v2, v5, v2
	s_branch .LBB470_77
.LBB470_76:                             ;   in Loop: Header=BB470_77 Depth=1
	s_or_b64 exec, exec, s[0:1]
	v_cmp_eq_u16_sdwa s[0:1], v4, v32 src0_sel:BYTE_0 src1_sel:DWORD
	v_cmp_eq_u32_e32 vcc, 0, v2
	ds_bpermute_b32 v29, v34, v2
	v_and_b32_e32 v5, s1, v27
	v_or_b32_e32 v5, 0x80000000, v5
	v_and_b32_e32 v28, s0, v26
	v_ffbl_b32_e32 v5, v5
	v_add_u32_e32 v5, 32, v5
	v_ffbl_b32_e32 v28, v28
	v_min_u32_e32 v5, v28, v5
	ds_bpermute_b32 v28, v34, v3
	v_cmp_lt_u32_e64 s[0:1], v33, v5
	s_and_b64 vcc, s[0:1], vcc
	v_subrev_u32_e32 v24, 64, v24
	s_waitcnt lgkmcnt(1)
	v_cndmask_b32_e64 v29, 0, v29, s[0:1]
	s_waitcnt lgkmcnt(0)
	v_cndmask_b32_e32 v28, 0, v28, vcc
	v_add_u32_e32 v3, v28, v3
	ds_bpermute_b32 v28, v35, v3
	v_add_u32_e32 v2, v29, v2
	v_cmp_eq_u32_e32 vcc, 0, v2
	ds_bpermute_b32 v29, v35, v2
	s_waitcnt lgkmcnt(1)
	v_cndmask_b32_e32 v28, 0, v28, vcc
	v_cmp_gt_u32_e32 vcc, v36, v5
	s_nop 1
	v_cndmask_b32_e64 v28, v28, 0, vcc
	v_add_u32_e32 v3, v28, v3
	ds_bpermute_b32 v28, v37, v3
	s_waitcnt lgkmcnt(1)
	v_cndmask_b32_e64 v29, v29, 0, vcc
	v_add_u32_e32 v2, v2, v29
	v_cmp_eq_u32_e32 vcc, 0, v2
	ds_bpermute_b32 v29, v37, v2
	s_waitcnt lgkmcnt(1)
	v_cndmask_b32_e32 v28, 0, v28, vcc
	v_cmp_gt_u32_e32 vcc, v38, v5
	s_nop 1
	v_cndmask_b32_e64 v28, v28, 0, vcc
	v_add_u32_e32 v3, v3, v28
	ds_bpermute_b32 v28, v39, v3
	s_waitcnt lgkmcnt(1)
	v_cndmask_b32_e64 v29, v29, 0, vcc
	v_add_u32_e32 v2, v2, v29
	ds_bpermute_b32 v29, v39, v2
	v_cmp_eq_u32_e32 vcc, 0, v2
	s_waitcnt lgkmcnt(1)
	s_nop 0
	v_cndmask_b32_e32 v28, 0, v28, vcc
	v_cmp_gt_u32_e32 vcc, v40, v5
	s_nop 1
	v_cndmask_b32_e64 v28, v28, 0, vcc
	v_add_u32_e32 v3, v3, v28
	ds_bpermute_b32 v28, v41, v3
	s_waitcnt lgkmcnt(1)
	v_cndmask_b32_e64 v29, v29, 0, vcc
	v_add_u32_e32 v2, v2, v29
	ds_bpermute_b32 v29, v41, v2
	v_cmp_eq_u32_e32 vcc, 0, v2
	s_waitcnt lgkmcnt(1)
	s_nop 0
	;; [unrolled: 13-line block ×3, first 2 shown]
	v_cndmask_b32_e32 v28, 0, v28, vcc
	v_cmp_gt_u32_e32 vcc, v44, v5
	s_nop 1
	v_cndmask_b32_e64 v5, v28, 0, vcc
	v_add_u32_e32 v3, v5, v3
	s_waitcnt lgkmcnt(0)
	v_cndmask_b32_e64 v5, v29, 0, vcc
	v_cmp_eq_u32_e32 vcc, 0, v6
	v_add3_u32 v2, v2, v6, v5
	s_nop 0
	v_cndmask_b32_e32 v3, 0, v3, vcc
	v_add_u32_e32 v3, v3, v7
.LBB470_77:                             ; =>This Loop Header: Depth=1
                                        ;     Child Loop BB470_80 Depth 2
	v_cmp_ne_u16_sdwa s[0:1], v4, v32 src0_sel:BYTE_0 src1_sel:DWORD
	v_mov_b32_e32 v7, v3
	v_mov_b32_e32 v6, v2
	v_cndmask_b32_e64 v3, 0, 1, s[0:1]
	;;#ASMSTART
	;;#ASMEND
	s_nop 0
	v_cmp_ne_u32_e32 vcc, 0, v3
	s_cmp_lg_u64 vcc, exec
	s_cbranch_scc1 .LBB470_82
; %bb.78:                               ;   in Loop: Header=BB470_77 Depth=1
	v_lshl_add_u64 v[28:29], v[24:25], 4, s[36:37]
	;;#ASMSTART
	global_load_dwordx4 v[2:5], v[28:29] off sc1	
s_waitcnt vmcnt(0)
	;;#ASMEND
	s_nop 0
	v_and_b32_e32 v5, 0xff, v3
	v_and_b32_e32 v45, 0xff00, v3
	v_or3_b32 v2, v2, 0, 0
	v_and_b32_e32 v46, 0xff000000, v3
	v_or3_b32 v5, 0, v5, v45
	;; [unrolled: 2-line block ×3, first 2 shown]
	v_or3_b32 v2, v2, 0, 0
	v_cmp_eq_u16_sdwa s[54:55], v4, v25 src0_sel:BYTE_0 src1_sel:DWORD
	s_and_saveexec_b64 s[0:1], s[54:55]
	s_cbranch_execz .LBB470_76
; %bb.79:                               ;   in Loop: Header=BB470_77 Depth=1
	s_mov_b64 s[54:55], 0
.LBB470_80:                             ;   Parent Loop BB470_77 Depth=1
                                        ; =>  This Inner Loop Header: Depth=2
	;;#ASMSTART
	global_load_dwordx4 v[2:5], v[28:29] off sc1	
s_waitcnt vmcnt(0)
	;;#ASMEND
	s_nop 0
	v_cmp_ne_u16_sdwa s[60:61], v4, v25 src0_sel:BYTE_0 src1_sel:DWORD
	s_or_b64 s[54:55], s[60:61], s[54:55]
	s_andn2_b64 exec, exec, s[54:55]
	s_cbranch_execnz .LBB470_80
; %bb.81:                               ;   in Loop: Header=BB470_77 Depth=1
	s_or_b64 exec, exec, s[54:55]
	s_branch .LBB470_76
.LBB470_82:                             ;   in Loop: Header=BB470_77 Depth=1
                                        ; implicit-def: $vgpr3
                                        ; implicit-def: $vgpr2
                                        ; implicit-def: $vgpr4
	s_cbranch_execz .LBB470_77
; %bb.83:
	s_and_saveexec_b64 s[0:1], s[28:29]
	s_cbranch_execz .LBB470_85
; %bb.84:
	s_cmp_eq_u32 s57, 0
	s_cselect_b64 vcc, -1, 0
	s_mov_b32 s55, 0
	v_cndmask_b32_e32 v2, 0, v7, vcc
	s_add_i32 s54, s56, 64
	v_add_u32_e32 v2, s58, v2
	s_lshl_b64 s[54:55], s[54:55], 4
	s_add_u32 s54, s36, s54
	v_and_b32_e32 v3, 0xff000000, v2
	v_and_b32_e32 v4, 0xff0000, v2
	s_addc_u32 s55, s37, s55
	v_or_b32_e32 v3, v4, v3
	v_and_b32_e32 v4, 0xff00, v2
	v_and_b32_e32 v2, 0xff, v2
	v_add_u32_e32 v24, s57, v6
	v_mov_b32_e32 v27, 0
	v_or3_b32 v25, v3, v4, v2
	v_mov_b32_e32 v26, 2
	v_mov_b64_e32 v[2:3], s[54:55]
	;;#ASMSTART
	global_store_dwordx4 v[2:3], v[24:27] off sc1	
s_waitcnt vmcnt(0)
	;;#ASMEND
	v_mov_b32_e32 v4, s57
	v_mov_b32_e32 v5, s58
	ds_write_b128 v27, v[4:7] offset:4096
.LBB470_85:
	s_or_b64 exec, exec, s[0:1]
	s_and_b64 exec, exec, s[34:35]
	s_cbranch_execz .LBB470_87
; %bb.86:
	v_mov_b32_e32 v2, 0
	ds_write_b64 v2, v[6:7] offset:4168
.LBB470_87:
	s_or_b64 exec, exec, s[52:53]
	v_mov_b32_e32 v4, 0
	s_waitcnt lgkmcnt(0)
	s_barrier
	ds_read_b64 v[2:3], v4 offset:4168
	v_cndmask_b32_e64 v6, v30, v22, s[28:29]
	v_cmp_eq_u32_e32 vcc, 0, v6
	v_cndmask_b32_e64 v5, v31, v23, s[28:29]
	s_waitcnt lgkmcnt(0)
	v_cndmask_b32_e32 v7, 0, v3, vcc
	v_add_u32_e32 v5, v7, v5
	v_cndmask_b32_e64 v51, v5, v3, s[34:35]
	v_cndmask_b32_e64 v3, v6, 0, s[34:35]
	v_cmp_eq_u32_e32 vcc, 0, v70
	v_add_u32_e32 v50, v2, v3
	v_add_u32_e32 v48, v50, v70
	v_cndmask_b32_e32 v2, 0, v51, vcc
	v_add_u32_e32 v49, v2, v52
	v_cndmask_b32_e64 v2, 0, v49, s[26:27]
	v_add_u32_e32 v47, v2, v52
	v_cndmask_b32_e64 v2, 0, v47, s[24:25]
	;; [unrolled: 2-line block ×8, first 2 shown]
	v_add_u32_e32 v33, v2, v52
	v_add_u32_e32 v46, v48, v69
	v_cndmask_b32_e64 v2, 0, v33, s[10:11]
	v_add_u32_e32 v44, v46, v68
	v_add_u32_e32 v31, v2, v52
	v_add_u32_e32 v42, v44, v67
	v_cndmask_b32_e64 v2, 0, v31, s[8:9]
	v_add_u32_e32 v40, v42, v66
	;; [unrolled: 4-line block ×3, first 2 shown]
	v_add_u32_e32 v27, v2, v52
	s_barrier
	ds_read_b128 v[2:5], v4 offset:4096
	v_add_u32_e32 v34, v36, v63
	v_add_u32_e32 v32, v34, v62
	v_add_u32_e32 v30, v32, v61
	v_add_u32_e32 v28, v30, v60
	v_cndmask_b32_e64 v6, 0, v27, s[4:5]
	v_add_u32_e32 v26, v28, v59
	v_add_u32_e32 v23, v6, v52
	s_waitcnt lgkmcnt(0)
	v_cmp_eq_u32_e32 vcc, 0, v2
	v_add_u32_e32 v22, v26, v58
	v_cndmask_b32_e64 v6, 0, v23, s[2:3]
	v_cndmask_b32_e32 v5, 0, v5, vcc
	v_add_u32_e32 v24, v22, v57
	v_add_u32_e32 v25, v6, v52
	;; [unrolled: 1-line block ×3, first 2 shown]
	s_branch .LBB470_100
.LBB470_88:
                                        ; implicit-def: $vgpr2
                                        ; implicit-def: $vgpr6
                                        ; implicit-def: $vgpr24_vgpr25
                                        ; implicit-def: $vgpr22_vgpr23
                                        ; implicit-def: $vgpr26_vgpr27
                                        ; implicit-def: $vgpr28_vgpr29
                                        ; implicit-def: $vgpr50_vgpr51
                                        ; implicit-def: $vgpr48_vgpr49
                                        ; implicit-def: $vgpr46_vgpr47
                                        ; implicit-def: $vgpr44_vgpr45
                                        ; implicit-def: $vgpr42_vgpr43
                                        ; implicit-def: $vgpr40_vgpr41
                                        ; implicit-def: $vgpr38_vgpr39
                                        ; implicit-def: $vgpr36_vgpr37
                                        ; implicit-def: $vgpr34_vgpr35
                                        ; implicit-def: $vgpr32_vgpr33
                                        ; implicit-def: $vgpr30_vgpr31
	s_cbranch_execz .LBB470_100
; %bb.89:
	s_and_b64 s[0:1], s[38:39], exec
	s_cselect_b32 s1, 0, s51
	s_cselect_b32 s0, 0, s50
	s_cmp_eq_u64 s[0:1], 0
	v_mov_b32_e32 v6, v52
	s_cbranch_scc1 .LBB470_91
; %bb.90:
	v_mov_b32_e32 v2, 0
	global_load_dword v6, v2, s[0:1]
.LBB470_91:
	v_cmp_eq_u32_e64 s[2:3], 0, v69
	v_cmp_eq_u32_e64 s[4:5], 0, v68
	v_cmp_eq_u32_e64 s[6:7], 0, v67
	v_cndmask_b32_e64 v2, 0, v52, s[2:3]
	v_add_u32_e32 v2, v2, v52
	v_cndmask_b32_e64 v2, 0, v2, s[4:5]
	v_add_u32_e32 v2, v2, v52
	v_cndmask_b32_e64 v2, 0, v2, s[6:7]
	v_add_u32_e32 v2, v2, v52
	v_cmp_eq_u32_e64 s[8:9], 0, v66
	v_cmp_eq_u32_e64 s[10:11], 0, v65
	v_cmp_eq_u32_e64 s[12:13], 0, v64
	v_cndmask_b32_e64 v2, 0, v2, s[8:9]
	v_add_u32_e32 v2, v2, v52
	v_cndmask_b32_e64 v2, 0, v2, s[10:11]
	v_add_u32_e32 v2, v2, v52
	v_cndmask_b32_e64 v2, 0, v2, s[12:13]
	v_add_u32_e32 v2, v2, v52
	;; [unrolled: 9-line block ×3, first 2 shown]
	v_cmp_eq_u32_e64 s[20:21], 0, v60
	v_cmp_eq_u32_e64 s[22:23], 0, v59
	;; [unrolled: 1-line block ×3, first 2 shown]
	v_cndmask_b32_e64 v2, 0, v2, s[20:21]
	v_add_u32_e32 v2, v2, v52
	v_cndmask_b32_e64 v2, 0, v2, s[22:23]
	v_add_u32_e32 v2, v2, v52
	v_cndmask_b32_e64 v2, 0, v2, s[24:25]
	v_add3_u32 v3, v72, v65, v64
	v_add_u32_e32 v2, v2, v52
	v_cmp_eq_u32_e32 vcc, 0, v57
	v_add3_u32 v3, v3, v63, v62
	v_add3_u32 v3, v3, v61, v60
	v_cndmask_b32_e32 v2, 0, v2, vcc
	v_add_u32_e32 v2, v2, v52
	v_cmp_eq_u32_e64 s[0:1], 0, v56
	v_add3_u32 v3, v3, v59, v58
	v_add3_u32 v3, v3, v57, v56
	v_cndmask_b32_e64 v2, 0, v2, s[0:1]
	v_add_u32_e32 v2, v2, v53
	v_mbcnt_hi_u32_b32 v7, -1, v71
	v_and_b32_e32 v4, 15, v7
	v_mov_b32_dpp v22, v2 row_shr:1 row_mask:0xf bank_mask:0xf
	v_cmp_eq_u32_e64 s[0:1], 0, v3
	v_mov_b32_dpp v5, v3 row_shr:1 row_mask:0xf bank_mask:0xf
	v_cmp_lt_u32_e64 s[26:27], 1, v4
	v_cndmask_b32_e64 v22, 0, v22, s[0:1]
	v_cmp_eq_u32_e64 s[0:1], 0, v4
	s_nop 1
	v_cndmask_b32_e64 v5, v5, 0, s[0:1]
	v_add_u32_e32 v3, v5, v3
	v_cndmask_b32_e64 v5, v22, 0, s[0:1]
	v_add_u32_e32 v2, v5, v2
	v_cmp_eq_u32_e64 s[0:1], 0, v3
	v_mov_b32_dpp v5, v3 row_shr:2 row_mask:0xf bank_mask:0xf
	v_mov_b32_dpp v22, v2 row_shr:2 row_mask:0xf bank_mask:0xf
	v_cndmask_b32_e64 v5, 0, v5, s[26:27]
	s_and_b64 s[0:1], s[26:27], s[0:1]
	v_cndmask_b32_e64 v22, 0, v22, s[0:1]
	v_add_u32_e32 v3, v3, v5
	v_add_u32_e32 v2, v22, v2
	v_cmp_eq_u32_e64 s[0:1], 0, v3
	v_mov_b32_dpp v5, v3 row_shr:4 row_mask:0xf bank_mask:0xf
	v_cmp_lt_u32_e64 s[26:27], 3, v4
	v_mov_b32_dpp v22, v2 row_shr:4 row_mask:0xf bank_mask:0xf
	s_and_b64 s[0:1], s[26:27], s[0:1]
	v_cndmask_b32_e64 v5, 0, v5, s[26:27]
	v_cndmask_b32_e64 v22, 0, v22, s[0:1]
	v_add_u32_e32 v3, v5, v3
	v_add_u32_e32 v2, v2, v22
	v_cmp_eq_u32_e64 s[0:1], 0, v3
	v_cmp_lt_u32_e64 s[26:27], 7, v4
	v_mov_b32_dpp v5, v3 row_shr:8 row_mask:0xf bank_mask:0xf
	v_mov_b32_dpp v22, v2 row_shr:8 row_mask:0xf bank_mask:0xf
	s_and_b64 s[0:1], s[26:27], s[0:1]
	v_cndmask_b32_e64 v4, 0, v5, s[26:27]
	v_cndmask_b32_e64 v5, 0, v22, s[0:1]
	v_add_u32_e32 v2, v5, v2
	v_add_u32_e32 v3, v4, v3
	v_bfe_i32 v22, v7, 4, 1
	v_mov_b32_dpp v5, v2 row_bcast:15 row_mask:0xf bank_mask:0xf
	v_mov_b32_dpp v4, v3 row_bcast:15 row_mask:0xf bank_mask:0xf
	v_cmp_eq_u32_e64 s[0:1], 0, v3
	v_and_b32_e32 v4, v22, v4
	v_add_u32_e32 v3, v4, v3
	v_cndmask_b32_e64 v5, 0, v5, s[0:1]
	v_and_b32_e32 v4, v22, v5
	v_add_u32_e32 v4, v4, v2
	v_mov_b32_dpp v2, v3 row_bcast:31 row_mask:0xf bank_mask:0xf
	v_cmp_eq_u32_e64 s[0:1], 0, v3
	v_cmp_lt_u32_e64 s[26:27], 31, v7
	v_mov_b32_dpp v5, v4 row_bcast:31 row_mask:0xf bank_mask:0xf
	s_and_b64 s[0:1], s[26:27], s[0:1]
	v_cndmask_b32_e64 v2, 0, v2, s[26:27]
	v_add_u32_e32 v2, v2, v3
	v_cndmask_b32_e64 v3, 0, v5, s[0:1]
	v_add_u32_e32 v3, v3, v4
	v_cmp_eq_u32_e64 s[0:1], v55, v0
	v_lshlrev_b32_e32 v5, 3, v54
	s_and_saveexec_b64 s[26:27], s[0:1]
	s_cbranch_execz .LBB470_93
; %bb.92:
	ds_write_b64 v5, v[2:3] offset:4112
.LBB470_93:
	s_or_b64 exec, exec, s[26:27]
	v_cmp_gt_u32_e64 s[0:1], 8, v0
	s_waitcnt lgkmcnt(0)
	s_barrier
	s_and_saveexec_b64 s[28:29], s[0:1]
	s_cbranch_execz .LBB470_95
; %bb.94:
	v_lshlrev_b32_e32 v4, 3, v0
	ds_read_b64 v[22:23], v4 offset:4112
	v_and_b32_e32 v24, 7, v7
	v_cmp_lt_u32_e64 s[26:27], 1, v24
	s_waitcnt lgkmcnt(0)
	v_mov_b32_dpp v26, v23 row_shr:1 row_mask:0xf bank_mask:0xf
	v_cmp_eq_u32_e64 s[0:1], 0, v22
	v_mov_b32_dpp v25, v22 row_shr:1 row_mask:0xf bank_mask:0xf
	s_nop 0
	v_cndmask_b32_e64 v26, 0, v26, s[0:1]
	v_cmp_eq_u32_e64 s[0:1], 0, v24
	s_nop 1
	v_cndmask_b32_e64 v25, v25, 0, s[0:1]
	v_add_u32_e32 v22, v25, v22
	v_cndmask_b32_e64 v25, v26, 0, s[0:1]
	v_add_u32_e32 v23, v25, v23
	v_cmp_eq_u32_e64 s[0:1], 0, v22
	v_mov_b32_dpp v25, v22 row_shr:2 row_mask:0xf bank_mask:0xf
	v_mov_b32_dpp v26, v23 row_shr:2 row_mask:0xf bank_mask:0xf
	v_cndmask_b32_e64 v25, 0, v25, s[26:27]
	s_and_b64 s[0:1], s[26:27], s[0:1]
	v_cndmask_b32_e64 v26, 0, v26, s[0:1]
	v_add_u32_e32 v22, v25, v22
	v_add_u32_e32 v23, v26, v23
	v_cmp_eq_u32_e64 s[0:1], 0, v22
	v_mov_b32_dpp v25, v22 row_shr:4 row_mask:0xf bank_mask:0xf
	v_cmp_lt_u32_e64 s[26:27], 3, v24
	v_mov_b32_dpp v26, v23 row_shr:4 row_mask:0xf bank_mask:0xf
	s_and_b64 s[0:1], s[26:27], s[0:1]
	v_cndmask_b32_e64 v24, 0, v25, s[26:27]
	v_add_u32_e32 v22, v24, v22
	v_cndmask_b32_e64 v24, 0, v26, s[0:1]
	v_add_u32_e32 v23, v24, v23
	ds_write_b64 v4, v[22:23] offset:4112
.LBB470_95:
	s_or_b64 exec, exec, s[28:29]
	v_cmp_lt_u32_e64 s[0:1], 63, v0
	v_mov_b32_e32 v23, 0
	v_mov_b32_e32 v4, 0
	s_waitcnt vmcnt(0)
	v_mov_b32_e32 v22, v6
	s_waitcnt lgkmcnt(0)
	s_barrier
	s_and_saveexec_b64 s[26:27], s[0:1]
	s_cbranch_execz .LBB470_97
; %bb.96:
	ds_read_b64 v[4:5], v5 offset:4104
	s_waitcnt lgkmcnt(0)
	v_cmp_eq_u32_e64 s[0:1], 0, v4
	s_nop 1
	v_cndmask_b32_e64 v22, 0, v6, s[0:1]
	v_add_u32_e32 v22, v22, v5
.LBB470_97:
	s_or_b64 exec, exec, s[26:27]
	v_cmp_eq_u32_e64 s[0:1], 0, v2
	v_add_u32_e32 v5, v4, v2
	v_and_b32_e32 v24, 64, v7
	v_cndmask_b32_e64 v2, 0, v22, s[0:1]
	v_add_u32_e32 v2, v2, v3
	v_add_u32_e32 v3, -1, v7
	v_cmp_lt_i32_e64 s[0:1], v3, v24
	s_nop 1
	v_cndmask_b32_e64 v3, v3, v7, s[0:1]
	v_lshlrev_b32_e32 v3, 2, v3
	ds_bpermute_b32 v2, v3, v2
	ds_bpermute_b32 v5, v3, v5
	v_cmp_eq_u32_e64 s[0:1], 0, v7
	s_waitcnt lgkmcnt(1)
	s_nop 0
	v_cndmask_b32_e64 v2, v2, v22, s[0:1]
	s_waitcnt lgkmcnt(0)
	v_cndmask_b32_e64 v3, v5, v4, s[0:1]
	v_cndmask_b32_e64 v51, v2, v6, s[34:35]
	v_cmp_eq_u32_e64 s[0:1], 0, v70
	v_cndmask_b32_e64 v50, v3, 0, s[34:35]
	v_add_u32_e32 v48, v50, v70
	v_cndmask_b32_e64 v2, 0, v51, s[0:1]
	v_add_u32_e32 v49, v2, v52
	;; [unrolled: 2-line block ×10, first 2 shown]
	v_add_u32_e32 v46, v48, v69
	v_cndmask_b32_e64 v2, 0, v33, s[18:19]
	v_add_u32_e32 v44, v46, v68
	v_add_u32_e32 v31, v2, v52
	v_add_u32_e32 v42, v44, v67
	v_cndmask_b32_e64 v2, 0, v31, s[20:21]
	v_add_u32_e32 v40, v42, v66
	v_add_u32_e32 v29, v2, v52
	;; [unrolled: 4-line block ×3, first 2 shown]
	ds_read_b64 v[2:3], v23 offset:4168
	v_add_u32_e32 v34, v36, v63
	v_add_u32_e32 v32, v34, v62
	;; [unrolled: 1-line block ×3, first 2 shown]
	v_cndmask_b32_e64 v4, 0, v27, s[24:25]
	v_add_u32_e32 v28, v30, v60
	v_add_u32_e32 v23, v4, v52
	;; [unrolled: 1-line block ×3, first 2 shown]
	v_cndmask_b32_e32 v4, 0, v23, vcc
	s_waitcnt lgkmcnt(0)
	v_cmp_eq_u32_e32 vcc, 0, v2
	v_add_u32_e32 v22, v26, v58
	v_add_u32_e32 v25, v4, v52
	v_cndmask_b32_e32 v4, 0, v6, vcc
	v_add_u32_e32 v24, v22, v57
	v_add_u32_e32 v6, v4, v3
	s_and_saveexec_b64 s[0:1], s[34:35]
	s_cbranch_execz .LBB470_99
; %bb.98:
	s_add_u32 s2, s36, 0x400
	v_and_b32_e32 v3, 0xff000000, v6
	v_and_b32_e32 v4, 0xff0000, v6
	s_addc_u32 s3, s37, 0
	v_or_b32_e32 v3, v4, v3
	v_and_b32_e32 v4, 0xff00, v6
	v_and_b32_e32 v7, 0xff, v6
	v_mov_b32_e32 v5, 0
	v_or3_b32 v3, v3, v4, v7
	v_mov_b32_e32 v4, 2
	v_mov_b64_e32 v[52:53], s[2:3]
	;;#ASMSTART
	global_store_dwordx4 v[52:53], v[2:5] off sc1	
s_waitcnt vmcnt(0)
	;;#ASMEND
.LBB470_99:
	s_or_b64 exec, exec, s[0:1]
	v_mov_b32_e32 v4, 0
.LBB470_100:
	s_and_b64 s[0:1], s[38:39], exec
	s_cselect_b32 s1, 0, s31
	s_cselect_b32 s0, 0, s30
	s_cmp_eq_u64 s[0:1], 0
	v_mov_b64_e32 v[52:53], 0
	s_barrier
	s_cbranch_scc1 .LBB470_102
; %bb.101:
	v_mov_b32_e32 v3, 0
	global_load_dwordx2 v[52:53], v3, s[0:1]
.LBB470_102:
	v_cmp_eq_u32_e32 vcc, 0, v70
	s_waitcnt vmcnt(0)
	v_lshlrev_b64 v[54:55], 2, v[52:53]
	v_mov_b32_e32 v5, 0
	v_cndmask_b32_e64 v3, 1, 2, vcc
	v_cmp_eq_u32_e32 vcc, 0, v69
	s_movk_i32 s0, 0x200
	v_lshl_add_u64 v[54:55], s[44:45], 0, v[54:55]
	v_cndmask_b32_e64 v7, 1, 2, vcc
	v_cmp_eq_u32_e32 vcc, 0, v68
	v_and_b32_e32 v3, v7, v3
	v_lshlrev_b64 v[72:73], 2, v[4:5]
	v_cndmask_b32_e64 v7, 1, 2, vcc
	v_cmp_eq_u32_e32 vcc, 0, v67
	v_and_b32_e32 v3, v3, v7
	v_lshl_add_u64 v[54:55], v[54:55], 0, v[72:73]
	v_cndmask_b32_e64 v7, 1, 2, vcc
	v_cmp_eq_u32_e32 vcc, 0, v66
	v_and_b32_e32 v3, v3, v7
	v_cmp_ne_u32_e64 s[30:31], 0, v70
	v_cndmask_b32_e64 v7, 1, 2, vcc
	v_cmp_eq_u32_e32 vcc, 0, v65
	v_and_b32_e32 v3, v3, v7
	v_cmp_ne_u32_e64 s[28:29], 0, v69
	;; [unrolled: 4-line block ×11, first 2 shown]
	v_cndmask_b32_e64 v7, 1, 2, vcc
	v_and_b32_e32 v3, v3, v7
	v_cmp_gt_u32_e32 vcc, s0, v2
	v_cmp_ne_u32_e64 s[8:9], 0, v59
	v_cmp_ne_u32_e64 s[6:7], 0, v58
	;; [unrolled: 1-line block ×4, first 2 shown]
	s_mov_b64 s[36:37], -1
	v_cmp_gt_i16_e64 s[0:1], 2, v3
	s_cbranch_vccz .LBB470_109
; %bb.103:
	s_and_saveexec_b64 s[36:37], s[0:1]
	s_cbranch_execz .LBB470_108
; %bb.104:
	v_cmp_ne_u16_e32 vcc, 1, v3
	s_mov_b64 s[38:39], 0
	s_and_saveexec_b64 s[0:1], vcc
	s_xor_b64 s[0:1], exec, s[0:1]
	s_cbranch_execnz .LBB470_151
; %bb.105:
	s_andn2_saveexec_b64 s[0:1], s[0:1]
	s_cbranch_execnz .LBB470_167
.LBB470_106:
	s_or_b64 exec, exec, s[0:1]
	s_and_b64 exec, exec, s[38:39]
	s_cbranch_execz .LBB470_108
.LBB470_107:
	v_sub_u32_e32 v72, v24, v4
	v_mov_b32_e32 v73, 0
	v_lshl_add_u64 v[72:73], v[72:73], 2, v[54:55]
	global_store_dword v[72:73], v1, off
.LBB470_108:
	s_or_b64 exec, exec, s[36:37]
	s_mov_b64 s[36:37], 0
.LBB470_109:
	s_and_b64 vcc, exec, s[36:37]
	s_cbranch_vccz .LBB470_129
; %bb.110:
	v_cmp_gt_i16_e32 vcc, 2, v3
	s_and_saveexec_b64 s[0:1], vcc
	s_cbranch_execz .LBB470_115
; %bb.111:
	v_cmp_ne_u16_e32 vcc, 1, v3
	s_mov_b64 s[38:39], 0
	s_and_saveexec_b64 s[36:37], vcc
	s_xor_b64 s[36:37], exec, s[36:37]
	s_cbranch_execnz .LBB470_168
; %bb.112:
	s_andn2_saveexec_b64 s[2:3], s[36:37]
	s_cbranch_execnz .LBB470_184
.LBB470_113:
	s_or_b64 exec, exec, s[2:3]
	s_and_b64 exec, exec, s[38:39]
	s_cbranch_execz .LBB470_115
.LBB470_114:
	v_sub_u32_e32 v3, v24, v4
	v_lshlrev_b32_e32 v3, 2, v3
	ds_write_b32 v3, v1
.LBB470_115:
	s_or_b64 exec, exec, s[0:1]
	v_cmp_lt_u32_e32 vcc, v0, v2
	s_waitcnt lgkmcnt(0)
	s_barrier
	s_and_saveexec_b64 s[0:1], vcc
	s_cbranch_execz .LBB470_128
; %bb.116:
	v_xad_u32 v1, v0, -1, v2
	s_movk_i32 s2, 0x1ff
	v_cmp_lt_u32_e32 vcc, s2, v1
	s_mov_b64 s[4:5], -1
	v_mov_b32_e32 v8, v0
	s_and_saveexec_b64 s[2:3], vcc
	s_cbranch_execz .LBB470_125
; %bb.117:
	v_lshrrev_b32_e32 v3, 9, v1
	v_add_u32_e32 v8, -1, v3
	v_or_b32_e32 v1, 0x200, v0
	v_lshrrev_b32_e32 v7, 1, v8
	v_add_u32_e32 v7, 1, v7
	v_cmp_lt_u32_e32 vcc, 13, v8
	v_mov_b32_e32 v14, 0
	v_mov_b64_e32 v[8:9], v[0:1]
	s_and_saveexec_b64 s[4:5], vcc
	s_cbranch_execz .LBB470_121
; %bb.118:
	v_and_b32_e32 v12, -8, v7
	v_lshlrev_b32_e32 v13, 2, v0
	s_mov_b32 s8, 0
	s_mov_b64 s[6:7], 0
	v_mov_b32_e32 v11, 0
	v_mov_b64_e32 v[8:9], v[0:1]
.LBB470_119:                            ; =>This Inner Loop Header: Depth=1
	ds_read2st64_b32 v[16:17], v13 offset1:8
	v_mov_b32_e32 v10, v8
	ds_read2st64_b32 v[76:77], v13 offset0:48 offset1:56
	v_lshl_add_u64 v[94:95], v[10:11], 2, v[54:55]
	v_mov_b32_e32 v10, v9
	ds_read2st64_b32 v[18:19], v13 offset0:16 offset1:24
	ds_read2st64_b32 v[80:81], v13 offset0:64 offset1:72
	v_lshl_add_u64 v[98:99], v[10:11], 2, v[54:55]
	v_add_u32_e32 v10, 0x400, v8
	ds_read2st64_b32 v[84:85], v13 offset0:80 offset1:88
	v_lshl_add_u64 v[100:101], v[10:11], 2, v[54:55]
	v_add_u32_e32 v10, 0x800, v8
	v_add_u32_e32 v14, 0x400, v9
	v_mov_b32_e32 v15, v11
	v_add_u32_e32 v20, 0x800, v9
	ds_read2st64_b32 v[72:73], v13 offset0:32 offset1:40
	v_mov_b32_e32 v21, v11
	ds_read2st64_b32 v[88:89], v13 offset0:96 offset1:104
	v_lshl_add_u64 v[102:103], v[10:11], 2, v[54:55]
	v_add_u32_e32 v10, 0xc00, v8
	v_add_u32_e32 v74, 0xc00, v9
	v_mov_b32_e32 v75, v11
	ds_read2st64_b32 v[92:93], v13 offset0:112 offset1:120
	v_lshl_add_u64 v[96:97], v[14:15], 2, v[54:55]
	v_lshl_add_u64 v[20:21], v[20:21], 2, v[54:55]
	s_waitcnt lgkmcnt(7)
	global_store_dword v[94:95], v16, off
	global_store_dword v[98:99], v17, off
	s_waitcnt lgkmcnt(5)
	global_store_dword v[100:101], v18, off
	global_store_dword v[96:97], v19, off
	s_waitcnt lgkmcnt(2)
	global_store_dword v[102:103], v72, off
	global_store_dword v[20:21], v73, off
	v_lshl_add_u64 v[16:17], v[10:11], 2, v[54:55]
	v_add_u32_e32 v10, 0x1000, v8
	v_add_u32_e32 v78, 0x1000, v9
	v_mov_b32_e32 v79, v11
	v_lshl_add_u64 v[74:75], v[74:75], 2, v[54:55]
	global_store_dword v[16:17], v76, off
	global_store_dword v[74:75], v77, off
	v_lshl_add_u64 v[16:17], v[10:11], 2, v[54:55]
	v_add_u32_e32 v10, 0x1400, v8
	v_add_u32_e32 v82, 0x1400, v9
	v_mov_b32_e32 v83, v11
	v_add_u32_e32 v12, -8, v12
	v_lshl_add_u64 v[78:79], v[78:79], 2, v[54:55]
	global_store_dword v[16:17], v80, off
	global_store_dword v[78:79], v81, off
	v_lshl_add_u64 v[16:17], v[10:11], 2, v[54:55]
	v_add_u32_e32 v10, 0x1800, v8
	v_add_u32_e32 v86, 0x1800, v9
	v_mov_b32_e32 v87, v11
	s_add_i32 s8, s8, 16
	v_lshl_add_u64 v[82:83], v[82:83], 2, v[54:55]
	v_cmp_eq_u32_e32 vcc, 0, v12
	global_store_dword v[16:17], v84, off
	global_store_dword v[82:83], v85, off
	v_lshl_add_u64 v[16:17], v[10:11], 2, v[54:55]
	v_add_u32_e32 v10, 0x1c00, v8
	v_add_u32_e32 v90, 0x1c00, v9
	v_mov_b32_e32 v91, v11
	v_add_u32_e32 v13, 0x8000, v13
	v_lshl_add_u64 v[86:87], v[86:87], 2, v[54:55]
	v_add_u32_e32 v9, 0x2000, v9
	v_mov_b32_e32 v14, s8
	s_or_b64 s[6:7], vcc, s[6:7]
	v_add_u32_e32 v8, 0x2000, v8
	s_waitcnt lgkmcnt(1)
	global_store_dword v[16:17], v88, off
	global_store_dword v[86:87], v89, off
	v_lshl_add_u64 v[16:17], v[10:11], 2, v[54:55]
	v_lshl_add_u64 v[90:91], v[90:91], 2, v[54:55]
	s_waitcnt lgkmcnt(0)
	global_store_dword v[16:17], v92, off
	global_store_dword v[90:91], v93, off
	s_andn2_b64 exec, exec, s[6:7]
	s_cbranch_execnz .LBB470_119
; %bb.120:
	s_or_b64 exec, exec, s[6:7]
.LBB470_121:
	s_or_b64 exec, exec, s[4:5]
	v_and_b32_e32 v1, 7, v7
	v_cmp_ne_u32_e32 vcc, 0, v1
	s_and_saveexec_b64 s[4:5], vcc
	s_cbranch_execz .LBB470_124
; %bb.122:
	v_lshlrev_b32_e32 v7, 2, v0
	v_lshl_or_b32 v7, v14, 11, v7
	s_mov_b64 s[6:7], 0
	v_mov_b32_e32 v11, 0
.LBB470_123:                            ; =>This Inner Loop Header: Depth=1
	ds_read2st64_b32 v[12:13], v7 offset1:8
	v_add_u32_e32 v1, -1, v1
	v_mov_b32_e32 v10, v8
	v_cmp_eq_u32_e32 vcc, 0, v1
	v_add_u32_e32 v8, 0x400, v8
	v_add_u32_e32 v7, 0x1000, v7
	v_lshl_add_u64 v[14:15], v[10:11], 2, v[54:55]
	v_mov_b32_e32 v10, v9
	v_add_u32_e32 v9, 0x400, v9
	s_or_b64 s[6:7], vcc, s[6:7]
	v_lshl_add_u64 v[16:17], v[10:11], 2, v[54:55]
	s_waitcnt lgkmcnt(0)
	global_store_dword v[14:15], v12, off
	global_store_dword v[16:17], v13, off
	s_andn2_b64 exec, exec, s[6:7]
	s_cbranch_execnz .LBB470_123
.LBB470_124:
	s_or_b64 exec, exec, s[4:5]
	v_add_u32_e32 v1, 1, v3
	v_and_b32_e32 v3, 0xfffffe, v1
	v_cmp_ne_u32_e32 vcc, v1, v3
	v_lshl_or_b32 v8, v3, 9, v0
	s_orn2_b64 s[4:5], vcc, exec
.LBB470_125:
	s_or_b64 exec, exec, s[2:3]
	s_and_b64 exec, exec, s[4:5]
	s_cbranch_execz .LBB470_128
; %bb.126:
	v_lshlrev_b32_e32 v1, 2, v8
	s_mov_b64 s[2:3], 0
	v_mov_b32_e32 v9, 0
.LBB470_127:                            ; =>This Inner Loop Header: Depth=1
	ds_read_b32 v3, v1
	v_lshl_add_u64 v[10:11], v[8:9], 2, v[54:55]
	v_add_u32_e32 v8, 0x200, v8
	v_cmp_ge_u32_e32 vcc, v8, v2
	v_add_u32_e32 v1, 0x800, v1
	s_or_b64 s[2:3], vcc, s[2:3]
	s_waitcnt lgkmcnt(0)
	global_store_dword v[10:11], v3, off
	s_andn2_b64 exec, exec, s[2:3]
	s_cbranch_execnz .LBB470_127
.LBB470_128:
	s_or_b64 exec, exec, s[0:1]
.LBB470_129:
	s_cmpk_lg_i32 s33, 0x1e00
	s_cselect_b64 s[0:1], -1, 0
	v_cndmask_b32_e64 v16, 0, 1, s[42:43]
	s_and_b64 s[0:1], s[0:1], s[40:41]
	v_sub_u32_e32 v1, v2, v16
	v_cndmask_b32_e64 v3, 0, 1, s[0:1]
	s_and_b64 s[0:1], s[34:35], s[42:43]
	v_add_u32_e32 v1, v1, v3
	v_cndmask_b32_e64 v3, v70, 0, s[0:1]
	s_mul_hi_u32 s0, s33, 0x88888889
	s_lshr_b32 s0, s0, 3
	v_mad_i32_i24 v7, v0, -15, s33
	v_cmp_eq_u32_e32 vcc, s0, v0
	v_cmp_ne_u32_e64 s[0:1], 0, v7
	s_and_b64 vcc, vcc, s[40:41]
	s_mov_b32 s2, 0
	v_cndmask_b32_e64 v8, 1, v3, s[0:1]
	v_cmp_ne_u32_e64 s[0:1], 1, v7
	s_movk_i32 s30, 0x200
	s_mov_b64 s[34:35], -1
	v_cndmask_b32_e64 v9, 1, v69, s[0:1]
	v_cmp_ne_u32_e64 s[0:1], 2, v7
	s_barrier
	s_nop 0
	v_cndmask_b32_e64 v10, 1, v68, s[0:1]
	v_cmp_ne_u32_e64 s[0:1], 3, v7
	s_nop 1
	v_cndmask_b32_e64 v11, 1, v67, s[0:1]
	v_cmp_ne_u32_e64 s[0:1], 4, v7
	;; [unrolled: 3-line block ×7, first 2 shown]
	v_cndmask_b32_e32 v55, v62, v17, vcc
	v_cndmask_b32_e32 v62, v69, v9, vcc
	v_cndmask_b32_e64 v18, 1, v61, s[0:1]
	v_cmp_ne_u32_e64 s[0:1], 10, v7
	v_cndmask_b32_e32 v18, v61, v18, vcc
	v_cndmask_b32_e32 v61, v68, v10, vcc
	v_cndmask_b32_e64 v19, 1, v60, s[0:1]
	v_cmp_ne_u32_e64 s[0:1], 11, v7
	v_cndmask_b32_e32 v19, v60, v19, vcc
	v_cndmask_b32_e32 v60, v67, v11, vcc
	v_cndmask_b32_e64 v20, 1, v59, s[0:1]
	v_cmp_ne_u32_e64 s[0:1], 12, v7
	v_cndmask_b32_e32 v20, v59, v20, vcc
	v_cndmask_b32_e32 v59, v66, v12, vcc
	v_cndmask_b32_e64 v21, 1, v58, s[0:1]
	v_cmp_ne_u32_e64 s[0:1], 13, v7
	v_cndmask_b32_e32 v21, v58, v21, vcc
	v_cndmask_b32_e32 v58, v65, v13, vcc
	v_cndmask_b32_e64 v54, 1, v57, s[0:1]
	v_cmp_ne_u32_e64 s[0:1], 14, v7
	v_cndmask_b32_e32 v54, v57, v54, vcc
	v_cndmask_b32_e32 v57, v64, v14, vcc
	v_cndmask_b32_e64 v7, 1, v56, s[0:1]
	v_cndmask_b32_e32 v7, v56, v7, vcc
	v_cndmask_b32_e32 v56, v63, v15, vcc
	;; [unrolled: 1-line block ×3, first 2 shown]
	v_mov_b32_e32 v17, s2
	v_cmp_eq_u32_e32 vcc, 0, v63
	v_lshl_add_u64 v[14:15], v[16:17], 0, -1
	v_add_u32_e32 v3, v4, v16
	v_cndmask_b32_e64 v16, 1, 2, vcc
	v_cmp_eq_u32_e32 vcc, 0, v62
	v_lshlrev_b64 v[10:11], 3, v[52:53]
	v_cmp_ne_u32_e64 s[0:1], 0, v7
	v_cndmask_b32_e64 v17, 1, 2, vcc
	v_cmp_eq_u32_e32 vcc, 0, v61
	v_and_b32_e32 v16, v17, v16
	v_lshl_add_u64 v[8:9], s[46:47], 0, v[10:11]
	v_cndmask_b32_e64 v17, 1, 2, vcc
	v_cmp_eq_u32_e32 vcc, 0, v60
	v_and_b32_e32 v16, v16, v17
	v_lshlrev_b64 v[12:13], 3, v[4:5]
	v_cndmask_b32_e64 v17, 1, 2, vcc
	v_cmp_eq_u32_e32 vcc, 0, v59
	v_and_b32_e32 v16, v16, v17
	v_lshl_add_u64 v[8:9], v[8:9], 0, v[12:13]
	v_cndmask_b32_e64 v17, 1, 2, vcc
	v_cmp_eq_u32_e32 vcc, 0, v58
	v_and_b32_e32 v16, v16, v17
	v_cmp_ne_u32_e64 s[28:29], 0, v63
	v_cndmask_b32_e64 v17, 1, 2, vcc
	v_cmp_eq_u32_e32 vcc, 0, v57
	v_and_b32_e32 v16, v16, v17
	v_cmp_ne_u32_e64 s[26:27], 0, v62
	;; [unrolled: 4-line block ×10, first 2 shown]
	v_cndmask_b32_e64 v7, 1, 2, vcc
	v_and_b32_e32 v7, v16, v7
	v_cmp_gt_u32_e32 vcc, s30, v1
	v_cmp_ne_u32_e64 s[8:9], 0, v19
	v_cmp_ne_u32_e64 s[6:7], 0, v20
	;; [unrolled: 1-line block ×4, first 2 shown]
	v_cmp_gt_i16_e64 s[30:31], 2, v7
	s_cbranch_vccz .LBB470_136
; %bb.130:
	s_and_saveexec_b64 s[34:35], s[30:31]
	s_cbranch_execz .LBB470_135
; %bb.131:
	v_lshlrev_b64 v[16:17], 3, v[14:15]
	v_lshl_add_u64 v[16:17], v[8:9], 0, v[16:17]
	v_cmp_ne_u16_e32 vcc, 1, v7
	s_mov_b64 s[36:37], 0
	s_and_saveexec_b64 s[30:31], vcc
	s_xor_b64 s[30:31], exec, s[30:31]
	s_cbranch_execnz .LBB470_185
; %bb.132:
	s_andn2_saveexec_b64 s[30:31], s[30:31]
	s_cbranch_execnz .LBB470_201
.LBB470_133:
	s_or_b64 exec, exec, s[30:31]
	s_and_b64 exec, exec, s[36:37]
	s_cbranch_execz .LBB470_135
.LBB470_134:
	v_mov_b32_e32 v19, 0
	v_sub_u32_e32 v20, v24, v3
	v_mov_b32_e32 v21, v19
	v_mov_b32_e32 v18, v25
	v_lshl_add_u64 v[16:17], v[20:21], 3, v[16:17]
	global_store_dwordx2 v[16:17], v[18:19], off
.LBB470_135:
	s_or_b64 exec, exec, s[34:35]
	s_mov_b64 s[34:35], 0
.LBB470_136:
	s_and_b64 vcc, exec, s[34:35]
	s_cbranch_vccz .LBB470_146
; %bb.137:
	v_cmp_gt_i16_e32 vcc, 2, v7
	s_and_saveexec_b64 s[30:31], vcc
	s_cbranch_execz .LBB470_142
; %bb.138:
	v_cmp_ne_u16_e32 vcc, 1, v7
	s_mov_b64 s[36:37], 0
	s_and_saveexec_b64 s[34:35], vcc
	s_xor_b64 s[34:35], exec, s[34:35]
	s_cbranch_execnz .LBB470_202
; %bb.139:
	s_andn2_saveexec_b64 s[0:1], s[34:35]
	s_cbranch_execnz .LBB470_218
.LBB470_140:
	s_or_b64 exec, exec, s[0:1]
	s_and_b64 exec, exec, s[36:37]
	s_cbranch_execz .LBB470_142
.LBB470_141:
	v_sub_u32_e32 v3, v24, v3
	v_lshlrev_b32_e32 v3, 2, v3
	ds_write_b32 v3, v25
.LBB470_142:
	s_or_b64 exec, exec, s[30:31]
	v_cmp_lt_u32_e32 vcc, v0, v1
	s_waitcnt lgkmcnt(0)
	s_barrier
	s_and_saveexec_b64 s[0:1], vcc
	s_cbranch_execz .LBB470_145
; %bb.143:
	v_lshlrev_b64 v[14:15], 3, v[14:15]
	v_lshl_add_u64 v[10:11], v[10:11], 0, v[14:15]
	v_lshl_add_u64 v[12:13], v[10:11], 0, v[12:13]
	v_lshlrev_b32_e32 v10, 3, v0
	v_mov_b32_e32 v11, 0
	v_lshl_add_u64 v[12:13], s[46:47], 0, v[12:13]
	v_lshlrev_b32_e32 v3, 2, v0
	v_lshl_add_u64 v[12:13], v[12:13], 0, v[10:11]
	s_mov_b64 s[2:3], 0
	s_mov_b64 s[4:5], 0x1000
	v_mov_b32_e32 v7, v0
.LBB470_144:                            ; =>This Inner Loop Header: Depth=1
	ds_read_b32 v10, v3
	v_add_u32_e32 v7, 0x200, v7
	v_cmp_ge_u32_e32 vcc, v7, v1
	v_add_u32_e32 v3, 0x800, v3
	s_or_b64 s[2:3], vcc, s[2:3]
	s_waitcnt lgkmcnt(0)
	global_store_dwordx2 v[12:13], v[10:11], off
	v_lshl_add_u64 v[12:13], v[12:13], 0, s[4:5]
	s_andn2_b64 exec, exec, s[2:3]
	s_cbranch_execnz .LBB470_144
.LBB470_145:
	s_or_b64 exec, exec, s[0:1]
.LBB470_146:
	s_movk_i32 s0, 0x1ff
	v_cmp_eq_u32_e32 vcc, s0, v0
	s_and_b64 s[0:1], vcc, s[40:41]
	s_and_saveexec_b64 s[2:3], s[0:1]
	s_cbranch_execz .LBB470_149
; %bb.147:
	v_mov_b32_e32 v3, 0
	v_lshl_add_u64 v[0:1], v[2:3], 0, v[4:5]
	v_lshl_add_u64 v[0:1], v[0:1], 0, v[52:53]
	s_cmpk_lg_i32 s33, 0x1e00
	global_store_dwordx2 v3, v[0:1], s[48:49]
	s_cbranch_scc1 .LBB470_149
; %bb.148:
	v_lshlrev_b64 v[0:1], 3, v[2:3]
	v_mov_b32_e32 v7, v3
	v_lshl_add_u64 v[0:1], v[8:9], 0, v[0:1]
	global_store_dwordx2 v[0:1], v[6:7], off offset:-8
.LBB470_149:
	s_endpgm
.LBB470_150:
	s_or_b64 exec, exec, s[6:7]
	v_mov_b32_e32 v70, s10
	s_and_saveexec_b64 s[0:1], s[52:53]
	s_cbranch_execnz .LBB470_60
	s_branch .LBB470_61
.LBB470_151:
	s_and_saveexec_b64 s[38:39], s[30:31]
	s_cbranch_execnz .LBB470_219
; %bb.152:
	s_or_b64 exec, exec, s[38:39]
	s_and_saveexec_b64 s[38:39], s[28:29]
	s_cbranch_execnz .LBB470_220
.LBB470_153:
	s_or_b64 exec, exec, s[38:39]
	s_and_saveexec_b64 s[38:39], s[26:27]
	s_cbranch_execnz .LBB470_221
.LBB470_154:
	s_or_b64 exec, exec, s[38:39]
	s_and_saveexec_b64 s[38:39], s[24:25]
	s_cbranch_execnz .LBB470_222
.LBB470_155:
	s_or_b64 exec, exec, s[38:39]
	s_and_saveexec_b64 s[38:39], s[22:23]
	s_cbranch_execnz .LBB470_223
.LBB470_156:
	s_or_b64 exec, exec, s[38:39]
	s_and_saveexec_b64 s[38:39], s[20:21]
	s_cbranch_execnz .LBB470_224
.LBB470_157:
	s_or_b64 exec, exec, s[38:39]
	s_and_saveexec_b64 s[38:39], s[18:19]
	s_cbranch_execnz .LBB470_225
.LBB470_158:
	s_or_b64 exec, exec, s[38:39]
	s_and_saveexec_b64 s[38:39], s[16:17]
	s_cbranch_execnz .LBB470_226
.LBB470_159:
	s_or_b64 exec, exec, s[38:39]
	s_and_saveexec_b64 s[38:39], s[14:15]
	s_cbranch_execnz .LBB470_227
.LBB470_160:
	s_or_b64 exec, exec, s[38:39]
	s_and_saveexec_b64 s[38:39], s[12:13]
	s_cbranch_execnz .LBB470_228
.LBB470_161:
	s_or_b64 exec, exec, s[38:39]
	s_and_saveexec_b64 s[38:39], s[10:11]
	s_cbranch_execnz .LBB470_229
.LBB470_162:
	s_or_b64 exec, exec, s[38:39]
	s_and_saveexec_b64 s[38:39], s[8:9]
	s_cbranch_execnz .LBB470_230
.LBB470_163:
	s_or_b64 exec, exec, s[38:39]
	s_and_saveexec_b64 s[38:39], s[6:7]
	s_cbranch_execnz .LBB470_231
.LBB470_164:
	s_or_b64 exec, exec, s[38:39]
	s_and_saveexec_b64 s[38:39], s[4:5]
	s_cbranch_execz .LBB470_166
.LBB470_165:
	v_sub_u32_e32 v72, v22, v4
	v_mov_b32_e32 v73, 0
	v_lshl_add_u64 v[72:73], v[72:73], 2, v[54:55]
	global_store_dword v[72:73], v9, off
.LBB470_166:
	s_or_b64 exec, exec, s[38:39]
	s_and_b64 s[38:39], s[2:3], exec
	s_andn2_saveexec_b64 s[0:1], s[0:1]
	s_cbranch_execz .LBB470_106
.LBB470_167:
	v_sub_u32_e32 v72, v50, v4
	v_mov_b32_e32 v73, 0
	v_lshl_add_u64 v[74:75], v[72:73], 2, v[54:55]
	v_sub_u32_e32 v72, v48, v4
	global_store_dword v[74:75], v20, off
	v_lshl_add_u64 v[74:75], v[72:73], 2, v[54:55]
	v_sub_u32_e32 v72, v46, v4
	global_store_dword v[74:75], v21, off
	;; [unrolled: 3-line block ×12, first 2 shown]
	v_lshl_add_u64 v[74:75], v[72:73], 2, v[54:55]
	v_sub_u32_e32 v72, v22, v4
	v_lshl_add_u64 v[72:73], v[72:73], 2, v[54:55]
	s_or_b64 s[38:39], s[38:39], exec
	global_store_dword v[74:75], v8, off
	global_store_dword v[72:73], v9, off
	s_or_b64 exec, exec, s[0:1]
	s_and_b64 exec, exec, s[38:39]
	s_cbranch_execnz .LBB470_107
	s_branch .LBB470_108
.LBB470_168:
	s_and_saveexec_b64 s[38:39], s[30:31]
	s_cbranch_execnz .LBB470_232
; %bb.169:
	s_or_b64 exec, exec, s[38:39]
	s_and_saveexec_b64 s[30:31], s[28:29]
	s_cbranch_execnz .LBB470_233
.LBB470_170:
	s_or_b64 exec, exec, s[30:31]
	s_and_saveexec_b64 s[28:29], s[26:27]
	s_cbranch_execnz .LBB470_234
.LBB470_171:
	s_or_b64 exec, exec, s[28:29]
	s_and_saveexec_b64 s[26:27], s[24:25]
	s_cbranch_execnz .LBB470_235
.LBB470_172:
	s_or_b64 exec, exec, s[26:27]
	s_and_saveexec_b64 s[24:25], s[22:23]
	s_cbranch_execnz .LBB470_236
.LBB470_173:
	s_or_b64 exec, exec, s[24:25]
	s_and_saveexec_b64 s[22:23], s[20:21]
	s_cbranch_execnz .LBB470_237
.LBB470_174:
	s_or_b64 exec, exec, s[22:23]
	s_and_saveexec_b64 s[20:21], s[18:19]
	s_cbranch_execnz .LBB470_238
.LBB470_175:
	s_or_b64 exec, exec, s[20:21]
	s_and_saveexec_b64 s[18:19], s[16:17]
	s_cbranch_execnz .LBB470_239
.LBB470_176:
	s_or_b64 exec, exec, s[18:19]
	s_and_saveexec_b64 s[16:17], s[14:15]
	s_cbranch_execnz .LBB470_240
.LBB470_177:
	s_or_b64 exec, exec, s[16:17]
	s_and_saveexec_b64 s[14:15], s[12:13]
	s_cbranch_execnz .LBB470_241
.LBB470_178:
	s_or_b64 exec, exec, s[14:15]
	s_and_saveexec_b64 s[12:13], s[10:11]
	s_cbranch_execnz .LBB470_242
.LBB470_179:
	s_or_b64 exec, exec, s[12:13]
	s_and_saveexec_b64 s[10:11], s[8:9]
	s_cbranch_execnz .LBB470_243
.LBB470_180:
	s_or_b64 exec, exec, s[10:11]
	s_and_saveexec_b64 s[8:9], s[6:7]
	s_cbranch_execnz .LBB470_244
.LBB470_181:
	s_or_b64 exec, exec, s[8:9]
	s_and_saveexec_b64 s[6:7], s[4:5]
	s_cbranch_execz .LBB470_183
.LBB470_182:
	v_sub_u32_e32 v3, v22, v4
	v_lshlrev_b32_e32 v3, 2, v3
	ds_write_b32 v3, v9
.LBB470_183:
	s_or_b64 exec, exec, s[6:7]
	s_and_b64 s[38:39], s[2:3], exec
                                        ; implicit-def: $vgpr9
                                        ; implicit-def: $vgpr11
                                        ; implicit-def: $vgpr13
                                        ; implicit-def: $vgpr15
                                        ; implicit-def: $vgpr17
                                        ; implicit-def: $vgpr19
                                        ; implicit-def: $vgpr21
	s_andn2_saveexec_b64 s[2:3], s[36:37]
	s_cbranch_execz .LBB470_113
.LBB470_184:
	v_sub_u32_e32 v3, v50, v4
	v_lshlrev_b32_e32 v3, 2, v3
	ds_write_b32 v3, v20
	v_sub_u32_e32 v3, v48, v4
	v_lshlrev_b32_e32 v3, 2, v3
	ds_write_b32 v3, v21
	;; [unrolled: 3-line block ×13, first 2 shown]
	v_sub_u32_e32 v3, v22, v4
	v_lshlrev_b32_e32 v3, 2, v3
	s_or_b64 s[38:39], s[38:39], exec
	ds_write_b32 v3, v9
	s_or_b64 exec, exec, s[2:3]
	s_and_b64 exec, exec, s[38:39]
	s_cbranch_execnz .LBB470_114
	s_branch .LBB470_115
.LBB470_185:
	s_and_saveexec_b64 s[36:37], s[28:29]
	s_cbranch_execnz .LBB470_245
; %bb.186:
	s_or_b64 exec, exec, s[36:37]
	s_and_saveexec_b64 s[36:37], s[26:27]
	s_cbranch_execnz .LBB470_246
.LBB470_187:
	s_or_b64 exec, exec, s[36:37]
	s_and_saveexec_b64 s[36:37], s[24:25]
	s_cbranch_execnz .LBB470_247
.LBB470_188:
	s_or_b64 exec, exec, s[36:37]
	s_and_saveexec_b64 s[36:37], s[22:23]
	s_cbranch_execnz .LBB470_248
.LBB470_189:
	s_or_b64 exec, exec, s[36:37]
	s_and_saveexec_b64 s[36:37], s[20:21]
	s_cbranch_execnz .LBB470_249
.LBB470_190:
	s_or_b64 exec, exec, s[36:37]
	s_and_saveexec_b64 s[36:37], s[18:19]
	s_cbranch_execnz .LBB470_250
.LBB470_191:
	s_or_b64 exec, exec, s[36:37]
	s_and_saveexec_b64 s[36:37], s[16:17]
	s_cbranch_execnz .LBB470_251
.LBB470_192:
	s_or_b64 exec, exec, s[36:37]
	s_and_saveexec_b64 s[36:37], s[14:15]
	s_cbranch_execnz .LBB470_252
.LBB470_193:
	s_or_b64 exec, exec, s[36:37]
	s_and_saveexec_b64 s[36:37], s[12:13]
	s_cbranch_execnz .LBB470_253
.LBB470_194:
	s_or_b64 exec, exec, s[36:37]
	s_and_saveexec_b64 s[36:37], s[10:11]
	s_cbranch_execnz .LBB470_254
.LBB470_195:
	s_or_b64 exec, exec, s[36:37]
	s_and_saveexec_b64 s[36:37], s[8:9]
	s_cbranch_execnz .LBB470_255
.LBB470_196:
	s_or_b64 exec, exec, s[36:37]
	s_and_saveexec_b64 s[36:37], s[6:7]
	s_cbranch_execnz .LBB470_256
.LBB470_197:
	s_or_b64 exec, exec, s[36:37]
	s_and_saveexec_b64 s[36:37], s[4:5]
	s_cbranch_execnz .LBB470_257
.LBB470_198:
	s_or_b64 exec, exec, s[36:37]
	s_and_saveexec_b64 s[36:37], s[2:3]
	s_cbranch_execz .LBB470_200
.LBB470_199:
	v_sub_u32_e32 v18, v22, v3
	v_mov_b32_e32 v19, 0
	v_lshl_add_u64 v[20:21], v[18:19], 3, v[16:17]
	v_mov_b32_e32 v18, v23
	global_store_dwordx2 v[20:21], v[18:19], off
.LBB470_200:
	s_or_b64 exec, exec, s[36:37]
	s_and_b64 s[36:37], s[0:1], exec
	s_andn2_saveexec_b64 s[30:31], s[30:31]
	s_cbranch_execz .LBB470_133
.LBB470_201:
	v_mov_b32_e32 v19, 0
	v_sub_u32_e32 v20, v50, v3
	v_mov_b32_e32 v21, v19
	v_mov_b32_e32 v18, v51
	v_lshl_add_u64 v[20:21], v[20:21], 3, v[16:17]
	global_store_dwordx2 v[20:21], v[18:19], off
	v_sub_u32_e32 v20, v48, v3
	v_mov_b32_e32 v21, v19
	v_mov_b32_e32 v18, v49
	v_lshl_add_u64 v[20:21], v[20:21], 3, v[16:17]
	global_store_dwordx2 v[20:21], v[18:19], off
	;; [unrolled: 5-line block ×13, first 2 shown]
	v_sub_u32_e32 v20, v22, v3
	v_mov_b32_e32 v21, v19
	v_mov_b32_e32 v18, v23
	v_lshl_add_u64 v[20:21], v[20:21], 3, v[16:17]
	s_or_b64 s[36:37], s[36:37], exec
	global_store_dwordx2 v[20:21], v[18:19], off
	s_or_b64 exec, exec, s[30:31]
	s_and_b64 exec, exec, s[36:37]
	s_cbranch_execnz .LBB470_134
	s_branch .LBB470_135
.LBB470_202:
	s_and_saveexec_b64 s[36:37], s[28:29]
	s_cbranch_execnz .LBB470_258
; %bb.203:
	s_or_b64 exec, exec, s[36:37]
	s_and_saveexec_b64 s[28:29], s[26:27]
	s_cbranch_execnz .LBB470_259
.LBB470_204:
	s_or_b64 exec, exec, s[28:29]
	s_and_saveexec_b64 s[26:27], s[24:25]
	s_cbranch_execnz .LBB470_260
.LBB470_205:
	s_or_b64 exec, exec, s[26:27]
	s_and_saveexec_b64 s[24:25], s[22:23]
	s_cbranch_execnz .LBB470_261
.LBB470_206:
	s_or_b64 exec, exec, s[24:25]
	s_and_saveexec_b64 s[22:23], s[20:21]
	s_cbranch_execnz .LBB470_262
.LBB470_207:
	s_or_b64 exec, exec, s[22:23]
	s_and_saveexec_b64 s[20:21], s[18:19]
	s_cbranch_execnz .LBB470_263
.LBB470_208:
	s_or_b64 exec, exec, s[20:21]
	s_and_saveexec_b64 s[18:19], s[16:17]
	s_cbranch_execnz .LBB470_264
.LBB470_209:
	s_or_b64 exec, exec, s[18:19]
	s_and_saveexec_b64 s[16:17], s[14:15]
	s_cbranch_execnz .LBB470_265
.LBB470_210:
	s_or_b64 exec, exec, s[16:17]
	s_and_saveexec_b64 s[14:15], s[12:13]
	s_cbranch_execnz .LBB470_266
.LBB470_211:
	s_or_b64 exec, exec, s[14:15]
	s_and_saveexec_b64 s[12:13], s[10:11]
	s_cbranch_execnz .LBB470_267
.LBB470_212:
	s_or_b64 exec, exec, s[12:13]
	s_and_saveexec_b64 s[10:11], s[8:9]
	s_cbranch_execnz .LBB470_268
.LBB470_213:
	s_or_b64 exec, exec, s[10:11]
	s_and_saveexec_b64 s[8:9], s[6:7]
	s_cbranch_execnz .LBB470_269
.LBB470_214:
	s_or_b64 exec, exec, s[8:9]
	s_and_saveexec_b64 s[6:7], s[4:5]
	s_cbranch_execnz .LBB470_270
.LBB470_215:
	s_or_b64 exec, exec, s[6:7]
	s_and_saveexec_b64 s[4:5], s[2:3]
	s_cbranch_execz .LBB470_217
.LBB470_216:
	v_sub_u32_e32 v7, v22, v3
	v_lshlrev_b32_e32 v7, 2, v7
	ds_write_b32 v7, v23
.LBB470_217:
	s_or_b64 exec, exec, s[4:5]
	s_and_b64 s[36:37], s[0:1], exec
                                        ; implicit-def: $vgpr22_vgpr23
                                        ; implicit-def: $vgpr26_vgpr27
                                        ; implicit-def: $vgpr28_vgpr29
                                        ; implicit-def: $vgpr50_vgpr51
                                        ; implicit-def: $vgpr48_vgpr49
                                        ; implicit-def: $vgpr46_vgpr47
                                        ; implicit-def: $vgpr44_vgpr45
                                        ; implicit-def: $vgpr42_vgpr43
                                        ; implicit-def: $vgpr40_vgpr41
                                        ; implicit-def: $vgpr38_vgpr39
                                        ; implicit-def: $vgpr36_vgpr37
                                        ; implicit-def: $vgpr34_vgpr35
                                        ; implicit-def: $vgpr32_vgpr33
                                        ; implicit-def: $vgpr30_vgpr31
	s_andn2_saveexec_b64 s[0:1], s[34:35]
	s_cbranch_execz .LBB470_140
.LBB470_218:
	v_sub_u32_e32 v7, v50, v3
	v_lshlrev_b32_e32 v7, 2, v7
	ds_write_b32 v7, v51
	v_sub_u32_e32 v7, v48, v3
	v_lshlrev_b32_e32 v7, 2, v7
	ds_write_b32 v7, v49
	;; [unrolled: 3-line block ×13, first 2 shown]
	v_sub_u32_e32 v7, v22, v3
	v_lshlrev_b32_e32 v7, 2, v7
	s_or_b64 s[36:37], s[36:37], exec
	ds_write_b32 v7, v23
	s_or_b64 exec, exec, s[0:1]
	s_and_b64 exec, exec, s[36:37]
	s_cbranch_execnz .LBB470_141
	s_branch .LBB470_142
.LBB470_219:
	v_sub_u32_e32 v72, v50, v4
	v_mov_b32_e32 v73, 0
	v_lshl_add_u64 v[72:73], v[72:73], 2, v[54:55]
	global_store_dword v[72:73], v20, off
	s_or_b64 exec, exec, s[38:39]
	s_and_saveexec_b64 s[38:39], s[28:29]
	s_cbranch_execz .LBB470_153
.LBB470_220:
	v_sub_u32_e32 v72, v48, v4
	v_mov_b32_e32 v73, 0
	v_lshl_add_u64 v[72:73], v[72:73], 2, v[54:55]
	global_store_dword v[72:73], v21, off
	s_or_b64 exec, exec, s[38:39]
	s_and_saveexec_b64 s[38:39], s[26:27]
	s_cbranch_execz .LBB470_154
.LBB470_221:
	v_sub_u32_e32 v72, v46, v4
	v_mov_b32_e32 v73, 0
	v_lshl_add_u64 v[72:73], v[72:73], 2, v[54:55]
	global_store_dword v[72:73], v18, off
	s_or_b64 exec, exec, s[38:39]
	s_and_saveexec_b64 s[38:39], s[24:25]
	s_cbranch_execz .LBB470_155
.LBB470_222:
	v_sub_u32_e32 v72, v44, v4
	v_mov_b32_e32 v73, 0
	v_lshl_add_u64 v[72:73], v[72:73], 2, v[54:55]
	global_store_dword v[72:73], v19, off
	s_or_b64 exec, exec, s[38:39]
	s_and_saveexec_b64 s[38:39], s[22:23]
	s_cbranch_execz .LBB470_156
.LBB470_223:
	v_sub_u32_e32 v72, v42, v4
	v_mov_b32_e32 v73, 0
	v_lshl_add_u64 v[72:73], v[72:73], 2, v[54:55]
	global_store_dword v[72:73], v16, off
	s_or_b64 exec, exec, s[38:39]
	s_and_saveexec_b64 s[38:39], s[20:21]
	s_cbranch_execz .LBB470_157
.LBB470_224:
	v_sub_u32_e32 v72, v40, v4
	v_mov_b32_e32 v73, 0
	v_lshl_add_u64 v[72:73], v[72:73], 2, v[54:55]
	global_store_dword v[72:73], v17, off
	s_or_b64 exec, exec, s[38:39]
	s_and_saveexec_b64 s[38:39], s[18:19]
	s_cbranch_execz .LBB470_158
.LBB470_225:
	v_sub_u32_e32 v72, v38, v4
	v_mov_b32_e32 v73, 0
	v_lshl_add_u64 v[72:73], v[72:73], 2, v[54:55]
	global_store_dword v[72:73], v14, off
	s_or_b64 exec, exec, s[38:39]
	s_and_saveexec_b64 s[38:39], s[16:17]
	s_cbranch_execz .LBB470_159
.LBB470_226:
	v_sub_u32_e32 v72, v36, v4
	v_mov_b32_e32 v73, 0
	v_lshl_add_u64 v[72:73], v[72:73], 2, v[54:55]
	global_store_dword v[72:73], v15, off
	s_or_b64 exec, exec, s[38:39]
	s_and_saveexec_b64 s[38:39], s[14:15]
	s_cbranch_execz .LBB470_160
.LBB470_227:
	v_sub_u32_e32 v72, v34, v4
	v_mov_b32_e32 v73, 0
	v_lshl_add_u64 v[72:73], v[72:73], 2, v[54:55]
	global_store_dword v[72:73], v12, off
	s_or_b64 exec, exec, s[38:39]
	s_and_saveexec_b64 s[38:39], s[12:13]
	s_cbranch_execz .LBB470_161
.LBB470_228:
	v_sub_u32_e32 v72, v32, v4
	v_mov_b32_e32 v73, 0
	v_lshl_add_u64 v[72:73], v[72:73], 2, v[54:55]
	global_store_dword v[72:73], v13, off
	s_or_b64 exec, exec, s[38:39]
	s_and_saveexec_b64 s[38:39], s[10:11]
	s_cbranch_execz .LBB470_162
.LBB470_229:
	v_sub_u32_e32 v72, v30, v4
	v_mov_b32_e32 v73, 0
	v_lshl_add_u64 v[72:73], v[72:73], 2, v[54:55]
	global_store_dword v[72:73], v10, off
	s_or_b64 exec, exec, s[38:39]
	s_and_saveexec_b64 s[38:39], s[8:9]
	s_cbranch_execz .LBB470_163
.LBB470_230:
	v_sub_u32_e32 v72, v28, v4
	v_mov_b32_e32 v73, 0
	v_lshl_add_u64 v[72:73], v[72:73], 2, v[54:55]
	global_store_dword v[72:73], v11, off
	s_or_b64 exec, exec, s[38:39]
	s_and_saveexec_b64 s[38:39], s[6:7]
	s_cbranch_execz .LBB470_164
.LBB470_231:
	v_sub_u32_e32 v72, v26, v4
	v_mov_b32_e32 v73, 0
	v_lshl_add_u64 v[72:73], v[72:73], 2, v[54:55]
	global_store_dword v[72:73], v8, off
	s_or_b64 exec, exec, s[38:39]
	s_and_saveexec_b64 s[38:39], s[4:5]
	s_cbranch_execnz .LBB470_165
	s_branch .LBB470_166
.LBB470_232:
	v_sub_u32_e32 v3, v50, v4
	v_lshlrev_b32_e32 v3, 2, v3
	ds_write_b32 v3, v20
	s_or_b64 exec, exec, s[38:39]
	s_and_saveexec_b64 s[30:31], s[28:29]
	s_cbranch_execz .LBB470_170
.LBB470_233:
	v_sub_u32_e32 v3, v48, v4
	v_lshlrev_b32_e32 v3, 2, v3
	ds_write_b32 v3, v21
	s_or_b64 exec, exec, s[30:31]
	s_and_saveexec_b64 s[28:29], s[26:27]
	s_cbranch_execz .LBB470_171
.LBB470_234:
	v_sub_u32_e32 v3, v46, v4
	v_lshlrev_b32_e32 v3, 2, v3
	ds_write_b32 v3, v18
	s_or_b64 exec, exec, s[28:29]
	s_and_saveexec_b64 s[26:27], s[24:25]
	s_cbranch_execz .LBB470_172
.LBB470_235:
	v_sub_u32_e32 v3, v44, v4
	v_lshlrev_b32_e32 v3, 2, v3
	ds_write_b32 v3, v19
	s_or_b64 exec, exec, s[26:27]
	s_and_saveexec_b64 s[24:25], s[22:23]
	s_cbranch_execz .LBB470_173
.LBB470_236:
	v_sub_u32_e32 v3, v42, v4
	v_lshlrev_b32_e32 v3, 2, v3
	ds_write_b32 v3, v16
	s_or_b64 exec, exec, s[24:25]
	s_and_saveexec_b64 s[22:23], s[20:21]
	s_cbranch_execz .LBB470_174
.LBB470_237:
	v_sub_u32_e32 v3, v40, v4
	v_lshlrev_b32_e32 v3, 2, v3
	ds_write_b32 v3, v17
	s_or_b64 exec, exec, s[22:23]
	s_and_saveexec_b64 s[20:21], s[18:19]
	s_cbranch_execz .LBB470_175
.LBB470_238:
	v_sub_u32_e32 v3, v38, v4
	v_lshlrev_b32_e32 v3, 2, v3
	ds_write_b32 v3, v14
	s_or_b64 exec, exec, s[20:21]
	s_and_saveexec_b64 s[18:19], s[16:17]
	s_cbranch_execz .LBB470_176
.LBB470_239:
	v_sub_u32_e32 v3, v36, v4
	v_lshlrev_b32_e32 v3, 2, v3
	ds_write_b32 v3, v15
	s_or_b64 exec, exec, s[18:19]
	s_and_saveexec_b64 s[16:17], s[14:15]
	s_cbranch_execz .LBB470_177
.LBB470_240:
	v_sub_u32_e32 v3, v34, v4
	v_lshlrev_b32_e32 v3, 2, v3
	ds_write_b32 v3, v12
	s_or_b64 exec, exec, s[16:17]
	s_and_saveexec_b64 s[14:15], s[12:13]
	s_cbranch_execz .LBB470_178
.LBB470_241:
	v_sub_u32_e32 v3, v32, v4
	v_lshlrev_b32_e32 v3, 2, v3
	ds_write_b32 v3, v13
	s_or_b64 exec, exec, s[14:15]
	s_and_saveexec_b64 s[12:13], s[10:11]
	s_cbranch_execz .LBB470_179
.LBB470_242:
	v_sub_u32_e32 v3, v30, v4
	v_lshlrev_b32_e32 v3, 2, v3
	ds_write_b32 v3, v10
	s_or_b64 exec, exec, s[12:13]
	s_and_saveexec_b64 s[10:11], s[8:9]
	s_cbranch_execz .LBB470_180
.LBB470_243:
	v_sub_u32_e32 v3, v28, v4
	v_lshlrev_b32_e32 v3, 2, v3
	ds_write_b32 v3, v11
	s_or_b64 exec, exec, s[10:11]
	s_and_saveexec_b64 s[8:9], s[6:7]
	s_cbranch_execz .LBB470_181
.LBB470_244:
	v_sub_u32_e32 v3, v26, v4
	v_lshlrev_b32_e32 v3, 2, v3
	ds_write_b32 v3, v8
	s_or_b64 exec, exec, s[8:9]
	s_and_saveexec_b64 s[6:7], s[4:5]
	s_cbranch_execnz .LBB470_182
	s_branch .LBB470_183
.LBB470_245:
	v_sub_u32_e32 v18, v50, v3
	v_mov_b32_e32 v19, 0
	v_lshl_add_u64 v[20:21], v[18:19], 3, v[16:17]
	v_mov_b32_e32 v18, v51
	global_store_dwordx2 v[20:21], v[18:19], off
	s_or_b64 exec, exec, s[36:37]
	s_and_saveexec_b64 s[36:37], s[26:27]
	s_cbranch_execz .LBB470_187
.LBB470_246:
	v_sub_u32_e32 v18, v48, v3
	v_mov_b32_e32 v19, 0
	v_lshl_add_u64 v[20:21], v[18:19], 3, v[16:17]
	v_mov_b32_e32 v18, v49
	global_store_dwordx2 v[20:21], v[18:19], off
	s_or_b64 exec, exec, s[36:37]
	s_and_saveexec_b64 s[36:37], s[24:25]
	s_cbranch_execz .LBB470_188
.LBB470_247:
	v_sub_u32_e32 v18, v46, v3
	v_mov_b32_e32 v19, 0
	v_lshl_add_u64 v[20:21], v[18:19], 3, v[16:17]
	v_mov_b32_e32 v18, v47
	global_store_dwordx2 v[20:21], v[18:19], off
	s_or_b64 exec, exec, s[36:37]
	s_and_saveexec_b64 s[36:37], s[22:23]
	s_cbranch_execz .LBB470_189
.LBB470_248:
	v_sub_u32_e32 v18, v44, v3
	v_mov_b32_e32 v19, 0
	v_lshl_add_u64 v[20:21], v[18:19], 3, v[16:17]
	v_mov_b32_e32 v18, v45
	global_store_dwordx2 v[20:21], v[18:19], off
	s_or_b64 exec, exec, s[36:37]
	s_and_saveexec_b64 s[36:37], s[20:21]
	s_cbranch_execz .LBB470_190
.LBB470_249:
	v_sub_u32_e32 v18, v42, v3
	v_mov_b32_e32 v19, 0
	v_lshl_add_u64 v[20:21], v[18:19], 3, v[16:17]
	v_mov_b32_e32 v18, v43
	global_store_dwordx2 v[20:21], v[18:19], off
	s_or_b64 exec, exec, s[36:37]
	s_and_saveexec_b64 s[36:37], s[18:19]
	s_cbranch_execz .LBB470_191
.LBB470_250:
	v_sub_u32_e32 v18, v40, v3
	v_mov_b32_e32 v19, 0
	v_lshl_add_u64 v[20:21], v[18:19], 3, v[16:17]
	v_mov_b32_e32 v18, v41
	global_store_dwordx2 v[20:21], v[18:19], off
	s_or_b64 exec, exec, s[36:37]
	s_and_saveexec_b64 s[36:37], s[16:17]
	s_cbranch_execz .LBB470_192
.LBB470_251:
	v_sub_u32_e32 v18, v38, v3
	v_mov_b32_e32 v19, 0
	v_lshl_add_u64 v[20:21], v[18:19], 3, v[16:17]
	v_mov_b32_e32 v18, v39
	global_store_dwordx2 v[20:21], v[18:19], off
	s_or_b64 exec, exec, s[36:37]
	s_and_saveexec_b64 s[36:37], s[14:15]
	s_cbranch_execz .LBB470_193
.LBB470_252:
	v_sub_u32_e32 v18, v36, v3
	v_mov_b32_e32 v19, 0
	v_lshl_add_u64 v[20:21], v[18:19], 3, v[16:17]
	v_mov_b32_e32 v18, v37
	global_store_dwordx2 v[20:21], v[18:19], off
	s_or_b64 exec, exec, s[36:37]
	s_and_saveexec_b64 s[36:37], s[12:13]
	s_cbranch_execz .LBB470_194
.LBB470_253:
	v_sub_u32_e32 v18, v34, v3
	v_mov_b32_e32 v19, 0
	v_lshl_add_u64 v[20:21], v[18:19], 3, v[16:17]
	v_mov_b32_e32 v18, v35
	global_store_dwordx2 v[20:21], v[18:19], off
	s_or_b64 exec, exec, s[36:37]
	s_and_saveexec_b64 s[36:37], s[10:11]
	s_cbranch_execz .LBB470_195
.LBB470_254:
	v_sub_u32_e32 v18, v32, v3
	v_mov_b32_e32 v19, 0
	v_lshl_add_u64 v[20:21], v[18:19], 3, v[16:17]
	v_mov_b32_e32 v18, v33
	global_store_dwordx2 v[20:21], v[18:19], off
	s_or_b64 exec, exec, s[36:37]
	s_and_saveexec_b64 s[36:37], s[8:9]
	s_cbranch_execz .LBB470_196
.LBB470_255:
	v_sub_u32_e32 v18, v30, v3
	v_mov_b32_e32 v19, 0
	v_lshl_add_u64 v[20:21], v[18:19], 3, v[16:17]
	v_mov_b32_e32 v18, v31
	global_store_dwordx2 v[20:21], v[18:19], off
	s_or_b64 exec, exec, s[36:37]
	s_and_saveexec_b64 s[36:37], s[6:7]
	s_cbranch_execz .LBB470_197
.LBB470_256:
	v_sub_u32_e32 v18, v28, v3
	v_mov_b32_e32 v19, 0
	v_lshl_add_u64 v[20:21], v[18:19], 3, v[16:17]
	v_mov_b32_e32 v18, v29
	global_store_dwordx2 v[20:21], v[18:19], off
	s_or_b64 exec, exec, s[36:37]
	s_and_saveexec_b64 s[36:37], s[4:5]
	s_cbranch_execz .LBB470_198
.LBB470_257:
	v_sub_u32_e32 v18, v26, v3
	v_mov_b32_e32 v19, 0
	v_lshl_add_u64 v[20:21], v[18:19], 3, v[16:17]
	v_mov_b32_e32 v18, v27
	global_store_dwordx2 v[20:21], v[18:19], off
	s_or_b64 exec, exec, s[36:37]
	s_and_saveexec_b64 s[36:37], s[2:3]
	s_cbranch_execnz .LBB470_199
	s_branch .LBB470_200
.LBB470_258:
	v_sub_u32_e32 v7, v50, v3
	v_lshlrev_b32_e32 v7, 2, v7
	ds_write_b32 v7, v51
	s_or_b64 exec, exec, s[36:37]
	s_and_saveexec_b64 s[28:29], s[26:27]
	s_cbranch_execz .LBB470_204
.LBB470_259:
	v_sub_u32_e32 v7, v48, v3
	v_lshlrev_b32_e32 v7, 2, v7
	ds_write_b32 v7, v49
	s_or_b64 exec, exec, s[28:29]
	s_and_saveexec_b64 s[26:27], s[24:25]
	s_cbranch_execz .LBB470_205
.LBB470_260:
	v_sub_u32_e32 v7, v46, v3
	v_lshlrev_b32_e32 v7, 2, v7
	ds_write_b32 v7, v47
	s_or_b64 exec, exec, s[26:27]
	s_and_saveexec_b64 s[24:25], s[22:23]
	s_cbranch_execz .LBB470_206
.LBB470_261:
	v_sub_u32_e32 v7, v44, v3
	v_lshlrev_b32_e32 v7, 2, v7
	ds_write_b32 v7, v45
	s_or_b64 exec, exec, s[24:25]
	s_and_saveexec_b64 s[22:23], s[20:21]
	s_cbranch_execz .LBB470_207
.LBB470_262:
	v_sub_u32_e32 v7, v42, v3
	v_lshlrev_b32_e32 v7, 2, v7
	ds_write_b32 v7, v43
	s_or_b64 exec, exec, s[22:23]
	s_and_saveexec_b64 s[20:21], s[18:19]
	s_cbranch_execz .LBB470_208
.LBB470_263:
	v_sub_u32_e32 v7, v40, v3
	v_lshlrev_b32_e32 v7, 2, v7
	ds_write_b32 v7, v41
	s_or_b64 exec, exec, s[20:21]
	s_and_saveexec_b64 s[18:19], s[16:17]
	s_cbranch_execz .LBB470_209
.LBB470_264:
	v_sub_u32_e32 v7, v38, v3
	v_lshlrev_b32_e32 v7, 2, v7
	ds_write_b32 v7, v39
	s_or_b64 exec, exec, s[18:19]
	s_and_saveexec_b64 s[16:17], s[14:15]
	s_cbranch_execz .LBB470_210
.LBB470_265:
	v_sub_u32_e32 v7, v36, v3
	v_lshlrev_b32_e32 v7, 2, v7
	ds_write_b32 v7, v37
	s_or_b64 exec, exec, s[16:17]
	s_and_saveexec_b64 s[14:15], s[12:13]
	s_cbranch_execz .LBB470_211
.LBB470_266:
	v_sub_u32_e32 v7, v34, v3
	v_lshlrev_b32_e32 v7, 2, v7
	ds_write_b32 v7, v35
	s_or_b64 exec, exec, s[14:15]
	s_and_saveexec_b64 s[12:13], s[10:11]
	s_cbranch_execz .LBB470_212
.LBB470_267:
	v_sub_u32_e32 v7, v32, v3
	v_lshlrev_b32_e32 v7, 2, v7
	ds_write_b32 v7, v33
	s_or_b64 exec, exec, s[12:13]
	s_and_saveexec_b64 s[10:11], s[8:9]
	s_cbranch_execz .LBB470_213
.LBB470_268:
	v_sub_u32_e32 v7, v30, v3
	v_lshlrev_b32_e32 v7, 2, v7
	ds_write_b32 v7, v31
	s_or_b64 exec, exec, s[10:11]
	s_and_saveexec_b64 s[8:9], s[6:7]
	s_cbranch_execz .LBB470_214
.LBB470_269:
	v_sub_u32_e32 v7, v28, v3
	v_lshlrev_b32_e32 v7, 2, v7
	ds_write_b32 v7, v29
	s_or_b64 exec, exec, s[8:9]
	s_and_saveexec_b64 s[6:7], s[4:5]
	s_cbranch_execz .LBB470_215
.LBB470_270:
	v_sub_u32_e32 v7, v26, v3
	v_lshlrev_b32_e32 v7, 2, v7
	ds_write_b32 v7, v27
	s_or_b64 exec, exec, s[6:7]
	s_and_saveexec_b64 s[4:5], s[2:3]
	s_cbranch_execnz .LBB470_216
	s_branch .LBB470_217
	.section	.rodata,"a",@progbits
	.p2align	6, 0x0
	.amdhsa_kernel _ZN7rocprim17ROCPRIM_400000_NS6detail17trampoline_kernelINS0_14default_configENS1_33run_length_encode_config_selectorIijNS0_4plusIjEEEEZZNS1_33reduce_by_key_impl_wrapped_configILNS1_25lookback_scan_determinismE0ES3_S7_PKiNS0_17constant_iteratorIjlEEPiPlSF_S6_NS0_8equal_toIiEEEE10hipError_tPvRmT2_T3_mT4_T5_T6_T7_T8_P12ihipStream_tbENKUlT_T0_E_clISt17integral_constantIbLb0EESY_IbLb1EEEEDaSU_SV_EUlSU_E_NS1_11comp_targetILNS1_3genE5ELNS1_11target_archE942ELNS1_3gpuE9ELNS1_3repE0EEENS1_30default_config_static_selectorELNS0_4arch9wavefront6targetE1EEEvT1_
		.amdhsa_group_segment_fixed_size 30720
		.amdhsa_private_segment_fixed_size 0
		.amdhsa_kernarg_size 128
		.amdhsa_user_sgpr_count 2
		.amdhsa_user_sgpr_dispatch_ptr 0
		.amdhsa_user_sgpr_queue_ptr 0
		.amdhsa_user_sgpr_kernarg_segment_ptr 1
		.amdhsa_user_sgpr_dispatch_id 0
		.amdhsa_user_sgpr_kernarg_preload_length 0
		.amdhsa_user_sgpr_kernarg_preload_offset 0
		.amdhsa_user_sgpr_private_segment_size 0
		.amdhsa_uses_dynamic_stack 0
		.amdhsa_enable_private_segment 0
		.amdhsa_system_sgpr_workgroup_id_x 1
		.amdhsa_system_sgpr_workgroup_id_y 0
		.amdhsa_system_sgpr_workgroup_id_z 0
		.amdhsa_system_sgpr_workgroup_info 0
		.amdhsa_system_vgpr_workitem_id 0
		.amdhsa_next_free_vgpr 104
		.amdhsa_next_free_sgpr 66
		.amdhsa_accum_offset 104
		.amdhsa_reserve_vcc 1
		.amdhsa_float_round_mode_32 0
		.amdhsa_float_round_mode_16_64 0
		.amdhsa_float_denorm_mode_32 3
		.amdhsa_float_denorm_mode_16_64 3
		.amdhsa_dx10_clamp 1
		.amdhsa_ieee_mode 1
		.amdhsa_fp16_overflow 0
		.amdhsa_tg_split 0
		.amdhsa_exception_fp_ieee_invalid_op 0
		.amdhsa_exception_fp_denorm_src 0
		.amdhsa_exception_fp_ieee_div_zero 0
		.amdhsa_exception_fp_ieee_overflow 0
		.amdhsa_exception_fp_ieee_underflow 0
		.amdhsa_exception_fp_ieee_inexact 0
		.amdhsa_exception_int_div_zero 0
	.end_amdhsa_kernel
	.section	.text._ZN7rocprim17ROCPRIM_400000_NS6detail17trampoline_kernelINS0_14default_configENS1_33run_length_encode_config_selectorIijNS0_4plusIjEEEEZZNS1_33reduce_by_key_impl_wrapped_configILNS1_25lookback_scan_determinismE0ES3_S7_PKiNS0_17constant_iteratorIjlEEPiPlSF_S6_NS0_8equal_toIiEEEE10hipError_tPvRmT2_T3_mT4_T5_T6_T7_T8_P12ihipStream_tbENKUlT_T0_E_clISt17integral_constantIbLb0EESY_IbLb1EEEEDaSU_SV_EUlSU_E_NS1_11comp_targetILNS1_3genE5ELNS1_11target_archE942ELNS1_3gpuE9ELNS1_3repE0EEENS1_30default_config_static_selectorELNS0_4arch9wavefront6targetE1EEEvT1_,"axG",@progbits,_ZN7rocprim17ROCPRIM_400000_NS6detail17trampoline_kernelINS0_14default_configENS1_33run_length_encode_config_selectorIijNS0_4plusIjEEEEZZNS1_33reduce_by_key_impl_wrapped_configILNS1_25lookback_scan_determinismE0ES3_S7_PKiNS0_17constant_iteratorIjlEEPiPlSF_S6_NS0_8equal_toIiEEEE10hipError_tPvRmT2_T3_mT4_T5_T6_T7_T8_P12ihipStream_tbENKUlT_T0_E_clISt17integral_constantIbLb0EESY_IbLb1EEEEDaSU_SV_EUlSU_E_NS1_11comp_targetILNS1_3genE5ELNS1_11target_archE942ELNS1_3gpuE9ELNS1_3repE0EEENS1_30default_config_static_selectorELNS0_4arch9wavefront6targetE1EEEvT1_,comdat
.Lfunc_end470:
	.size	_ZN7rocprim17ROCPRIM_400000_NS6detail17trampoline_kernelINS0_14default_configENS1_33run_length_encode_config_selectorIijNS0_4plusIjEEEEZZNS1_33reduce_by_key_impl_wrapped_configILNS1_25lookback_scan_determinismE0ES3_S7_PKiNS0_17constant_iteratorIjlEEPiPlSF_S6_NS0_8equal_toIiEEEE10hipError_tPvRmT2_T3_mT4_T5_T6_T7_T8_P12ihipStream_tbENKUlT_T0_E_clISt17integral_constantIbLb0EESY_IbLb1EEEEDaSU_SV_EUlSU_E_NS1_11comp_targetILNS1_3genE5ELNS1_11target_archE942ELNS1_3gpuE9ELNS1_3repE0EEENS1_30default_config_static_selectorELNS0_4arch9wavefront6targetE1EEEvT1_, .Lfunc_end470-_ZN7rocprim17ROCPRIM_400000_NS6detail17trampoline_kernelINS0_14default_configENS1_33run_length_encode_config_selectorIijNS0_4plusIjEEEEZZNS1_33reduce_by_key_impl_wrapped_configILNS1_25lookback_scan_determinismE0ES3_S7_PKiNS0_17constant_iteratorIjlEEPiPlSF_S6_NS0_8equal_toIiEEEE10hipError_tPvRmT2_T3_mT4_T5_T6_T7_T8_P12ihipStream_tbENKUlT_T0_E_clISt17integral_constantIbLb0EESY_IbLb1EEEEDaSU_SV_EUlSU_E_NS1_11comp_targetILNS1_3genE5ELNS1_11target_archE942ELNS1_3gpuE9ELNS1_3repE0EEENS1_30default_config_static_selectorELNS0_4arch9wavefront6targetE1EEEvT1_
                                        ; -- End function
	.section	.AMDGPU.csdata,"",@progbits
; Kernel info:
; codeLenInByte = 14876
; NumSgprs: 72
; NumVgprs: 104
; NumAgprs: 0
; TotalNumVgprs: 104
; ScratchSize: 0
; MemoryBound: 0
; FloatMode: 240
; IeeeMode: 1
; LDSByteSize: 30720 bytes/workgroup (compile time only)
; SGPRBlocks: 8
; VGPRBlocks: 12
; NumSGPRsForWavesPerEU: 72
; NumVGPRsForWavesPerEU: 104
; AccumOffset: 104
; Occupancy: 4
; WaveLimiterHint : 1
; COMPUTE_PGM_RSRC2:SCRATCH_EN: 0
; COMPUTE_PGM_RSRC2:USER_SGPR: 2
; COMPUTE_PGM_RSRC2:TRAP_HANDLER: 0
; COMPUTE_PGM_RSRC2:TGID_X_EN: 1
; COMPUTE_PGM_RSRC2:TGID_Y_EN: 0
; COMPUTE_PGM_RSRC2:TGID_Z_EN: 0
; COMPUTE_PGM_RSRC2:TIDIG_COMP_CNT: 0
; COMPUTE_PGM_RSRC3_GFX90A:ACCUM_OFFSET: 25
; COMPUTE_PGM_RSRC3_GFX90A:TG_SPLIT: 0
	.section	.text._ZN7rocprim17ROCPRIM_400000_NS6detail17trampoline_kernelINS0_14default_configENS1_33run_length_encode_config_selectorIijNS0_4plusIjEEEEZZNS1_33reduce_by_key_impl_wrapped_configILNS1_25lookback_scan_determinismE0ES3_S7_PKiNS0_17constant_iteratorIjlEEPiPlSF_S6_NS0_8equal_toIiEEEE10hipError_tPvRmT2_T3_mT4_T5_T6_T7_T8_P12ihipStream_tbENKUlT_T0_E_clISt17integral_constantIbLb0EESY_IbLb1EEEEDaSU_SV_EUlSU_E_NS1_11comp_targetILNS1_3genE4ELNS1_11target_archE910ELNS1_3gpuE8ELNS1_3repE0EEENS1_30default_config_static_selectorELNS0_4arch9wavefront6targetE1EEEvT1_,"axG",@progbits,_ZN7rocprim17ROCPRIM_400000_NS6detail17trampoline_kernelINS0_14default_configENS1_33run_length_encode_config_selectorIijNS0_4plusIjEEEEZZNS1_33reduce_by_key_impl_wrapped_configILNS1_25lookback_scan_determinismE0ES3_S7_PKiNS0_17constant_iteratorIjlEEPiPlSF_S6_NS0_8equal_toIiEEEE10hipError_tPvRmT2_T3_mT4_T5_T6_T7_T8_P12ihipStream_tbENKUlT_T0_E_clISt17integral_constantIbLb0EESY_IbLb1EEEEDaSU_SV_EUlSU_E_NS1_11comp_targetILNS1_3genE4ELNS1_11target_archE910ELNS1_3gpuE8ELNS1_3repE0EEENS1_30default_config_static_selectorELNS0_4arch9wavefront6targetE1EEEvT1_,comdat
	.protected	_ZN7rocprim17ROCPRIM_400000_NS6detail17trampoline_kernelINS0_14default_configENS1_33run_length_encode_config_selectorIijNS0_4plusIjEEEEZZNS1_33reduce_by_key_impl_wrapped_configILNS1_25lookback_scan_determinismE0ES3_S7_PKiNS0_17constant_iteratorIjlEEPiPlSF_S6_NS0_8equal_toIiEEEE10hipError_tPvRmT2_T3_mT4_T5_T6_T7_T8_P12ihipStream_tbENKUlT_T0_E_clISt17integral_constantIbLb0EESY_IbLb1EEEEDaSU_SV_EUlSU_E_NS1_11comp_targetILNS1_3genE4ELNS1_11target_archE910ELNS1_3gpuE8ELNS1_3repE0EEENS1_30default_config_static_selectorELNS0_4arch9wavefront6targetE1EEEvT1_ ; -- Begin function _ZN7rocprim17ROCPRIM_400000_NS6detail17trampoline_kernelINS0_14default_configENS1_33run_length_encode_config_selectorIijNS0_4plusIjEEEEZZNS1_33reduce_by_key_impl_wrapped_configILNS1_25lookback_scan_determinismE0ES3_S7_PKiNS0_17constant_iteratorIjlEEPiPlSF_S6_NS0_8equal_toIiEEEE10hipError_tPvRmT2_T3_mT4_T5_T6_T7_T8_P12ihipStream_tbENKUlT_T0_E_clISt17integral_constantIbLb0EESY_IbLb1EEEEDaSU_SV_EUlSU_E_NS1_11comp_targetILNS1_3genE4ELNS1_11target_archE910ELNS1_3gpuE8ELNS1_3repE0EEENS1_30default_config_static_selectorELNS0_4arch9wavefront6targetE1EEEvT1_
	.globl	_ZN7rocprim17ROCPRIM_400000_NS6detail17trampoline_kernelINS0_14default_configENS1_33run_length_encode_config_selectorIijNS0_4plusIjEEEEZZNS1_33reduce_by_key_impl_wrapped_configILNS1_25lookback_scan_determinismE0ES3_S7_PKiNS0_17constant_iteratorIjlEEPiPlSF_S6_NS0_8equal_toIiEEEE10hipError_tPvRmT2_T3_mT4_T5_T6_T7_T8_P12ihipStream_tbENKUlT_T0_E_clISt17integral_constantIbLb0EESY_IbLb1EEEEDaSU_SV_EUlSU_E_NS1_11comp_targetILNS1_3genE4ELNS1_11target_archE910ELNS1_3gpuE8ELNS1_3repE0EEENS1_30default_config_static_selectorELNS0_4arch9wavefront6targetE1EEEvT1_
	.p2align	8
	.type	_ZN7rocprim17ROCPRIM_400000_NS6detail17trampoline_kernelINS0_14default_configENS1_33run_length_encode_config_selectorIijNS0_4plusIjEEEEZZNS1_33reduce_by_key_impl_wrapped_configILNS1_25lookback_scan_determinismE0ES3_S7_PKiNS0_17constant_iteratorIjlEEPiPlSF_S6_NS0_8equal_toIiEEEE10hipError_tPvRmT2_T3_mT4_T5_T6_T7_T8_P12ihipStream_tbENKUlT_T0_E_clISt17integral_constantIbLb0EESY_IbLb1EEEEDaSU_SV_EUlSU_E_NS1_11comp_targetILNS1_3genE4ELNS1_11target_archE910ELNS1_3gpuE8ELNS1_3repE0EEENS1_30default_config_static_selectorELNS0_4arch9wavefront6targetE1EEEvT1_,@function
_ZN7rocprim17ROCPRIM_400000_NS6detail17trampoline_kernelINS0_14default_configENS1_33run_length_encode_config_selectorIijNS0_4plusIjEEEEZZNS1_33reduce_by_key_impl_wrapped_configILNS1_25lookback_scan_determinismE0ES3_S7_PKiNS0_17constant_iteratorIjlEEPiPlSF_S6_NS0_8equal_toIiEEEE10hipError_tPvRmT2_T3_mT4_T5_T6_T7_T8_P12ihipStream_tbENKUlT_T0_E_clISt17integral_constantIbLb0EESY_IbLb1EEEEDaSU_SV_EUlSU_E_NS1_11comp_targetILNS1_3genE4ELNS1_11target_archE910ELNS1_3gpuE8ELNS1_3repE0EEENS1_30default_config_static_selectorELNS0_4arch9wavefront6targetE1EEEvT1_: ; @_ZN7rocprim17ROCPRIM_400000_NS6detail17trampoline_kernelINS0_14default_configENS1_33run_length_encode_config_selectorIijNS0_4plusIjEEEEZZNS1_33reduce_by_key_impl_wrapped_configILNS1_25lookback_scan_determinismE0ES3_S7_PKiNS0_17constant_iteratorIjlEEPiPlSF_S6_NS0_8equal_toIiEEEE10hipError_tPvRmT2_T3_mT4_T5_T6_T7_T8_P12ihipStream_tbENKUlT_T0_E_clISt17integral_constantIbLb0EESY_IbLb1EEEEDaSU_SV_EUlSU_E_NS1_11comp_targetILNS1_3genE4ELNS1_11target_archE910ELNS1_3gpuE8ELNS1_3repE0EEENS1_30default_config_static_selectorELNS0_4arch9wavefront6targetE1EEEvT1_
; %bb.0:
	.section	.rodata,"a",@progbits
	.p2align	6, 0x0
	.amdhsa_kernel _ZN7rocprim17ROCPRIM_400000_NS6detail17trampoline_kernelINS0_14default_configENS1_33run_length_encode_config_selectorIijNS0_4plusIjEEEEZZNS1_33reduce_by_key_impl_wrapped_configILNS1_25lookback_scan_determinismE0ES3_S7_PKiNS0_17constant_iteratorIjlEEPiPlSF_S6_NS0_8equal_toIiEEEE10hipError_tPvRmT2_T3_mT4_T5_T6_T7_T8_P12ihipStream_tbENKUlT_T0_E_clISt17integral_constantIbLb0EESY_IbLb1EEEEDaSU_SV_EUlSU_E_NS1_11comp_targetILNS1_3genE4ELNS1_11target_archE910ELNS1_3gpuE8ELNS1_3repE0EEENS1_30default_config_static_selectorELNS0_4arch9wavefront6targetE1EEEvT1_
		.amdhsa_group_segment_fixed_size 0
		.amdhsa_private_segment_fixed_size 0
		.amdhsa_kernarg_size 128
		.amdhsa_user_sgpr_count 2
		.amdhsa_user_sgpr_dispatch_ptr 0
		.amdhsa_user_sgpr_queue_ptr 0
		.amdhsa_user_sgpr_kernarg_segment_ptr 1
		.amdhsa_user_sgpr_dispatch_id 0
		.amdhsa_user_sgpr_kernarg_preload_length 0
		.amdhsa_user_sgpr_kernarg_preload_offset 0
		.amdhsa_user_sgpr_private_segment_size 0
		.amdhsa_uses_dynamic_stack 0
		.amdhsa_enable_private_segment 0
		.amdhsa_system_sgpr_workgroup_id_x 1
		.amdhsa_system_sgpr_workgroup_id_y 0
		.amdhsa_system_sgpr_workgroup_id_z 0
		.amdhsa_system_sgpr_workgroup_info 0
		.amdhsa_system_vgpr_workitem_id 0
		.amdhsa_next_free_vgpr 1
		.amdhsa_next_free_sgpr 0
		.amdhsa_accum_offset 4
		.amdhsa_reserve_vcc 0
		.amdhsa_float_round_mode_32 0
		.amdhsa_float_round_mode_16_64 0
		.amdhsa_float_denorm_mode_32 3
		.amdhsa_float_denorm_mode_16_64 3
		.amdhsa_dx10_clamp 1
		.amdhsa_ieee_mode 1
		.amdhsa_fp16_overflow 0
		.amdhsa_tg_split 0
		.amdhsa_exception_fp_ieee_invalid_op 0
		.amdhsa_exception_fp_denorm_src 0
		.amdhsa_exception_fp_ieee_div_zero 0
		.amdhsa_exception_fp_ieee_overflow 0
		.amdhsa_exception_fp_ieee_underflow 0
		.amdhsa_exception_fp_ieee_inexact 0
		.amdhsa_exception_int_div_zero 0
	.end_amdhsa_kernel
	.section	.text._ZN7rocprim17ROCPRIM_400000_NS6detail17trampoline_kernelINS0_14default_configENS1_33run_length_encode_config_selectorIijNS0_4plusIjEEEEZZNS1_33reduce_by_key_impl_wrapped_configILNS1_25lookback_scan_determinismE0ES3_S7_PKiNS0_17constant_iteratorIjlEEPiPlSF_S6_NS0_8equal_toIiEEEE10hipError_tPvRmT2_T3_mT4_T5_T6_T7_T8_P12ihipStream_tbENKUlT_T0_E_clISt17integral_constantIbLb0EESY_IbLb1EEEEDaSU_SV_EUlSU_E_NS1_11comp_targetILNS1_3genE4ELNS1_11target_archE910ELNS1_3gpuE8ELNS1_3repE0EEENS1_30default_config_static_selectorELNS0_4arch9wavefront6targetE1EEEvT1_,"axG",@progbits,_ZN7rocprim17ROCPRIM_400000_NS6detail17trampoline_kernelINS0_14default_configENS1_33run_length_encode_config_selectorIijNS0_4plusIjEEEEZZNS1_33reduce_by_key_impl_wrapped_configILNS1_25lookback_scan_determinismE0ES3_S7_PKiNS0_17constant_iteratorIjlEEPiPlSF_S6_NS0_8equal_toIiEEEE10hipError_tPvRmT2_T3_mT4_T5_T6_T7_T8_P12ihipStream_tbENKUlT_T0_E_clISt17integral_constantIbLb0EESY_IbLb1EEEEDaSU_SV_EUlSU_E_NS1_11comp_targetILNS1_3genE4ELNS1_11target_archE910ELNS1_3gpuE8ELNS1_3repE0EEENS1_30default_config_static_selectorELNS0_4arch9wavefront6targetE1EEEvT1_,comdat
.Lfunc_end471:
	.size	_ZN7rocprim17ROCPRIM_400000_NS6detail17trampoline_kernelINS0_14default_configENS1_33run_length_encode_config_selectorIijNS0_4plusIjEEEEZZNS1_33reduce_by_key_impl_wrapped_configILNS1_25lookback_scan_determinismE0ES3_S7_PKiNS0_17constant_iteratorIjlEEPiPlSF_S6_NS0_8equal_toIiEEEE10hipError_tPvRmT2_T3_mT4_T5_T6_T7_T8_P12ihipStream_tbENKUlT_T0_E_clISt17integral_constantIbLb0EESY_IbLb1EEEEDaSU_SV_EUlSU_E_NS1_11comp_targetILNS1_3genE4ELNS1_11target_archE910ELNS1_3gpuE8ELNS1_3repE0EEENS1_30default_config_static_selectorELNS0_4arch9wavefront6targetE1EEEvT1_, .Lfunc_end471-_ZN7rocprim17ROCPRIM_400000_NS6detail17trampoline_kernelINS0_14default_configENS1_33run_length_encode_config_selectorIijNS0_4plusIjEEEEZZNS1_33reduce_by_key_impl_wrapped_configILNS1_25lookback_scan_determinismE0ES3_S7_PKiNS0_17constant_iteratorIjlEEPiPlSF_S6_NS0_8equal_toIiEEEE10hipError_tPvRmT2_T3_mT4_T5_T6_T7_T8_P12ihipStream_tbENKUlT_T0_E_clISt17integral_constantIbLb0EESY_IbLb1EEEEDaSU_SV_EUlSU_E_NS1_11comp_targetILNS1_3genE4ELNS1_11target_archE910ELNS1_3gpuE8ELNS1_3repE0EEENS1_30default_config_static_selectorELNS0_4arch9wavefront6targetE1EEEvT1_
                                        ; -- End function
	.section	.AMDGPU.csdata,"",@progbits
; Kernel info:
; codeLenInByte = 0
; NumSgprs: 6
; NumVgprs: 0
; NumAgprs: 0
; TotalNumVgprs: 0
; ScratchSize: 0
; MemoryBound: 0
; FloatMode: 240
; IeeeMode: 1
; LDSByteSize: 0 bytes/workgroup (compile time only)
; SGPRBlocks: 0
; VGPRBlocks: 0
; NumSGPRsForWavesPerEU: 6
; NumVGPRsForWavesPerEU: 1
; AccumOffset: 4
; Occupancy: 8
; WaveLimiterHint : 0
; COMPUTE_PGM_RSRC2:SCRATCH_EN: 0
; COMPUTE_PGM_RSRC2:USER_SGPR: 2
; COMPUTE_PGM_RSRC2:TRAP_HANDLER: 0
; COMPUTE_PGM_RSRC2:TGID_X_EN: 1
; COMPUTE_PGM_RSRC2:TGID_Y_EN: 0
; COMPUTE_PGM_RSRC2:TGID_Z_EN: 0
; COMPUTE_PGM_RSRC2:TIDIG_COMP_CNT: 0
; COMPUTE_PGM_RSRC3_GFX90A:ACCUM_OFFSET: 0
; COMPUTE_PGM_RSRC3_GFX90A:TG_SPLIT: 0
	.section	.text._ZN7rocprim17ROCPRIM_400000_NS6detail17trampoline_kernelINS0_14default_configENS1_33run_length_encode_config_selectorIijNS0_4plusIjEEEEZZNS1_33reduce_by_key_impl_wrapped_configILNS1_25lookback_scan_determinismE0ES3_S7_PKiNS0_17constant_iteratorIjlEEPiPlSF_S6_NS0_8equal_toIiEEEE10hipError_tPvRmT2_T3_mT4_T5_T6_T7_T8_P12ihipStream_tbENKUlT_T0_E_clISt17integral_constantIbLb0EESY_IbLb1EEEEDaSU_SV_EUlSU_E_NS1_11comp_targetILNS1_3genE3ELNS1_11target_archE908ELNS1_3gpuE7ELNS1_3repE0EEENS1_30default_config_static_selectorELNS0_4arch9wavefront6targetE1EEEvT1_,"axG",@progbits,_ZN7rocprim17ROCPRIM_400000_NS6detail17trampoline_kernelINS0_14default_configENS1_33run_length_encode_config_selectorIijNS0_4plusIjEEEEZZNS1_33reduce_by_key_impl_wrapped_configILNS1_25lookback_scan_determinismE0ES3_S7_PKiNS0_17constant_iteratorIjlEEPiPlSF_S6_NS0_8equal_toIiEEEE10hipError_tPvRmT2_T3_mT4_T5_T6_T7_T8_P12ihipStream_tbENKUlT_T0_E_clISt17integral_constantIbLb0EESY_IbLb1EEEEDaSU_SV_EUlSU_E_NS1_11comp_targetILNS1_3genE3ELNS1_11target_archE908ELNS1_3gpuE7ELNS1_3repE0EEENS1_30default_config_static_selectorELNS0_4arch9wavefront6targetE1EEEvT1_,comdat
	.protected	_ZN7rocprim17ROCPRIM_400000_NS6detail17trampoline_kernelINS0_14default_configENS1_33run_length_encode_config_selectorIijNS0_4plusIjEEEEZZNS1_33reduce_by_key_impl_wrapped_configILNS1_25lookback_scan_determinismE0ES3_S7_PKiNS0_17constant_iteratorIjlEEPiPlSF_S6_NS0_8equal_toIiEEEE10hipError_tPvRmT2_T3_mT4_T5_T6_T7_T8_P12ihipStream_tbENKUlT_T0_E_clISt17integral_constantIbLb0EESY_IbLb1EEEEDaSU_SV_EUlSU_E_NS1_11comp_targetILNS1_3genE3ELNS1_11target_archE908ELNS1_3gpuE7ELNS1_3repE0EEENS1_30default_config_static_selectorELNS0_4arch9wavefront6targetE1EEEvT1_ ; -- Begin function _ZN7rocprim17ROCPRIM_400000_NS6detail17trampoline_kernelINS0_14default_configENS1_33run_length_encode_config_selectorIijNS0_4plusIjEEEEZZNS1_33reduce_by_key_impl_wrapped_configILNS1_25lookback_scan_determinismE0ES3_S7_PKiNS0_17constant_iteratorIjlEEPiPlSF_S6_NS0_8equal_toIiEEEE10hipError_tPvRmT2_T3_mT4_T5_T6_T7_T8_P12ihipStream_tbENKUlT_T0_E_clISt17integral_constantIbLb0EESY_IbLb1EEEEDaSU_SV_EUlSU_E_NS1_11comp_targetILNS1_3genE3ELNS1_11target_archE908ELNS1_3gpuE7ELNS1_3repE0EEENS1_30default_config_static_selectorELNS0_4arch9wavefront6targetE1EEEvT1_
	.globl	_ZN7rocprim17ROCPRIM_400000_NS6detail17trampoline_kernelINS0_14default_configENS1_33run_length_encode_config_selectorIijNS0_4plusIjEEEEZZNS1_33reduce_by_key_impl_wrapped_configILNS1_25lookback_scan_determinismE0ES3_S7_PKiNS0_17constant_iteratorIjlEEPiPlSF_S6_NS0_8equal_toIiEEEE10hipError_tPvRmT2_T3_mT4_T5_T6_T7_T8_P12ihipStream_tbENKUlT_T0_E_clISt17integral_constantIbLb0EESY_IbLb1EEEEDaSU_SV_EUlSU_E_NS1_11comp_targetILNS1_3genE3ELNS1_11target_archE908ELNS1_3gpuE7ELNS1_3repE0EEENS1_30default_config_static_selectorELNS0_4arch9wavefront6targetE1EEEvT1_
	.p2align	8
	.type	_ZN7rocprim17ROCPRIM_400000_NS6detail17trampoline_kernelINS0_14default_configENS1_33run_length_encode_config_selectorIijNS0_4plusIjEEEEZZNS1_33reduce_by_key_impl_wrapped_configILNS1_25lookback_scan_determinismE0ES3_S7_PKiNS0_17constant_iteratorIjlEEPiPlSF_S6_NS0_8equal_toIiEEEE10hipError_tPvRmT2_T3_mT4_T5_T6_T7_T8_P12ihipStream_tbENKUlT_T0_E_clISt17integral_constantIbLb0EESY_IbLb1EEEEDaSU_SV_EUlSU_E_NS1_11comp_targetILNS1_3genE3ELNS1_11target_archE908ELNS1_3gpuE7ELNS1_3repE0EEENS1_30default_config_static_selectorELNS0_4arch9wavefront6targetE1EEEvT1_,@function
_ZN7rocprim17ROCPRIM_400000_NS6detail17trampoline_kernelINS0_14default_configENS1_33run_length_encode_config_selectorIijNS0_4plusIjEEEEZZNS1_33reduce_by_key_impl_wrapped_configILNS1_25lookback_scan_determinismE0ES3_S7_PKiNS0_17constant_iteratorIjlEEPiPlSF_S6_NS0_8equal_toIiEEEE10hipError_tPvRmT2_T3_mT4_T5_T6_T7_T8_P12ihipStream_tbENKUlT_T0_E_clISt17integral_constantIbLb0EESY_IbLb1EEEEDaSU_SV_EUlSU_E_NS1_11comp_targetILNS1_3genE3ELNS1_11target_archE908ELNS1_3gpuE7ELNS1_3repE0EEENS1_30default_config_static_selectorELNS0_4arch9wavefront6targetE1EEEvT1_: ; @_ZN7rocprim17ROCPRIM_400000_NS6detail17trampoline_kernelINS0_14default_configENS1_33run_length_encode_config_selectorIijNS0_4plusIjEEEEZZNS1_33reduce_by_key_impl_wrapped_configILNS1_25lookback_scan_determinismE0ES3_S7_PKiNS0_17constant_iteratorIjlEEPiPlSF_S6_NS0_8equal_toIiEEEE10hipError_tPvRmT2_T3_mT4_T5_T6_T7_T8_P12ihipStream_tbENKUlT_T0_E_clISt17integral_constantIbLb0EESY_IbLb1EEEEDaSU_SV_EUlSU_E_NS1_11comp_targetILNS1_3genE3ELNS1_11target_archE908ELNS1_3gpuE7ELNS1_3repE0EEENS1_30default_config_static_selectorELNS0_4arch9wavefront6targetE1EEEvT1_
; %bb.0:
	.section	.rodata,"a",@progbits
	.p2align	6, 0x0
	.amdhsa_kernel _ZN7rocprim17ROCPRIM_400000_NS6detail17trampoline_kernelINS0_14default_configENS1_33run_length_encode_config_selectorIijNS0_4plusIjEEEEZZNS1_33reduce_by_key_impl_wrapped_configILNS1_25lookback_scan_determinismE0ES3_S7_PKiNS0_17constant_iteratorIjlEEPiPlSF_S6_NS0_8equal_toIiEEEE10hipError_tPvRmT2_T3_mT4_T5_T6_T7_T8_P12ihipStream_tbENKUlT_T0_E_clISt17integral_constantIbLb0EESY_IbLb1EEEEDaSU_SV_EUlSU_E_NS1_11comp_targetILNS1_3genE3ELNS1_11target_archE908ELNS1_3gpuE7ELNS1_3repE0EEENS1_30default_config_static_selectorELNS0_4arch9wavefront6targetE1EEEvT1_
		.amdhsa_group_segment_fixed_size 0
		.amdhsa_private_segment_fixed_size 0
		.amdhsa_kernarg_size 128
		.amdhsa_user_sgpr_count 2
		.amdhsa_user_sgpr_dispatch_ptr 0
		.amdhsa_user_sgpr_queue_ptr 0
		.amdhsa_user_sgpr_kernarg_segment_ptr 1
		.amdhsa_user_sgpr_dispatch_id 0
		.amdhsa_user_sgpr_kernarg_preload_length 0
		.amdhsa_user_sgpr_kernarg_preload_offset 0
		.amdhsa_user_sgpr_private_segment_size 0
		.amdhsa_uses_dynamic_stack 0
		.amdhsa_enable_private_segment 0
		.amdhsa_system_sgpr_workgroup_id_x 1
		.amdhsa_system_sgpr_workgroup_id_y 0
		.amdhsa_system_sgpr_workgroup_id_z 0
		.amdhsa_system_sgpr_workgroup_info 0
		.amdhsa_system_vgpr_workitem_id 0
		.amdhsa_next_free_vgpr 1
		.amdhsa_next_free_sgpr 0
		.amdhsa_accum_offset 4
		.amdhsa_reserve_vcc 0
		.amdhsa_float_round_mode_32 0
		.amdhsa_float_round_mode_16_64 0
		.amdhsa_float_denorm_mode_32 3
		.amdhsa_float_denorm_mode_16_64 3
		.amdhsa_dx10_clamp 1
		.amdhsa_ieee_mode 1
		.amdhsa_fp16_overflow 0
		.amdhsa_tg_split 0
		.amdhsa_exception_fp_ieee_invalid_op 0
		.amdhsa_exception_fp_denorm_src 0
		.amdhsa_exception_fp_ieee_div_zero 0
		.amdhsa_exception_fp_ieee_overflow 0
		.amdhsa_exception_fp_ieee_underflow 0
		.amdhsa_exception_fp_ieee_inexact 0
		.amdhsa_exception_int_div_zero 0
	.end_amdhsa_kernel
	.section	.text._ZN7rocprim17ROCPRIM_400000_NS6detail17trampoline_kernelINS0_14default_configENS1_33run_length_encode_config_selectorIijNS0_4plusIjEEEEZZNS1_33reduce_by_key_impl_wrapped_configILNS1_25lookback_scan_determinismE0ES3_S7_PKiNS0_17constant_iteratorIjlEEPiPlSF_S6_NS0_8equal_toIiEEEE10hipError_tPvRmT2_T3_mT4_T5_T6_T7_T8_P12ihipStream_tbENKUlT_T0_E_clISt17integral_constantIbLb0EESY_IbLb1EEEEDaSU_SV_EUlSU_E_NS1_11comp_targetILNS1_3genE3ELNS1_11target_archE908ELNS1_3gpuE7ELNS1_3repE0EEENS1_30default_config_static_selectorELNS0_4arch9wavefront6targetE1EEEvT1_,"axG",@progbits,_ZN7rocprim17ROCPRIM_400000_NS6detail17trampoline_kernelINS0_14default_configENS1_33run_length_encode_config_selectorIijNS0_4plusIjEEEEZZNS1_33reduce_by_key_impl_wrapped_configILNS1_25lookback_scan_determinismE0ES3_S7_PKiNS0_17constant_iteratorIjlEEPiPlSF_S6_NS0_8equal_toIiEEEE10hipError_tPvRmT2_T3_mT4_T5_T6_T7_T8_P12ihipStream_tbENKUlT_T0_E_clISt17integral_constantIbLb0EESY_IbLb1EEEEDaSU_SV_EUlSU_E_NS1_11comp_targetILNS1_3genE3ELNS1_11target_archE908ELNS1_3gpuE7ELNS1_3repE0EEENS1_30default_config_static_selectorELNS0_4arch9wavefront6targetE1EEEvT1_,comdat
.Lfunc_end472:
	.size	_ZN7rocprim17ROCPRIM_400000_NS6detail17trampoline_kernelINS0_14default_configENS1_33run_length_encode_config_selectorIijNS0_4plusIjEEEEZZNS1_33reduce_by_key_impl_wrapped_configILNS1_25lookback_scan_determinismE0ES3_S7_PKiNS0_17constant_iteratorIjlEEPiPlSF_S6_NS0_8equal_toIiEEEE10hipError_tPvRmT2_T3_mT4_T5_T6_T7_T8_P12ihipStream_tbENKUlT_T0_E_clISt17integral_constantIbLb0EESY_IbLb1EEEEDaSU_SV_EUlSU_E_NS1_11comp_targetILNS1_3genE3ELNS1_11target_archE908ELNS1_3gpuE7ELNS1_3repE0EEENS1_30default_config_static_selectorELNS0_4arch9wavefront6targetE1EEEvT1_, .Lfunc_end472-_ZN7rocprim17ROCPRIM_400000_NS6detail17trampoline_kernelINS0_14default_configENS1_33run_length_encode_config_selectorIijNS0_4plusIjEEEEZZNS1_33reduce_by_key_impl_wrapped_configILNS1_25lookback_scan_determinismE0ES3_S7_PKiNS0_17constant_iteratorIjlEEPiPlSF_S6_NS0_8equal_toIiEEEE10hipError_tPvRmT2_T3_mT4_T5_T6_T7_T8_P12ihipStream_tbENKUlT_T0_E_clISt17integral_constantIbLb0EESY_IbLb1EEEEDaSU_SV_EUlSU_E_NS1_11comp_targetILNS1_3genE3ELNS1_11target_archE908ELNS1_3gpuE7ELNS1_3repE0EEENS1_30default_config_static_selectorELNS0_4arch9wavefront6targetE1EEEvT1_
                                        ; -- End function
	.section	.AMDGPU.csdata,"",@progbits
; Kernel info:
; codeLenInByte = 0
; NumSgprs: 6
; NumVgprs: 0
; NumAgprs: 0
; TotalNumVgprs: 0
; ScratchSize: 0
; MemoryBound: 0
; FloatMode: 240
; IeeeMode: 1
; LDSByteSize: 0 bytes/workgroup (compile time only)
; SGPRBlocks: 0
; VGPRBlocks: 0
; NumSGPRsForWavesPerEU: 6
; NumVGPRsForWavesPerEU: 1
; AccumOffset: 4
; Occupancy: 8
; WaveLimiterHint : 0
; COMPUTE_PGM_RSRC2:SCRATCH_EN: 0
; COMPUTE_PGM_RSRC2:USER_SGPR: 2
; COMPUTE_PGM_RSRC2:TRAP_HANDLER: 0
; COMPUTE_PGM_RSRC2:TGID_X_EN: 1
; COMPUTE_PGM_RSRC2:TGID_Y_EN: 0
; COMPUTE_PGM_RSRC2:TGID_Z_EN: 0
; COMPUTE_PGM_RSRC2:TIDIG_COMP_CNT: 0
; COMPUTE_PGM_RSRC3_GFX90A:ACCUM_OFFSET: 0
; COMPUTE_PGM_RSRC3_GFX90A:TG_SPLIT: 0
	.section	.text._ZN7rocprim17ROCPRIM_400000_NS6detail17trampoline_kernelINS0_14default_configENS1_33run_length_encode_config_selectorIijNS0_4plusIjEEEEZZNS1_33reduce_by_key_impl_wrapped_configILNS1_25lookback_scan_determinismE0ES3_S7_PKiNS0_17constant_iteratorIjlEEPiPlSF_S6_NS0_8equal_toIiEEEE10hipError_tPvRmT2_T3_mT4_T5_T6_T7_T8_P12ihipStream_tbENKUlT_T0_E_clISt17integral_constantIbLb0EESY_IbLb1EEEEDaSU_SV_EUlSU_E_NS1_11comp_targetILNS1_3genE2ELNS1_11target_archE906ELNS1_3gpuE6ELNS1_3repE0EEENS1_30default_config_static_selectorELNS0_4arch9wavefront6targetE1EEEvT1_,"axG",@progbits,_ZN7rocprim17ROCPRIM_400000_NS6detail17trampoline_kernelINS0_14default_configENS1_33run_length_encode_config_selectorIijNS0_4plusIjEEEEZZNS1_33reduce_by_key_impl_wrapped_configILNS1_25lookback_scan_determinismE0ES3_S7_PKiNS0_17constant_iteratorIjlEEPiPlSF_S6_NS0_8equal_toIiEEEE10hipError_tPvRmT2_T3_mT4_T5_T6_T7_T8_P12ihipStream_tbENKUlT_T0_E_clISt17integral_constantIbLb0EESY_IbLb1EEEEDaSU_SV_EUlSU_E_NS1_11comp_targetILNS1_3genE2ELNS1_11target_archE906ELNS1_3gpuE6ELNS1_3repE0EEENS1_30default_config_static_selectorELNS0_4arch9wavefront6targetE1EEEvT1_,comdat
	.protected	_ZN7rocprim17ROCPRIM_400000_NS6detail17trampoline_kernelINS0_14default_configENS1_33run_length_encode_config_selectorIijNS0_4plusIjEEEEZZNS1_33reduce_by_key_impl_wrapped_configILNS1_25lookback_scan_determinismE0ES3_S7_PKiNS0_17constant_iteratorIjlEEPiPlSF_S6_NS0_8equal_toIiEEEE10hipError_tPvRmT2_T3_mT4_T5_T6_T7_T8_P12ihipStream_tbENKUlT_T0_E_clISt17integral_constantIbLb0EESY_IbLb1EEEEDaSU_SV_EUlSU_E_NS1_11comp_targetILNS1_3genE2ELNS1_11target_archE906ELNS1_3gpuE6ELNS1_3repE0EEENS1_30default_config_static_selectorELNS0_4arch9wavefront6targetE1EEEvT1_ ; -- Begin function _ZN7rocprim17ROCPRIM_400000_NS6detail17trampoline_kernelINS0_14default_configENS1_33run_length_encode_config_selectorIijNS0_4plusIjEEEEZZNS1_33reduce_by_key_impl_wrapped_configILNS1_25lookback_scan_determinismE0ES3_S7_PKiNS0_17constant_iteratorIjlEEPiPlSF_S6_NS0_8equal_toIiEEEE10hipError_tPvRmT2_T3_mT4_T5_T6_T7_T8_P12ihipStream_tbENKUlT_T0_E_clISt17integral_constantIbLb0EESY_IbLb1EEEEDaSU_SV_EUlSU_E_NS1_11comp_targetILNS1_3genE2ELNS1_11target_archE906ELNS1_3gpuE6ELNS1_3repE0EEENS1_30default_config_static_selectorELNS0_4arch9wavefront6targetE1EEEvT1_
	.globl	_ZN7rocprim17ROCPRIM_400000_NS6detail17trampoline_kernelINS0_14default_configENS1_33run_length_encode_config_selectorIijNS0_4plusIjEEEEZZNS1_33reduce_by_key_impl_wrapped_configILNS1_25lookback_scan_determinismE0ES3_S7_PKiNS0_17constant_iteratorIjlEEPiPlSF_S6_NS0_8equal_toIiEEEE10hipError_tPvRmT2_T3_mT4_T5_T6_T7_T8_P12ihipStream_tbENKUlT_T0_E_clISt17integral_constantIbLb0EESY_IbLb1EEEEDaSU_SV_EUlSU_E_NS1_11comp_targetILNS1_3genE2ELNS1_11target_archE906ELNS1_3gpuE6ELNS1_3repE0EEENS1_30default_config_static_selectorELNS0_4arch9wavefront6targetE1EEEvT1_
	.p2align	8
	.type	_ZN7rocprim17ROCPRIM_400000_NS6detail17trampoline_kernelINS0_14default_configENS1_33run_length_encode_config_selectorIijNS0_4plusIjEEEEZZNS1_33reduce_by_key_impl_wrapped_configILNS1_25lookback_scan_determinismE0ES3_S7_PKiNS0_17constant_iteratorIjlEEPiPlSF_S6_NS0_8equal_toIiEEEE10hipError_tPvRmT2_T3_mT4_T5_T6_T7_T8_P12ihipStream_tbENKUlT_T0_E_clISt17integral_constantIbLb0EESY_IbLb1EEEEDaSU_SV_EUlSU_E_NS1_11comp_targetILNS1_3genE2ELNS1_11target_archE906ELNS1_3gpuE6ELNS1_3repE0EEENS1_30default_config_static_selectorELNS0_4arch9wavefront6targetE1EEEvT1_,@function
_ZN7rocprim17ROCPRIM_400000_NS6detail17trampoline_kernelINS0_14default_configENS1_33run_length_encode_config_selectorIijNS0_4plusIjEEEEZZNS1_33reduce_by_key_impl_wrapped_configILNS1_25lookback_scan_determinismE0ES3_S7_PKiNS0_17constant_iteratorIjlEEPiPlSF_S6_NS0_8equal_toIiEEEE10hipError_tPvRmT2_T3_mT4_T5_T6_T7_T8_P12ihipStream_tbENKUlT_T0_E_clISt17integral_constantIbLb0EESY_IbLb1EEEEDaSU_SV_EUlSU_E_NS1_11comp_targetILNS1_3genE2ELNS1_11target_archE906ELNS1_3gpuE6ELNS1_3repE0EEENS1_30default_config_static_selectorELNS0_4arch9wavefront6targetE1EEEvT1_: ; @_ZN7rocprim17ROCPRIM_400000_NS6detail17trampoline_kernelINS0_14default_configENS1_33run_length_encode_config_selectorIijNS0_4plusIjEEEEZZNS1_33reduce_by_key_impl_wrapped_configILNS1_25lookback_scan_determinismE0ES3_S7_PKiNS0_17constant_iteratorIjlEEPiPlSF_S6_NS0_8equal_toIiEEEE10hipError_tPvRmT2_T3_mT4_T5_T6_T7_T8_P12ihipStream_tbENKUlT_T0_E_clISt17integral_constantIbLb0EESY_IbLb1EEEEDaSU_SV_EUlSU_E_NS1_11comp_targetILNS1_3genE2ELNS1_11target_archE906ELNS1_3gpuE6ELNS1_3repE0EEENS1_30default_config_static_selectorELNS0_4arch9wavefront6targetE1EEEvT1_
; %bb.0:
	.section	.rodata,"a",@progbits
	.p2align	6, 0x0
	.amdhsa_kernel _ZN7rocprim17ROCPRIM_400000_NS6detail17trampoline_kernelINS0_14default_configENS1_33run_length_encode_config_selectorIijNS0_4plusIjEEEEZZNS1_33reduce_by_key_impl_wrapped_configILNS1_25lookback_scan_determinismE0ES3_S7_PKiNS0_17constant_iteratorIjlEEPiPlSF_S6_NS0_8equal_toIiEEEE10hipError_tPvRmT2_T3_mT4_T5_T6_T7_T8_P12ihipStream_tbENKUlT_T0_E_clISt17integral_constantIbLb0EESY_IbLb1EEEEDaSU_SV_EUlSU_E_NS1_11comp_targetILNS1_3genE2ELNS1_11target_archE906ELNS1_3gpuE6ELNS1_3repE0EEENS1_30default_config_static_selectorELNS0_4arch9wavefront6targetE1EEEvT1_
		.amdhsa_group_segment_fixed_size 0
		.amdhsa_private_segment_fixed_size 0
		.amdhsa_kernarg_size 128
		.amdhsa_user_sgpr_count 2
		.amdhsa_user_sgpr_dispatch_ptr 0
		.amdhsa_user_sgpr_queue_ptr 0
		.amdhsa_user_sgpr_kernarg_segment_ptr 1
		.amdhsa_user_sgpr_dispatch_id 0
		.amdhsa_user_sgpr_kernarg_preload_length 0
		.amdhsa_user_sgpr_kernarg_preload_offset 0
		.amdhsa_user_sgpr_private_segment_size 0
		.amdhsa_uses_dynamic_stack 0
		.amdhsa_enable_private_segment 0
		.amdhsa_system_sgpr_workgroup_id_x 1
		.amdhsa_system_sgpr_workgroup_id_y 0
		.amdhsa_system_sgpr_workgroup_id_z 0
		.amdhsa_system_sgpr_workgroup_info 0
		.amdhsa_system_vgpr_workitem_id 0
		.amdhsa_next_free_vgpr 1
		.amdhsa_next_free_sgpr 0
		.amdhsa_accum_offset 4
		.amdhsa_reserve_vcc 0
		.amdhsa_float_round_mode_32 0
		.amdhsa_float_round_mode_16_64 0
		.amdhsa_float_denorm_mode_32 3
		.amdhsa_float_denorm_mode_16_64 3
		.amdhsa_dx10_clamp 1
		.amdhsa_ieee_mode 1
		.amdhsa_fp16_overflow 0
		.amdhsa_tg_split 0
		.amdhsa_exception_fp_ieee_invalid_op 0
		.amdhsa_exception_fp_denorm_src 0
		.amdhsa_exception_fp_ieee_div_zero 0
		.amdhsa_exception_fp_ieee_overflow 0
		.amdhsa_exception_fp_ieee_underflow 0
		.amdhsa_exception_fp_ieee_inexact 0
		.amdhsa_exception_int_div_zero 0
	.end_amdhsa_kernel
	.section	.text._ZN7rocprim17ROCPRIM_400000_NS6detail17trampoline_kernelINS0_14default_configENS1_33run_length_encode_config_selectorIijNS0_4plusIjEEEEZZNS1_33reduce_by_key_impl_wrapped_configILNS1_25lookback_scan_determinismE0ES3_S7_PKiNS0_17constant_iteratorIjlEEPiPlSF_S6_NS0_8equal_toIiEEEE10hipError_tPvRmT2_T3_mT4_T5_T6_T7_T8_P12ihipStream_tbENKUlT_T0_E_clISt17integral_constantIbLb0EESY_IbLb1EEEEDaSU_SV_EUlSU_E_NS1_11comp_targetILNS1_3genE2ELNS1_11target_archE906ELNS1_3gpuE6ELNS1_3repE0EEENS1_30default_config_static_selectorELNS0_4arch9wavefront6targetE1EEEvT1_,"axG",@progbits,_ZN7rocprim17ROCPRIM_400000_NS6detail17trampoline_kernelINS0_14default_configENS1_33run_length_encode_config_selectorIijNS0_4plusIjEEEEZZNS1_33reduce_by_key_impl_wrapped_configILNS1_25lookback_scan_determinismE0ES3_S7_PKiNS0_17constant_iteratorIjlEEPiPlSF_S6_NS0_8equal_toIiEEEE10hipError_tPvRmT2_T3_mT4_T5_T6_T7_T8_P12ihipStream_tbENKUlT_T0_E_clISt17integral_constantIbLb0EESY_IbLb1EEEEDaSU_SV_EUlSU_E_NS1_11comp_targetILNS1_3genE2ELNS1_11target_archE906ELNS1_3gpuE6ELNS1_3repE0EEENS1_30default_config_static_selectorELNS0_4arch9wavefront6targetE1EEEvT1_,comdat
.Lfunc_end473:
	.size	_ZN7rocprim17ROCPRIM_400000_NS6detail17trampoline_kernelINS0_14default_configENS1_33run_length_encode_config_selectorIijNS0_4plusIjEEEEZZNS1_33reduce_by_key_impl_wrapped_configILNS1_25lookback_scan_determinismE0ES3_S7_PKiNS0_17constant_iteratorIjlEEPiPlSF_S6_NS0_8equal_toIiEEEE10hipError_tPvRmT2_T3_mT4_T5_T6_T7_T8_P12ihipStream_tbENKUlT_T0_E_clISt17integral_constantIbLb0EESY_IbLb1EEEEDaSU_SV_EUlSU_E_NS1_11comp_targetILNS1_3genE2ELNS1_11target_archE906ELNS1_3gpuE6ELNS1_3repE0EEENS1_30default_config_static_selectorELNS0_4arch9wavefront6targetE1EEEvT1_, .Lfunc_end473-_ZN7rocprim17ROCPRIM_400000_NS6detail17trampoline_kernelINS0_14default_configENS1_33run_length_encode_config_selectorIijNS0_4plusIjEEEEZZNS1_33reduce_by_key_impl_wrapped_configILNS1_25lookback_scan_determinismE0ES3_S7_PKiNS0_17constant_iteratorIjlEEPiPlSF_S6_NS0_8equal_toIiEEEE10hipError_tPvRmT2_T3_mT4_T5_T6_T7_T8_P12ihipStream_tbENKUlT_T0_E_clISt17integral_constantIbLb0EESY_IbLb1EEEEDaSU_SV_EUlSU_E_NS1_11comp_targetILNS1_3genE2ELNS1_11target_archE906ELNS1_3gpuE6ELNS1_3repE0EEENS1_30default_config_static_selectorELNS0_4arch9wavefront6targetE1EEEvT1_
                                        ; -- End function
	.section	.AMDGPU.csdata,"",@progbits
; Kernel info:
; codeLenInByte = 0
; NumSgprs: 6
; NumVgprs: 0
; NumAgprs: 0
; TotalNumVgprs: 0
; ScratchSize: 0
; MemoryBound: 0
; FloatMode: 240
; IeeeMode: 1
; LDSByteSize: 0 bytes/workgroup (compile time only)
; SGPRBlocks: 0
; VGPRBlocks: 0
; NumSGPRsForWavesPerEU: 6
; NumVGPRsForWavesPerEU: 1
; AccumOffset: 4
; Occupancy: 8
; WaveLimiterHint : 0
; COMPUTE_PGM_RSRC2:SCRATCH_EN: 0
; COMPUTE_PGM_RSRC2:USER_SGPR: 2
; COMPUTE_PGM_RSRC2:TRAP_HANDLER: 0
; COMPUTE_PGM_RSRC2:TGID_X_EN: 1
; COMPUTE_PGM_RSRC2:TGID_Y_EN: 0
; COMPUTE_PGM_RSRC2:TGID_Z_EN: 0
; COMPUTE_PGM_RSRC2:TIDIG_COMP_CNT: 0
; COMPUTE_PGM_RSRC3_GFX90A:ACCUM_OFFSET: 0
; COMPUTE_PGM_RSRC3_GFX90A:TG_SPLIT: 0
	.section	.text._ZN7rocprim17ROCPRIM_400000_NS6detail17trampoline_kernelINS0_14default_configENS1_33run_length_encode_config_selectorIijNS0_4plusIjEEEEZZNS1_33reduce_by_key_impl_wrapped_configILNS1_25lookback_scan_determinismE0ES3_S7_PKiNS0_17constant_iteratorIjlEEPiPlSF_S6_NS0_8equal_toIiEEEE10hipError_tPvRmT2_T3_mT4_T5_T6_T7_T8_P12ihipStream_tbENKUlT_T0_E_clISt17integral_constantIbLb0EESY_IbLb1EEEEDaSU_SV_EUlSU_E_NS1_11comp_targetILNS1_3genE10ELNS1_11target_archE1201ELNS1_3gpuE5ELNS1_3repE0EEENS1_30default_config_static_selectorELNS0_4arch9wavefront6targetE1EEEvT1_,"axG",@progbits,_ZN7rocprim17ROCPRIM_400000_NS6detail17trampoline_kernelINS0_14default_configENS1_33run_length_encode_config_selectorIijNS0_4plusIjEEEEZZNS1_33reduce_by_key_impl_wrapped_configILNS1_25lookback_scan_determinismE0ES3_S7_PKiNS0_17constant_iteratorIjlEEPiPlSF_S6_NS0_8equal_toIiEEEE10hipError_tPvRmT2_T3_mT4_T5_T6_T7_T8_P12ihipStream_tbENKUlT_T0_E_clISt17integral_constantIbLb0EESY_IbLb1EEEEDaSU_SV_EUlSU_E_NS1_11comp_targetILNS1_3genE10ELNS1_11target_archE1201ELNS1_3gpuE5ELNS1_3repE0EEENS1_30default_config_static_selectorELNS0_4arch9wavefront6targetE1EEEvT1_,comdat
	.protected	_ZN7rocprim17ROCPRIM_400000_NS6detail17trampoline_kernelINS0_14default_configENS1_33run_length_encode_config_selectorIijNS0_4plusIjEEEEZZNS1_33reduce_by_key_impl_wrapped_configILNS1_25lookback_scan_determinismE0ES3_S7_PKiNS0_17constant_iteratorIjlEEPiPlSF_S6_NS0_8equal_toIiEEEE10hipError_tPvRmT2_T3_mT4_T5_T6_T7_T8_P12ihipStream_tbENKUlT_T0_E_clISt17integral_constantIbLb0EESY_IbLb1EEEEDaSU_SV_EUlSU_E_NS1_11comp_targetILNS1_3genE10ELNS1_11target_archE1201ELNS1_3gpuE5ELNS1_3repE0EEENS1_30default_config_static_selectorELNS0_4arch9wavefront6targetE1EEEvT1_ ; -- Begin function _ZN7rocprim17ROCPRIM_400000_NS6detail17trampoline_kernelINS0_14default_configENS1_33run_length_encode_config_selectorIijNS0_4plusIjEEEEZZNS1_33reduce_by_key_impl_wrapped_configILNS1_25lookback_scan_determinismE0ES3_S7_PKiNS0_17constant_iteratorIjlEEPiPlSF_S6_NS0_8equal_toIiEEEE10hipError_tPvRmT2_T3_mT4_T5_T6_T7_T8_P12ihipStream_tbENKUlT_T0_E_clISt17integral_constantIbLb0EESY_IbLb1EEEEDaSU_SV_EUlSU_E_NS1_11comp_targetILNS1_3genE10ELNS1_11target_archE1201ELNS1_3gpuE5ELNS1_3repE0EEENS1_30default_config_static_selectorELNS0_4arch9wavefront6targetE1EEEvT1_
	.globl	_ZN7rocprim17ROCPRIM_400000_NS6detail17trampoline_kernelINS0_14default_configENS1_33run_length_encode_config_selectorIijNS0_4plusIjEEEEZZNS1_33reduce_by_key_impl_wrapped_configILNS1_25lookback_scan_determinismE0ES3_S7_PKiNS0_17constant_iteratorIjlEEPiPlSF_S6_NS0_8equal_toIiEEEE10hipError_tPvRmT2_T3_mT4_T5_T6_T7_T8_P12ihipStream_tbENKUlT_T0_E_clISt17integral_constantIbLb0EESY_IbLb1EEEEDaSU_SV_EUlSU_E_NS1_11comp_targetILNS1_3genE10ELNS1_11target_archE1201ELNS1_3gpuE5ELNS1_3repE0EEENS1_30default_config_static_selectorELNS0_4arch9wavefront6targetE1EEEvT1_
	.p2align	8
	.type	_ZN7rocprim17ROCPRIM_400000_NS6detail17trampoline_kernelINS0_14default_configENS1_33run_length_encode_config_selectorIijNS0_4plusIjEEEEZZNS1_33reduce_by_key_impl_wrapped_configILNS1_25lookback_scan_determinismE0ES3_S7_PKiNS0_17constant_iteratorIjlEEPiPlSF_S6_NS0_8equal_toIiEEEE10hipError_tPvRmT2_T3_mT4_T5_T6_T7_T8_P12ihipStream_tbENKUlT_T0_E_clISt17integral_constantIbLb0EESY_IbLb1EEEEDaSU_SV_EUlSU_E_NS1_11comp_targetILNS1_3genE10ELNS1_11target_archE1201ELNS1_3gpuE5ELNS1_3repE0EEENS1_30default_config_static_selectorELNS0_4arch9wavefront6targetE1EEEvT1_,@function
_ZN7rocprim17ROCPRIM_400000_NS6detail17trampoline_kernelINS0_14default_configENS1_33run_length_encode_config_selectorIijNS0_4plusIjEEEEZZNS1_33reduce_by_key_impl_wrapped_configILNS1_25lookback_scan_determinismE0ES3_S7_PKiNS0_17constant_iteratorIjlEEPiPlSF_S6_NS0_8equal_toIiEEEE10hipError_tPvRmT2_T3_mT4_T5_T6_T7_T8_P12ihipStream_tbENKUlT_T0_E_clISt17integral_constantIbLb0EESY_IbLb1EEEEDaSU_SV_EUlSU_E_NS1_11comp_targetILNS1_3genE10ELNS1_11target_archE1201ELNS1_3gpuE5ELNS1_3repE0EEENS1_30default_config_static_selectorELNS0_4arch9wavefront6targetE1EEEvT1_: ; @_ZN7rocprim17ROCPRIM_400000_NS6detail17trampoline_kernelINS0_14default_configENS1_33run_length_encode_config_selectorIijNS0_4plusIjEEEEZZNS1_33reduce_by_key_impl_wrapped_configILNS1_25lookback_scan_determinismE0ES3_S7_PKiNS0_17constant_iteratorIjlEEPiPlSF_S6_NS0_8equal_toIiEEEE10hipError_tPvRmT2_T3_mT4_T5_T6_T7_T8_P12ihipStream_tbENKUlT_T0_E_clISt17integral_constantIbLb0EESY_IbLb1EEEEDaSU_SV_EUlSU_E_NS1_11comp_targetILNS1_3genE10ELNS1_11target_archE1201ELNS1_3gpuE5ELNS1_3repE0EEENS1_30default_config_static_selectorELNS0_4arch9wavefront6targetE1EEEvT1_
; %bb.0:
	.section	.rodata,"a",@progbits
	.p2align	6, 0x0
	.amdhsa_kernel _ZN7rocprim17ROCPRIM_400000_NS6detail17trampoline_kernelINS0_14default_configENS1_33run_length_encode_config_selectorIijNS0_4plusIjEEEEZZNS1_33reduce_by_key_impl_wrapped_configILNS1_25lookback_scan_determinismE0ES3_S7_PKiNS0_17constant_iteratorIjlEEPiPlSF_S6_NS0_8equal_toIiEEEE10hipError_tPvRmT2_T3_mT4_T5_T6_T7_T8_P12ihipStream_tbENKUlT_T0_E_clISt17integral_constantIbLb0EESY_IbLb1EEEEDaSU_SV_EUlSU_E_NS1_11comp_targetILNS1_3genE10ELNS1_11target_archE1201ELNS1_3gpuE5ELNS1_3repE0EEENS1_30default_config_static_selectorELNS0_4arch9wavefront6targetE1EEEvT1_
		.amdhsa_group_segment_fixed_size 0
		.amdhsa_private_segment_fixed_size 0
		.amdhsa_kernarg_size 128
		.amdhsa_user_sgpr_count 2
		.amdhsa_user_sgpr_dispatch_ptr 0
		.amdhsa_user_sgpr_queue_ptr 0
		.amdhsa_user_sgpr_kernarg_segment_ptr 1
		.amdhsa_user_sgpr_dispatch_id 0
		.amdhsa_user_sgpr_kernarg_preload_length 0
		.amdhsa_user_sgpr_kernarg_preload_offset 0
		.amdhsa_user_sgpr_private_segment_size 0
		.amdhsa_uses_dynamic_stack 0
		.amdhsa_enable_private_segment 0
		.amdhsa_system_sgpr_workgroup_id_x 1
		.amdhsa_system_sgpr_workgroup_id_y 0
		.amdhsa_system_sgpr_workgroup_id_z 0
		.amdhsa_system_sgpr_workgroup_info 0
		.amdhsa_system_vgpr_workitem_id 0
		.amdhsa_next_free_vgpr 1
		.amdhsa_next_free_sgpr 0
		.amdhsa_accum_offset 4
		.amdhsa_reserve_vcc 0
		.amdhsa_float_round_mode_32 0
		.amdhsa_float_round_mode_16_64 0
		.amdhsa_float_denorm_mode_32 3
		.amdhsa_float_denorm_mode_16_64 3
		.amdhsa_dx10_clamp 1
		.amdhsa_ieee_mode 1
		.amdhsa_fp16_overflow 0
		.amdhsa_tg_split 0
		.amdhsa_exception_fp_ieee_invalid_op 0
		.amdhsa_exception_fp_denorm_src 0
		.amdhsa_exception_fp_ieee_div_zero 0
		.amdhsa_exception_fp_ieee_overflow 0
		.amdhsa_exception_fp_ieee_underflow 0
		.amdhsa_exception_fp_ieee_inexact 0
		.amdhsa_exception_int_div_zero 0
	.end_amdhsa_kernel
	.section	.text._ZN7rocprim17ROCPRIM_400000_NS6detail17trampoline_kernelINS0_14default_configENS1_33run_length_encode_config_selectorIijNS0_4plusIjEEEEZZNS1_33reduce_by_key_impl_wrapped_configILNS1_25lookback_scan_determinismE0ES3_S7_PKiNS0_17constant_iteratorIjlEEPiPlSF_S6_NS0_8equal_toIiEEEE10hipError_tPvRmT2_T3_mT4_T5_T6_T7_T8_P12ihipStream_tbENKUlT_T0_E_clISt17integral_constantIbLb0EESY_IbLb1EEEEDaSU_SV_EUlSU_E_NS1_11comp_targetILNS1_3genE10ELNS1_11target_archE1201ELNS1_3gpuE5ELNS1_3repE0EEENS1_30default_config_static_selectorELNS0_4arch9wavefront6targetE1EEEvT1_,"axG",@progbits,_ZN7rocprim17ROCPRIM_400000_NS6detail17trampoline_kernelINS0_14default_configENS1_33run_length_encode_config_selectorIijNS0_4plusIjEEEEZZNS1_33reduce_by_key_impl_wrapped_configILNS1_25lookback_scan_determinismE0ES3_S7_PKiNS0_17constant_iteratorIjlEEPiPlSF_S6_NS0_8equal_toIiEEEE10hipError_tPvRmT2_T3_mT4_T5_T6_T7_T8_P12ihipStream_tbENKUlT_T0_E_clISt17integral_constantIbLb0EESY_IbLb1EEEEDaSU_SV_EUlSU_E_NS1_11comp_targetILNS1_3genE10ELNS1_11target_archE1201ELNS1_3gpuE5ELNS1_3repE0EEENS1_30default_config_static_selectorELNS0_4arch9wavefront6targetE1EEEvT1_,comdat
.Lfunc_end474:
	.size	_ZN7rocprim17ROCPRIM_400000_NS6detail17trampoline_kernelINS0_14default_configENS1_33run_length_encode_config_selectorIijNS0_4plusIjEEEEZZNS1_33reduce_by_key_impl_wrapped_configILNS1_25lookback_scan_determinismE0ES3_S7_PKiNS0_17constant_iteratorIjlEEPiPlSF_S6_NS0_8equal_toIiEEEE10hipError_tPvRmT2_T3_mT4_T5_T6_T7_T8_P12ihipStream_tbENKUlT_T0_E_clISt17integral_constantIbLb0EESY_IbLb1EEEEDaSU_SV_EUlSU_E_NS1_11comp_targetILNS1_3genE10ELNS1_11target_archE1201ELNS1_3gpuE5ELNS1_3repE0EEENS1_30default_config_static_selectorELNS0_4arch9wavefront6targetE1EEEvT1_, .Lfunc_end474-_ZN7rocprim17ROCPRIM_400000_NS6detail17trampoline_kernelINS0_14default_configENS1_33run_length_encode_config_selectorIijNS0_4plusIjEEEEZZNS1_33reduce_by_key_impl_wrapped_configILNS1_25lookback_scan_determinismE0ES3_S7_PKiNS0_17constant_iteratorIjlEEPiPlSF_S6_NS0_8equal_toIiEEEE10hipError_tPvRmT2_T3_mT4_T5_T6_T7_T8_P12ihipStream_tbENKUlT_T0_E_clISt17integral_constantIbLb0EESY_IbLb1EEEEDaSU_SV_EUlSU_E_NS1_11comp_targetILNS1_3genE10ELNS1_11target_archE1201ELNS1_3gpuE5ELNS1_3repE0EEENS1_30default_config_static_selectorELNS0_4arch9wavefront6targetE1EEEvT1_
                                        ; -- End function
	.section	.AMDGPU.csdata,"",@progbits
; Kernel info:
; codeLenInByte = 0
; NumSgprs: 6
; NumVgprs: 0
; NumAgprs: 0
; TotalNumVgprs: 0
; ScratchSize: 0
; MemoryBound: 0
; FloatMode: 240
; IeeeMode: 1
; LDSByteSize: 0 bytes/workgroup (compile time only)
; SGPRBlocks: 0
; VGPRBlocks: 0
; NumSGPRsForWavesPerEU: 6
; NumVGPRsForWavesPerEU: 1
; AccumOffset: 4
; Occupancy: 8
; WaveLimiterHint : 0
; COMPUTE_PGM_RSRC2:SCRATCH_EN: 0
; COMPUTE_PGM_RSRC2:USER_SGPR: 2
; COMPUTE_PGM_RSRC2:TRAP_HANDLER: 0
; COMPUTE_PGM_RSRC2:TGID_X_EN: 1
; COMPUTE_PGM_RSRC2:TGID_Y_EN: 0
; COMPUTE_PGM_RSRC2:TGID_Z_EN: 0
; COMPUTE_PGM_RSRC2:TIDIG_COMP_CNT: 0
; COMPUTE_PGM_RSRC3_GFX90A:ACCUM_OFFSET: 0
; COMPUTE_PGM_RSRC3_GFX90A:TG_SPLIT: 0
	.section	.text._ZN7rocprim17ROCPRIM_400000_NS6detail17trampoline_kernelINS0_14default_configENS1_33run_length_encode_config_selectorIijNS0_4plusIjEEEEZZNS1_33reduce_by_key_impl_wrapped_configILNS1_25lookback_scan_determinismE0ES3_S7_PKiNS0_17constant_iteratorIjlEEPiPlSF_S6_NS0_8equal_toIiEEEE10hipError_tPvRmT2_T3_mT4_T5_T6_T7_T8_P12ihipStream_tbENKUlT_T0_E_clISt17integral_constantIbLb0EESY_IbLb1EEEEDaSU_SV_EUlSU_E_NS1_11comp_targetILNS1_3genE10ELNS1_11target_archE1200ELNS1_3gpuE4ELNS1_3repE0EEENS1_30default_config_static_selectorELNS0_4arch9wavefront6targetE1EEEvT1_,"axG",@progbits,_ZN7rocprim17ROCPRIM_400000_NS6detail17trampoline_kernelINS0_14default_configENS1_33run_length_encode_config_selectorIijNS0_4plusIjEEEEZZNS1_33reduce_by_key_impl_wrapped_configILNS1_25lookback_scan_determinismE0ES3_S7_PKiNS0_17constant_iteratorIjlEEPiPlSF_S6_NS0_8equal_toIiEEEE10hipError_tPvRmT2_T3_mT4_T5_T6_T7_T8_P12ihipStream_tbENKUlT_T0_E_clISt17integral_constantIbLb0EESY_IbLb1EEEEDaSU_SV_EUlSU_E_NS1_11comp_targetILNS1_3genE10ELNS1_11target_archE1200ELNS1_3gpuE4ELNS1_3repE0EEENS1_30default_config_static_selectorELNS0_4arch9wavefront6targetE1EEEvT1_,comdat
	.protected	_ZN7rocprim17ROCPRIM_400000_NS6detail17trampoline_kernelINS0_14default_configENS1_33run_length_encode_config_selectorIijNS0_4plusIjEEEEZZNS1_33reduce_by_key_impl_wrapped_configILNS1_25lookback_scan_determinismE0ES3_S7_PKiNS0_17constant_iteratorIjlEEPiPlSF_S6_NS0_8equal_toIiEEEE10hipError_tPvRmT2_T3_mT4_T5_T6_T7_T8_P12ihipStream_tbENKUlT_T0_E_clISt17integral_constantIbLb0EESY_IbLb1EEEEDaSU_SV_EUlSU_E_NS1_11comp_targetILNS1_3genE10ELNS1_11target_archE1200ELNS1_3gpuE4ELNS1_3repE0EEENS1_30default_config_static_selectorELNS0_4arch9wavefront6targetE1EEEvT1_ ; -- Begin function _ZN7rocprim17ROCPRIM_400000_NS6detail17trampoline_kernelINS0_14default_configENS1_33run_length_encode_config_selectorIijNS0_4plusIjEEEEZZNS1_33reduce_by_key_impl_wrapped_configILNS1_25lookback_scan_determinismE0ES3_S7_PKiNS0_17constant_iteratorIjlEEPiPlSF_S6_NS0_8equal_toIiEEEE10hipError_tPvRmT2_T3_mT4_T5_T6_T7_T8_P12ihipStream_tbENKUlT_T0_E_clISt17integral_constantIbLb0EESY_IbLb1EEEEDaSU_SV_EUlSU_E_NS1_11comp_targetILNS1_3genE10ELNS1_11target_archE1200ELNS1_3gpuE4ELNS1_3repE0EEENS1_30default_config_static_selectorELNS0_4arch9wavefront6targetE1EEEvT1_
	.globl	_ZN7rocprim17ROCPRIM_400000_NS6detail17trampoline_kernelINS0_14default_configENS1_33run_length_encode_config_selectorIijNS0_4plusIjEEEEZZNS1_33reduce_by_key_impl_wrapped_configILNS1_25lookback_scan_determinismE0ES3_S7_PKiNS0_17constant_iteratorIjlEEPiPlSF_S6_NS0_8equal_toIiEEEE10hipError_tPvRmT2_T3_mT4_T5_T6_T7_T8_P12ihipStream_tbENKUlT_T0_E_clISt17integral_constantIbLb0EESY_IbLb1EEEEDaSU_SV_EUlSU_E_NS1_11comp_targetILNS1_3genE10ELNS1_11target_archE1200ELNS1_3gpuE4ELNS1_3repE0EEENS1_30default_config_static_selectorELNS0_4arch9wavefront6targetE1EEEvT1_
	.p2align	8
	.type	_ZN7rocprim17ROCPRIM_400000_NS6detail17trampoline_kernelINS0_14default_configENS1_33run_length_encode_config_selectorIijNS0_4plusIjEEEEZZNS1_33reduce_by_key_impl_wrapped_configILNS1_25lookback_scan_determinismE0ES3_S7_PKiNS0_17constant_iteratorIjlEEPiPlSF_S6_NS0_8equal_toIiEEEE10hipError_tPvRmT2_T3_mT4_T5_T6_T7_T8_P12ihipStream_tbENKUlT_T0_E_clISt17integral_constantIbLb0EESY_IbLb1EEEEDaSU_SV_EUlSU_E_NS1_11comp_targetILNS1_3genE10ELNS1_11target_archE1200ELNS1_3gpuE4ELNS1_3repE0EEENS1_30default_config_static_selectorELNS0_4arch9wavefront6targetE1EEEvT1_,@function
_ZN7rocprim17ROCPRIM_400000_NS6detail17trampoline_kernelINS0_14default_configENS1_33run_length_encode_config_selectorIijNS0_4plusIjEEEEZZNS1_33reduce_by_key_impl_wrapped_configILNS1_25lookback_scan_determinismE0ES3_S7_PKiNS0_17constant_iteratorIjlEEPiPlSF_S6_NS0_8equal_toIiEEEE10hipError_tPvRmT2_T3_mT4_T5_T6_T7_T8_P12ihipStream_tbENKUlT_T0_E_clISt17integral_constantIbLb0EESY_IbLb1EEEEDaSU_SV_EUlSU_E_NS1_11comp_targetILNS1_3genE10ELNS1_11target_archE1200ELNS1_3gpuE4ELNS1_3repE0EEENS1_30default_config_static_selectorELNS0_4arch9wavefront6targetE1EEEvT1_: ; @_ZN7rocprim17ROCPRIM_400000_NS6detail17trampoline_kernelINS0_14default_configENS1_33run_length_encode_config_selectorIijNS0_4plusIjEEEEZZNS1_33reduce_by_key_impl_wrapped_configILNS1_25lookback_scan_determinismE0ES3_S7_PKiNS0_17constant_iteratorIjlEEPiPlSF_S6_NS0_8equal_toIiEEEE10hipError_tPvRmT2_T3_mT4_T5_T6_T7_T8_P12ihipStream_tbENKUlT_T0_E_clISt17integral_constantIbLb0EESY_IbLb1EEEEDaSU_SV_EUlSU_E_NS1_11comp_targetILNS1_3genE10ELNS1_11target_archE1200ELNS1_3gpuE4ELNS1_3repE0EEENS1_30default_config_static_selectorELNS0_4arch9wavefront6targetE1EEEvT1_
; %bb.0:
	.section	.rodata,"a",@progbits
	.p2align	6, 0x0
	.amdhsa_kernel _ZN7rocprim17ROCPRIM_400000_NS6detail17trampoline_kernelINS0_14default_configENS1_33run_length_encode_config_selectorIijNS0_4plusIjEEEEZZNS1_33reduce_by_key_impl_wrapped_configILNS1_25lookback_scan_determinismE0ES3_S7_PKiNS0_17constant_iteratorIjlEEPiPlSF_S6_NS0_8equal_toIiEEEE10hipError_tPvRmT2_T3_mT4_T5_T6_T7_T8_P12ihipStream_tbENKUlT_T0_E_clISt17integral_constantIbLb0EESY_IbLb1EEEEDaSU_SV_EUlSU_E_NS1_11comp_targetILNS1_3genE10ELNS1_11target_archE1200ELNS1_3gpuE4ELNS1_3repE0EEENS1_30default_config_static_selectorELNS0_4arch9wavefront6targetE1EEEvT1_
		.amdhsa_group_segment_fixed_size 0
		.amdhsa_private_segment_fixed_size 0
		.amdhsa_kernarg_size 128
		.amdhsa_user_sgpr_count 2
		.amdhsa_user_sgpr_dispatch_ptr 0
		.amdhsa_user_sgpr_queue_ptr 0
		.amdhsa_user_sgpr_kernarg_segment_ptr 1
		.amdhsa_user_sgpr_dispatch_id 0
		.amdhsa_user_sgpr_kernarg_preload_length 0
		.amdhsa_user_sgpr_kernarg_preload_offset 0
		.amdhsa_user_sgpr_private_segment_size 0
		.amdhsa_uses_dynamic_stack 0
		.amdhsa_enable_private_segment 0
		.amdhsa_system_sgpr_workgroup_id_x 1
		.amdhsa_system_sgpr_workgroup_id_y 0
		.amdhsa_system_sgpr_workgroup_id_z 0
		.amdhsa_system_sgpr_workgroup_info 0
		.amdhsa_system_vgpr_workitem_id 0
		.amdhsa_next_free_vgpr 1
		.amdhsa_next_free_sgpr 0
		.amdhsa_accum_offset 4
		.amdhsa_reserve_vcc 0
		.amdhsa_float_round_mode_32 0
		.amdhsa_float_round_mode_16_64 0
		.amdhsa_float_denorm_mode_32 3
		.amdhsa_float_denorm_mode_16_64 3
		.amdhsa_dx10_clamp 1
		.amdhsa_ieee_mode 1
		.amdhsa_fp16_overflow 0
		.amdhsa_tg_split 0
		.amdhsa_exception_fp_ieee_invalid_op 0
		.amdhsa_exception_fp_denorm_src 0
		.amdhsa_exception_fp_ieee_div_zero 0
		.amdhsa_exception_fp_ieee_overflow 0
		.amdhsa_exception_fp_ieee_underflow 0
		.amdhsa_exception_fp_ieee_inexact 0
		.amdhsa_exception_int_div_zero 0
	.end_amdhsa_kernel
	.section	.text._ZN7rocprim17ROCPRIM_400000_NS6detail17trampoline_kernelINS0_14default_configENS1_33run_length_encode_config_selectorIijNS0_4plusIjEEEEZZNS1_33reduce_by_key_impl_wrapped_configILNS1_25lookback_scan_determinismE0ES3_S7_PKiNS0_17constant_iteratorIjlEEPiPlSF_S6_NS0_8equal_toIiEEEE10hipError_tPvRmT2_T3_mT4_T5_T6_T7_T8_P12ihipStream_tbENKUlT_T0_E_clISt17integral_constantIbLb0EESY_IbLb1EEEEDaSU_SV_EUlSU_E_NS1_11comp_targetILNS1_3genE10ELNS1_11target_archE1200ELNS1_3gpuE4ELNS1_3repE0EEENS1_30default_config_static_selectorELNS0_4arch9wavefront6targetE1EEEvT1_,"axG",@progbits,_ZN7rocprim17ROCPRIM_400000_NS6detail17trampoline_kernelINS0_14default_configENS1_33run_length_encode_config_selectorIijNS0_4plusIjEEEEZZNS1_33reduce_by_key_impl_wrapped_configILNS1_25lookback_scan_determinismE0ES3_S7_PKiNS0_17constant_iteratorIjlEEPiPlSF_S6_NS0_8equal_toIiEEEE10hipError_tPvRmT2_T3_mT4_T5_T6_T7_T8_P12ihipStream_tbENKUlT_T0_E_clISt17integral_constantIbLb0EESY_IbLb1EEEEDaSU_SV_EUlSU_E_NS1_11comp_targetILNS1_3genE10ELNS1_11target_archE1200ELNS1_3gpuE4ELNS1_3repE0EEENS1_30default_config_static_selectorELNS0_4arch9wavefront6targetE1EEEvT1_,comdat
.Lfunc_end475:
	.size	_ZN7rocprim17ROCPRIM_400000_NS6detail17trampoline_kernelINS0_14default_configENS1_33run_length_encode_config_selectorIijNS0_4plusIjEEEEZZNS1_33reduce_by_key_impl_wrapped_configILNS1_25lookback_scan_determinismE0ES3_S7_PKiNS0_17constant_iteratorIjlEEPiPlSF_S6_NS0_8equal_toIiEEEE10hipError_tPvRmT2_T3_mT4_T5_T6_T7_T8_P12ihipStream_tbENKUlT_T0_E_clISt17integral_constantIbLb0EESY_IbLb1EEEEDaSU_SV_EUlSU_E_NS1_11comp_targetILNS1_3genE10ELNS1_11target_archE1200ELNS1_3gpuE4ELNS1_3repE0EEENS1_30default_config_static_selectorELNS0_4arch9wavefront6targetE1EEEvT1_, .Lfunc_end475-_ZN7rocprim17ROCPRIM_400000_NS6detail17trampoline_kernelINS0_14default_configENS1_33run_length_encode_config_selectorIijNS0_4plusIjEEEEZZNS1_33reduce_by_key_impl_wrapped_configILNS1_25lookback_scan_determinismE0ES3_S7_PKiNS0_17constant_iteratorIjlEEPiPlSF_S6_NS0_8equal_toIiEEEE10hipError_tPvRmT2_T3_mT4_T5_T6_T7_T8_P12ihipStream_tbENKUlT_T0_E_clISt17integral_constantIbLb0EESY_IbLb1EEEEDaSU_SV_EUlSU_E_NS1_11comp_targetILNS1_3genE10ELNS1_11target_archE1200ELNS1_3gpuE4ELNS1_3repE0EEENS1_30default_config_static_selectorELNS0_4arch9wavefront6targetE1EEEvT1_
                                        ; -- End function
	.section	.AMDGPU.csdata,"",@progbits
; Kernel info:
; codeLenInByte = 0
; NumSgprs: 6
; NumVgprs: 0
; NumAgprs: 0
; TotalNumVgprs: 0
; ScratchSize: 0
; MemoryBound: 0
; FloatMode: 240
; IeeeMode: 1
; LDSByteSize: 0 bytes/workgroup (compile time only)
; SGPRBlocks: 0
; VGPRBlocks: 0
; NumSGPRsForWavesPerEU: 6
; NumVGPRsForWavesPerEU: 1
; AccumOffset: 4
; Occupancy: 8
; WaveLimiterHint : 0
; COMPUTE_PGM_RSRC2:SCRATCH_EN: 0
; COMPUTE_PGM_RSRC2:USER_SGPR: 2
; COMPUTE_PGM_RSRC2:TRAP_HANDLER: 0
; COMPUTE_PGM_RSRC2:TGID_X_EN: 1
; COMPUTE_PGM_RSRC2:TGID_Y_EN: 0
; COMPUTE_PGM_RSRC2:TGID_Z_EN: 0
; COMPUTE_PGM_RSRC2:TIDIG_COMP_CNT: 0
; COMPUTE_PGM_RSRC3_GFX90A:ACCUM_OFFSET: 0
; COMPUTE_PGM_RSRC3_GFX90A:TG_SPLIT: 0
	.section	.text._ZN7rocprim17ROCPRIM_400000_NS6detail17trampoline_kernelINS0_14default_configENS1_33run_length_encode_config_selectorIijNS0_4plusIjEEEEZZNS1_33reduce_by_key_impl_wrapped_configILNS1_25lookback_scan_determinismE0ES3_S7_PKiNS0_17constant_iteratorIjlEEPiPlSF_S6_NS0_8equal_toIiEEEE10hipError_tPvRmT2_T3_mT4_T5_T6_T7_T8_P12ihipStream_tbENKUlT_T0_E_clISt17integral_constantIbLb0EESY_IbLb1EEEEDaSU_SV_EUlSU_E_NS1_11comp_targetILNS1_3genE9ELNS1_11target_archE1100ELNS1_3gpuE3ELNS1_3repE0EEENS1_30default_config_static_selectorELNS0_4arch9wavefront6targetE1EEEvT1_,"axG",@progbits,_ZN7rocprim17ROCPRIM_400000_NS6detail17trampoline_kernelINS0_14default_configENS1_33run_length_encode_config_selectorIijNS0_4plusIjEEEEZZNS1_33reduce_by_key_impl_wrapped_configILNS1_25lookback_scan_determinismE0ES3_S7_PKiNS0_17constant_iteratorIjlEEPiPlSF_S6_NS0_8equal_toIiEEEE10hipError_tPvRmT2_T3_mT4_T5_T6_T7_T8_P12ihipStream_tbENKUlT_T0_E_clISt17integral_constantIbLb0EESY_IbLb1EEEEDaSU_SV_EUlSU_E_NS1_11comp_targetILNS1_3genE9ELNS1_11target_archE1100ELNS1_3gpuE3ELNS1_3repE0EEENS1_30default_config_static_selectorELNS0_4arch9wavefront6targetE1EEEvT1_,comdat
	.protected	_ZN7rocprim17ROCPRIM_400000_NS6detail17trampoline_kernelINS0_14default_configENS1_33run_length_encode_config_selectorIijNS0_4plusIjEEEEZZNS1_33reduce_by_key_impl_wrapped_configILNS1_25lookback_scan_determinismE0ES3_S7_PKiNS0_17constant_iteratorIjlEEPiPlSF_S6_NS0_8equal_toIiEEEE10hipError_tPvRmT2_T3_mT4_T5_T6_T7_T8_P12ihipStream_tbENKUlT_T0_E_clISt17integral_constantIbLb0EESY_IbLb1EEEEDaSU_SV_EUlSU_E_NS1_11comp_targetILNS1_3genE9ELNS1_11target_archE1100ELNS1_3gpuE3ELNS1_3repE0EEENS1_30default_config_static_selectorELNS0_4arch9wavefront6targetE1EEEvT1_ ; -- Begin function _ZN7rocprim17ROCPRIM_400000_NS6detail17trampoline_kernelINS0_14default_configENS1_33run_length_encode_config_selectorIijNS0_4plusIjEEEEZZNS1_33reduce_by_key_impl_wrapped_configILNS1_25lookback_scan_determinismE0ES3_S7_PKiNS0_17constant_iteratorIjlEEPiPlSF_S6_NS0_8equal_toIiEEEE10hipError_tPvRmT2_T3_mT4_T5_T6_T7_T8_P12ihipStream_tbENKUlT_T0_E_clISt17integral_constantIbLb0EESY_IbLb1EEEEDaSU_SV_EUlSU_E_NS1_11comp_targetILNS1_3genE9ELNS1_11target_archE1100ELNS1_3gpuE3ELNS1_3repE0EEENS1_30default_config_static_selectorELNS0_4arch9wavefront6targetE1EEEvT1_
	.globl	_ZN7rocprim17ROCPRIM_400000_NS6detail17trampoline_kernelINS0_14default_configENS1_33run_length_encode_config_selectorIijNS0_4plusIjEEEEZZNS1_33reduce_by_key_impl_wrapped_configILNS1_25lookback_scan_determinismE0ES3_S7_PKiNS0_17constant_iteratorIjlEEPiPlSF_S6_NS0_8equal_toIiEEEE10hipError_tPvRmT2_T3_mT4_T5_T6_T7_T8_P12ihipStream_tbENKUlT_T0_E_clISt17integral_constantIbLb0EESY_IbLb1EEEEDaSU_SV_EUlSU_E_NS1_11comp_targetILNS1_3genE9ELNS1_11target_archE1100ELNS1_3gpuE3ELNS1_3repE0EEENS1_30default_config_static_selectorELNS0_4arch9wavefront6targetE1EEEvT1_
	.p2align	8
	.type	_ZN7rocprim17ROCPRIM_400000_NS6detail17trampoline_kernelINS0_14default_configENS1_33run_length_encode_config_selectorIijNS0_4plusIjEEEEZZNS1_33reduce_by_key_impl_wrapped_configILNS1_25lookback_scan_determinismE0ES3_S7_PKiNS0_17constant_iteratorIjlEEPiPlSF_S6_NS0_8equal_toIiEEEE10hipError_tPvRmT2_T3_mT4_T5_T6_T7_T8_P12ihipStream_tbENKUlT_T0_E_clISt17integral_constantIbLb0EESY_IbLb1EEEEDaSU_SV_EUlSU_E_NS1_11comp_targetILNS1_3genE9ELNS1_11target_archE1100ELNS1_3gpuE3ELNS1_3repE0EEENS1_30default_config_static_selectorELNS0_4arch9wavefront6targetE1EEEvT1_,@function
_ZN7rocprim17ROCPRIM_400000_NS6detail17trampoline_kernelINS0_14default_configENS1_33run_length_encode_config_selectorIijNS0_4plusIjEEEEZZNS1_33reduce_by_key_impl_wrapped_configILNS1_25lookback_scan_determinismE0ES3_S7_PKiNS0_17constant_iteratorIjlEEPiPlSF_S6_NS0_8equal_toIiEEEE10hipError_tPvRmT2_T3_mT4_T5_T6_T7_T8_P12ihipStream_tbENKUlT_T0_E_clISt17integral_constantIbLb0EESY_IbLb1EEEEDaSU_SV_EUlSU_E_NS1_11comp_targetILNS1_3genE9ELNS1_11target_archE1100ELNS1_3gpuE3ELNS1_3repE0EEENS1_30default_config_static_selectorELNS0_4arch9wavefront6targetE1EEEvT1_: ; @_ZN7rocprim17ROCPRIM_400000_NS6detail17trampoline_kernelINS0_14default_configENS1_33run_length_encode_config_selectorIijNS0_4plusIjEEEEZZNS1_33reduce_by_key_impl_wrapped_configILNS1_25lookback_scan_determinismE0ES3_S7_PKiNS0_17constant_iteratorIjlEEPiPlSF_S6_NS0_8equal_toIiEEEE10hipError_tPvRmT2_T3_mT4_T5_T6_T7_T8_P12ihipStream_tbENKUlT_T0_E_clISt17integral_constantIbLb0EESY_IbLb1EEEEDaSU_SV_EUlSU_E_NS1_11comp_targetILNS1_3genE9ELNS1_11target_archE1100ELNS1_3gpuE3ELNS1_3repE0EEENS1_30default_config_static_selectorELNS0_4arch9wavefront6targetE1EEEvT1_
; %bb.0:
	.section	.rodata,"a",@progbits
	.p2align	6, 0x0
	.amdhsa_kernel _ZN7rocprim17ROCPRIM_400000_NS6detail17trampoline_kernelINS0_14default_configENS1_33run_length_encode_config_selectorIijNS0_4plusIjEEEEZZNS1_33reduce_by_key_impl_wrapped_configILNS1_25lookback_scan_determinismE0ES3_S7_PKiNS0_17constant_iteratorIjlEEPiPlSF_S6_NS0_8equal_toIiEEEE10hipError_tPvRmT2_T3_mT4_T5_T6_T7_T8_P12ihipStream_tbENKUlT_T0_E_clISt17integral_constantIbLb0EESY_IbLb1EEEEDaSU_SV_EUlSU_E_NS1_11comp_targetILNS1_3genE9ELNS1_11target_archE1100ELNS1_3gpuE3ELNS1_3repE0EEENS1_30default_config_static_selectorELNS0_4arch9wavefront6targetE1EEEvT1_
		.amdhsa_group_segment_fixed_size 0
		.amdhsa_private_segment_fixed_size 0
		.amdhsa_kernarg_size 128
		.amdhsa_user_sgpr_count 2
		.amdhsa_user_sgpr_dispatch_ptr 0
		.amdhsa_user_sgpr_queue_ptr 0
		.amdhsa_user_sgpr_kernarg_segment_ptr 1
		.amdhsa_user_sgpr_dispatch_id 0
		.amdhsa_user_sgpr_kernarg_preload_length 0
		.amdhsa_user_sgpr_kernarg_preload_offset 0
		.amdhsa_user_sgpr_private_segment_size 0
		.amdhsa_uses_dynamic_stack 0
		.amdhsa_enable_private_segment 0
		.amdhsa_system_sgpr_workgroup_id_x 1
		.amdhsa_system_sgpr_workgroup_id_y 0
		.amdhsa_system_sgpr_workgroup_id_z 0
		.amdhsa_system_sgpr_workgroup_info 0
		.amdhsa_system_vgpr_workitem_id 0
		.amdhsa_next_free_vgpr 1
		.amdhsa_next_free_sgpr 0
		.amdhsa_accum_offset 4
		.amdhsa_reserve_vcc 0
		.amdhsa_float_round_mode_32 0
		.amdhsa_float_round_mode_16_64 0
		.amdhsa_float_denorm_mode_32 3
		.amdhsa_float_denorm_mode_16_64 3
		.amdhsa_dx10_clamp 1
		.amdhsa_ieee_mode 1
		.amdhsa_fp16_overflow 0
		.amdhsa_tg_split 0
		.amdhsa_exception_fp_ieee_invalid_op 0
		.amdhsa_exception_fp_denorm_src 0
		.amdhsa_exception_fp_ieee_div_zero 0
		.amdhsa_exception_fp_ieee_overflow 0
		.amdhsa_exception_fp_ieee_underflow 0
		.amdhsa_exception_fp_ieee_inexact 0
		.amdhsa_exception_int_div_zero 0
	.end_amdhsa_kernel
	.section	.text._ZN7rocprim17ROCPRIM_400000_NS6detail17trampoline_kernelINS0_14default_configENS1_33run_length_encode_config_selectorIijNS0_4plusIjEEEEZZNS1_33reduce_by_key_impl_wrapped_configILNS1_25lookback_scan_determinismE0ES3_S7_PKiNS0_17constant_iteratorIjlEEPiPlSF_S6_NS0_8equal_toIiEEEE10hipError_tPvRmT2_T3_mT4_T5_T6_T7_T8_P12ihipStream_tbENKUlT_T0_E_clISt17integral_constantIbLb0EESY_IbLb1EEEEDaSU_SV_EUlSU_E_NS1_11comp_targetILNS1_3genE9ELNS1_11target_archE1100ELNS1_3gpuE3ELNS1_3repE0EEENS1_30default_config_static_selectorELNS0_4arch9wavefront6targetE1EEEvT1_,"axG",@progbits,_ZN7rocprim17ROCPRIM_400000_NS6detail17trampoline_kernelINS0_14default_configENS1_33run_length_encode_config_selectorIijNS0_4plusIjEEEEZZNS1_33reduce_by_key_impl_wrapped_configILNS1_25lookback_scan_determinismE0ES3_S7_PKiNS0_17constant_iteratorIjlEEPiPlSF_S6_NS0_8equal_toIiEEEE10hipError_tPvRmT2_T3_mT4_T5_T6_T7_T8_P12ihipStream_tbENKUlT_T0_E_clISt17integral_constantIbLb0EESY_IbLb1EEEEDaSU_SV_EUlSU_E_NS1_11comp_targetILNS1_3genE9ELNS1_11target_archE1100ELNS1_3gpuE3ELNS1_3repE0EEENS1_30default_config_static_selectorELNS0_4arch9wavefront6targetE1EEEvT1_,comdat
.Lfunc_end476:
	.size	_ZN7rocprim17ROCPRIM_400000_NS6detail17trampoline_kernelINS0_14default_configENS1_33run_length_encode_config_selectorIijNS0_4plusIjEEEEZZNS1_33reduce_by_key_impl_wrapped_configILNS1_25lookback_scan_determinismE0ES3_S7_PKiNS0_17constant_iteratorIjlEEPiPlSF_S6_NS0_8equal_toIiEEEE10hipError_tPvRmT2_T3_mT4_T5_T6_T7_T8_P12ihipStream_tbENKUlT_T0_E_clISt17integral_constantIbLb0EESY_IbLb1EEEEDaSU_SV_EUlSU_E_NS1_11comp_targetILNS1_3genE9ELNS1_11target_archE1100ELNS1_3gpuE3ELNS1_3repE0EEENS1_30default_config_static_selectorELNS0_4arch9wavefront6targetE1EEEvT1_, .Lfunc_end476-_ZN7rocprim17ROCPRIM_400000_NS6detail17trampoline_kernelINS0_14default_configENS1_33run_length_encode_config_selectorIijNS0_4plusIjEEEEZZNS1_33reduce_by_key_impl_wrapped_configILNS1_25lookback_scan_determinismE0ES3_S7_PKiNS0_17constant_iteratorIjlEEPiPlSF_S6_NS0_8equal_toIiEEEE10hipError_tPvRmT2_T3_mT4_T5_T6_T7_T8_P12ihipStream_tbENKUlT_T0_E_clISt17integral_constantIbLb0EESY_IbLb1EEEEDaSU_SV_EUlSU_E_NS1_11comp_targetILNS1_3genE9ELNS1_11target_archE1100ELNS1_3gpuE3ELNS1_3repE0EEENS1_30default_config_static_selectorELNS0_4arch9wavefront6targetE1EEEvT1_
                                        ; -- End function
	.section	.AMDGPU.csdata,"",@progbits
; Kernel info:
; codeLenInByte = 0
; NumSgprs: 6
; NumVgprs: 0
; NumAgprs: 0
; TotalNumVgprs: 0
; ScratchSize: 0
; MemoryBound: 0
; FloatMode: 240
; IeeeMode: 1
; LDSByteSize: 0 bytes/workgroup (compile time only)
; SGPRBlocks: 0
; VGPRBlocks: 0
; NumSGPRsForWavesPerEU: 6
; NumVGPRsForWavesPerEU: 1
; AccumOffset: 4
; Occupancy: 8
; WaveLimiterHint : 0
; COMPUTE_PGM_RSRC2:SCRATCH_EN: 0
; COMPUTE_PGM_RSRC2:USER_SGPR: 2
; COMPUTE_PGM_RSRC2:TRAP_HANDLER: 0
; COMPUTE_PGM_RSRC2:TGID_X_EN: 1
; COMPUTE_PGM_RSRC2:TGID_Y_EN: 0
; COMPUTE_PGM_RSRC2:TGID_Z_EN: 0
; COMPUTE_PGM_RSRC2:TIDIG_COMP_CNT: 0
; COMPUTE_PGM_RSRC3_GFX90A:ACCUM_OFFSET: 0
; COMPUTE_PGM_RSRC3_GFX90A:TG_SPLIT: 0
	.section	.text._ZN7rocprim17ROCPRIM_400000_NS6detail17trampoline_kernelINS0_14default_configENS1_33run_length_encode_config_selectorIijNS0_4plusIjEEEEZZNS1_33reduce_by_key_impl_wrapped_configILNS1_25lookback_scan_determinismE0ES3_S7_PKiNS0_17constant_iteratorIjlEEPiPlSF_S6_NS0_8equal_toIiEEEE10hipError_tPvRmT2_T3_mT4_T5_T6_T7_T8_P12ihipStream_tbENKUlT_T0_E_clISt17integral_constantIbLb0EESY_IbLb1EEEEDaSU_SV_EUlSU_E_NS1_11comp_targetILNS1_3genE8ELNS1_11target_archE1030ELNS1_3gpuE2ELNS1_3repE0EEENS1_30default_config_static_selectorELNS0_4arch9wavefront6targetE1EEEvT1_,"axG",@progbits,_ZN7rocprim17ROCPRIM_400000_NS6detail17trampoline_kernelINS0_14default_configENS1_33run_length_encode_config_selectorIijNS0_4plusIjEEEEZZNS1_33reduce_by_key_impl_wrapped_configILNS1_25lookback_scan_determinismE0ES3_S7_PKiNS0_17constant_iteratorIjlEEPiPlSF_S6_NS0_8equal_toIiEEEE10hipError_tPvRmT2_T3_mT4_T5_T6_T7_T8_P12ihipStream_tbENKUlT_T0_E_clISt17integral_constantIbLb0EESY_IbLb1EEEEDaSU_SV_EUlSU_E_NS1_11comp_targetILNS1_3genE8ELNS1_11target_archE1030ELNS1_3gpuE2ELNS1_3repE0EEENS1_30default_config_static_selectorELNS0_4arch9wavefront6targetE1EEEvT1_,comdat
	.protected	_ZN7rocprim17ROCPRIM_400000_NS6detail17trampoline_kernelINS0_14default_configENS1_33run_length_encode_config_selectorIijNS0_4plusIjEEEEZZNS1_33reduce_by_key_impl_wrapped_configILNS1_25lookback_scan_determinismE0ES3_S7_PKiNS0_17constant_iteratorIjlEEPiPlSF_S6_NS0_8equal_toIiEEEE10hipError_tPvRmT2_T3_mT4_T5_T6_T7_T8_P12ihipStream_tbENKUlT_T0_E_clISt17integral_constantIbLb0EESY_IbLb1EEEEDaSU_SV_EUlSU_E_NS1_11comp_targetILNS1_3genE8ELNS1_11target_archE1030ELNS1_3gpuE2ELNS1_3repE0EEENS1_30default_config_static_selectorELNS0_4arch9wavefront6targetE1EEEvT1_ ; -- Begin function _ZN7rocprim17ROCPRIM_400000_NS6detail17trampoline_kernelINS0_14default_configENS1_33run_length_encode_config_selectorIijNS0_4plusIjEEEEZZNS1_33reduce_by_key_impl_wrapped_configILNS1_25lookback_scan_determinismE0ES3_S7_PKiNS0_17constant_iteratorIjlEEPiPlSF_S6_NS0_8equal_toIiEEEE10hipError_tPvRmT2_T3_mT4_T5_T6_T7_T8_P12ihipStream_tbENKUlT_T0_E_clISt17integral_constantIbLb0EESY_IbLb1EEEEDaSU_SV_EUlSU_E_NS1_11comp_targetILNS1_3genE8ELNS1_11target_archE1030ELNS1_3gpuE2ELNS1_3repE0EEENS1_30default_config_static_selectorELNS0_4arch9wavefront6targetE1EEEvT1_
	.globl	_ZN7rocprim17ROCPRIM_400000_NS6detail17trampoline_kernelINS0_14default_configENS1_33run_length_encode_config_selectorIijNS0_4plusIjEEEEZZNS1_33reduce_by_key_impl_wrapped_configILNS1_25lookback_scan_determinismE0ES3_S7_PKiNS0_17constant_iteratorIjlEEPiPlSF_S6_NS0_8equal_toIiEEEE10hipError_tPvRmT2_T3_mT4_T5_T6_T7_T8_P12ihipStream_tbENKUlT_T0_E_clISt17integral_constantIbLb0EESY_IbLb1EEEEDaSU_SV_EUlSU_E_NS1_11comp_targetILNS1_3genE8ELNS1_11target_archE1030ELNS1_3gpuE2ELNS1_3repE0EEENS1_30default_config_static_selectorELNS0_4arch9wavefront6targetE1EEEvT1_
	.p2align	8
	.type	_ZN7rocprim17ROCPRIM_400000_NS6detail17trampoline_kernelINS0_14default_configENS1_33run_length_encode_config_selectorIijNS0_4plusIjEEEEZZNS1_33reduce_by_key_impl_wrapped_configILNS1_25lookback_scan_determinismE0ES3_S7_PKiNS0_17constant_iteratorIjlEEPiPlSF_S6_NS0_8equal_toIiEEEE10hipError_tPvRmT2_T3_mT4_T5_T6_T7_T8_P12ihipStream_tbENKUlT_T0_E_clISt17integral_constantIbLb0EESY_IbLb1EEEEDaSU_SV_EUlSU_E_NS1_11comp_targetILNS1_3genE8ELNS1_11target_archE1030ELNS1_3gpuE2ELNS1_3repE0EEENS1_30default_config_static_selectorELNS0_4arch9wavefront6targetE1EEEvT1_,@function
_ZN7rocprim17ROCPRIM_400000_NS6detail17trampoline_kernelINS0_14default_configENS1_33run_length_encode_config_selectorIijNS0_4plusIjEEEEZZNS1_33reduce_by_key_impl_wrapped_configILNS1_25lookback_scan_determinismE0ES3_S7_PKiNS0_17constant_iteratorIjlEEPiPlSF_S6_NS0_8equal_toIiEEEE10hipError_tPvRmT2_T3_mT4_T5_T6_T7_T8_P12ihipStream_tbENKUlT_T0_E_clISt17integral_constantIbLb0EESY_IbLb1EEEEDaSU_SV_EUlSU_E_NS1_11comp_targetILNS1_3genE8ELNS1_11target_archE1030ELNS1_3gpuE2ELNS1_3repE0EEENS1_30default_config_static_selectorELNS0_4arch9wavefront6targetE1EEEvT1_: ; @_ZN7rocprim17ROCPRIM_400000_NS6detail17trampoline_kernelINS0_14default_configENS1_33run_length_encode_config_selectorIijNS0_4plusIjEEEEZZNS1_33reduce_by_key_impl_wrapped_configILNS1_25lookback_scan_determinismE0ES3_S7_PKiNS0_17constant_iteratorIjlEEPiPlSF_S6_NS0_8equal_toIiEEEE10hipError_tPvRmT2_T3_mT4_T5_T6_T7_T8_P12ihipStream_tbENKUlT_T0_E_clISt17integral_constantIbLb0EESY_IbLb1EEEEDaSU_SV_EUlSU_E_NS1_11comp_targetILNS1_3genE8ELNS1_11target_archE1030ELNS1_3gpuE2ELNS1_3repE0EEENS1_30default_config_static_selectorELNS0_4arch9wavefront6targetE1EEEvT1_
; %bb.0:
	.section	.rodata,"a",@progbits
	.p2align	6, 0x0
	.amdhsa_kernel _ZN7rocprim17ROCPRIM_400000_NS6detail17trampoline_kernelINS0_14default_configENS1_33run_length_encode_config_selectorIijNS0_4plusIjEEEEZZNS1_33reduce_by_key_impl_wrapped_configILNS1_25lookback_scan_determinismE0ES3_S7_PKiNS0_17constant_iteratorIjlEEPiPlSF_S6_NS0_8equal_toIiEEEE10hipError_tPvRmT2_T3_mT4_T5_T6_T7_T8_P12ihipStream_tbENKUlT_T0_E_clISt17integral_constantIbLb0EESY_IbLb1EEEEDaSU_SV_EUlSU_E_NS1_11comp_targetILNS1_3genE8ELNS1_11target_archE1030ELNS1_3gpuE2ELNS1_3repE0EEENS1_30default_config_static_selectorELNS0_4arch9wavefront6targetE1EEEvT1_
		.amdhsa_group_segment_fixed_size 0
		.amdhsa_private_segment_fixed_size 0
		.amdhsa_kernarg_size 128
		.amdhsa_user_sgpr_count 2
		.amdhsa_user_sgpr_dispatch_ptr 0
		.amdhsa_user_sgpr_queue_ptr 0
		.amdhsa_user_sgpr_kernarg_segment_ptr 1
		.amdhsa_user_sgpr_dispatch_id 0
		.amdhsa_user_sgpr_kernarg_preload_length 0
		.amdhsa_user_sgpr_kernarg_preload_offset 0
		.amdhsa_user_sgpr_private_segment_size 0
		.amdhsa_uses_dynamic_stack 0
		.amdhsa_enable_private_segment 0
		.amdhsa_system_sgpr_workgroup_id_x 1
		.amdhsa_system_sgpr_workgroup_id_y 0
		.amdhsa_system_sgpr_workgroup_id_z 0
		.amdhsa_system_sgpr_workgroup_info 0
		.amdhsa_system_vgpr_workitem_id 0
		.amdhsa_next_free_vgpr 1
		.amdhsa_next_free_sgpr 0
		.amdhsa_accum_offset 4
		.amdhsa_reserve_vcc 0
		.amdhsa_float_round_mode_32 0
		.amdhsa_float_round_mode_16_64 0
		.amdhsa_float_denorm_mode_32 3
		.amdhsa_float_denorm_mode_16_64 3
		.amdhsa_dx10_clamp 1
		.amdhsa_ieee_mode 1
		.amdhsa_fp16_overflow 0
		.amdhsa_tg_split 0
		.amdhsa_exception_fp_ieee_invalid_op 0
		.amdhsa_exception_fp_denorm_src 0
		.amdhsa_exception_fp_ieee_div_zero 0
		.amdhsa_exception_fp_ieee_overflow 0
		.amdhsa_exception_fp_ieee_underflow 0
		.amdhsa_exception_fp_ieee_inexact 0
		.amdhsa_exception_int_div_zero 0
	.end_amdhsa_kernel
	.section	.text._ZN7rocprim17ROCPRIM_400000_NS6detail17trampoline_kernelINS0_14default_configENS1_33run_length_encode_config_selectorIijNS0_4plusIjEEEEZZNS1_33reduce_by_key_impl_wrapped_configILNS1_25lookback_scan_determinismE0ES3_S7_PKiNS0_17constant_iteratorIjlEEPiPlSF_S6_NS0_8equal_toIiEEEE10hipError_tPvRmT2_T3_mT4_T5_T6_T7_T8_P12ihipStream_tbENKUlT_T0_E_clISt17integral_constantIbLb0EESY_IbLb1EEEEDaSU_SV_EUlSU_E_NS1_11comp_targetILNS1_3genE8ELNS1_11target_archE1030ELNS1_3gpuE2ELNS1_3repE0EEENS1_30default_config_static_selectorELNS0_4arch9wavefront6targetE1EEEvT1_,"axG",@progbits,_ZN7rocprim17ROCPRIM_400000_NS6detail17trampoline_kernelINS0_14default_configENS1_33run_length_encode_config_selectorIijNS0_4plusIjEEEEZZNS1_33reduce_by_key_impl_wrapped_configILNS1_25lookback_scan_determinismE0ES3_S7_PKiNS0_17constant_iteratorIjlEEPiPlSF_S6_NS0_8equal_toIiEEEE10hipError_tPvRmT2_T3_mT4_T5_T6_T7_T8_P12ihipStream_tbENKUlT_T0_E_clISt17integral_constantIbLb0EESY_IbLb1EEEEDaSU_SV_EUlSU_E_NS1_11comp_targetILNS1_3genE8ELNS1_11target_archE1030ELNS1_3gpuE2ELNS1_3repE0EEENS1_30default_config_static_selectorELNS0_4arch9wavefront6targetE1EEEvT1_,comdat
.Lfunc_end477:
	.size	_ZN7rocprim17ROCPRIM_400000_NS6detail17trampoline_kernelINS0_14default_configENS1_33run_length_encode_config_selectorIijNS0_4plusIjEEEEZZNS1_33reduce_by_key_impl_wrapped_configILNS1_25lookback_scan_determinismE0ES3_S7_PKiNS0_17constant_iteratorIjlEEPiPlSF_S6_NS0_8equal_toIiEEEE10hipError_tPvRmT2_T3_mT4_T5_T6_T7_T8_P12ihipStream_tbENKUlT_T0_E_clISt17integral_constantIbLb0EESY_IbLb1EEEEDaSU_SV_EUlSU_E_NS1_11comp_targetILNS1_3genE8ELNS1_11target_archE1030ELNS1_3gpuE2ELNS1_3repE0EEENS1_30default_config_static_selectorELNS0_4arch9wavefront6targetE1EEEvT1_, .Lfunc_end477-_ZN7rocprim17ROCPRIM_400000_NS6detail17trampoline_kernelINS0_14default_configENS1_33run_length_encode_config_selectorIijNS0_4plusIjEEEEZZNS1_33reduce_by_key_impl_wrapped_configILNS1_25lookback_scan_determinismE0ES3_S7_PKiNS0_17constant_iteratorIjlEEPiPlSF_S6_NS0_8equal_toIiEEEE10hipError_tPvRmT2_T3_mT4_T5_T6_T7_T8_P12ihipStream_tbENKUlT_T0_E_clISt17integral_constantIbLb0EESY_IbLb1EEEEDaSU_SV_EUlSU_E_NS1_11comp_targetILNS1_3genE8ELNS1_11target_archE1030ELNS1_3gpuE2ELNS1_3repE0EEENS1_30default_config_static_selectorELNS0_4arch9wavefront6targetE1EEEvT1_
                                        ; -- End function
	.section	.AMDGPU.csdata,"",@progbits
; Kernel info:
; codeLenInByte = 0
; NumSgprs: 6
; NumVgprs: 0
; NumAgprs: 0
; TotalNumVgprs: 0
; ScratchSize: 0
; MemoryBound: 0
; FloatMode: 240
; IeeeMode: 1
; LDSByteSize: 0 bytes/workgroup (compile time only)
; SGPRBlocks: 0
; VGPRBlocks: 0
; NumSGPRsForWavesPerEU: 6
; NumVGPRsForWavesPerEU: 1
; AccumOffset: 4
; Occupancy: 8
; WaveLimiterHint : 0
; COMPUTE_PGM_RSRC2:SCRATCH_EN: 0
; COMPUTE_PGM_RSRC2:USER_SGPR: 2
; COMPUTE_PGM_RSRC2:TRAP_HANDLER: 0
; COMPUTE_PGM_RSRC2:TGID_X_EN: 1
; COMPUTE_PGM_RSRC2:TGID_Y_EN: 0
; COMPUTE_PGM_RSRC2:TGID_Z_EN: 0
; COMPUTE_PGM_RSRC2:TIDIG_COMP_CNT: 0
; COMPUTE_PGM_RSRC3_GFX90A:ACCUM_OFFSET: 0
; COMPUTE_PGM_RSRC3_GFX90A:TG_SPLIT: 0
	.section	.text._ZN2at6native8internal12_GLOBAL__N_126adjacent_difference_kernelIPKlEEvlT_Pi,"axG",@progbits,_ZN2at6native8internal12_GLOBAL__N_126adjacent_difference_kernelIPKlEEvlT_Pi,comdat
	.globl	_ZN2at6native8internal12_GLOBAL__N_126adjacent_difference_kernelIPKlEEvlT_Pi ; -- Begin function _ZN2at6native8internal12_GLOBAL__N_126adjacent_difference_kernelIPKlEEvlT_Pi
	.p2align	8
	.type	_ZN2at6native8internal12_GLOBAL__N_126adjacent_difference_kernelIPKlEEvlT_Pi,@function
_ZN2at6native8internal12_GLOBAL__N_126adjacent_difference_kernelIPKlEEvlT_Pi: ; @_ZN2at6native8internal12_GLOBAL__N_126adjacent_difference_kernelIPKlEEvlT_Pi
; %bb.0:
	s_load_dword s3, s[0:1], 0x24
	s_load_dwordx4 s[4:7], s[0:1], 0x0
	s_add_u32 s10, s0, 24
	s_addc_u32 s11, s1, 0
	v_mov_b32_e32 v1, 0
	s_waitcnt lgkmcnt(0)
	s_and_b32 s12, s3, 0xffff
	v_mov_b32_e32 v2, s2
	v_mad_u64_u32 v[4:5], s[8:9], s12, v2, v[0:1]
	v_cmp_gt_i64_e32 vcc, s[4:5], v[4:5]
	s_and_saveexec_b64 s[8:9], vcc
	s_cbranch_execz .LBB478_5
; %bb.1:
	s_load_dword s13, s[10:11], 0x0
	s_load_dwordx2 s[8:9], s[0:1], 0x10
	s_mul_hi_u32 s1, s12, s2
	s_mul_i32 s0, s12, s2
	s_mov_b32 s3, 0
	s_waitcnt lgkmcnt(0)
	s_mul_i32 s2, s13, s12
	v_mov_b32_e32 v2, v1
	v_mov_b32_e32 v3, v4
	s_mov_b32 s10, s3
	s_mov_b32 s11, s2
	s_mov_b64 s[12:13], 0
	v_mov_b64_e32 v[4:5], v[0:1]
	s_branch .LBB478_3
.LBB478_2:                              ;   in Loop: Header=BB478_3 Depth=1
	s_or_b64 exec, exec, s[14:15]
	v_ashrrev_i64 v[6:7], 30, v[2:3]
	v_lshl_add_u64 v[6:7], s[8:9], 0, v[6:7]
	v_lshl_add_u64 v[4:5], v[4:5], 0, s[2:3]
	global_store_dword v[6:7], v0, off
	v_lshl_add_u64 v[6:7], s[0:1], 0, v[4:5]
	v_cmp_le_i64_e32 vcc, s[4:5], v[6:7]
	s_or_b64 s[12:13], vcc, s[12:13]
	v_lshl_add_u64 v[2:3], v[2:3], 0, s[10:11]
	s_andn2_b64 exec, exec, s[12:13]
	s_cbranch_execz .LBB478_5
.LBB478_3:                              ; =>This Inner Loop Header: Depth=1
	v_add_u32_e32 v0, s0, v4
	v_cmp_lt_i32_e32 vcc, 0, v0
	v_mov_b32_e32 v0, 0
	s_and_saveexec_b64 s[14:15], vcc
	s_cbranch_execz .LBB478_2
; %bb.4:                                ;   in Loop: Header=BB478_3 Depth=1
	v_add_u32_e32 v8, s0, v4
	v_and_b32_e32 v0, 0x7fffffff, v8
	v_lshl_add_u64 v[6:7], v[0:1], 3, s[6:7]
	v_add_u32_e32 v0, -1, v8
	v_lshl_add_u64 v[8:9], v[0:1], 3, s[6:7]
	global_load_dwordx2 v[10:11], v[6:7], off
	global_load_dwordx2 v[12:13], v[8:9], off
	s_waitcnt vmcnt(0)
	v_cmp_ne_u64_e32 vcc, v[10:11], v[12:13]
	s_nop 1
	v_cndmask_b32_e64 v0, 0, 1, vcc
	s_branch .LBB478_2
.LBB478_5:
	s_endpgm
	.section	.rodata,"a",@progbits
	.p2align	6, 0x0
	.amdhsa_kernel _ZN2at6native8internal12_GLOBAL__N_126adjacent_difference_kernelIPKlEEvlT_Pi
		.amdhsa_group_segment_fixed_size 0
		.amdhsa_private_segment_fixed_size 0
		.amdhsa_kernarg_size 280
		.amdhsa_user_sgpr_count 2
		.amdhsa_user_sgpr_dispatch_ptr 0
		.amdhsa_user_sgpr_queue_ptr 0
		.amdhsa_user_sgpr_kernarg_segment_ptr 1
		.amdhsa_user_sgpr_dispatch_id 0
		.amdhsa_user_sgpr_kernarg_preload_length 0
		.amdhsa_user_sgpr_kernarg_preload_offset 0
		.amdhsa_user_sgpr_private_segment_size 0
		.amdhsa_uses_dynamic_stack 0
		.amdhsa_enable_private_segment 0
		.amdhsa_system_sgpr_workgroup_id_x 1
		.amdhsa_system_sgpr_workgroup_id_y 0
		.amdhsa_system_sgpr_workgroup_id_z 0
		.amdhsa_system_sgpr_workgroup_info 0
		.amdhsa_system_vgpr_workitem_id 0
		.amdhsa_next_free_vgpr 14
		.amdhsa_next_free_sgpr 16
		.amdhsa_accum_offset 16
		.amdhsa_reserve_vcc 1
		.amdhsa_float_round_mode_32 0
		.amdhsa_float_round_mode_16_64 0
		.amdhsa_float_denorm_mode_32 3
		.amdhsa_float_denorm_mode_16_64 3
		.amdhsa_dx10_clamp 1
		.amdhsa_ieee_mode 1
		.amdhsa_fp16_overflow 0
		.amdhsa_tg_split 0
		.amdhsa_exception_fp_ieee_invalid_op 0
		.amdhsa_exception_fp_denorm_src 0
		.amdhsa_exception_fp_ieee_div_zero 0
		.amdhsa_exception_fp_ieee_overflow 0
		.amdhsa_exception_fp_ieee_underflow 0
		.amdhsa_exception_fp_ieee_inexact 0
		.amdhsa_exception_int_div_zero 0
	.end_amdhsa_kernel
	.section	.text._ZN2at6native8internal12_GLOBAL__N_126adjacent_difference_kernelIPKlEEvlT_Pi,"axG",@progbits,_ZN2at6native8internal12_GLOBAL__N_126adjacent_difference_kernelIPKlEEvlT_Pi,comdat
.Lfunc_end478:
	.size	_ZN2at6native8internal12_GLOBAL__N_126adjacent_difference_kernelIPKlEEvlT_Pi, .Lfunc_end478-_ZN2at6native8internal12_GLOBAL__N_126adjacent_difference_kernelIPKlEEvlT_Pi
                                        ; -- End function
	.section	.AMDGPU.csdata,"",@progbits
; Kernel info:
; codeLenInByte = 292
; NumSgprs: 22
; NumVgprs: 14
; NumAgprs: 0
; TotalNumVgprs: 14
; ScratchSize: 0
; MemoryBound: 0
; FloatMode: 240
; IeeeMode: 1
; LDSByteSize: 0 bytes/workgroup (compile time only)
; SGPRBlocks: 2
; VGPRBlocks: 1
; NumSGPRsForWavesPerEU: 22
; NumVGPRsForWavesPerEU: 14
; AccumOffset: 16
; Occupancy: 8
; WaveLimiterHint : 0
; COMPUTE_PGM_RSRC2:SCRATCH_EN: 0
; COMPUTE_PGM_RSRC2:USER_SGPR: 2
; COMPUTE_PGM_RSRC2:TRAP_HANDLER: 0
; COMPUTE_PGM_RSRC2:TGID_X_EN: 1
; COMPUTE_PGM_RSRC2:TGID_Y_EN: 0
; COMPUTE_PGM_RSRC2:TGID_Z_EN: 0
; COMPUTE_PGM_RSRC2:TIDIG_COMP_CNT: 0
; COMPUTE_PGM_RSRC3_GFX90A:ACCUM_OFFSET: 3
; COMPUTE_PGM_RSRC3_GFX90A:TG_SPLIT: 0
	.section	.text._ZN7rocprim17ROCPRIM_400000_NS6detail17trampoline_kernelINS0_14default_configENS1_25partition_config_selectorILNS1_17partition_subalgoE8ElNS0_10empty_typeEbEEZZNS1_14partition_implILS5_8ELb0ES3_jPKlPS6_PKS6_NS0_5tupleIJPlS6_EEENSE_IJSB_SB_EEENS0_18inequality_wrapperIN6hipcub16HIPCUB_304000_NS8EqualityEEESF_JS6_EEE10hipError_tPvRmT3_T4_T5_T6_T7_T9_mT8_P12ihipStream_tbDpT10_ENKUlT_T0_E_clISt17integral_constantIbLb0EES16_EEDaS11_S12_EUlS11_E_NS1_11comp_targetILNS1_3genE0ELNS1_11target_archE4294967295ELNS1_3gpuE0ELNS1_3repE0EEENS1_30default_config_static_selectorELNS0_4arch9wavefront6targetE1EEEvT1_,"axG",@progbits,_ZN7rocprim17ROCPRIM_400000_NS6detail17trampoline_kernelINS0_14default_configENS1_25partition_config_selectorILNS1_17partition_subalgoE8ElNS0_10empty_typeEbEEZZNS1_14partition_implILS5_8ELb0ES3_jPKlPS6_PKS6_NS0_5tupleIJPlS6_EEENSE_IJSB_SB_EEENS0_18inequality_wrapperIN6hipcub16HIPCUB_304000_NS8EqualityEEESF_JS6_EEE10hipError_tPvRmT3_T4_T5_T6_T7_T9_mT8_P12ihipStream_tbDpT10_ENKUlT_T0_E_clISt17integral_constantIbLb0EES16_EEDaS11_S12_EUlS11_E_NS1_11comp_targetILNS1_3genE0ELNS1_11target_archE4294967295ELNS1_3gpuE0ELNS1_3repE0EEENS1_30default_config_static_selectorELNS0_4arch9wavefront6targetE1EEEvT1_,comdat
	.protected	_ZN7rocprim17ROCPRIM_400000_NS6detail17trampoline_kernelINS0_14default_configENS1_25partition_config_selectorILNS1_17partition_subalgoE8ElNS0_10empty_typeEbEEZZNS1_14partition_implILS5_8ELb0ES3_jPKlPS6_PKS6_NS0_5tupleIJPlS6_EEENSE_IJSB_SB_EEENS0_18inequality_wrapperIN6hipcub16HIPCUB_304000_NS8EqualityEEESF_JS6_EEE10hipError_tPvRmT3_T4_T5_T6_T7_T9_mT8_P12ihipStream_tbDpT10_ENKUlT_T0_E_clISt17integral_constantIbLb0EES16_EEDaS11_S12_EUlS11_E_NS1_11comp_targetILNS1_3genE0ELNS1_11target_archE4294967295ELNS1_3gpuE0ELNS1_3repE0EEENS1_30default_config_static_selectorELNS0_4arch9wavefront6targetE1EEEvT1_ ; -- Begin function _ZN7rocprim17ROCPRIM_400000_NS6detail17trampoline_kernelINS0_14default_configENS1_25partition_config_selectorILNS1_17partition_subalgoE8ElNS0_10empty_typeEbEEZZNS1_14partition_implILS5_8ELb0ES3_jPKlPS6_PKS6_NS0_5tupleIJPlS6_EEENSE_IJSB_SB_EEENS0_18inequality_wrapperIN6hipcub16HIPCUB_304000_NS8EqualityEEESF_JS6_EEE10hipError_tPvRmT3_T4_T5_T6_T7_T9_mT8_P12ihipStream_tbDpT10_ENKUlT_T0_E_clISt17integral_constantIbLb0EES16_EEDaS11_S12_EUlS11_E_NS1_11comp_targetILNS1_3genE0ELNS1_11target_archE4294967295ELNS1_3gpuE0ELNS1_3repE0EEENS1_30default_config_static_selectorELNS0_4arch9wavefront6targetE1EEEvT1_
	.globl	_ZN7rocprim17ROCPRIM_400000_NS6detail17trampoline_kernelINS0_14default_configENS1_25partition_config_selectorILNS1_17partition_subalgoE8ElNS0_10empty_typeEbEEZZNS1_14partition_implILS5_8ELb0ES3_jPKlPS6_PKS6_NS0_5tupleIJPlS6_EEENSE_IJSB_SB_EEENS0_18inequality_wrapperIN6hipcub16HIPCUB_304000_NS8EqualityEEESF_JS6_EEE10hipError_tPvRmT3_T4_T5_T6_T7_T9_mT8_P12ihipStream_tbDpT10_ENKUlT_T0_E_clISt17integral_constantIbLb0EES16_EEDaS11_S12_EUlS11_E_NS1_11comp_targetILNS1_3genE0ELNS1_11target_archE4294967295ELNS1_3gpuE0ELNS1_3repE0EEENS1_30default_config_static_selectorELNS0_4arch9wavefront6targetE1EEEvT1_
	.p2align	8
	.type	_ZN7rocprim17ROCPRIM_400000_NS6detail17trampoline_kernelINS0_14default_configENS1_25partition_config_selectorILNS1_17partition_subalgoE8ElNS0_10empty_typeEbEEZZNS1_14partition_implILS5_8ELb0ES3_jPKlPS6_PKS6_NS0_5tupleIJPlS6_EEENSE_IJSB_SB_EEENS0_18inequality_wrapperIN6hipcub16HIPCUB_304000_NS8EqualityEEESF_JS6_EEE10hipError_tPvRmT3_T4_T5_T6_T7_T9_mT8_P12ihipStream_tbDpT10_ENKUlT_T0_E_clISt17integral_constantIbLb0EES16_EEDaS11_S12_EUlS11_E_NS1_11comp_targetILNS1_3genE0ELNS1_11target_archE4294967295ELNS1_3gpuE0ELNS1_3repE0EEENS1_30default_config_static_selectorELNS0_4arch9wavefront6targetE1EEEvT1_,@function
_ZN7rocprim17ROCPRIM_400000_NS6detail17trampoline_kernelINS0_14default_configENS1_25partition_config_selectorILNS1_17partition_subalgoE8ElNS0_10empty_typeEbEEZZNS1_14partition_implILS5_8ELb0ES3_jPKlPS6_PKS6_NS0_5tupleIJPlS6_EEENSE_IJSB_SB_EEENS0_18inequality_wrapperIN6hipcub16HIPCUB_304000_NS8EqualityEEESF_JS6_EEE10hipError_tPvRmT3_T4_T5_T6_T7_T9_mT8_P12ihipStream_tbDpT10_ENKUlT_T0_E_clISt17integral_constantIbLb0EES16_EEDaS11_S12_EUlS11_E_NS1_11comp_targetILNS1_3genE0ELNS1_11target_archE4294967295ELNS1_3gpuE0ELNS1_3repE0EEENS1_30default_config_static_selectorELNS0_4arch9wavefront6targetE1EEEvT1_: ; @_ZN7rocprim17ROCPRIM_400000_NS6detail17trampoline_kernelINS0_14default_configENS1_25partition_config_selectorILNS1_17partition_subalgoE8ElNS0_10empty_typeEbEEZZNS1_14partition_implILS5_8ELb0ES3_jPKlPS6_PKS6_NS0_5tupleIJPlS6_EEENSE_IJSB_SB_EEENS0_18inequality_wrapperIN6hipcub16HIPCUB_304000_NS8EqualityEEESF_JS6_EEE10hipError_tPvRmT3_T4_T5_T6_T7_T9_mT8_P12ihipStream_tbDpT10_ENKUlT_T0_E_clISt17integral_constantIbLb0EES16_EEDaS11_S12_EUlS11_E_NS1_11comp_targetILNS1_3genE0ELNS1_11target_archE4294967295ELNS1_3gpuE0ELNS1_3repE0EEENS1_30default_config_static_selectorELNS0_4arch9wavefront6targetE1EEEvT1_
; %bb.0:
	.section	.rodata,"a",@progbits
	.p2align	6, 0x0
	.amdhsa_kernel _ZN7rocprim17ROCPRIM_400000_NS6detail17trampoline_kernelINS0_14default_configENS1_25partition_config_selectorILNS1_17partition_subalgoE8ElNS0_10empty_typeEbEEZZNS1_14partition_implILS5_8ELb0ES3_jPKlPS6_PKS6_NS0_5tupleIJPlS6_EEENSE_IJSB_SB_EEENS0_18inequality_wrapperIN6hipcub16HIPCUB_304000_NS8EqualityEEESF_JS6_EEE10hipError_tPvRmT3_T4_T5_T6_T7_T9_mT8_P12ihipStream_tbDpT10_ENKUlT_T0_E_clISt17integral_constantIbLb0EES16_EEDaS11_S12_EUlS11_E_NS1_11comp_targetILNS1_3genE0ELNS1_11target_archE4294967295ELNS1_3gpuE0ELNS1_3repE0EEENS1_30default_config_static_selectorELNS0_4arch9wavefront6targetE1EEEvT1_
		.amdhsa_group_segment_fixed_size 0
		.amdhsa_private_segment_fixed_size 0
		.amdhsa_kernarg_size 112
		.amdhsa_user_sgpr_count 2
		.amdhsa_user_sgpr_dispatch_ptr 0
		.amdhsa_user_sgpr_queue_ptr 0
		.amdhsa_user_sgpr_kernarg_segment_ptr 1
		.amdhsa_user_sgpr_dispatch_id 0
		.amdhsa_user_sgpr_kernarg_preload_length 0
		.amdhsa_user_sgpr_kernarg_preload_offset 0
		.amdhsa_user_sgpr_private_segment_size 0
		.amdhsa_uses_dynamic_stack 0
		.amdhsa_enable_private_segment 0
		.amdhsa_system_sgpr_workgroup_id_x 1
		.amdhsa_system_sgpr_workgroup_id_y 0
		.amdhsa_system_sgpr_workgroup_id_z 0
		.amdhsa_system_sgpr_workgroup_info 0
		.amdhsa_system_vgpr_workitem_id 0
		.amdhsa_next_free_vgpr 1
		.amdhsa_next_free_sgpr 0
		.amdhsa_accum_offset 4
		.amdhsa_reserve_vcc 0
		.amdhsa_float_round_mode_32 0
		.amdhsa_float_round_mode_16_64 0
		.amdhsa_float_denorm_mode_32 3
		.amdhsa_float_denorm_mode_16_64 3
		.amdhsa_dx10_clamp 1
		.amdhsa_ieee_mode 1
		.amdhsa_fp16_overflow 0
		.amdhsa_tg_split 0
		.amdhsa_exception_fp_ieee_invalid_op 0
		.amdhsa_exception_fp_denorm_src 0
		.amdhsa_exception_fp_ieee_div_zero 0
		.amdhsa_exception_fp_ieee_overflow 0
		.amdhsa_exception_fp_ieee_underflow 0
		.amdhsa_exception_fp_ieee_inexact 0
		.amdhsa_exception_int_div_zero 0
	.end_amdhsa_kernel
	.section	.text._ZN7rocprim17ROCPRIM_400000_NS6detail17trampoline_kernelINS0_14default_configENS1_25partition_config_selectorILNS1_17partition_subalgoE8ElNS0_10empty_typeEbEEZZNS1_14partition_implILS5_8ELb0ES3_jPKlPS6_PKS6_NS0_5tupleIJPlS6_EEENSE_IJSB_SB_EEENS0_18inequality_wrapperIN6hipcub16HIPCUB_304000_NS8EqualityEEESF_JS6_EEE10hipError_tPvRmT3_T4_T5_T6_T7_T9_mT8_P12ihipStream_tbDpT10_ENKUlT_T0_E_clISt17integral_constantIbLb0EES16_EEDaS11_S12_EUlS11_E_NS1_11comp_targetILNS1_3genE0ELNS1_11target_archE4294967295ELNS1_3gpuE0ELNS1_3repE0EEENS1_30default_config_static_selectorELNS0_4arch9wavefront6targetE1EEEvT1_,"axG",@progbits,_ZN7rocprim17ROCPRIM_400000_NS6detail17trampoline_kernelINS0_14default_configENS1_25partition_config_selectorILNS1_17partition_subalgoE8ElNS0_10empty_typeEbEEZZNS1_14partition_implILS5_8ELb0ES3_jPKlPS6_PKS6_NS0_5tupleIJPlS6_EEENSE_IJSB_SB_EEENS0_18inequality_wrapperIN6hipcub16HIPCUB_304000_NS8EqualityEEESF_JS6_EEE10hipError_tPvRmT3_T4_T5_T6_T7_T9_mT8_P12ihipStream_tbDpT10_ENKUlT_T0_E_clISt17integral_constantIbLb0EES16_EEDaS11_S12_EUlS11_E_NS1_11comp_targetILNS1_3genE0ELNS1_11target_archE4294967295ELNS1_3gpuE0ELNS1_3repE0EEENS1_30default_config_static_selectorELNS0_4arch9wavefront6targetE1EEEvT1_,comdat
.Lfunc_end479:
	.size	_ZN7rocprim17ROCPRIM_400000_NS6detail17trampoline_kernelINS0_14default_configENS1_25partition_config_selectorILNS1_17partition_subalgoE8ElNS0_10empty_typeEbEEZZNS1_14partition_implILS5_8ELb0ES3_jPKlPS6_PKS6_NS0_5tupleIJPlS6_EEENSE_IJSB_SB_EEENS0_18inequality_wrapperIN6hipcub16HIPCUB_304000_NS8EqualityEEESF_JS6_EEE10hipError_tPvRmT3_T4_T5_T6_T7_T9_mT8_P12ihipStream_tbDpT10_ENKUlT_T0_E_clISt17integral_constantIbLb0EES16_EEDaS11_S12_EUlS11_E_NS1_11comp_targetILNS1_3genE0ELNS1_11target_archE4294967295ELNS1_3gpuE0ELNS1_3repE0EEENS1_30default_config_static_selectorELNS0_4arch9wavefront6targetE1EEEvT1_, .Lfunc_end479-_ZN7rocprim17ROCPRIM_400000_NS6detail17trampoline_kernelINS0_14default_configENS1_25partition_config_selectorILNS1_17partition_subalgoE8ElNS0_10empty_typeEbEEZZNS1_14partition_implILS5_8ELb0ES3_jPKlPS6_PKS6_NS0_5tupleIJPlS6_EEENSE_IJSB_SB_EEENS0_18inequality_wrapperIN6hipcub16HIPCUB_304000_NS8EqualityEEESF_JS6_EEE10hipError_tPvRmT3_T4_T5_T6_T7_T9_mT8_P12ihipStream_tbDpT10_ENKUlT_T0_E_clISt17integral_constantIbLb0EES16_EEDaS11_S12_EUlS11_E_NS1_11comp_targetILNS1_3genE0ELNS1_11target_archE4294967295ELNS1_3gpuE0ELNS1_3repE0EEENS1_30default_config_static_selectorELNS0_4arch9wavefront6targetE1EEEvT1_
                                        ; -- End function
	.section	.AMDGPU.csdata,"",@progbits
; Kernel info:
; codeLenInByte = 0
; NumSgprs: 6
; NumVgprs: 0
; NumAgprs: 0
; TotalNumVgprs: 0
; ScratchSize: 0
; MemoryBound: 0
; FloatMode: 240
; IeeeMode: 1
; LDSByteSize: 0 bytes/workgroup (compile time only)
; SGPRBlocks: 0
; VGPRBlocks: 0
; NumSGPRsForWavesPerEU: 6
; NumVGPRsForWavesPerEU: 1
; AccumOffset: 4
; Occupancy: 8
; WaveLimiterHint : 0
; COMPUTE_PGM_RSRC2:SCRATCH_EN: 0
; COMPUTE_PGM_RSRC2:USER_SGPR: 2
; COMPUTE_PGM_RSRC2:TRAP_HANDLER: 0
; COMPUTE_PGM_RSRC2:TGID_X_EN: 1
; COMPUTE_PGM_RSRC2:TGID_Y_EN: 0
; COMPUTE_PGM_RSRC2:TGID_Z_EN: 0
; COMPUTE_PGM_RSRC2:TIDIG_COMP_CNT: 0
; COMPUTE_PGM_RSRC3_GFX90A:ACCUM_OFFSET: 0
; COMPUTE_PGM_RSRC3_GFX90A:TG_SPLIT: 0
	.section	.text._ZN7rocprim17ROCPRIM_400000_NS6detail17trampoline_kernelINS0_14default_configENS1_25partition_config_selectorILNS1_17partition_subalgoE8ElNS0_10empty_typeEbEEZZNS1_14partition_implILS5_8ELb0ES3_jPKlPS6_PKS6_NS0_5tupleIJPlS6_EEENSE_IJSB_SB_EEENS0_18inequality_wrapperIN6hipcub16HIPCUB_304000_NS8EqualityEEESF_JS6_EEE10hipError_tPvRmT3_T4_T5_T6_T7_T9_mT8_P12ihipStream_tbDpT10_ENKUlT_T0_E_clISt17integral_constantIbLb0EES16_EEDaS11_S12_EUlS11_E_NS1_11comp_targetILNS1_3genE5ELNS1_11target_archE942ELNS1_3gpuE9ELNS1_3repE0EEENS1_30default_config_static_selectorELNS0_4arch9wavefront6targetE1EEEvT1_,"axG",@progbits,_ZN7rocprim17ROCPRIM_400000_NS6detail17trampoline_kernelINS0_14default_configENS1_25partition_config_selectorILNS1_17partition_subalgoE8ElNS0_10empty_typeEbEEZZNS1_14partition_implILS5_8ELb0ES3_jPKlPS6_PKS6_NS0_5tupleIJPlS6_EEENSE_IJSB_SB_EEENS0_18inequality_wrapperIN6hipcub16HIPCUB_304000_NS8EqualityEEESF_JS6_EEE10hipError_tPvRmT3_T4_T5_T6_T7_T9_mT8_P12ihipStream_tbDpT10_ENKUlT_T0_E_clISt17integral_constantIbLb0EES16_EEDaS11_S12_EUlS11_E_NS1_11comp_targetILNS1_3genE5ELNS1_11target_archE942ELNS1_3gpuE9ELNS1_3repE0EEENS1_30default_config_static_selectorELNS0_4arch9wavefront6targetE1EEEvT1_,comdat
	.protected	_ZN7rocprim17ROCPRIM_400000_NS6detail17trampoline_kernelINS0_14default_configENS1_25partition_config_selectorILNS1_17partition_subalgoE8ElNS0_10empty_typeEbEEZZNS1_14partition_implILS5_8ELb0ES3_jPKlPS6_PKS6_NS0_5tupleIJPlS6_EEENSE_IJSB_SB_EEENS0_18inequality_wrapperIN6hipcub16HIPCUB_304000_NS8EqualityEEESF_JS6_EEE10hipError_tPvRmT3_T4_T5_T6_T7_T9_mT8_P12ihipStream_tbDpT10_ENKUlT_T0_E_clISt17integral_constantIbLb0EES16_EEDaS11_S12_EUlS11_E_NS1_11comp_targetILNS1_3genE5ELNS1_11target_archE942ELNS1_3gpuE9ELNS1_3repE0EEENS1_30default_config_static_selectorELNS0_4arch9wavefront6targetE1EEEvT1_ ; -- Begin function _ZN7rocprim17ROCPRIM_400000_NS6detail17trampoline_kernelINS0_14default_configENS1_25partition_config_selectorILNS1_17partition_subalgoE8ElNS0_10empty_typeEbEEZZNS1_14partition_implILS5_8ELb0ES3_jPKlPS6_PKS6_NS0_5tupleIJPlS6_EEENSE_IJSB_SB_EEENS0_18inequality_wrapperIN6hipcub16HIPCUB_304000_NS8EqualityEEESF_JS6_EEE10hipError_tPvRmT3_T4_T5_T6_T7_T9_mT8_P12ihipStream_tbDpT10_ENKUlT_T0_E_clISt17integral_constantIbLb0EES16_EEDaS11_S12_EUlS11_E_NS1_11comp_targetILNS1_3genE5ELNS1_11target_archE942ELNS1_3gpuE9ELNS1_3repE0EEENS1_30default_config_static_selectorELNS0_4arch9wavefront6targetE1EEEvT1_
	.globl	_ZN7rocprim17ROCPRIM_400000_NS6detail17trampoline_kernelINS0_14default_configENS1_25partition_config_selectorILNS1_17partition_subalgoE8ElNS0_10empty_typeEbEEZZNS1_14partition_implILS5_8ELb0ES3_jPKlPS6_PKS6_NS0_5tupleIJPlS6_EEENSE_IJSB_SB_EEENS0_18inequality_wrapperIN6hipcub16HIPCUB_304000_NS8EqualityEEESF_JS6_EEE10hipError_tPvRmT3_T4_T5_T6_T7_T9_mT8_P12ihipStream_tbDpT10_ENKUlT_T0_E_clISt17integral_constantIbLb0EES16_EEDaS11_S12_EUlS11_E_NS1_11comp_targetILNS1_3genE5ELNS1_11target_archE942ELNS1_3gpuE9ELNS1_3repE0EEENS1_30default_config_static_selectorELNS0_4arch9wavefront6targetE1EEEvT1_
	.p2align	8
	.type	_ZN7rocprim17ROCPRIM_400000_NS6detail17trampoline_kernelINS0_14default_configENS1_25partition_config_selectorILNS1_17partition_subalgoE8ElNS0_10empty_typeEbEEZZNS1_14partition_implILS5_8ELb0ES3_jPKlPS6_PKS6_NS0_5tupleIJPlS6_EEENSE_IJSB_SB_EEENS0_18inequality_wrapperIN6hipcub16HIPCUB_304000_NS8EqualityEEESF_JS6_EEE10hipError_tPvRmT3_T4_T5_T6_T7_T9_mT8_P12ihipStream_tbDpT10_ENKUlT_T0_E_clISt17integral_constantIbLb0EES16_EEDaS11_S12_EUlS11_E_NS1_11comp_targetILNS1_3genE5ELNS1_11target_archE942ELNS1_3gpuE9ELNS1_3repE0EEENS1_30default_config_static_selectorELNS0_4arch9wavefront6targetE1EEEvT1_,@function
_ZN7rocprim17ROCPRIM_400000_NS6detail17trampoline_kernelINS0_14default_configENS1_25partition_config_selectorILNS1_17partition_subalgoE8ElNS0_10empty_typeEbEEZZNS1_14partition_implILS5_8ELb0ES3_jPKlPS6_PKS6_NS0_5tupleIJPlS6_EEENSE_IJSB_SB_EEENS0_18inequality_wrapperIN6hipcub16HIPCUB_304000_NS8EqualityEEESF_JS6_EEE10hipError_tPvRmT3_T4_T5_T6_T7_T9_mT8_P12ihipStream_tbDpT10_ENKUlT_T0_E_clISt17integral_constantIbLb0EES16_EEDaS11_S12_EUlS11_E_NS1_11comp_targetILNS1_3genE5ELNS1_11target_archE942ELNS1_3gpuE9ELNS1_3repE0EEENS1_30default_config_static_selectorELNS0_4arch9wavefront6targetE1EEEvT1_: ; @_ZN7rocprim17ROCPRIM_400000_NS6detail17trampoline_kernelINS0_14default_configENS1_25partition_config_selectorILNS1_17partition_subalgoE8ElNS0_10empty_typeEbEEZZNS1_14partition_implILS5_8ELb0ES3_jPKlPS6_PKS6_NS0_5tupleIJPlS6_EEENSE_IJSB_SB_EEENS0_18inequality_wrapperIN6hipcub16HIPCUB_304000_NS8EqualityEEESF_JS6_EEE10hipError_tPvRmT3_T4_T5_T6_T7_T9_mT8_P12ihipStream_tbDpT10_ENKUlT_T0_E_clISt17integral_constantIbLb0EES16_EEDaS11_S12_EUlS11_E_NS1_11comp_targetILNS1_3genE5ELNS1_11target_archE942ELNS1_3gpuE9ELNS1_3repE0EEENS1_30default_config_static_selectorELNS0_4arch9wavefront6targetE1EEEvT1_
; %bb.0:
	s_load_dwordx2 s[8:9], s[0:1], 0x50
	s_load_dwordx4 s[4:7], s[0:1], 0x8
	s_load_dwordx4 s[20:23], s[0:1], 0x40
	s_load_dword s3, s[0:1], 0x68
	s_waitcnt lgkmcnt(0)
	v_mov_b32_e32 v3, s9
	s_lshl_b64 s[10:11], s[6:7], 3
	s_add_u32 s10, s4, s10
	s_mul_i32 s9, s3, 0xe00
	s_addc_u32 s11, s5, s11
	s_add_i32 s12, s3, -1
	s_add_i32 s3, s9, s6
	s_sub_i32 s3, s8, s3
	v_mov_b32_e32 v2, s8
	s_add_u32 s8, s6, s9
	s_addc_u32 s9, s7, 0
	s_cmp_eq_u32 s2, s12
	s_load_dwordx2 s[22:23], s[22:23], 0x0
	v_cmp_ge_u64_e32 vcc, s[8:9], v[2:3]
	s_cselect_b64 s[24:25], -1, 0
	s_mul_i32 s4, s2, 0xe00
	s_mov_b32 s5, 0
	s_and_b64 s[16:17], s[24:25], vcc
	s_xor_b64 s[26:27], s[16:17], -1
	s_lshl_b64 s[4:5], s[4:5], 3
	s_add_u32 s4, s10, s4
	s_mov_b64 s[8:9], -1
	s_addc_u32 s5, s11, s5
	s_and_b64 vcc, exec, s[26:27]
	s_cbranch_vccz .LBB480_2
; %bb.1:
	v_lshlrev_b32_e32 v2, 3, v0
	v_mov_b32_e32 v3, 0
	v_lshl_add_u64 v[4:5], s[4:5], 0, v[2:3]
	v_add_co_u32_e32 v8, vcc, 0x1000, v4
	global_load_dwordx2 v[6:7], v2, s[4:5]
	s_nop 0
	v_addc_co_u32_e32 v9, vcc, 0, v5, vcc
	v_add_co_u32_e32 v10, vcc, 0x2000, v4
	s_mov_b64 s[8:9], 0
	s_nop 0
	v_addc_co_u32_e32 v11, vcc, 0, v5, vcc
	v_add_co_u32_e32 v12, vcc, 0x3000, v4
	s_nop 1
	v_addc_co_u32_e32 v13, vcc, 0, v5, vcc
	v_add_co_u32_e32 v14, vcc, 0x4000, v4
	s_nop 1
	v_addc_co_u32_e32 v15, vcc, 0, v5, vcc
	global_load_dwordx2 v[16:17], v[8:9], off
	global_load_dwordx2 v[18:19], v[10:11], off
	;; [unrolled: 1-line block ×4, first 2 shown]
	v_add_co_u32_e32 v8, vcc, 0x5000, v4
	s_nop 1
	v_addc_co_u32_e32 v9, vcc, 0, v5, vcc
	v_add_co_u32_e32 v4, vcc, 0x6000, v4
	global_load_dwordx2 v[8:9], v[8:9], off
	s_nop 0
	v_addc_co_u32_e32 v5, vcc, 0, v5, vcc
	global_load_dwordx2 v[4:5], v[4:5], off
	s_waitcnt vmcnt(5)
	ds_write2st64_b64 v2, v[6:7], v[16:17] offset1:8
	s_waitcnt vmcnt(3)
	ds_write2st64_b64 v2, v[18:19], v[20:21] offset0:16 offset1:24
	s_waitcnt vmcnt(1)
	ds_write2st64_b64 v2, v[22:23], v[8:9] offset0:32 offset1:40
	s_waitcnt vmcnt(0)
	ds_write_b64 v2, v[4:5] offset:24576
	s_waitcnt lgkmcnt(0)
	s_barrier
.LBB480_2:
	s_andn2_b64 vcc, exec, s[8:9]
	s_addk_i32 s3, 0xe00
	s_cbranch_vccnz .LBB480_18
; %bb.3:
	v_cmp_gt_u32_e32 vcc, s3, v0
                                        ; implicit-def: $vgpr2_vgpr3_vgpr4_vgpr5_vgpr6_vgpr7_vgpr8_vgpr9_vgpr10_vgpr11_vgpr12_vgpr13_vgpr14_vgpr15_vgpr16_vgpr17
	s_and_saveexec_b64 s[8:9], vcc
	s_cbranch_execz .LBB480_5
; %bb.4:
	v_lshlrev_b32_e32 v1, 3, v0
	global_load_dwordx2 v[2:3], v1, s[4:5]
.LBB480_5:
	s_or_b64 exec, exec, s[8:9]
	v_or_b32_e32 v1, 0x200, v0
	v_cmp_gt_u32_e32 vcc, s3, v1
	s_and_saveexec_b64 s[8:9], vcc
	s_cbranch_execz .LBB480_7
; %bb.6:
	v_lshlrev_b32_e32 v1, 3, v1
	global_load_dwordx2 v[4:5], v1, s[4:5]
.LBB480_7:
	s_or_b64 exec, exec, s[8:9]
	v_or_b32_e32 v1, 0x400, v0
	v_cmp_gt_u32_e32 vcc, s3, v1
	;; [unrolled: 9-line block ×6, first 2 shown]
	s_and_saveexec_b64 s[8:9], vcc
	s_cbranch_execz .LBB480_17
; %bb.16:
	v_lshlrev_b32_e32 v1, 3, v1
	global_load_dwordx2 v[14:15], v1, s[4:5]
.LBB480_17:
	s_or_b64 exec, exec, s[8:9]
	v_lshlrev_b32_e32 v1, 3, v0
	s_waitcnt vmcnt(0)
	ds_write2st64_b64 v1, v[2:3], v[4:5] offset1:8
	ds_write2st64_b64 v1, v[6:7], v[8:9] offset0:16 offset1:24
	ds_write2st64_b64 v1, v[10:11], v[12:13] offset0:32 offset1:40
	ds_write_b64 v1, v[14:15] offset:24576
	s_waitcnt lgkmcnt(0)
	s_barrier
.LBB480_18:
	v_mul_u32_u24_e32 v18, 7, v0
	v_lshlrev_b32_e32 v1, 3, v18
	s_waitcnt lgkmcnt(0)
	ds_read2_b64 v[10:13], v1 offset1:1
	ds_read2_b64 v[6:9], v1 offset0:2 offset1:3
	ds_read2_b64 v[2:5], v1 offset0:4 offset1:5
	ds_read_b64 v[14:15], v1 offset:48
	s_cmp_lg_u32 s2, 0
	s_cselect_b64 s[30:31], -1, 0
	s_cmp_lg_u64 s[6:7], 0
	s_cselect_b64 s[6:7], -1, 0
	s_or_b64 s[6:7], s[30:31], s[6:7]
	v_mad_u32_u24 v20, v0, 7, 1
	v_mad_u32_u24 v19, v0, 7, 2
	;; [unrolled: 1-line block ×6, first 2 shown]
	s_mov_b64 s[18:19], 0
	s_and_b64 vcc, exec, s[6:7]
	s_waitcnt lgkmcnt(0)
	s_barrier
	s_cbranch_vccz .LBB480_23
; %bb.19:
	s_add_u32 s4, s4, -8
	s_addc_u32 s5, s5, -1
	s_load_dwordx2 s[6:7], s[4:5], 0x0
	v_lshlrev_b32_e32 v29, 3, v0
	s_and_b64 vcc, exec, s[26:27]
	ds_write_b64 v29, v[14:15]
	s_cbranch_vccz .LBB480_25
; %bb.20:
	v_cmp_ne_u32_e32 vcc, 0, v0
	s_waitcnt lgkmcnt(0)
	v_mov_b64_e32 v[16:17], s[6:7]
	s_barrier
	s_and_saveexec_b64 s[4:5], vcc
	s_cbranch_execz .LBB480_22
; %bb.21:
	v_add_u32_e32 v16, -8, v29
	ds_read_b64 v[16:17], v16
.LBB480_22:
	s_or_b64 exec, exec, s[4:5]
	v_cmp_ne_u64_e32 vcc, v[4:5], v[14:15]
	s_waitcnt lgkmcnt(0)
	v_cmp_ne_u64_e64 s[4:5], v[16:17], v[10:11]
	v_cndmask_b32_e64 v27, 0, 1, vcc
	v_cmp_ne_u64_e32 vcc, v[2:3], v[4:5]
	s_nop 1
	v_cndmask_b32_e64 v25, 0, 1, vcc
	v_cmp_ne_u64_e32 vcc, v[8:9], v[2:3]
	s_nop 1
	;; [unrolled: 3-line block ×3, first 2 shown]
	v_cndmask_b32_e64 v28, 0, 1, vcc
	v_cmp_ne_u64_e32 vcc, v[12:13], v[6:7]
	v_lshlrev_b16_e32 v16, 8, v28
	s_nop 0
	v_cndmask_b32_e64 v30, 0, 1, vcc
	v_cmp_ne_u64_e32 vcc, v[10:11], v[12:13]
	v_or_b32_sdwa v16, v30, v16 dst_sel:WORD_1 dst_unused:UNUSED_PAD src0_sel:DWORD src1_sel:DWORD
	s_nop 0
	v_cndmask_b32_e64 v31, 0, 1, vcc
	v_lshlrev_b16_e32 v17, 8, v31
	v_or_b32_e32 v28, v17, v16
	s_branch .LBB480_29
.LBB480_23:
                                        ; implicit-def: $sgpr4_sgpr5
                                        ; implicit-def: $vgpr27
                                        ; implicit-def: $vgpr25
                                        ; implicit-def: $vgpr26
                                        ; implicit-def: $vgpr28
	s_branch .LBB480_30
.LBB480_24:
                                        ; implicit-def: $vgpr16_vgpr17
	s_and_saveexec_b64 s[6:7], s[18:19]
	s_cbranch_execnz .LBB480_38
	s_branch .LBB480_39
.LBB480_25:
                                        ; implicit-def: $sgpr4_sgpr5
                                        ; implicit-def: $vgpr27
                                        ; implicit-def: $vgpr25
                                        ; implicit-def: $vgpr26
                                        ; implicit-def: $vgpr28
	s_cbranch_execz .LBB480_29
; %bb.26:
	v_cmp_ne_u32_e32 vcc, 0, v0
	s_waitcnt lgkmcnt(0)
	v_mov_b64_e32 v[16:17], s[6:7]
	s_barrier
	s_and_saveexec_b64 s[4:5], vcc
	s_cbranch_execz .LBB480_28
; %bb.27:
	v_add_u32_e32 v16, -8, v29
	ds_read_b64 v[16:17], v16
.LBB480_28:
	s_or_b64 exec, exec, s[4:5]
	v_cmp_gt_u32_e32 vcc, s3, v22
	v_cmp_ne_u64_e64 s[4:5], v[4:5], v[14:15]
	s_and_b64 s[4:5], vcc, s[4:5]
	v_cmp_gt_u32_e32 vcc, s3, v24
	v_cndmask_b32_e64 v27, 0, 1, s[4:5]
	v_cmp_ne_u64_e64 s[4:5], v[2:3], v[4:5]
	s_and_b64 s[4:5], vcc, s[4:5]
	v_cmp_gt_u32_e32 vcc, s3, v21
	v_cndmask_b32_e64 v25, 0, 1, s[4:5]
	v_cmp_ne_u64_e64 s[4:5], v[8:9], v[2:3]
	s_and_b64 s[4:5], vcc, s[4:5]
	v_cmp_gt_u32_e32 vcc, s3, v23
	v_cndmask_b32_e64 v26, 0, 1, s[4:5]
	v_cmp_ne_u64_e64 s[4:5], v[6:7], v[8:9]
	s_and_b64 s[4:5], vcc, s[4:5]
	v_cmp_gt_u32_e32 vcc, s3, v19
	v_cndmask_b32_e64 v28, 0, 1, s[4:5]
	v_cmp_ne_u64_e64 s[4:5], v[12:13], v[6:7]
	s_and_b64 s[4:5], vcc, s[4:5]
	v_cmp_gt_u32_e32 vcc, s3, v20
	v_cndmask_b32_e64 v29, 0, 1, s[4:5]
	v_cmp_ne_u64_e64 s[4:5], v[10:11], v[12:13]
	s_and_b64 s[4:5], vcc, s[4:5]
	v_cmp_gt_u32_e32 vcc, s3, v18
	v_cndmask_b32_e64 v30, 0, 1, s[4:5]
	s_waitcnt lgkmcnt(0)
	v_cmp_ne_u64_e64 s[4:5], v[16:17], v[10:11]
	v_lshlrev_b16_e32 v16, 8, v28
	v_or_b32_sdwa v16, v29, v16 dst_sel:WORD_1 dst_unused:UNUSED_PAD src0_sel:DWORD src1_sel:DWORD
	v_lshlrev_b16_e32 v17, 8, v30
	s_and_b64 s[4:5], vcc, s[4:5]
	v_or_b32_e32 v28, v17, v16
.LBB480_29:
	s_waitcnt lgkmcnt(0)
	s_mov_b64 s[18:19], -1
	s_cbranch_execnz .LBB480_24
.LBB480_30:
	s_movk_i32 s4, 0xffd0
	v_mad_i32_i24 v29, v0, s4, v1
	s_and_b64 vcc, exec, s[26:27]
	v_cmp_ne_u64_e64 s[14:15], v[4:5], v[14:15]
	v_cmp_ne_u64_e64 s[4:5], v[2:3], v[4:5]
	;; [unrolled: 1-line block ×6, first 2 shown]
	ds_write_b64 v29, v[14:15]
	s_cbranch_vccz .LBB480_34
; %bb.31:
	v_cndmask_b32_e64 v25, 0, 1, s[4:5]
	v_cndmask_b32_e64 v16, 0, 1, s[8:9]
	;; [unrolled: 1-line block ×5, first 2 shown]
	v_lshlrev_b16_e32 v17, 8, v25
	v_lshlrev_b16_e32 v16, 8, v16
	v_or_b32_e32 v17, v26, v17
	v_or_b32_sdwa v16, v28, v16 dst_sel:WORD_1 dst_unused:UNUSED_PAD src0_sel:DWORD src1_sel:DWORD
	v_lshlrev_b16_e32 v28, 8, v30
	v_and_b32_e32 v17, 0xffff, v17
	v_cndmask_b32_e64 v27, 0, 1, s[14:15]
	v_or_b32_e32 v28, 1, v28
	v_lshl_or_b32 v17, v27, 16, v17
	v_or_b32_sdwa v16, v28, v16 dst_sel:DWORD dst_unused:UNUSED_PAD src0_sel:WORD_0 src1_sel:DWORD
	v_cmp_ne_u32_e32 vcc, 0, v0
	s_waitcnt lgkmcnt(0)
	s_barrier
	s_waitcnt lgkmcnt(0)
                                        ; implicit-def: $sgpr4_sgpr5
                                        ; implicit-def: $vgpr28
	s_and_saveexec_b64 s[6:7], vcc
	s_xor_b64 s[6:7], exec, s[6:7]
	s_cbranch_execz .LBB480_33
; %bb.32:
	v_add_u32_e32 v17, -8, v29
	ds_read_b64 v[30:31], v17
	s_mov_b32 s4, 0x3020104
	v_perm_b32 v28, v16, v16, s4
	s_or_b64 s[18:19], s[18:19], exec
                                        ; implicit-def: $vgpr16_vgpr17
	s_waitcnt lgkmcnt(0)
	v_cmp_ne_u64_e32 vcc, v[30:31], v[10:11]
	s_and_b64 s[4:5], vcc, exec
.LBB480_33:
	s_or_b64 exec, exec, s[6:7]
	s_branch .LBB480_37
.LBB480_34:
                                        ; implicit-def: $sgpr4_sgpr5
                                        ; implicit-def: $vgpr27
                                        ; implicit-def: $vgpr25
                                        ; implicit-def: $vgpr26
                                        ; implicit-def: $vgpr28
                                        ; implicit-def: $vgpr16_vgpr17
	s_cbranch_execz .LBB480_37
; %bb.35:
	v_cmp_gt_u32_e64 s[6:7], s3, v24
	v_cmp_ne_u64_e64 s[8:9], v[2:3], v[4:5]
	s_and_b64 s[6:7], s[6:7], s[8:9]
	v_cndmask_b32_e64 v25, 0, 1, s[6:7]
	v_cmp_gt_u32_e64 s[6:7], s3, v21
	v_cmp_ne_u64_e64 s[8:9], v[8:9], v[2:3]
	s_and_b64 s[6:7], s[6:7], s[8:9]
	v_cndmask_b32_e64 v26, 0, 1, s[6:7]
	;; [unrolled: 4-line block ×4, first 2 shown]
	v_cmp_gt_u32_e64 s[6:7], s3, v20
	v_cmp_ne_u64_e64 s[8:9], v[10:11], v[12:13]
	s_and_b64 s[6:7], s[6:7], s[8:9]
	v_cmp_gt_u32_e32 vcc, s3, v22
	v_cmp_ne_u64_e64 s[4:5], v[4:5], v[14:15]
	v_cndmask_b32_e64 v30, 0, 1, s[6:7]
	v_lshlrev_b16_e32 v17, 8, v25
	v_lshlrev_b16_e32 v16, 8, v16
	v_or_b32_e32 v17, v26, v17
	s_and_b64 s[4:5], vcc, s[4:5]
	v_or_b32_sdwa v16, v28, v16 dst_sel:WORD_1 dst_unused:UNUSED_PAD src0_sel:DWORD src1_sel:DWORD
	v_lshlrev_b16_e32 v28, 8, v30
	v_and_b32_e32 v17, 0xffff, v17
	v_cndmask_b32_e64 v27, 0, 1, s[4:5]
	v_or_b32_e32 v28, 1, v28
	v_lshl_or_b32 v17, v27, 16, v17
	v_or_b32_sdwa v16, v28, v16 dst_sel:DWORD dst_unused:UNUSED_PAD src0_sel:WORD_0 src1_sel:DWORD
	v_cmp_ne_u32_e32 vcc, 0, v0
	s_waitcnt lgkmcnt(0)
	s_barrier
	s_waitcnt lgkmcnt(0)
                                        ; implicit-def: $sgpr4_sgpr5
                                        ; implicit-def: $vgpr28
	s_and_saveexec_b64 s[6:7], vcc
	s_cbranch_execz .LBB480_123
; %bb.36:
	v_add_u32_e32 v17, -8, v29
	ds_read_b64 v[30:31], v17
	s_mov_b32 s4, 0x3020104
	v_cmp_gt_u32_e32 vcc, s3, v18
	v_perm_b32 v28, v16, v16, s4
	s_or_b64 s[18:19], s[18:19], exec
	s_waitcnt lgkmcnt(0)
	v_cmp_ne_u64_e64 s[4:5], v[30:31], v[10:11]
	s_and_b64 s[4:5], vcc, s[4:5]
	s_and_b64 s[4:5], s[4:5], exec
                                        ; implicit-def: $vgpr16_vgpr17
	s_or_b64 exec, exec, s[6:7]
.LBB480_37:
	s_and_saveexec_b64 s[6:7], s[18:19]
	s_cbranch_execz .LBB480_39
.LBB480_38:
	v_lshlrev_b16_e32 v17, 8, v25
	v_and_b32_e32 v25, 0xff, v27
	v_or_b32_sdwa v17, v26, v17 dst_sel:DWORD dst_unused:UNUSED_PAD src0_sel:BYTE_0 src1_sel:DWORD
	v_lshlrev_b32_e32 v25, 16, v25
	v_cndmask_b32_e64 v16, 0, 1, s[4:5]
	s_movk_i32 s4, 0xff
	v_or_b32_sdwa v17, v17, v25 dst_sel:DWORD dst_unused:UNUSED_PAD src0_sel:WORD_0 src1_sel:DWORD
	v_lshrrev_b32_e32 v25, 24, v28
	v_lshlrev_b16_e32 v25, 8, v25
	v_and_b32_sdwa v26, v28, s4 dst_sel:DWORD dst_unused:UNUSED_PAD src0_sel:WORD_1 src1_sel:DWORD
	v_or_b32_sdwa v25, v26, v25 dst_sel:WORD_1 dst_unused:UNUSED_PAD src0_sel:DWORD src1_sel:DWORD
	v_mov_b32_e32 v26, 8
	v_lshrrev_b32_sdwa v26, v26, v28 dst_sel:BYTE_1 dst_unused:UNUSED_PAD src0_sel:DWORD src1_sel:DWORD
	s_nop 0
	v_or_b32_e32 v16, v16, v26
	v_or_b32_sdwa v16, v16, v25 dst_sel:DWORD dst_unused:UNUSED_PAD src0_sel:WORD_0 src1_sel:DWORD
.LBB480_39:
	s_or_b64 exec, exec, s[6:7]
	s_load_dwordx2 s[28:29], s[0:1], 0x60
	s_andn2_b64 vcc, exec, s[16:17]
	s_cbranch_vccnz .LBB480_41
; %bb.40:
	v_and_b32_e32 v25, 0xffff0000, v16
	v_cmp_gt_u32_e32 vcc, s3, v18
	s_mov_b32 s4, 0x40c0100
	s_nop 0
	v_cndmask_b32_e32 v18, v25, v16, vcc
	v_and_b32_e32 v18, 0xffff00ff, v18
	v_cmp_gt_u32_e32 vcc, s3, v20
	s_nop 1
	v_cndmask_b32_e32 v18, v18, v16, vcc
	v_lshrrev_b32_e32 v20, 24, v18
	v_perm_b32 v18, v20, v18, s4
	v_cmp_gt_u32_e32 vcc, s3, v19
	v_and_b32_e32 v19, 0xffffff00, v17
	s_nop 0
	v_cndmask_b32_e32 v18, v18, v16, vcc
	v_and_b32_e32 v18, 0xffffff, v18
	v_cmp_gt_u32_e32 vcc, s3, v23
	s_nop 1
	v_cndmask_b32_e32 v18, v18, v16, vcc
	v_cmp_gt_u32_e32 vcc, s3, v21
	s_nop 1
	v_cndmask_b32_e32 v19, v19, v17, vcc
	v_and_b32_e32 v19, 0xffff00ff, v19
	v_cndmask_b32_e32 v18, v18, v16, vcc
	v_cmp_gt_u32_e32 vcc, s3, v24
	s_nop 1
	v_cndmask_b32_e32 v19, v19, v17, vcc
	v_lshrrev_b32_e32 v20, 24, v19
	v_cndmask_b32_e32 v18, v18, v16, vcc
	v_perm_b32 v19, v20, v19, s4
	v_cmp_gt_u32_e32 vcc, s3, v22
	s_mov_b32 s3, 0x3020104
	s_nop 0
	v_cndmask_b32_e32 v16, v18, v16, vcc
	v_cndmask_b32_e32 v17, v19, v17, vcc
	v_mov_b32_e32 v18, 8
	v_lshrrev_b32_sdwa v18, v18, v17 dst_sel:BYTE_1 dst_unused:UNUSED_PAD src0_sel:DWORD src1_sel:DWORD
	v_perm_b32 v16, v16, v16, s3
	v_or_b32_sdwa v18, v17, v18 dst_sel:DWORD dst_unused:UNUSED_PAD src0_sel:BYTE_0 src1_sel:DWORD
	v_and_b32_e32 v18, 0xffff, v18
	v_bfe_u32 v17, v17, 16, 8
	v_lshl_or_b32 v17, v17, 16, v18
.LBB480_41:
	v_and_b32_e32 v29, 0xff, v16
	v_bfe_u32 v31, v16, 8, 8
	v_bfe_u32 v33, v16, 16, 8
	v_alignbit_b32 v18, v17, v16, 24
	v_and_b32_e32 v35, 0xff, v18
	v_and_b32_e32 v36, 0xff, v17
	v_add3_u32 v19, v31, v29, v33
	v_bfe_u32 v37, v17, 8, 8
	v_bfe_u32 v18, v17, 16, 8
	v_add3_u32 v19, v19, v35, v36
	v_add3_u32 v40, v19, v37, v18
	v_mbcnt_lo_u32_b32 v18, -1, 0
	v_mbcnt_hi_u32_b32 v38, -1, v18
	v_and_b32_e32 v18, 15, v38
	v_cmp_eq_u32_e64 s[14:15], 0, v18
	v_cmp_lt_u32_e64 s[12:13], 1, v18
	v_cmp_lt_u32_e64 s[10:11], 3, v18
	;; [unrolled: 1-line block ×3, first 2 shown]
	v_and_b32_e32 v18, 16, v38
	v_cmp_eq_u32_e64 s[6:7], 0, v18
	v_or_b32_e32 v18, 63, v0
	v_cmp_lt_u32_e64 s[18:19], 31, v38
	v_lshrrev_b32_e32 v39, 6, v0
	v_cmp_eq_u32_e64 s[4:5], v18, v0
	s_and_b64 vcc, exec, s[30:31]
	s_waitcnt lgkmcnt(0)
	s_barrier
	s_cbranch_vccz .LBB480_68
; %bb.42:
	v_mov_b32_dpp v18, v40 row_shr:1 row_mask:0xf bank_mask:0xf
	v_cndmask_b32_e64 v18, v18, 0, s[14:15]
	v_add_u32_e32 v18, v18, v40
	s_nop 1
	v_mov_b32_dpp v19, v18 row_shr:2 row_mask:0xf bank_mask:0xf
	v_cndmask_b32_e64 v19, 0, v19, s[12:13]
	v_add_u32_e32 v18, v18, v19
	s_nop 1
	;; [unrolled: 4-line block ×4, first 2 shown]
	v_mov_b32_dpp v19, v18 row_bcast:15 row_mask:0xf bank_mask:0xf
	v_cndmask_b32_e64 v19, v19, 0, s[6:7]
	v_add_u32_e32 v18, v18, v19
	s_nop 1
	v_mov_b32_dpp v19, v18 row_bcast:31 row_mask:0xf bank_mask:0xf
	v_cndmask_b32_e64 v19, 0, v19, s[18:19]
	v_add_u32_e32 v18, v18, v19
	s_and_saveexec_b64 s[16:17], s[4:5]
	s_cbranch_execz .LBB480_44
; %bb.43:
	v_lshlrev_b32_e32 v19, 2, v39
	ds_write_b32 v19, v18
.LBB480_44:
	s_or_b64 exec, exec, s[16:17]
	v_cmp_gt_u32_e32 vcc, 8, v0
	s_waitcnt lgkmcnt(0)
	s_barrier
	s_and_saveexec_b64 s[16:17], vcc
	s_cbranch_execz .LBB480_46
; %bb.45:
	v_lshlrev_b32_e32 v19, 2, v0
	ds_read_b32 v20, v19
	v_and_b32_e32 v21, 7, v38
	v_cmp_ne_u32_e32 vcc, 0, v21
	s_waitcnt lgkmcnt(0)
	v_mov_b32_dpp v22, v20 row_shr:1 row_mask:0xf bank_mask:0xf
	v_cndmask_b32_e32 v22, 0, v22, vcc
	v_add_u32_e32 v20, v22, v20
	v_cmp_lt_u32_e32 vcc, 1, v21
	s_nop 0
	v_mov_b32_dpp v22, v20 row_shr:2 row_mask:0xf bank_mask:0xf
	v_cndmask_b32_e32 v22, 0, v22, vcc
	v_add_u32_e32 v20, v20, v22
	v_cmp_lt_u32_e32 vcc, 3, v21
	s_nop 0
	v_mov_b32_dpp v22, v20 row_shr:4 row_mask:0xf bank_mask:0xf
	v_cndmask_b32_e32 v21, 0, v22, vcc
	v_add_u32_e32 v20, v20, v21
	ds_write_b32 v19, v20
.LBB480_46:
	s_or_b64 exec, exec, s[16:17]
	v_cmp_gt_u32_e32 vcc, 64, v0
	v_cmp_lt_u32_e64 s[16:17], 63, v0
	s_waitcnt lgkmcnt(0)
	s_barrier
	s_waitcnt lgkmcnt(0)
                                        ; implicit-def: $vgpr28
	s_and_saveexec_b64 s[30:31], s[16:17]
	s_cbranch_execz .LBB480_48
; %bb.47:
	v_lshl_add_u32 v19, v39, 2, -4
	ds_read_b32 v28, v19
	s_waitcnt lgkmcnt(0)
	v_add_u32_e32 v18, v28, v18
.LBB480_48:
	s_or_b64 exec, exec, s[30:31]
	v_add_u32_e32 v19, -1, v38
	v_and_b32_e32 v20, 64, v38
	v_cmp_lt_i32_e64 s[16:17], v19, v20
	s_nop 1
	v_cndmask_b32_e64 v19, v19, v38, s[16:17]
	v_lshlrev_b32_e32 v19, 2, v19
	ds_bpermute_b32 v30, v19, v18
	v_cmp_eq_u32_e64 s[16:17], 0, v38
	s_and_saveexec_b64 s[30:31], vcc
	s_cbranch_execz .LBB480_67
; %bb.49:
	v_mov_b32_e32 v25, 0
	ds_read_b32 v18, v25 offset:28
	s_and_saveexec_b64 s[34:35], s[16:17]
	s_cbranch_execz .LBB480_51
; %bb.50:
	s_add_i32 s36, s2, 64
	s_mov_b32 s37, 0
	s_lshl_b64 s[36:37], s[36:37], 3
	s_add_u32 s36, s28, s36
	v_mov_b32_e32 v19, 1
	s_addc_u32 s37, s29, s37
	s_waitcnt lgkmcnt(0)
	global_store_dwordx2 v25, v[18:19], s[36:37] sc1
.LBB480_51:
	s_or_b64 exec, exec, s[34:35]
	v_xad_u32 v20, v38, -1, s2
	v_add_u32_e32 v24, 64, v20
	v_lshl_add_u64 v[26:27], v[24:25], 3, s[28:29]
	global_load_dwordx2 v[22:23], v[26:27], off sc1
	s_waitcnt vmcnt(0)
	v_cmp_eq_u16_sdwa s[36:37], v23, v25 src0_sel:BYTE_0 src1_sel:DWORD
	s_and_saveexec_b64 s[34:35], s[36:37]
	s_cbranch_execz .LBB480_55
; %bb.52:
	s_mov_b64 s[36:37], 0
	v_mov_b32_e32 v19, 0
.LBB480_53:                             ; =>This Inner Loop Header: Depth=1
	global_load_dwordx2 v[22:23], v[26:27], off sc1
	s_waitcnt vmcnt(0)
	v_cmp_ne_u16_sdwa s[38:39], v23, v19 src0_sel:BYTE_0 src1_sel:DWORD
	s_or_b64 s[36:37], s[38:39], s[36:37]
	s_andn2_b64 exec, exec, s[36:37]
	s_cbranch_execnz .LBB480_53
; %bb.54:
	s_or_b64 exec, exec, s[36:37]
.LBB480_55:
	s_or_b64 exec, exec, s[34:35]
	v_and_b32_e32 v34, 63, v38
	v_mov_b32_e32 v32, 2
	v_cmp_ne_u32_e32 vcc, 63, v34
	v_cmp_eq_u16_sdwa s[34:35], v23, v32 src0_sel:BYTE_0 src1_sel:DWORD
	v_lshlrev_b64 v[24:25], v38, -1
	v_addc_co_u32_e32 v26, vcc, 0, v38, vcc
	v_and_b32_e32 v19, s35, v25
	v_lshlrev_b32_e32 v41, 2, v26
	v_or_b32_e32 v19, 0x80000000, v19
	ds_bpermute_b32 v26, v41, v22
	v_and_b32_e32 v21, s34, v24
	v_ffbl_b32_e32 v19, v19
	v_add_u32_e32 v19, 32, v19
	v_ffbl_b32_e32 v21, v21
	v_min_u32_e32 v19, v21, v19
	v_cmp_lt_u32_e32 vcc, v34, v19
	v_add_u32_e32 v43, 2, v34
	v_add_u32_e32 v45, 4, v34
	s_waitcnt lgkmcnt(0)
	v_cndmask_b32_e32 v21, 0, v26, vcc
	v_cmp_gt_u32_e32 vcc, 62, v34
	v_add_u32_e32 v21, v21, v22
	v_add_u32_e32 v47, 8, v34
	v_cndmask_b32_e64 v22, 0, 1, vcc
	v_lshlrev_b32_e32 v22, 1, v22
	v_add_lshl_u32 v42, v22, v38, 2
	ds_bpermute_b32 v22, v42, v21
	v_cmp_le_u32_e32 vcc, v43, v19
	v_add_u32_e32 v49, 16, v34
	v_add_u32_e32 v51, 32, v34
	s_waitcnt lgkmcnt(0)
	v_cndmask_b32_e32 v22, 0, v22, vcc
	v_cmp_gt_u32_e32 vcc, 60, v34
	v_add_u32_e32 v21, v21, v22
	s_nop 0
	v_cndmask_b32_e64 v22, 0, 1, vcc
	v_lshlrev_b32_e32 v22, 2, v22
	v_add_lshl_u32 v44, v22, v38, 2
	ds_bpermute_b32 v22, v44, v21
	v_cmp_le_u32_e32 vcc, v45, v19
	s_waitcnt lgkmcnt(0)
	s_nop 0
	v_cndmask_b32_e32 v22, 0, v22, vcc
	v_cmp_gt_u32_e32 vcc, 56, v34
	v_add_u32_e32 v21, v21, v22
	s_nop 0
	v_cndmask_b32_e64 v22, 0, 1, vcc
	v_lshlrev_b32_e32 v22, 3, v22
	v_add_lshl_u32 v46, v22, v38, 2
	ds_bpermute_b32 v22, v46, v21
	v_cmp_le_u32_e32 vcc, v47, v19
	s_waitcnt lgkmcnt(0)
	s_nop 0
	;; [unrolled: 11-line block ×4, first 2 shown]
	v_cndmask_b32_e32 v19, 0, v22, vcc
	v_add_u32_e32 v22, v21, v19
	v_mov_b32_e32 v21, 0
	s_branch .LBB480_57
.LBB480_56:                             ;   in Loop: Header=BB480_57 Depth=1
	s_or_b64 exec, exec, s[34:35]
	v_cmp_eq_u16_sdwa s[34:35], v23, v32 src0_sel:BYTE_0 src1_sel:DWORD
	ds_bpermute_b32 v52, v41, v22
	v_subrev_u32_e32 v20, 64, v20
	v_and_b32_e32 v26, s35, v25
	v_or_b32_e32 v26, 0x80000000, v26
	v_and_b32_e32 v27, s34, v24
	v_ffbl_b32_e32 v26, v26
	v_add_u32_e32 v26, 32, v26
	v_ffbl_b32_e32 v27, v27
	v_min_u32_e32 v26, v27, v26
	v_cmp_lt_u32_e32 vcc, v34, v26
	s_waitcnt lgkmcnt(0)
	s_nop 0
	v_cndmask_b32_e32 v27, 0, v52, vcc
	v_add_u32_e32 v22, v27, v22
	ds_bpermute_b32 v27, v42, v22
	v_cmp_le_u32_e32 vcc, v43, v26
	s_waitcnt lgkmcnt(0)
	s_nop 0
	v_cndmask_b32_e32 v27, 0, v27, vcc
	v_add_u32_e32 v22, v22, v27
	ds_bpermute_b32 v27, v44, v22
	v_cmp_le_u32_e32 vcc, v45, v26
	;; [unrolled: 6-line block ×5, first 2 shown]
	s_waitcnt lgkmcnt(0)
	s_nop 0
	v_cndmask_b32_e32 v26, 0, v27, vcc
	v_add3_u32 v22, v26, v19, v22
.LBB480_57:                             ; =>This Loop Header: Depth=1
                                        ;     Child Loop BB480_60 Depth 2
	v_cmp_ne_u16_sdwa s[34:35], v23, v32 src0_sel:BYTE_0 src1_sel:DWORD
	s_nop 1
	v_cndmask_b32_e64 v19, 0, 1, s[34:35]
	;;#ASMSTART
	;;#ASMEND
	s_nop 0
	v_cmp_ne_u32_e32 vcc, 0, v19
	s_cmp_lg_u64 vcc, exec
	v_mov_b32_e32 v19, v22
	s_cbranch_scc1 .LBB480_62
; %bb.58:                               ;   in Loop: Header=BB480_57 Depth=1
	v_lshl_add_u64 v[26:27], v[20:21], 3, s[28:29]
	global_load_dwordx2 v[22:23], v[26:27], off sc1
	s_waitcnt vmcnt(0)
	v_cmp_eq_u16_sdwa s[36:37], v23, v21 src0_sel:BYTE_0 src1_sel:DWORD
	s_and_saveexec_b64 s[34:35], s[36:37]
	s_cbranch_execz .LBB480_56
; %bb.59:                               ;   in Loop: Header=BB480_57 Depth=1
	s_mov_b64 s[36:37], 0
.LBB480_60:                             ;   Parent Loop BB480_57 Depth=1
                                        ; =>  This Inner Loop Header: Depth=2
	global_load_dwordx2 v[22:23], v[26:27], off sc1
	s_waitcnt vmcnt(0)
	v_cmp_ne_u16_sdwa s[38:39], v23, v21 src0_sel:BYTE_0 src1_sel:DWORD
	s_or_b64 s[36:37], s[38:39], s[36:37]
	s_andn2_b64 exec, exec, s[36:37]
	s_cbranch_execnz .LBB480_60
; %bb.61:                               ;   in Loop: Header=BB480_57 Depth=1
	s_or_b64 exec, exec, s[36:37]
	s_branch .LBB480_56
.LBB480_62:                             ;   in Loop: Header=BB480_57 Depth=1
                                        ; implicit-def: $vgpr22
                                        ; implicit-def: $vgpr23
	s_cbranch_execz .LBB480_57
; %bb.63:
	s_and_saveexec_b64 s[34:35], s[16:17]
	s_cbranch_execz .LBB480_65
; %bb.64:
	s_add_i32 s2, s2, 64
	s_mov_b32 s3, 0
	s_lshl_b64 s[2:3], s[2:3], 3
	s_add_u32 s2, s28, s2
	v_add_u32_e32 v20, v19, v18
	v_mov_b32_e32 v21, 2
	s_addc_u32 s3, s29, s3
	v_mov_b32_e32 v22, 0
	global_store_dwordx2 v22, v[20:21], s[2:3] sc1
	ds_write_b64 v22, v[18:19] offset:28672
.LBB480_65:
	s_or_b64 exec, exec, s[34:35]
	v_cmp_eq_u32_e32 vcc, 0, v0
	s_and_b64 exec, exec, vcc
	s_cbranch_execz .LBB480_67
; %bb.66:
	v_mov_b32_e32 v18, 0
	ds_write_b32 v18, v19 offset:28
.LBB480_67:
	s_or_b64 exec, exec, s[30:31]
	v_mov_b32_e32 v18, 0
	s_waitcnt lgkmcnt(0)
	s_barrier
	ds_read_b32 v19, v18 offset:28
	v_cndmask_b32_e64 v20, v30, v28, s[16:17]
	v_cmp_ne_u32_e32 vcc, 0, v0
	s_waitcnt lgkmcnt(0)
	s_barrier
	v_cndmask_b32_e32 v20, 0, v20, vcc
	v_add_u32_e32 v34, v19, v20
	v_add_u32_e32 v32, v34, v29
	;; [unrolled: 1-line block ×3, first 2 shown]
	ds_read_b64 v[18:19], v18 offset:28672
	v_add_u32_e32 v28, v30, v33
	v_add_u32_e32 v26, v28, v35
	;; [unrolled: 1-line block ×4, first 2 shown]
	s_load_dwordx2 s[2:3], s[0:1], 0x28
	v_lshrrev_b64 v[20:21], 24, v[16:17]
	s_branch .LBB480_78
.LBB480_68:
                                        ; implicit-def: $vgpr19
                                        ; implicit-def: $vgpr22
                                        ; implicit-def: $vgpr24
                                        ; implicit-def: $vgpr26
                                        ; implicit-def: $vgpr28
                                        ; implicit-def: $vgpr30
                                        ; implicit-def: $vgpr32
                                        ; implicit-def: $vgpr34
	s_load_dwordx2 s[2:3], s[0:1], 0x28
	v_lshrrev_b64 v[20:21], 24, v[16:17]
	s_cbranch_execz .LBB480_78
; %bb.69:
	s_waitcnt lgkmcnt(0)
	v_mov_b32_dpp v18, v40 row_shr:1 row_mask:0xf bank_mask:0xf
	v_cndmask_b32_e64 v18, v18, 0, s[14:15]
	v_add_u32_e32 v18, v18, v40
	s_nop 1
	v_mov_b32_dpp v19, v18 row_shr:2 row_mask:0xf bank_mask:0xf
	v_cndmask_b32_e64 v19, 0, v19, s[12:13]
	v_add_u32_e32 v18, v18, v19
	s_nop 1
	;; [unrolled: 4-line block ×4, first 2 shown]
	v_mov_b32_dpp v19, v18 row_bcast:15 row_mask:0xf bank_mask:0xf
	v_cndmask_b32_e64 v19, v19, 0, s[6:7]
	v_add_u32_e32 v18, v18, v19
	s_nop 1
	v_mov_b32_dpp v19, v18 row_bcast:31 row_mask:0xf bank_mask:0xf
	v_cndmask_b32_e64 v19, 0, v19, s[18:19]
	v_add_u32_e32 v18, v18, v19
	s_and_saveexec_b64 s[0:1], s[4:5]
	s_cbranch_execz .LBB480_71
; %bb.70:
	v_lshlrev_b32_e32 v19, 2, v39
	ds_write_b32 v19, v18
.LBB480_71:
	s_or_b64 exec, exec, s[0:1]
	v_cmp_gt_u32_e32 vcc, 8, v0
	s_waitcnt lgkmcnt(0)
	s_barrier
	s_and_saveexec_b64 s[0:1], vcc
	s_cbranch_execz .LBB480_73
; %bb.72:
	s_movk_i32 s4, 0xffcc
	v_mad_i32_i24 v1, v0, s4, v1
	ds_read_b32 v19, v1
	v_and_b32_e32 v21, 7, v38
	v_cmp_ne_u32_e32 vcc, 0, v21
	s_waitcnt lgkmcnt(0)
	v_mov_b32_dpp v22, v19 row_shr:1 row_mask:0xf bank_mask:0xf
	v_cndmask_b32_e32 v22, 0, v22, vcc
	v_add_u32_e32 v19, v22, v19
	v_cmp_lt_u32_e32 vcc, 1, v21
	s_nop 0
	v_mov_b32_dpp v22, v19 row_shr:2 row_mask:0xf bank_mask:0xf
	v_cndmask_b32_e32 v22, 0, v22, vcc
	v_add_u32_e32 v19, v19, v22
	v_cmp_lt_u32_e32 vcc, 3, v21
	s_nop 0
	v_mov_b32_dpp v22, v19 row_shr:4 row_mask:0xf bank_mask:0xf
	v_cndmask_b32_e32 v21, 0, v22, vcc
	v_add_u32_e32 v19, v19, v21
	ds_write_b32 v1, v19
.LBB480_73:
	s_or_b64 exec, exec, s[0:1]
	v_cmp_lt_u32_e32 vcc, 63, v0
	v_mov_b32_e32 v19, 0
	v_mov_b32_e32 v1, 0
	s_waitcnt lgkmcnt(0)
	s_barrier
	s_and_saveexec_b64 s[0:1], vcc
	s_cbranch_execz .LBB480_75
; %bb.74:
	v_lshl_add_u32 v1, v39, 2, -4
	ds_read_b32 v1, v1
.LBB480_75:
	s_or_b64 exec, exec, s[0:1]
	v_add_u32_e32 v21, -1, v38
	v_and_b32_e32 v22, 64, v38
	v_cmp_lt_i32_e32 vcc, v21, v22
	s_waitcnt lgkmcnt(0)
	v_add_u32_e32 v18, v1, v18
	v_cndmask_b32_e32 v21, v21, v38, vcc
	v_lshlrev_b32_e32 v21, 2, v21
	ds_bpermute_b32 v21, v21, v18
	ds_read_b32 v18, v19 offset:28
	v_cmp_eq_u32_e32 vcc, 0, v0
	s_and_saveexec_b64 s[0:1], vcc
	s_cbranch_execz .LBB480_77
; %bb.76:
	v_mov_b32_e32 v22, 0
	v_mov_b32_e32 v19, 2
	s_waitcnt lgkmcnt(0)
	global_store_dwordx2 v22, v[18:19], s[28:29] offset:512 sc1
.LBB480_77:
	s_or_b64 exec, exec, s[0:1]
	v_cmp_eq_u32_e64 s[0:1], 0, v38
	v_mov_b32_e32 v19, 0
	s_waitcnt lgkmcnt(0)
	v_cndmask_b32_e64 v1, v21, v1, s[0:1]
	v_cndmask_b32_e64 v34, v1, 0, vcc
	v_add_u32_e32 v32, v34, v29
	v_add_u32_e32 v30, v32, v31
	;; [unrolled: 1-line block ×6, first 2 shown]
	s_barrier
.LBB480_78:
	s_movk_i32 s0, 0x201
	s_waitcnt lgkmcnt(0)
	v_cmp_gt_u32_e32 vcc, s0, v18
	v_lshrrev_b32_e32 v21, 8, v16
	v_lshrrev_b32_e32 v1, 8, v17
	s_mov_b64 s[0:1], -1
	s_cbranch_vccnz .LBB480_82
; %bb.79:
	s_and_b64 vcc, exec, s[0:1]
	s_cbranch_vccnz .LBB480_104
.LBB480_80:
	v_cmp_eq_u32_e32 vcc, 0, v0
	s_and_b64 s[0:1], vcc, s[24:25]
	s_and_saveexec_b64 s[2:3], s[0:1]
	s_cbranch_execnz .LBB480_122
.LBB480_81:
	s_endpgm
.LBB480_82:
	v_add_u32_e32 v23, v19, v18
	v_cmp_lt_u32_e32 vcc, v34, v23
	s_or_b64 s[4:5], s[26:27], vcc
	s_and_saveexec_b64 s[0:1], s[4:5]
	s_cbranch_execz .LBB480_85
; %bb.83:
	v_and_b32_e32 v25, 1, v16
	v_cmp_eq_u32_e32 vcc, 1, v25
	s_and_b64 exec, exec, vcc
	s_cbranch_execz .LBB480_85
; %bb.84:
	s_lshl_b64 s[4:5], s[22:23], 3
	s_add_u32 s4, s2, s4
	s_addc_u32 s5, s3, s5
	v_mov_b32_e32 v35, 0
	v_lshl_add_u64 v[36:37], v[34:35], 3, s[4:5]
	global_store_dwordx2 v[36:37], v[10:11], off
.LBB480_85:
	s_or_b64 exec, exec, s[0:1]
	v_cmp_lt_u32_e32 vcc, v32, v23
	s_or_b64 s[4:5], s[26:27], vcc
	s_and_saveexec_b64 s[0:1], s[4:5]
	s_cbranch_execz .LBB480_88
; %bb.86:
	v_and_b32_e32 v25, 1, v21
	v_cmp_eq_u32_e32 vcc, 1, v25
	s_and_b64 exec, exec, vcc
	s_cbranch_execz .LBB480_88
; %bb.87:
	s_lshl_b64 s[4:5], s[22:23], 3
	s_add_u32 s4, s2, s4
	s_addc_u32 s5, s3, s5
	v_mov_b32_e32 v33, 0
	v_lshl_add_u64 v[36:37], v[32:33], 3, s[4:5]
	global_store_dwordx2 v[36:37], v[12:13], off
.LBB480_88:
	s_or_b64 exec, exec, s[0:1]
	v_cmp_lt_u32_e32 vcc, v30, v23
	s_or_b64 s[4:5], s[26:27], vcc
	s_and_saveexec_b64 s[0:1], s[4:5]
	s_cbranch_execz .LBB480_91
; %bb.89:
	v_mov_b32_e32 v25, 1
	v_and_b32_sdwa v25, v25, v16 dst_sel:DWORD dst_unused:UNUSED_PAD src0_sel:DWORD src1_sel:WORD_1
	v_cmp_eq_u32_e32 vcc, 1, v25
	s_and_b64 exec, exec, vcc
	s_cbranch_execz .LBB480_91
; %bb.90:
	s_lshl_b64 s[4:5], s[22:23], 3
	s_add_u32 s4, s2, s4
	s_addc_u32 s5, s3, s5
	v_mov_b32_e32 v31, 0
	v_lshl_add_u64 v[36:37], v[30:31], 3, s[4:5]
	global_store_dwordx2 v[36:37], v[6:7], off
.LBB480_91:
	s_or_b64 exec, exec, s[0:1]
	v_cmp_lt_u32_e32 vcc, v28, v23
	s_or_b64 s[4:5], s[26:27], vcc
	s_and_saveexec_b64 s[0:1], s[4:5]
	s_cbranch_execz .LBB480_94
; %bb.92:
	v_and_b32_e32 v25, 1, v20
	v_cmp_eq_u32_e32 vcc, 1, v25
	s_and_b64 exec, exec, vcc
	s_cbranch_execz .LBB480_94
; %bb.93:
	s_lshl_b64 s[4:5], s[22:23], 3
	s_add_u32 s4, s2, s4
	s_addc_u32 s5, s3, s5
	v_mov_b32_e32 v29, 0
	v_lshl_add_u64 v[36:37], v[28:29], 3, s[4:5]
	global_store_dwordx2 v[36:37], v[8:9], off
.LBB480_94:
	s_or_b64 exec, exec, s[0:1]
	v_cmp_lt_u32_e32 vcc, v26, v23
	s_or_b64 s[4:5], s[26:27], vcc
	s_and_saveexec_b64 s[0:1], s[4:5]
	s_cbranch_execz .LBB480_97
; %bb.95:
	v_and_b32_e32 v25, 1, v17
	v_cmp_eq_u32_e32 vcc, 1, v25
	s_and_b64 exec, exec, vcc
	s_cbranch_execz .LBB480_97
; %bb.96:
	s_lshl_b64 s[4:5], s[22:23], 3
	s_add_u32 s4, s2, s4
	s_addc_u32 s5, s3, s5
	v_mov_b32_e32 v27, 0
	v_lshl_add_u64 v[36:37], v[26:27], 3, s[4:5]
	global_store_dwordx2 v[36:37], v[2:3], off
.LBB480_97:
	;; [unrolled: 18-line block ×3, first 2 shown]
	s_or_b64 exec, exec, s[0:1]
	v_cmp_lt_u32_e32 vcc, v22, v23
	s_or_b64 s[4:5], s[26:27], vcc
	s_and_saveexec_b64 s[0:1], s[4:5]
	s_cbranch_execz .LBB480_103
; %bb.101:
	v_mov_b32_e32 v23, 1
	v_and_b32_sdwa v23, v23, v17 dst_sel:DWORD dst_unused:UNUSED_PAD src0_sel:DWORD src1_sel:WORD_1
	v_cmp_eq_u32_e32 vcc, 1, v23
	s_and_b64 exec, exec, vcc
	s_cbranch_execz .LBB480_103
; %bb.102:
	s_lshl_b64 s[4:5], s[22:23], 3
	s_add_u32 s4, s2, s4
	s_addc_u32 s5, s3, s5
	v_mov_b32_e32 v23, 0
	v_lshl_add_u64 v[36:37], v[22:23], 3, s[4:5]
	global_store_dwordx2 v[36:37], v[14:15], off
.LBB480_103:
	s_or_b64 exec, exec, s[0:1]
	s_branch .LBB480_80
.LBB480_104:
	v_and_b32_e32 v23, 1, v16
	v_cmp_eq_u32_e32 vcc, 1, v23
	s_and_saveexec_b64 s[0:1], vcc
	s_cbranch_execz .LBB480_106
; %bb.105:
	v_sub_u32_e32 v23, v34, v19
	v_lshlrev_b32_e32 v23, 3, v23
	ds_write_b64 v23, v[10:11]
.LBB480_106:
	s_or_b64 exec, exec, s[0:1]
	v_and_b32_e32 v10, 1, v21
	v_cmp_eq_u32_e32 vcc, 1, v10
	s_and_saveexec_b64 s[0:1], vcc
	s_cbranch_execz .LBB480_108
; %bb.107:
	v_sub_u32_e32 v10, v32, v19
	v_lshlrev_b32_e32 v10, 3, v10
	ds_write_b64 v10, v[12:13]
.LBB480_108:
	s_or_b64 exec, exec, s[0:1]
	v_mov_b32_e32 v10, 1
	v_and_b32_sdwa v10, v10, v16 dst_sel:DWORD dst_unused:UNUSED_PAD src0_sel:DWORD src1_sel:WORD_1
	v_cmp_eq_u32_e32 vcc, 1, v10
	s_and_saveexec_b64 s[0:1], vcc
	s_cbranch_execz .LBB480_110
; %bb.109:
	v_sub_u32_e32 v10, v30, v19
	v_lshlrev_b32_e32 v10, 3, v10
	ds_write_b64 v10, v[6:7]
.LBB480_110:
	s_or_b64 exec, exec, s[0:1]
	v_and_b32_e32 v6, 1, v20
	v_cmp_eq_u32_e32 vcc, 1, v6
	s_and_saveexec_b64 s[0:1], vcc
	s_cbranch_execz .LBB480_112
; %bb.111:
	v_sub_u32_e32 v6, v28, v19
	v_lshlrev_b32_e32 v6, 3, v6
	ds_write_b64 v6, v[8:9]
.LBB480_112:
	s_or_b64 exec, exec, s[0:1]
	v_and_b32_e32 v6, 1, v17
	;; [unrolled: 10-line block ×3, first 2 shown]
	v_cmp_eq_u32_e32 vcc, 1, v1
	s_and_saveexec_b64 s[0:1], vcc
	s_cbranch_execz .LBB480_116
; %bb.115:
	v_sub_u32_e32 v1, v24, v19
	v_lshlrev_b32_e32 v1, 3, v1
	ds_write_b64 v1, v[4:5]
.LBB480_116:
	s_or_b64 exec, exec, s[0:1]
	v_mov_b32_e32 v1, 1
	v_and_b32_sdwa v1, v1, v17 dst_sel:DWORD dst_unused:UNUSED_PAD src0_sel:DWORD src1_sel:WORD_1
	v_cmp_eq_u32_e32 vcc, 1, v1
	s_and_saveexec_b64 s[0:1], vcc
	s_cbranch_execz .LBB480_118
; %bb.117:
	v_sub_u32_e32 v1, v22, v19
	v_lshlrev_b32_e32 v1, 3, v1
	ds_write_b64 v1, v[14:15]
.LBB480_118:
	s_or_b64 exec, exec, s[0:1]
	v_cmp_lt_u32_e32 vcc, v0, v18
	s_waitcnt lgkmcnt(0)
	s_barrier
	s_and_saveexec_b64 s[0:1], vcc
	s_cbranch_execz .LBB480_121
; %bb.119:
	v_mov_b32_e32 v5, 0
	v_mov_b32_e32 v4, v19
	s_lshl_b64 s[4:5], s[22:23], 3
	v_lshlrev_b64 v[6:7], 3, v[4:5]
	v_lshl_add_u64 v[6:7], s[4:5], 0, v[6:7]
	v_lshlrev_b32_e32 v2, 3, v0
	v_mov_b32_e32 v3, v5
	v_lshl_add_u64 v[4:5], s[2:3], 0, v[6:7]
	v_lshl_add_u64 v[4:5], v[4:5], 0, v[2:3]
	s_mov_b64 s[2:3], 0
	s_mov_b64 s[4:5], 0x1000
	v_mov_b32_e32 v1, v0
.LBB480_120:                            ; =>This Inner Loop Header: Depth=1
	ds_read_b64 v[6:7], v2
	v_add_u32_e32 v1, 0x200, v1
	v_cmp_ge_u32_e32 vcc, v1, v18
	v_add_u32_e32 v2, 0x1000, v2
	s_or_b64 s[2:3], vcc, s[2:3]
	s_waitcnt lgkmcnt(0)
	global_store_dwordx2 v[4:5], v[6:7], off
	v_lshl_add_u64 v[4:5], v[4:5], 0, s[4:5]
	s_andn2_b64 exec, exec, s[2:3]
	s_cbranch_execnz .LBB480_120
.LBB480_121:
	s_or_b64 exec, exec, s[0:1]
	v_cmp_eq_u32_e32 vcc, 0, v0
	s_and_b64 s[0:1], vcc, s[24:25]
	s_and_saveexec_b64 s[2:3], s[0:1]
	s_cbranch_execz .LBB480_81
.LBB480_122:
	v_mov_b32_e32 v1, 0
	v_mov_b32_e32 v0, v18
	v_lshl_add_u64 v[2:3], s[22:23], 0, v[0:1]
	v_mov_b32_e32 v0, v19
	v_lshl_add_u64 v[2:3], v[2:3], 0, v[0:1]
	global_store_dwordx2 v1, v[2:3], s[20:21]
	s_endpgm
.LBB480_123:
	s_or_b64 exec, exec, s[6:7]
	s_and_saveexec_b64 s[6:7], s[18:19]
	s_cbranch_execnz .LBB480_38
	s_branch .LBB480_39
	.section	.rodata,"a",@progbits
	.p2align	6, 0x0
	.amdhsa_kernel _ZN7rocprim17ROCPRIM_400000_NS6detail17trampoline_kernelINS0_14default_configENS1_25partition_config_selectorILNS1_17partition_subalgoE8ElNS0_10empty_typeEbEEZZNS1_14partition_implILS5_8ELb0ES3_jPKlPS6_PKS6_NS0_5tupleIJPlS6_EEENSE_IJSB_SB_EEENS0_18inequality_wrapperIN6hipcub16HIPCUB_304000_NS8EqualityEEESF_JS6_EEE10hipError_tPvRmT3_T4_T5_T6_T7_T9_mT8_P12ihipStream_tbDpT10_ENKUlT_T0_E_clISt17integral_constantIbLb0EES16_EEDaS11_S12_EUlS11_E_NS1_11comp_targetILNS1_3genE5ELNS1_11target_archE942ELNS1_3gpuE9ELNS1_3repE0EEENS1_30default_config_static_selectorELNS0_4arch9wavefront6targetE1EEEvT1_
		.amdhsa_group_segment_fixed_size 28680
		.amdhsa_private_segment_fixed_size 0
		.amdhsa_kernarg_size 112
		.amdhsa_user_sgpr_count 2
		.amdhsa_user_sgpr_dispatch_ptr 0
		.amdhsa_user_sgpr_queue_ptr 0
		.amdhsa_user_sgpr_kernarg_segment_ptr 1
		.amdhsa_user_sgpr_dispatch_id 0
		.amdhsa_user_sgpr_kernarg_preload_length 0
		.amdhsa_user_sgpr_kernarg_preload_offset 0
		.amdhsa_user_sgpr_private_segment_size 0
		.amdhsa_uses_dynamic_stack 0
		.amdhsa_enable_private_segment 0
		.amdhsa_system_sgpr_workgroup_id_x 1
		.amdhsa_system_sgpr_workgroup_id_y 0
		.amdhsa_system_sgpr_workgroup_id_z 0
		.amdhsa_system_sgpr_workgroup_info 0
		.amdhsa_system_vgpr_workitem_id 0
		.amdhsa_next_free_vgpr 53
		.amdhsa_next_free_sgpr 40
		.amdhsa_accum_offset 56
		.amdhsa_reserve_vcc 1
		.amdhsa_float_round_mode_32 0
		.amdhsa_float_round_mode_16_64 0
		.amdhsa_float_denorm_mode_32 3
		.amdhsa_float_denorm_mode_16_64 3
		.amdhsa_dx10_clamp 1
		.amdhsa_ieee_mode 1
		.amdhsa_fp16_overflow 0
		.amdhsa_tg_split 0
		.amdhsa_exception_fp_ieee_invalid_op 0
		.amdhsa_exception_fp_denorm_src 0
		.amdhsa_exception_fp_ieee_div_zero 0
		.amdhsa_exception_fp_ieee_overflow 0
		.amdhsa_exception_fp_ieee_underflow 0
		.amdhsa_exception_fp_ieee_inexact 0
		.amdhsa_exception_int_div_zero 0
	.end_amdhsa_kernel
	.section	.text._ZN7rocprim17ROCPRIM_400000_NS6detail17trampoline_kernelINS0_14default_configENS1_25partition_config_selectorILNS1_17partition_subalgoE8ElNS0_10empty_typeEbEEZZNS1_14partition_implILS5_8ELb0ES3_jPKlPS6_PKS6_NS0_5tupleIJPlS6_EEENSE_IJSB_SB_EEENS0_18inequality_wrapperIN6hipcub16HIPCUB_304000_NS8EqualityEEESF_JS6_EEE10hipError_tPvRmT3_T4_T5_T6_T7_T9_mT8_P12ihipStream_tbDpT10_ENKUlT_T0_E_clISt17integral_constantIbLb0EES16_EEDaS11_S12_EUlS11_E_NS1_11comp_targetILNS1_3genE5ELNS1_11target_archE942ELNS1_3gpuE9ELNS1_3repE0EEENS1_30default_config_static_selectorELNS0_4arch9wavefront6targetE1EEEvT1_,"axG",@progbits,_ZN7rocprim17ROCPRIM_400000_NS6detail17trampoline_kernelINS0_14default_configENS1_25partition_config_selectorILNS1_17partition_subalgoE8ElNS0_10empty_typeEbEEZZNS1_14partition_implILS5_8ELb0ES3_jPKlPS6_PKS6_NS0_5tupleIJPlS6_EEENSE_IJSB_SB_EEENS0_18inequality_wrapperIN6hipcub16HIPCUB_304000_NS8EqualityEEESF_JS6_EEE10hipError_tPvRmT3_T4_T5_T6_T7_T9_mT8_P12ihipStream_tbDpT10_ENKUlT_T0_E_clISt17integral_constantIbLb0EES16_EEDaS11_S12_EUlS11_E_NS1_11comp_targetILNS1_3genE5ELNS1_11target_archE942ELNS1_3gpuE9ELNS1_3repE0EEENS1_30default_config_static_selectorELNS0_4arch9wavefront6targetE1EEEvT1_,comdat
.Lfunc_end480:
	.size	_ZN7rocprim17ROCPRIM_400000_NS6detail17trampoline_kernelINS0_14default_configENS1_25partition_config_selectorILNS1_17partition_subalgoE8ElNS0_10empty_typeEbEEZZNS1_14partition_implILS5_8ELb0ES3_jPKlPS6_PKS6_NS0_5tupleIJPlS6_EEENSE_IJSB_SB_EEENS0_18inequality_wrapperIN6hipcub16HIPCUB_304000_NS8EqualityEEESF_JS6_EEE10hipError_tPvRmT3_T4_T5_T6_T7_T9_mT8_P12ihipStream_tbDpT10_ENKUlT_T0_E_clISt17integral_constantIbLb0EES16_EEDaS11_S12_EUlS11_E_NS1_11comp_targetILNS1_3genE5ELNS1_11target_archE942ELNS1_3gpuE9ELNS1_3repE0EEENS1_30default_config_static_selectorELNS0_4arch9wavefront6targetE1EEEvT1_, .Lfunc_end480-_ZN7rocprim17ROCPRIM_400000_NS6detail17trampoline_kernelINS0_14default_configENS1_25partition_config_selectorILNS1_17partition_subalgoE8ElNS0_10empty_typeEbEEZZNS1_14partition_implILS5_8ELb0ES3_jPKlPS6_PKS6_NS0_5tupleIJPlS6_EEENSE_IJSB_SB_EEENS0_18inequality_wrapperIN6hipcub16HIPCUB_304000_NS8EqualityEEESF_JS6_EEE10hipError_tPvRmT3_T4_T5_T6_T7_T9_mT8_P12ihipStream_tbDpT10_ENKUlT_T0_E_clISt17integral_constantIbLb0EES16_EEDaS11_S12_EUlS11_E_NS1_11comp_targetILNS1_3genE5ELNS1_11target_archE942ELNS1_3gpuE9ELNS1_3repE0EEENS1_30default_config_static_selectorELNS0_4arch9wavefront6targetE1EEEvT1_
                                        ; -- End function
	.section	.AMDGPU.csdata,"",@progbits
; Kernel info:
; codeLenInByte = 5408
; NumSgprs: 46
; NumVgprs: 53
; NumAgprs: 0
; TotalNumVgprs: 53
; ScratchSize: 0
; MemoryBound: 0
; FloatMode: 240
; IeeeMode: 1
; LDSByteSize: 28680 bytes/workgroup (compile time only)
; SGPRBlocks: 5
; VGPRBlocks: 6
; NumSGPRsForWavesPerEU: 46
; NumVGPRsForWavesPerEU: 53
; AccumOffset: 56
; Occupancy: 4
; WaveLimiterHint : 1
; COMPUTE_PGM_RSRC2:SCRATCH_EN: 0
; COMPUTE_PGM_RSRC2:USER_SGPR: 2
; COMPUTE_PGM_RSRC2:TRAP_HANDLER: 0
; COMPUTE_PGM_RSRC2:TGID_X_EN: 1
; COMPUTE_PGM_RSRC2:TGID_Y_EN: 0
; COMPUTE_PGM_RSRC2:TGID_Z_EN: 0
; COMPUTE_PGM_RSRC2:TIDIG_COMP_CNT: 0
; COMPUTE_PGM_RSRC3_GFX90A:ACCUM_OFFSET: 13
; COMPUTE_PGM_RSRC3_GFX90A:TG_SPLIT: 0
	.section	.text._ZN7rocprim17ROCPRIM_400000_NS6detail17trampoline_kernelINS0_14default_configENS1_25partition_config_selectorILNS1_17partition_subalgoE8ElNS0_10empty_typeEbEEZZNS1_14partition_implILS5_8ELb0ES3_jPKlPS6_PKS6_NS0_5tupleIJPlS6_EEENSE_IJSB_SB_EEENS0_18inequality_wrapperIN6hipcub16HIPCUB_304000_NS8EqualityEEESF_JS6_EEE10hipError_tPvRmT3_T4_T5_T6_T7_T9_mT8_P12ihipStream_tbDpT10_ENKUlT_T0_E_clISt17integral_constantIbLb0EES16_EEDaS11_S12_EUlS11_E_NS1_11comp_targetILNS1_3genE4ELNS1_11target_archE910ELNS1_3gpuE8ELNS1_3repE0EEENS1_30default_config_static_selectorELNS0_4arch9wavefront6targetE1EEEvT1_,"axG",@progbits,_ZN7rocprim17ROCPRIM_400000_NS6detail17trampoline_kernelINS0_14default_configENS1_25partition_config_selectorILNS1_17partition_subalgoE8ElNS0_10empty_typeEbEEZZNS1_14partition_implILS5_8ELb0ES3_jPKlPS6_PKS6_NS0_5tupleIJPlS6_EEENSE_IJSB_SB_EEENS0_18inequality_wrapperIN6hipcub16HIPCUB_304000_NS8EqualityEEESF_JS6_EEE10hipError_tPvRmT3_T4_T5_T6_T7_T9_mT8_P12ihipStream_tbDpT10_ENKUlT_T0_E_clISt17integral_constantIbLb0EES16_EEDaS11_S12_EUlS11_E_NS1_11comp_targetILNS1_3genE4ELNS1_11target_archE910ELNS1_3gpuE8ELNS1_3repE0EEENS1_30default_config_static_selectorELNS0_4arch9wavefront6targetE1EEEvT1_,comdat
	.protected	_ZN7rocprim17ROCPRIM_400000_NS6detail17trampoline_kernelINS0_14default_configENS1_25partition_config_selectorILNS1_17partition_subalgoE8ElNS0_10empty_typeEbEEZZNS1_14partition_implILS5_8ELb0ES3_jPKlPS6_PKS6_NS0_5tupleIJPlS6_EEENSE_IJSB_SB_EEENS0_18inequality_wrapperIN6hipcub16HIPCUB_304000_NS8EqualityEEESF_JS6_EEE10hipError_tPvRmT3_T4_T5_T6_T7_T9_mT8_P12ihipStream_tbDpT10_ENKUlT_T0_E_clISt17integral_constantIbLb0EES16_EEDaS11_S12_EUlS11_E_NS1_11comp_targetILNS1_3genE4ELNS1_11target_archE910ELNS1_3gpuE8ELNS1_3repE0EEENS1_30default_config_static_selectorELNS0_4arch9wavefront6targetE1EEEvT1_ ; -- Begin function _ZN7rocprim17ROCPRIM_400000_NS6detail17trampoline_kernelINS0_14default_configENS1_25partition_config_selectorILNS1_17partition_subalgoE8ElNS0_10empty_typeEbEEZZNS1_14partition_implILS5_8ELb0ES3_jPKlPS6_PKS6_NS0_5tupleIJPlS6_EEENSE_IJSB_SB_EEENS0_18inequality_wrapperIN6hipcub16HIPCUB_304000_NS8EqualityEEESF_JS6_EEE10hipError_tPvRmT3_T4_T5_T6_T7_T9_mT8_P12ihipStream_tbDpT10_ENKUlT_T0_E_clISt17integral_constantIbLb0EES16_EEDaS11_S12_EUlS11_E_NS1_11comp_targetILNS1_3genE4ELNS1_11target_archE910ELNS1_3gpuE8ELNS1_3repE0EEENS1_30default_config_static_selectorELNS0_4arch9wavefront6targetE1EEEvT1_
	.globl	_ZN7rocprim17ROCPRIM_400000_NS6detail17trampoline_kernelINS0_14default_configENS1_25partition_config_selectorILNS1_17partition_subalgoE8ElNS0_10empty_typeEbEEZZNS1_14partition_implILS5_8ELb0ES3_jPKlPS6_PKS6_NS0_5tupleIJPlS6_EEENSE_IJSB_SB_EEENS0_18inequality_wrapperIN6hipcub16HIPCUB_304000_NS8EqualityEEESF_JS6_EEE10hipError_tPvRmT3_T4_T5_T6_T7_T9_mT8_P12ihipStream_tbDpT10_ENKUlT_T0_E_clISt17integral_constantIbLb0EES16_EEDaS11_S12_EUlS11_E_NS1_11comp_targetILNS1_3genE4ELNS1_11target_archE910ELNS1_3gpuE8ELNS1_3repE0EEENS1_30default_config_static_selectorELNS0_4arch9wavefront6targetE1EEEvT1_
	.p2align	8
	.type	_ZN7rocprim17ROCPRIM_400000_NS6detail17trampoline_kernelINS0_14default_configENS1_25partition_config_selectorILNS1_17partition_subalgoE8ElNS0_10empty_typeEbEEZZNS1_14partition_implILS5_8ELb0ES3_jPKlPS6_PKS6_NS0_5tupleIJPlS6_EEENSE_IJSB_SB_EEENS0_18inequality_wrapperIN6hipcub16HIPCUB_304000_NS8EqualityEEESF_JS6_EEE10hipError_tPvRmT3_T4_T5_T6_T7_T9_mT8_P12ihipStream_tbDpT10_ENKUlT_T0_E_clISt17integral_constantIbLb0EES16_EEDaS11_S12_EUlS11_E_NS1_11comp_targetILNS1_3genE4ELNS1_11target_archE910ELNS1_3gpuE8ELNS1_3repE0EEENS1_30default_config_static_selectorELNS0_4arch9wavefront6targetE1EEEvT1_,@function
_ZN7rocprim17ROCPRIM_400000_NS6detail17trampoline_kernelINS0_14default_configENS1_25partition_config_selectorILNS1_17partition_subalgoE8ElNS0_10empty_typeEbEEZZNS1_14partition_implILS5_8ELb0ES3_jPKlPS6_PKS6_NS0_5tupleIJPlS6_EEENSE_IJSB_SB_EEENS0_18inequality_wrapperIN6hipcub16HIPCUB_304000_NS8EqualityEEESF_JS6_EEE10hipError_tPvRmT3_T4_T5_T6_T7_T9_mT8_P12ihipStream_tbDpT10_ENKUlT_T0_E_clISt17integral_constantIbLb0EES16_EEDaS11_S12_EUlS11_E_NS1_11comp_targetILNS1_3genE4ELNS1_11target_archE910ELNS1_3gpuE8ELNS1_3repE0EEENS1_30default_config_static_selectorELNS0_4arch9wavefront6targetE1EEEvT1_: ; @_ZN7rocprim17ROCPRIM_400000_NS6detail17trampoline_kernelINS0_14default_configENS1_25partition_config_selectorILNS1_17partition_subalgoE8ElNS0_10empty_typeEbEEZZNS1_14partition_implILS5_8ELb0ES3_jPKlPS6_PKS6_NS0_5tupleIJPlS6_EEENSE_IJSB_SB_EEENS0_18inequality_wrapperIN6hipcub16HIPCUB_304000_NS8EqualityEEESF_JS6_EEE10hipError_tPvRmT3_T4_T5_T6_T7_T9_mT8_P12ihipStream_tbDpT10_ENKUlT_T0_E_clISt17integral_constantIbLb0EES16_EEDaS11_S12_EUlS11_E_NS1_11comp_targetILNS1_3genE4ELNS1_11target_archE910ELNS1_3gpuE8ELNS1_3repE0EEENS1_30default_config_static_selectorELNS0_4arch9wavefront6targetE1EEEvT1_
; %bb.0:
	.section	.rodata,"a",@progbits
	.p2align	6, 0x0
	.amdhsa_kernel _ZN7rocprim17ROCPRIM_400000_NS6detail17trampoline_kernelINS0_14default_configENS1_25partition_config_selectorILNS1_17partition_subalgoE8ElNS0_10empty_typeEbEEZZNS1_14partition_implILS5_8ELb0ES3_jPKlPS6_PKS6_NS0_5tupleIJPlS6_EEENSE_IJSB_SB_EEENS0_18inequality_wrapperIN6hipcub16HIPCUB_304000_NS8EqualityEEESF_JS6_EEE10hipError_tPvRmT3_T4_T5_T6_T7_T9_mT8_P12ihipStream_tbDpT10_ENKUlT_T0_E_clISt17integral_constantIbLb0EES16_EEDaS11_S12_EUlS11_E_NS1_11comp_targetILNS1_3genE4ELNS1_11target_archE910ELNS1_3gpuE8ELNS1_3repE0EEENS1_30default_config_static_selectorELNS0_4arch9wavefront6targetE1EEEvT1_
		.amdhsa_group_segment_fixed_size 0
		.amdhsa_private_segment_fixed_size 0
		.amdhsa_kernarg_size 112
		.amdhsa_user_sgpr_count 2
		.amdhsa_user_sgpr_dispatch_ptr 0
		.amdhsa_user_sgpr_queue_ptr 0
		.amdhsa_user_sgpr_kernarg_segment_ptr 1
		.amdhsa_user_sgpr_dispatch_id 0
		.amdhsa_user_sgpr_kernarg_preload_length 0
		.amdhsa_user_sgpr_kernarg_preload_offset 0
		.amdhsa_user_sgpr_private_segment_size 0
		.amdhsa_uses_dynamic_stack 0
		.amdhsa_enable_private_segment 0
		.amdhsa_system_sgpr_workgroup_id_x 1
		.amdhsa_system_sgpr_workgroup_id_y 0
		.amdhsa_system_sgpr_workgroup_id_z 0
		.amdhsa_system_sgpr_workgroup_info 0
		.amdhsa_system_vgpr_workitem_id 0
		.amdhsa_next_free_vgpr 1
		.amdhsa_next_free_sgpr 0
		.amdhsa_accum_offset 4
		.amdhsa_reserve_vcc 0
		.amdhsa_float_round_mode_32 0
		.amdhsa_float_round_mode_16_64 0
		.amdhsa_float_denorm_mode_32 3
		.amdhsa_float_denorm_mode_16_64 3
		.amdhsa_dx10_clamp 1
		.amdhsa_ieee_mode 1
		.amdhsa_fp16_overflow 0
		.amdhsa_tg_split 0
		.amdhsa_exception_fp_ieee_invalid_op 0
		.amdhsa_exception_fp_denorm_src 0
		.amdhsa_exception_fp_ieee_div_zero 0
		.amdhsa_exception_fp_ieee_overflow 0
		.amdhsa_exception_fp_ieee_underflow 0
		.amdhsa_exception_fp_ieee_inexact 0
		.amdhsa_exception_int_div_zero 0
	.end_amdhsa_kernel
	.section	.text._ZN7rocprim17ROCPRIM_400000_NS6detail17trampoline_kernelINS0_14default_configENS1_25partition_config_selectorILNS1_17partition_subalgoE8ElNS0_10empty_typeEbEEZZNS1_14partition_implILS5_8ELb0ES3_jPKlPS6_PKS6_NS0_5tupleIJPlS6_EEENSE_IJSB_SB_EEENS0_18inequality_wrapperIN6hipcub16HIPCUB_304000_NS8EqualityEEESF_JS6_EEE10hipError_tPvRmT3_T4_T5_T6_T7_T9_mT8_P12ihipStream_tbDpT10_ENKUlT_T0_E_clISt17integral_constantIbLb0EES16_EEDaS11_S12_EUlS11_E_NS1_11comp_targetILNS1_3genE4ELNS1_11target_archE910ELNS1_3gpuE8ELNS1_3repE0EEENS1_30default_config_static_selectorELNS0_4arch9wavefront6targetE1EEEvT1_,"axG",@progbits,_ZN7rocprim17ROCPRIM_400000_NS6detail17trampoline_kernelINS0_14default_configENS1_25partition_config_selectorILNS1_17partition_subalgoE8ElNS0_10empty_typeEbEEZZNS1_14partition_implILS5_8ELb0ES3_jPKlPS6_PKS6_NS0_5tupleIJPlS6_EEENSE_IJSB_SB_EEENS0_18inequality_wrapperIN6hipcub16HIPCUB_304000_NS8EqualityEEESF_JS6_EEE10hipError_tPvRmT3_T4_T5_T6_T7_T9_mT8_P12ihipStream_tbDpT10_ENKUlT_T0_E_clISt17integral_constantIbLb0EES16_EEDaS11_S12_EUlS11_E_NS1_11comp_targetILNS1_3genE4ELNS1_11target_archE910ELNS1_3gpuE8ELNS1_3repE0EEENS1_30default_config_static_selectorELNS0_4arch9wavefront6targetE1EEEvT1_,comdat
.Lfunc_end481:
	.size	_ZN7rocprim17ROCPRIM_400000_NS6detail17trampoline_kernelINS0_14default_configENS1_25partition_config_selectorILNS1_17partition_subalgoE8ElNS0_10empty_typeEbEEZZNS1_14partition_implILS5_8ELb0ES3_jPKlPS6_PKS6_NS0_5tupleIJPlS6_EEENSE_IJSB_SB_EEENS0_18inequality_wrapperIN6hipcub16HIPCUB_304000_NS8EqualityEEESF_JS6_EEE10hipError_tPvRmT3_T4_T5_T6_T7_T9_mT8_P12ihipStream_tbDpT10_ENKUlT_T0_E_clISt17integral_constantIbLb0EES16_EEDaS11_S12_EUlS11_E_NS1_11comp_targetILNS1_3genE4ELNS1_11target_archE910ELNS1_3gpuE8ELNS1_3repE0EEENS1_30default_config_static_selectorELNS0_4arch9wavefront6targetE1EEEvT1_, .Lfunc_end481-_ZN7rocprim17ROCPRIM_400000_NS6detail17trampoline_kernelINS0_14default_configENS1_25partition_config_selectorILNS1_17partition_subalgoE8ElNS0_10empty_typeEbEEZZNS1_14partition_implILS5_8ELb0ES3_jPKlPS6_PKS6_NS0_5tupleIJPlS6_EEENSE_IJSB_SB_EEENS0_18inequality_wrapperIN6hipcub16HIPCUB_304000_NS8EqualityEEESF_JS6_EEE10hipError_tPvRmT3_T4_T5_T6_T7_T9_mT8_P12ihipStream_tbDpT10_ENKUlT_T0_E_clISt17integral_constantIbLb0EES16_EEDaS11_S12_EUlS11_E_NS1_11comp_targetILNS1_3genE4ELNS1_11target_archE910ELNS1_3gpuE8ELNS1_3repE0EEENS1_30default_config_static_selectorELNS0_4arch9wavefront6targetE1EEEvT1_
                                        ; -- End function
	.section	.AMDGPU.csdata,"",@progbits
; Kernel info:
; codeLenInByte = 0
; NumSgprs: 6
; NumVgprs: 0
; NumAgprs: 0
; TotalNumVgprs: 0
; ScratchSize: 0
; MemoryBound: 0
; FloatMode: 240
; IeeeMode: 1
; LDSByteSize: 0 bytes/workgroup (compile time only)
; SGPRBlocks: 0
; VGPRBlocks: 0
; NumSGPRsForWavesPerEU: 6
; NumVGPRsForWavesPerEU: 1
; AccumOffset: 4
; Occupancy: 8
; WaveLimiterHint : 0
; COMPUTE_PGM_RSRC2:SCRATCH_EN: 0
; COMPUTE_PGM_RSRC2:USER_SGPR: 2
; COMPUTE_PGM_RSRC2:TRAP_HANDLER: 0
; COMPUTE_PGM_RSRC2:TGID_X_EN: 1
; COMPUTE_PGM_RSRC2:TGID_Y_EN: 0
; COMPUTE_PGM_RSRC2:TGID_Z_EN: 0
; COMPUTE_PGM_RSRC2:TIDIG_COMP_CNT: 0
; COMPUTE_PGM_RSRC3_GFX90A:ACCUM_OFFSET: 0
; COMPUTE_PGM_RSRC3_GFX90A:TG_SPLIT: 0
	.section	.text._ZN7rocprim17ROCPRIM_400000_NS6detail17trampoline_kernelINS0_14default_configENS1_25partition_config_selectorILNS1_17partition_subalgoE8ElNS0_10empty_typeEbEEZZNS1_14partition_implILS5_8ELb0ES3_jPKlPS6_PKS6_NS0_5tupleIJPlS6_EEENSE_IJSB_SB_EEENS0_18inequality_wrapperIN6hipcub16HIPCUB_304000_NS8EqualityEEESF_JS6_EEE10hipError_tPvRmT3_T4_T5_T6_T7_T9_mT8_P12ihipStream_tbDpT10_ENKUlT_T0_E_clISt17integral_constantIbLb0EES16_EEDaS11_S12_EUlS11_E_NS1_11comp_targetILNS1_3genE3ELNS1_11target_archE908ELNS1_3gpuE7ELNS1_3repE0EEENS1_30default_config_static_selectorELNS0_4arch9wavefront6targetE1EEEvT1_,"axG",@progbits,_ZN7rocprim17ROCPRIM_400000_NS6detail17trampoline_kernelINS0_14default_configENS1_25partition_config_selectorILNS1_17partition_subalgoE8ElNS0_10empty_typeEbEEZZNS1_14partition_implILS5_8ELb0ES3_jPKlPS6_PKS6_NS0_5tupleIJPlS6_EEENSE_IJSB_SB_EEENS0_18inequality_wrapperIN6hipcub16HIPCUB_304000_NS8EqualityEEESF_JS6_EEE10hipError_tPvRmT3_T4_T5_T6_T7_T9_mT8_P12ihipStream_tbDpT10_ENKUlT_T0_E_clISt17integral_constantIbLb0EES16_EEDaS11_S12_EUlS11_E_NS1_11comp_targetILNS1_3genE3ELNS1_11target_archE908ELNS1_3gpuE7ELNS1_3repE0EEENS1_30default_config_static_selectorELNS0_4arch9wavefront6targetE1EEEvT1_,comdat
	.protected	_ZN7rocprim17ROCPRIM_400000_NS6detail17trampoline_kernelINS0_14default_configENS1_25partition_config_selectorILNS1_17partition_subalgoE8ElNS0_10empty_typeEbEEZZNS1_14partition_implILS5_8ELb0ES3_jPKlPS6_PKS6_NS0_5tupleIJPlS6_EEENSE_IJSB_SB_EEENS0_18inequality_wrapperIN6hipcub16HIPCUB_304000_NS8EqualityEEESF_JS6_EEE10hipError_tPvRmT3_T4_T5_T6_T7_T9_mT8_P12ihipStream_tbDpT10_ENKUlT_T0_E_clISt17integral_constantIbLb0EES16_EEDaS11_S12_EUlS11_E_NS1_11comp_targetILNS1_3genE3ELNS1_11target_archE908ELNS1_3gpuE7ELNS1_3repE0EEENS1_30default_config_static_selectorELNS0_4arch9wavefront6targetE1EEEvT1_ ; -- Begin function _ZN7rocprim17ROCPRIM_400000_NS6detail17trampoline_kernelINS0_14default_configENS1_25partition_config_selectorILNS1_17partition_subalgoE8ElNS0_10empty_typeEbEEZZNS1_14partition_implILS5_8ELb0ES3_jPKlPS6_PKS6_NS0_5tupleIJPlS6_EEENSE_IJSB_SB_EEENS0_18inequality_wrapperIN6hipcub16HIPCUB_304000_NS8EqualityEEESF_JS6_EEE10hipError_tPvRmT3_T4_T5_T6_T7_T9_mT8_P12ihipStream_tbDpT10_ENKUlT_T0_E_clISt17integral_constantIbLb0EES16_EEDaS11_S12_EUlS11_E_NS1_11comp_targetILNS1_3genE3ELNS1_11target_archE908ELNS1_3gpuE7ELNS1_3repE0EEENS1_30default_config_static_selectorELNS0_4arch9wavefront6targetE1EEEvT1_
	.globl	_ZN7rocprim17ROCPRIM_400000_NS6detail17trampoline_kernelINS0_14default_configENS1_25partition_config_selectorILNS1_17partition_subalgoE8ElNS0_10empty_typeEbEEZZNS1_14partition_implILS5_8ELb0ES3_jPKlPS6_PKS6_NS0_5tupleIJPlS6_EEENSE_IJSB_SB_EEENS0_18inequality_wrapperIN6hipcub16HIPCUB_304000_NS8EqualityEEESF_JS6_EEE10hipError_tPvRmT3_T4_T5_T6_T7_T9_mT8_P12ihipStream_tbDpT10_ENKUlT_T0_E_clISt17integral_constantIbLb0EES16_EEDaS11_S12_EUlS11_E_NS1_11comp_targetILNS1_3genE3ELNS1_11target_archE908ELNS1_3gpuE7ELNS1_3repE0EEENS1_30default_config_static_selectorELNS0_4arch9wavefront6targetE1EEEvT1_
	.p2align	8
	.type	_ZN7rocprim17ROCPRIM_400000_NS6detail17trampoline_kernelINS0_14default_configENS1_25partition_config_selectorILNS1_17partition_subalgoE8ElNS0_10empty_typeEbEEZZNS1_14partition_implILS5_8ELb0ES3_jPKlPS6_PKS6_NS0_5tupleIJPlS6_EEENSE_IJSB_SB_EEENS0_18inequality_wrapperIN6hipcub16HIPCUB_304000_NS8EqualityEEESF_JS6_EEE10hipError_tPvRmT3_T4_T5_T6_T7_T9_mT8_P12ihipStream_tbDpT10_ENKUlT_T0_E_clISt17integral_constantIbLb0EES16_EEDaS11_S12_EUlS11_E_NS1_11comp_targetILNS1_3genE3ELNS1_11target_archE908ELNS1_3gpuE7ELNS1_3repE0EEENS1_30default_config_static_selectorELNS0_4arch9wavefront6targetE1EEEvT1_,@function
_ZN7rocprim17ROCPRIM_400000_NS6detail17trampoline_kernelINS0_14default_configENS1_25partition_config_selectorILNS1_17partition_subalgoE8ElNS0_10empty_typeEbEEZZNS1_14partition_implILS5_8ELb0ES3_jPKlPS6_PKS6_NS0_5tupleIJPlS6_EEENSE_IJSB_SB_EEENS0_18inequality_wrapperIN6hipcub16HIPCUB_304000_NS8EqualityEEESF_JS6_EEE10hipError_tPvRmT3_T4_T5_T6_T7_T9_mT8_P12ihipStream_tbDpT10_ENKUlT_T0_E_clISt17integral_constantIbLb0EES16_EEDaS11_S12_EUlS11_E_NS1_11comp_targetILNS1_3genE3ELNS1_11target_archE908ELNS1_3gpuE7ELNS1_3repE0EEENS1_30default_config_static_selectorELNS0_4arch9wavefront6targetE1EEEvT1_: ; @_ZN7rocprim17ROCPRIM_400000_NS6detail17trampoline_kernelINS0_14default_configENS1_25partition_config_selectorILNS1_17partition_subalgoE8ElNS0_10empty_typeEbEEZZNS1_14partition_implILS5_8ELb0ES3_jPKlPS6_PKS6_NS0_5tupleIJPlS6_EEENSE_IJSB_SB_EEENS0_18inequality_wrapperIN6hipcub16HIPCUB_304000_NS8EqualityEEESF_JS6_EEE10hipError_tPvRmT3_T4_T5_T6_T7_T9_mT8_P12ihipStream_tbDpT10_ENKUlT_T0_E_clISt17integral_constantIbLb0EES16_EEDaS11_S12_EUlS11_E_NS1_11comp_targetILNS1_3genE3ELNS1_11target_archE908ELNS1_3gpuE7ELNS1_3repE0EEENS1_30default_config_static_selectorELNS0_4arch9wavefront6targetE1EEEvT1_
; %bb.0:
	.section	.rodata,"a",@progbits
	.p2align	6, 0x0
	.amdhsa_kernel _ZN7rocprim17ROCPRIM_400000_NS6detail17trampoline_kernelINS0_14default_configENS1_25partition_config_selectorILNS1_17partition_subalgoE8ElNS0_10empty_typeEbEEZZNS1_14partition_implILS5_8ELb0ES3_jPKlPS6_PKS6_NS0_5tupleIJPlS6_EEENSE_IJSB_SB_EEENS0_18inequality_wrapperIN6hipcub16HIPCUB_304000_NS8EqualityEEESF_JS6_EEE10hipError_tPvRmT3_T4_T5_T6_T7_T9_mT8_P12ihipStream_tbDpT10_ENKUlT_T0_E_clISt17integral_constantIbLb0EES16_EEDaS11_S12_EUlS11_E_NS1_11comp_targetILNS1_3genE3ELNS1_11target_archE908ELNS1_3gpuE7ELNS1_3repE0EEENS1_30default_config_static_selectorELNS0_4arch9wavefront6targetE1EEEvT1_
		.amdhsa_group_segment_fixed_size 0
		.amdhsa_private_segment_fixed_size 0
		.amdhsa_kernarg_size 112
		.amdhsa_user_sgpr_count 2
		.amdhsa_user_sgpr_dispatch_ptr 0
		.amdhsa_user_sgpr_queue_ptr 0
		.amdhsa_user_sgpr_kernarg_segment_ptr 1
		.amdhsa_user_sgpr_dispatch_id 0
		.amdhsa_user_sgpr_kernarg_preload_length 0
		.amdhsa_user_sgpr_kernarg_preload_offset 0
		.amdhsa_user_sgpr_private_segment_size 0
		.amdhsa_uses_dynamic_stack 0
		.amdhsa_enable_private_segment 0
		.amdhsa_system_sgpr_workgroup_id_x 1
		.amdhsa_system_sgpr_workgroup_id_y 0
		.amdhsa_system_sgpr_workgroup_id_z 0
		.amdhsa_system_sgpr_workgroup_info 0
		.amdhsa_system_vgpr_workitem_id 0
		.amdhsa_next_free_vgpr 1
		.amdhsa_next_free_sgpr 0
		.amdhsa_accum_offset 4
		.amdhsa_reserve_vcc 0
		.amdhsa_float_round_mode_32 0
		.amdhsa_float_round_mode_16_64 0
		.amdhsa_float_denorm_mode_32 3
		.amdhsa_float_denorm_mode_16_64 3
		.amdhsa_dx10_clamp 1
		.amdhsa_ieee_mode 1
		.amdhsa_fp16_overflow 0
		.amdhsa_tg_split 0
		.amdhsa_exception_fp_ieee_invalid_op 0
		.amdhsa_exception_fp_denorm_src 0
		.amdhsa_exception_fp_ieee_div_zero 0
		.amdhsa_exception_fp_ieee_overflow 0
		.amdhsa_exception_fp_ieee_underflow 0
		.amdhsa_exception_fp_ieee_inexact 0
		.amdhsa_exception_int_div_zero 0
	.end_amdhsa_kernel
	.section	.text._ZN7rocprim17ROCPRIM_400000_NS6detail17trampoline_kernelINS0_14default_configENS1_25partition_config_selectorILNS1_17partition_subalgoE8ElNS0_10empty_typeEbEEZZNS1_14partition_implILS5_8ELb0ES3_jPKlPS6_PKS6_NS0_5tupleIJPlS6_EEENSE_IJSB_SB_EEENS0_18inequality_wrapperIN6hipcub16HIPCUB_304000_NS8EqualityEEESF_JS6_EEE10hipError_tPvRmT3_T4_T5_T6_T7_T9_mT8_P12ihipStream_tbDpT10_ENKUlT_T0_E_clISt17integral_constantIbLb0EES16_EEDaS11_S12_EUlS11_E_NS1_11comp_targetILNS1_3genE3ELNS1_11target_archE908ELNS1_3gpuE7ELNS1_3repE0EEENS1_30default_config_static_selectorELNS0_4arch9wavefront6targetE1EEEvT1_,"axG",@progbits,_ZN7rocprim17ROCPRIM_400000_NS6detail17trampoline_kernelINS0_14default_configENS1_25partition_config_selectorILNS1_17partition_subalgoE8ElNS0_10empty_typeEbEEZZNS1_14partition_implILS5_8ELb0ES3_jPKlPS6_PKS6_NS0_5tupleIJPlS6_EEENSE_IJSB_SB_EEENS0_18inequality_wrapperIN6hipcub16HIPCUB_304000_NS8EqualityEEESF_JS6_EEE10hipError_tPvRmT3_T4_T5_T6_T7_T9_mT8_P12ihipStream_tbDpT10_ENKUlT_T0_E_clISt17integral_constantIbLb0EES16_EEDaS11_S12_EUlS11_E_NS1_11comp_targetILNS1_3genE3ELNS1_11target_archE908ELNS1_3gpuE7ELNS1_3repE0EEENS1_30default_config_static_selectorELNS0_4arch9wavefront6targetE1EEEvT1_,comdat
.Lfunc_end482:
	.size	_ZN7rocprim17ROCPRIM_400000_NS6detail17trampoline_kernelINS0_14default_configENS1_25partition_config_selectorILNS1_17partition_subalgoE8ElNS0_10empty_typeEbEEZZNS1_14partition_implILS5_8ELb0ES3_jPKlPS6_PKS6_NS0_5tupleIJPlS6_EEENSE_IJSB_SB_EEENS0_18inequality_wrapperIN6hipcub16HIPCUB_304000_NS8EqualityEEESF_JS6_EEE10hipError_tPvRmT3_T4_T5_T6_T7_T9_mT8_P12ihipStream_tbDpT10_ENKUlT_T0_E_clISt17integral_constantIbLb0EES16_EEDaS11_S12_EUlS11_E_NS1_11comp_targetILNS1_3genE3ELNS1_11target_archE908ELNS1_3gpuE7ELNS1_3repE0EEENS1_30default_config_static_selectorELNS0_4arch9wavefront6targetE1EEEvT1_, .Lfunc_end482-_ZN7rocprim17ROCPRIM_400000_NS6detail17trampoline_kernelINS0_14default_configENS1_25partition_config_selectorILNS1_17partition_subalgoE8ElNS0_10empty_typeEbEEZZNS1_14partition_implILS5_8ELb0ES3_jPKlPS6_PKS6_NS0_5tupleIJPlS6_EEENSE_IJSB_SB_EEENS0_18inequality_wrapperIN6hipcub16HIPCUB_304000_NS8EqualityEEESF_JS6_EEE10hipError_tPvRmT3_T4_T5_T6_T7_T9_mT8_P12ihipStream_tbDpT10_ENKUlT_T0_E_clISt17integral_constantIbLb0EES16_EEDaS11_S12_EUlS11_E_NS1_11comp_targetILNS1_3genE3ELNS1_11target_archE908ELNS1_3gpuE7ELNS1_3repE0EEENS1_30default_config_static_selectorELNS0_4arch9wavefront6targetE1EEEvT1_
                                        ; -- End function
	.section	.AMDGPU.csdata,"",@progbits
; Kernel info:
; codeLenInByte = 0
; NumSgprs: 6
; NumVgprs: 0
; NumAgprs: 0
; TotalNumVgprs: 0
; ScratchSize: 0
; MemoryBound: 0
; FloatMode: 240
; IeeeMode: 1
; LDSByteSize: 0 bytes/workgroup (compile time only)
; SGPRBlocks: 0
; VGPRBlocks: 0
; NumSGPRsForWavesPerEU: 6
; NumVGPRsForWavesPerEU: 1
; AccumOffset: 4
; Occupancy: 8
; WaveLimiterHint : 0
; COMPUTE_PGM_RSRC2:SCRATCH_EN: 0
; COMPUTE_PGM_RSRC2:USER_SGPR: 2
; COMPUTE_PGM_RSRC2:TRAP_HANDLER: 0
; COMPUTE_PGM_RSRC2:TGID_X_EN: 1
; COMPUTE_PGM_RSRC2:TGID_Y_EN: 0
; COMPUTE_PGM_RSRC2:TGID_Z_EN: 0
; COMPUTE_PGM_RSRC2:TIDIG_COMP_CNT: 0
; COMPUTE_PGM_RSRC3_GFX90A:ACCUM_OFFSET: 0
; COMPUTE_PGM_RSRC3_GFX90A:TG_SPLIT: 0
	.section	.text._ZN7rocprim17ROCPRIM_400000_NS6detail17trampoline_kernelINS0_14default_configENS1_25partition_config_selectorILNS1_17partition_subalgoE8ElNS0_10empty_typeEbEEZZNS1_14partition_implILS5_8ELb0ES3_jPKlPS6_PKS6_NS0_5tupleIJPlS6_EEENSE_IJSB_SB_EEENS0_18inequality_wrapperIN6hipcub16HIPCUB_304000_NS8EqualityEEESF_JS6_EEE10hipError_tPvRmT3_T4_T5_T6_T7_T9_mT8_P12ihipStream_tbDpT10_ENKUlT_T0_E_clISt17integral_constantIbLb0EES16_EEDaS11_S12_EUlS11_E_NS1_11comp_targetILNS1_3genE2ELNS1_11target_archE906ELNS1_3gpuE6ELNS1_3repE0EEENS1_30default_config_static_selectorELNS0_4arch9wavefront6targetE1EEEvT1_,"axG",@progbits,_ZN7rocprim17ROCPRIM_400000_NS6detail17trampoline_kernelINS0_14default_configENS1_25partition_config_selectorILNS1_17partition_subalgoE8ElNS0_10empty_typeEbEEZZNS1_14partition_implILS5_8ELb0ES3_jPKlPS6_PKS6_NS0_5tupleIJPlS6_EEENSE_IJSB_SB_EEENS0_18inequality_wrapperIN6hipcub16HIPCUB_304000_NS8EqualityEEESF_JS6_EEE10hipError_tPvRmT3_T4_T5_T6_T7_T9_mT8_P12ihipStream_tbDpT10_ENKUlT_T0_E_clISt17integral_constantIbLb0EES16_EEDaS11_S12_EUlS11_E_NS1_11comp_targetILNS1_3genE2ELNS1_11target_archE906ELNS1_3gpuE6ELNS1_3repE0EEENS1_30default_config_static_selectorELNS0_4arch9wavefront6targetE1EEEvT1_,comdat
	.protected	_ZN7rocprim17ROCPRIM_400000_NS6detail17trampoline_kernelINS0_14default_configENS1_25partition_config_selectorILNS1_17partition_subalgoE8ElNS0_10empty_typeEbEEZZNS1_14partition_implILS5_8ELb0ES3_jPKlPS6_PKS6_NS0_5tupleIJPlS6_EEENSE_IJSB_SB_EEENS0_18inequality_wrapperIN6hipcub16HIPCUB_304000_NS8EqualityEEESF_JS6_EEE10hipError_tPvRmT3_T4_T5_T6_T7_T9_mT8_P12ihipStream_tbDpT10_ENKUlT_T0_E_clISt17integral_constantIbLb0EES16_EEDaS11_S12_EUlS11_E_NS1_11comp_targetILNS1_3genE2ELNS1_11target_archE906ELNS1_3gpuE6ELNS1_3repE0EEENS1_30default_config_static_selectorELNS0_4arch9wavefront6targetE1EEEvT1_ ; -- Begin function _ZN7rocprim17ROCPRIM_400000_NS6detail17trampoline_kernelINS0_14default_configENS1_25partition_config_selectorILNS1_17partition_subalgoE8ElNS0_10empty_typeEbEEZZNS1_14partition_implILS5_8ELb0ES3_jPKlPS6_PKS6_NS0_5tupleIJPlS6_EEENSE_IJSB_SB_EEENS0_18inequality_wrapperIN6hipcub16HIPCUB_304000_NS8EqualityEEESF_JS6_EEE10hipError_tPvRmT3_T4_T5_T6_T7_T9_mT8_P12ihipStream_tbDpT10_ENKUlT_T0_E_clISt17integral_constantIbLb0EES16_EEDaS11_S12_EUlS11_E_NS1_11comp_targetILNS1_3genE2ELNS1_11target_archE906ELNS1_3gpuE6ELNS1_3repE0EEENS1_30default_config_static_selectorELNS0_4arch9wavefront6targetE1EEEvT1_
	.globl	_ZN7rocprim17ROCPRIM_400000_NS6detail17trampoline_kernelINS0_14default_configENS1_25partition_config_selectorILNS1_17partition_subalgoE8ElNS0_10empty_typeEbEEZZNS1_14partition_implILS5_8ELb0ES3_jPKlPS6_PKS6_NS0_5tupleIJPlS6_EEENSE_IJSB_SB_EEENS0_18inequality_wrapperIN6hipcub16HIPCUB_304000_NS8EqualityEEESF_JS6_EEE10hipError_tPvRmT3_T4_T5_T6_T7_T9_mT8_P12ihipStream_tbDpT10_ENKUlT_T0_E_clISt17integral_constantIbLb0EES16_EEDaS11_S12_EUlS11_E_NS1_11comp_targetILNS1_3genE2ELNS1_11target_archE906ELNS1_3gpuE6ELNS1_3repE0EEENS1_30default_config_static_selectorELNS0_4arch9wavefront6targetE1EEEvT1_
	.p2align	8
	.type	_ZN7rocprim17ROCPRIM_400000_NS6detail17trampoline_kernelINS0_14default_configENS1_25partition_config_selectorILNS1_17partition_subalgoE8ElNS0_10empty_typeEbEEZZNS1_14partition_implILS5_8ELb0ES3_jPKlPS6_PKS6_NS0_5tupleIJPlS6_EEENSE_IJSB_SB_EEENS0_18inequality_wrapperIN6hipcub16HIPCUB_304000_NS8EqualityEEESF_JS6_EEE10hipError_tPvRmT3_T4_T5_T6_T7_T9_mT8_P12ihipStream_tbDpT10_ENKUlT_T0_E_clISt17integral_constantIbLb0EES16_EEDaS11_S12_EUlS11_E_NS1_11comp_targetILNS1_3genE2ELNS1_11target_archE906ELNS1_3gpuE6ELNS1_3repE0EEENS1_30default_config_static_selectorELNS0_4arch9wavefront6targetE1EEEvT1_,@function
_ZN7rocprim17ROCPRIM_400000_NS6detail17trampoline_kernelINS0_14default_configENS1_25partition_config_selectorILNS1_17partition_subalgoE8ElNS0_10empty_typeEbEEZZNS1_14partition_implILS5_8ELb0ES3_jPKlPS6_PKS6_NS0_5tupleIJPlS6_EEENSE_IJSB_SB_EEENS0_18inequality_wrapperIN6hipcub16HIPCUB_304000_NS8EqualityEEESF_JS6_EEE10hipError_tPvRmT3_T4_T5_T6_T7_T9_mT8_P12ihipStream_tbDpT10_ENKUlT_T0_E_clISt17integral_constantIbLb0EES16_EEDaS11_S12_EUlS11_E_NS1_11comp_targetILNS1_3genE2ELNS1_11target_archE906ELNS1_3gpuE6ELNS1_3repE0EEENS1_30default_config_static_selectorELNS0_4arch9wavefront6targetE1EEEvT1_: ; @_ZN7rocprim17ROCPRIM_400000_NS6detail17trampoline_kernelINS0_14default_configENS1_25partition_config_selectorILNS1_17partition_subalgoE8ElNS0_10empty_typeEbEEZZNS1_14partition_implILS5_8ELb0ES3_jPKlPS6_PKS6_NS0_5tupleIJPlS6_EEENSE_IJSB_SB_EEENS0_18inequality_wrapperIN6hipcub16HIPCUB_304000_NS8EqualityEEESF_JS6_EEE10hipError_tPvRmT3_T4_T5_T6_T7_T9_mT8_P12ihipStream_tbDpT10_ENKUlT_T0_E_clISt17integral_constantIbLb0EES16_EEDaS11_S12_EUlS11_E_NS1_11comp_targetILNS1_3genE2ELNS1_11target_archE906ELNS1_3gpuE6ELNS1_3repE0EEENS1_30default_config_static_selectorELNS0_4arch9wavefront6targetE1EEEvT1_
; %bb.0:
	.section	.rodata,"a",@progbits
	.p2align	6, 0x0
	.amdhsa_kernel _ZN7rocprim17ROCPRIM_400000_NS6detail17trampoline_kernelINS0_14default_configENS1_25partition_config_selectorILNS1_17partition_subalgoE8ElNS0_10empty_typeEbEEZZNS1_14partition_implILS5_8ELb0ES3_jPKlPS6_PKS6_NS0_5tupleIJPlS6_EEENSE_IJSB_SB_EEENS0_18inequality_wrapperIN6hipcub16HIPCUB_304000_NS8EqualityEEESF_JS6_EEE10hipError_tPvRmT3_T4_T5_T6_T7_T9_mT8_P12ihipStream_tbDpT10_ENKUlT_T0_E_clISt17integral_constantIbLb0EES16_EEDaS11_S12_EUlS11_E_NS1_11comp_targetILNS1_3genE2ELNS1_11target_archE906ELNS1_3gpuE6ELNS1_3repE0EEENS1_30default_config_static_selectorELNS0_4arch9wavefront6targetE1EEEvT1_
		.amdhsa_group_segment_fixed_size 0
		.amdhsa_private_segment_fixed_size 0
		.amdhsa_kernarg_size 112
		.amdhsa_user_sgpr_count 2
		.amdhsa_user_sgpr_dispatch_ptr 0
		.amdhsa_user_sgpr_queue_ptr 0
		.amdhsa_user_sgpr_kernarg_segment_ptr 1
		.amdhsa_user_sgpr_dispatch_id 0
		.amdhsa_user_sgpr_kernarg_preload_length 0
		.amdhsa_user_sgpr_kernarg_preload_offset 0
		.amdhsa_user_sgpr_private_segment_size 0
		.amdhsa_uses_dynamic_stack 0
		.amdhsa_enable_private_segment 0
		.amdhsa_system_sgpr_workgroup_id_x 1
		.amdhsa_system_sgpr_workgroup_id_y 0
		.amdhsa_system_sgpr_workgroup_id_z 0
		.amdhsa_system_sgpr_workgroup_info 0
		.amdhsa_system_vgpr_workitem_id 0
		.amdhsa_next_free_vgpr 1
		.amdhsa_next_free_sgpr 0
		.amdhsa_accum_offset 4
		.amdhsa_reserve_vcc 0
		.amdhsa_float_round_mode_32 0
		.amdhsa_float_round_mode_16_64 0
		.amdhsa_float_denorm_mode_32 3
		.amdhsa_float_denorm_mode_16_64 3
		.amdhsa_dx10_clamp 1
		.amdhsa_ieee_mode 1
		.amdhsa_fp16_overflow 0
		.amdhsa_tg_split 0
		.amdhsa_exception_fp_ieee_invalid_op 0
		.amdhsa_exception_fp_denorm_src 0
		.amdhsa_exception_fp_ieee_div_zero 0
		.amdhsa_exception_fp_ieee_overflow 0
		.amdhsa_exception_fp_ieee_underflow 0
		.amdhsa_exception_fp_ieee_inexact 0
		.amdhsa_exception_int_div_zero 0
	.end_amdhsa_kernel
	.section	.text._ZN7rocprim17ROCPRIM_400000_NS6detail17trampoline_kernelINS0_14default_configENS1_25partition_config_selectorILNS1_17partition_subalgoE8ElNS0_10empty_typeEbEEZZNS1_14partition_implILS5_8ELb0ES3_jPKlPS6_PKS6_NS0_5tupleIJPlS6_EEENSE_IJSB_SB_EEENS0_18inequality_wrapperIN6hipcub16HIPCUB_304000_NS8EqualityEEESF_JS6_EEE10hipError_tPvRmT3_T4_T5_T6_T7_T9_mT8_P12ihipStream_tbDpT10_ENKUlT_T0_E_clISt17integral_constantIbLb0EES16_EEDaS11_S12_EUlS11_E_NS1_11comp_targetILNS1_3genE2ELNS1_11target_archE906ELNS1_3gpuE6ELNS1_3repE0EEENS1_30default_config_static_selectorELNS0_4arch9wavefront6targetE1EEEvT1_,"axG",@progbits,_ZN7rocprim17ROCPRIM_400000_NS6detail17trampoline_kernelINS0_14default_configENS1_25partition_config_selectorILNS1_17partition_subalgoE8ElNS0_10empty_typeEbEEZZNS1_14partition_implILS5_8ELb0ES3_jPKlPS6_PKS6_NS0_5tupleIJPlS6_EEENSE_IJSB_SB_EEENS0_18inequality_wrapperIN6hipcub16HIPCUB_304000_NS8EqualityEEESF_JS6_EEE10hipError_tPvRmT3_T4_T5_T6_T7_T9_mT8_P12ihipStream_tbDpT10_ENKUlT_T0_E_clISt17integral_constantIbLb0EES16_EEDaS11_S12_EUlS11_E_NS1_11comp_targetILNS1_3genE2ELNS1_11target_archE906ELNS1_3gpuE6ELNS1_3repE0EEENS1_30default_config_static_selectorELNS0_4arch9wavefront6targetE1EEEvT1_,comdat
.Lfunc_end483:
	.size	_ZN7rocprim17ROCPRIM_400000_NS6detail17trampoline_kernelINS0_14default_configENS1_25partition_config_selectorILNS1_17partition_subalgoE8ElNS0_10empty_typeEbEEZZNS1_14partition_implILS5_8ELb0ES3_jPKlPS6_PKS6_NS0_5tupleIJPlS6_EEENSE_IJSB_SB_EEENS0_18inequality_wrapperIN6hipcub16HIPCUB_304000_NS8EqualityEEESF_JS6_EEE10hipError_tPvRmT3_T4_T5_T6_T7_T9_mT8_P12ihipStream_tbDpT10_ENKUlT_T0_E_clISt17integral_constantIbLb0EES16_EEDaS11_S12_EUlS11_E_NS1_11comp_targetILNS1_3genE2ELNS1_11target_archE906ELNS1_3gpuE6ELNS1_3repE0EEENS1_30default_config_static_selectorELNS0_4arch9wavefront6targetE1EEEvT1_, .Lfunc_end483-_ZN7rocprim17ROCPRIM_400000_NS6detail17trampoline_kernelINS0_14default_configENS1_25partition_config_selectorILNS1_17partition_subalgoE8ElNS0_10empty_typeEbEEZZNS1_14partition_implILS5_8ELb0ES3_jPKlPS6_PKS6_NS0_5tupleIJPlS6_EEENSE_IJSB_SB_EEENS0_18inequality_wrapperIN6hipcub16HIPCUB_304000_NS8EqualityEEESF_JS6_EEE10hipError_tPvRmT3_T4_T5_T6_T7_T9_mT8_P12ihipStream_tbDpT10_ENKUlT_T0_E_clISt17integral_constantIbLb0EES16_EEDaS11_S12_EUlS11_E_NS1_11comp_targetILNS1_3genE2ELNS1_11target_archE906ELNS1_3gpuE6ELNS1_3repE0EEENS1_30default_config_static_selectorELNS0_4arch9wavefront6targetE1EEEvT1_
                                        ; -- End function
	.section	.AMDGPU.csdata,"",@progbits
; Kernel info:
; codeLenInByte = 0
; NumSgprs: 6
; NumVgprs: 0
; NumAgprs: 0
; TotalNumVgprs: 0
; ScratchSize: 0
; MemoryBound: 0
; FloatMode: 240
; IeeeMode: 1
; LDSByteSize: 0 bytes/workgroup (compile time only)
; SGPRBlocks: 0
; VGPRBlocks: 0
; NumSGPRsForWavesPerEU: 6
; NumVGPRsForWavesPerEU: 1
; AccumOffset: 4
; Occupancy: 8
; WaveLimiterHint : 0
; COMPUTE_PGM_RSRC2:SCRATCH_EN: 0
; COMPUTE_PGM_RSRC2:USER_SGPR: 2
; COMPUTE_PGM_RSRC2:TRAP_HANDLER: 0
; COMPUTE_PGM_RSRC2:TGID_X_EN: 1
; COMPUTE_PGM_RSRC2:TGID_Y_EN: 0
; COMPUTE_PGM_RSRC2:TGID_Z_EN: 0
; COMPUTE_PGM_RSRC2:TIDIG_COMP_CNT: 0
; COMPUTE_PGM_RSRC3_GFX90A:ACCUM_OFFSET: 0
; COMPUTE_PGM_RSRC3_GFX90A:TG_SPLIT: 0
	.section	.text._ZN7rocprim17ROCPRIM_400000_NS6detail17trampoline_kernelINS0_14default_configENS1_25partition_config_selectorILNS1_17partition_subalgoE8ElNS0_10empty_typeEbEEZZNS1_14partition_implILS5_8ELb0ES3_jPKlPS6_PKS6_NS0_5tupleIJPlS6_EEENSE_IJSB_SB_EEENS0_18inequality_wrapperIN6hipcub16HIPCUB_304000_NS8EqualityEEESF_JS6_EEE10hipError_tPvRmT3_T4_T5_T6_T7_T9_mT8_P12ihipStream_tbDpT10_ENKUlT_T0_E_clISt17integral_constantIbLb0EES16_EEDaS11_S12_EUlS11_E_NS1_11comp_targetILNS1_3genE10ELNS1_11target_archE1200ELNS1_3gpuE4ELNS1_3repE0EEENS1_30default_config_static_selectorELNS0_4arch9wavefront6targetE1EEEvT1_,"axG",@progbits,_ZN7rocprim17ROCPRIM_400000_NS6detail17trampoline_kernelINS0_14default_configENS1_25partition_config_selectorILNS1_17partition_subalgoE8ElNS0_10empty_typeEbEEZZNS1_14partition_implILS5_8ELb0ES3_jPKlPS6_PKS6_NS0_5tupleIJPlS6_EEENSE_IJSB_SB_EEENS0_18inequality_wrapperIN6hipcub16HIPCUB_304000_NS8EqualityEEESF_JS6_EEE10hipError_tPvRmT3_T4_T5_T6_T7_T9_mT8_P12ihipStream_tbDpT10_ENKUlT_T0_E_clISt17integral_constantIbLb0EES16_EEDaS11_S12_EUlS11_E_NS1_11comp_targetILNS1_3genE10ELNS1_11target_archE1200ELNS1_3gpuE4ELNS1_3repE0EEENS1_30default_config_static_selectorELNS0_4arch9wavefront6targetE1EEEvT1_,comdat
	.protected	_ZN7rocprim17ROCPRIM_400000_NS6detail17trampoline_kernelINS0_14default_configENS1_25partition_config_selectorILNS1_17partition_subalgoE8ElNS0_10empty_typeEbEEZZNS1_14partition_implILS5_8ELb0ES3_jPKlPS6_PKS6_NS0_5tupleIJPlS6_EEENSE_IJSB_SB_EEENS0_18inequality_wrapperIN6hipcub16HIPCUB_304000_NS8EqualityEEESF_JS6_EEE10hipError_tPvRmT3_T4_T5_T6_T7_T9_mT8_P12ihipStream_tbDpT10_ENKUlT_T0_E_clISt17integral_constantIbLb0EES16_EEDaS11_S12_EUlS11_E_NS1_11comp_targetILNS1_3genE10ELNS1_11target_archE1200ELNS1_3gpuE4ELNS1_3repE0EEENS1_30default_config_static_selectorELNS0_4arch9wavefront6targetE1EEEvT1_ ; -- Begin function _ZN7rocprim17ROCPRIM_400000_NS6detail17trampoline_kernelINS0_14default_configENS1_25partition_config_selectorILNS1_17partition_subalgoE8ElNS0_10empty_typeEbEEZZNS1_14partition_implILS5_8ELb0ES3_jPKlPS6_PKS6_NS0_5tupleIJPlS6_EEENSE_IJSB_SB_EEENS0_18inequality_wrapperIN6hipcub16HIPCUB_304000_NS8EqualityEEESF_JS6_EEE10hipError_tPvRmT3_T4_T5_T6_T7_T9_mT8_P12ihipStream_tbDpT10_ENKUlT_T0_E_clISt17integral_constantIbLb0EES16_EEDaS11_S12_EUlS11_E_NS1_11comp_targetILNS1_3genE10ELNS1_11target_archE1200ELNS1_3gpuE4ELNS1_3repE0EEENS1_30default_config_static_selectorELNS0_4arch9wavefront6targetE1EEEvT1_
	.globl	_ZN7rocprim17ROCPRIM_400000_NS6detail17trampoline_kernelINS0_14default_configENS1_25partition_config_selectorILNS1_17partition_subalgoE8ElNS0_10empty_typeEbEEZZNS1_14partition_implILS5_8ELb0ES3_jPKlPS6_PKS6_NS0_5tupleIJPlS6_EEENSE_IJSB_SB_EEENS0_18inequality_wrapperIN6hipcub16HIPCUB_304000_NS8EqualityEEESF_JS6_EEE10hipError_tPvRmT3_T4_T5_T6_T7_T9_mT8_P12ihipStream_tbDpT10_ENKUlT_T0_E_clISt17integral_constantIbLb0EES16_EEDaS11_S12_EUlS11_E_NS1_11comp_targetILNS1_3genE10ELNS1_11target_archE1200ELNS1_3gpuE4ELNS1_3repE0EEENS1_30default_config_static_selectorELNS0_4arch9wavefront6targetE1EEEvT1_
	.p2align	8
	.type	_ZN7rocprim17ROCPRIM_400000_NS6detail17trampoline_kernelINS0_14default_configENS1_25partition_config_selectorILNS1_17partition_subalgoE8ElNS0_10empty_typeEbEEZZNS1_14partition_implILS5_8ELb0ES3_jPKlPS6_PKS6_NS0_5tupleIJPlS6_EEENSE_IJSB_SB_EEENS0_18inequality_wrapperIN6hipcub16HIPCUB_304000_NS8EqualityEEESF_JS6_EEE10hipError_tPvRmT3_T4_T5_T6_T7_T9_mT8_P12ihipStream_tbDpT10_ENKUlT_T0_E_clISt17integral_constantIbLb0EES16_EEDaS11_S12_EUlS11_E_NS1_11comp_targetILNS1_3genE10ELNS1_11target_archE1200ELNS1_3gpuE4ELNS1_3repE0EEENS1_30default_config_static_selectorELNS0_4arch9wavefront6targetE1EEEvT1_,@function
_ZN7rocprim17ROCPRIM_400000_NS6detail17trampoline_kernelINS0_14default_configENS1_25partition_config_selectorILNS1_17partition_subalgoE8ElNS0_10empty_typeEbEEZZNS1_14partition_implILS5_8ELb0ES3_jPKlPS6_PKS6_NS0_5tupleIJPlS6_EEENSE_IJSB_SB_EEENS0_18inequality_wrapperIN6hipcub16HIPCUB_304000_NS8EqualityEEESF_JS6_EEE10hipError_tPvRmT3_T4_T5_T6_T7_T9_mT8_P12ihipStream_tbDpT10_ENKUlT_T0_E_clISt17integral_constantIbLb0EES16_EEDaS11_S12_EUlS11_E_NS1_11comp_targetILNS1_3genE10ELNS1_11target_archE1200ELNS1_3gpuE4ELNS1_3repE0EEENS1_30default_config_static_selectorELNS0_4arch9wavefront6targetE1EEEvT1_: ; @_ZN7rocprim17ROCPRIM_400000_NS6detail17trampoline_kernelINS0_14default_configENS1_25partition_config_selectorILNS1_17partition_subalgoE8ElNS0_10empty_typeEbEEZZNS1_14partition_implILS5_8ELb0ES3_jPKlPS6_PKS6_NS0_5tupleIJPlS6_EEENSE_IJSB_SB_EEENS0_18inequality_wrapperIN6hipcub16HIPCUB_304000_NS8EqualityEEESF_JS6_EEE10hipError_tPvRmT3_T4_T5_T6_T7_T9_mT8_P12ihipStream_tbDpT10_ENKUlT_T0_E_clISt17integral_constantIbLb0EES16_EEDaS11_S12_EUlS11_E_NS1_11comp_targetILNS1_3genE10ELNS1_11target_archE1200ELNS1_3gpuE4ELNS1_3repE0EEENS1_30default_config_static_selectorELNS0_4arch9wavefront6targetE1EEEvT1_
; %bb.0:
	.section	.rodata,"a",@progbits
	.p2align	6, 0x0
	.amdhsa_kernel _ZN7rocprim17ROCPRIM_400000_NS6detail17trampoline_kernelINS0_14default_configENS1_25partition_config_selectorILNS1_17partition_subalgoE8ElNS0_10empty_typeEbEEZZNS1_14partition_implILS5_8ELb0ES3_jPKlPS6_PKS6_NS0_5tupleIJPlS6_EEENSE_IJSB_SB_EEENS0_18inequality_wrapperIN6hipcub16HIPCUB_304000_NS8EqualityEEESF_JS6_EEE10hipError_tPvRmT3_T4_T5_T6_T7_T9_mT8_P12ihipStream_tbDpT10_ENKUlT_T0_E_clISt17integral_constantIbLb0EES16_EEDaS11_S12_EUlS11_E_NS1_11comp_targetILNS1_3genE10ELNS1_11target_archE1200ELNS1_3gpuE4ELNS1_3repE0EEENS1_30default_config_static_selectorELNS0_4arch9wavefront6targetE1EEEvT1_
		.amdhsa_group_segment_fixed_size 0
		.amdhsa_private_segment_fixed_size 0
		.amdhsa_kernarg_size 112
		.amdhsa_user_sgpr_count 2
		.amdhsa_user_sgpr_dispatch_ptr 0
		.amdhsa_user_sgpr_queue_ptr 0
		.amdhsa_user_sgpr_kernarg_segment_ptr 1
		.amdhsa_user_sgpr_dispatch_id 0
		.amdhsa_user_sgpr_kernarg_preload_length 0
		.amdhsa_user_sgpr_kernarg_preload_offset 0
		.amdhsa_user_sgpr_private_segment_size 0
		.amdhsa_uses_dynamic_stack 0
		.amdhsa_enable_private_segment 0
		.amdhsa_system_sgpr_workgroup_id_x 1
		.amdhsa_system_sgpr_workgroup_id_y 0
		.amdhsa_system_sgpr_workgroup_id_z 0
		.amdhsa_system_sgpr_workgroup_info 0
		.amdhsa_system_vgpr_workitem_id 0
		.amdhsa_next_free_vgpr 1
		.amdhsa_next_free_sgpr 0
		.amdhsa_accum_offset 4
		.amdhsa_reserve_vcc 0
		.amdhsa_float_round_mode_32 0
		.amdhsa_float_round_mode_16_64 0
		.amdhsa_float_denorm_mode_32 3
		.amdhsa_float_denorm_mode_16_64 3
		.amdhsa_dx10_clamp 1
		.amdhsa_ieee_mode 1
		.amdhsa_fp16_overflow 0
		.amdhsa_tg_split 0
		.amdhsa_exception_fp_ieee_invalid_op 0
		.amdhsa_exception_fp_denorm_src 0
		.amdhsa_exception_fp_ieee_div_zero 0
		.amdhsa_exception_fp_ieee_overflow 0
		.amdhsa_exception_fp_ieee_underflow 0
		.amdhsa_exception_fp_ieee_inexact 0
		.amdhsa_exception_int_div_zero 0
	.end_amdhsa_kernel
	.section	.text._ZN7rocprim17ROCPRIM_400000_NS6detail17trampoline_kernelINS0_14default_configENS1_25partition_config_selectorILNS1_17partition_subalgoE8ElNS0_10empty_typeEbEEZZNS1_14partition_implILS5_8ELb0ES3_jPKlPS6_PKS6_NS0_5tupleIJPlS6_EEENSE_IJSB_SB_EEENS0_18inequality_wrapperIN6hipcub16HIPCUB_304000_NS8EqualityEEESF_JS6_EEE10hipError_tPvRmT3_T4_T5_T6_T7_T9_mT8_P12ihipStream_tbDpT10_ENKUlT_T0_E_clISt17integral_constantIbLb0EES16_EEDaS11_S12_EUlS11_E_NS1_11comp_targetILNS1_3genE10ELNS1_11target_archE1200ELNS1_3gpuE4ELNS1_3repE0EEENS1_30default_config_static_selectorELNS0_4arch9wavefront6targetE1EEEvT1_,"axG",@progbits,_ZN7rocprim17ROCPRIM_400000_NS6detail17trampoline_kernelINS0_14default_configENS1_25partition_config_selectorILNS1_17partition_subalgoE8ElNS0_10empty_typeEbEEZZNS1_14partition_implILS5_8ELb0ES3_jPKlPS6_PKS6_NS0_5tupleIJPlS6_EEENSE_IJSB_SB_EEENS0_18inequality_wrapperIN6hipcub16HIPCUB_304000_NS8EqualityEEESF_JS6_EEE10hipError_tPvRmT3_T4_T5_T6_T7_T9_mT8_P12ihipStream_tbDpT10_ENKUlT_T0_E_clISt17integral_constantIbLb0EES16_EEDaS11_S12_EUlS11_E_NS1_11comp_targetILNS1_3genE10ELNS1_11target_archE1200ELNS1_3gpuE4ELNS1_3repE0EEENS1_30default_config_static_selectorELNS0_4arch9wavefront6targetE1EEEvT1_,comdat
.Lfunc_end484:
	.size	_ZN7rocprim17ROCPRIM_400000_NS6detail17trampoline_kernelINS0_14default_configENS1_25partition_config_selectorILNS1_17partition_subalgoE8ElNS0_10empty_typeEbEEZZNS1_14partition_implILS5_8ELb0ES3_jPKlPS6_PKS6_NS0_5tupleIJPlS6_EEENSE_IJSB_SB_EEENS0_18inequality_wrapperIN6hipcub16HIPCUB_304000_NS8EqualityEEESF_JS6_EEE10hipError_tPvRmT3_T4_T5_T6_T7_T9_mT8_P12ihipStream_tbDpT10_ENKUlT_T0_E_clISt17integral_constantIbLb0EES16_EEDaS11_S12_EUlS11_E_NS1_11comp_targetILNS1_3genE10ELNS1_11target_archE1200ELNS1_3gpuE4ELNS1_3repE0EEENS1_30default_config_static_selectorELNS0_4arch9wavefront6targetE1EEEvT1_, .Lfunc_end484-_ZN7rocprim17ROCPRIM_400000_NS6detail17trampoline_kernelINS0_14default_configENS1_25partition_config_selectorILNS1_17partition_subalgoE8ElNS0_10empty_typeEbEEZZNS1_14partition_implILS5_8ELb0ES3_jPKlPS6_PKS6_NS0_5tupleIJPlS6_EEENSE_IJSB_SB_EEENS0_18inequality_wrapperIN6hipcub16HIPCUB_304000_NS8EqualityEEESF_JS6_EEE10hipError_tPvRmT3_T4_T5_T6_T7_T9_mT8_P12ihipStream_tbDpT10_ENKUlT_T0_E_clISt17integral_constantIbLb0EES16_EEDaS11_S12_EUlS11_E_NS1_11comp_targetILNS1_3genE10ELNS1_11target_archE1200ELNS1_3gpuE4ELNS1_3repE0EEENS1_30default_config_static_selectorELNS0_4arch9wavefront6targetE1EEEvT1_
                                        ; -- End function
	.section	.AMDGPU.csdata,"",@progbits
; Kernel info:
; codeLenInByte = 0
; NumSgprs: 6
; NumVgprs: 0
; NumAgprs: 0
; TotalNumVgprs: 0
; ScratchSize: 0
; MemoryBound: 0
; FloatMode: 240
; IeeeMode: 1
; LDSByteSize: 0 bytes/workgroup (compile time only)
; SGPRBlocks: 0
; VGPRBlocks: 0
; NumSGPRsForWavesPerEU: 6
; NumVGPRsForWavesPerEU: 1
; AccumOffset: 4
; Occupancy: 8
; WaveLimiterHint : 0
; COMPUTE_PGM_RSRC2:SCRATCH_EN: 0
; COMPUTE_PGM_RSRC2:USER_SGPR: 2
; COMPUTE_PGM_RSRC2:TRAP_HANDLER: 0
; COMPUTE_PGM_RSRC2:TGID_X_EN: 1
; COMPUTE_PGM_RSRC2:TGID_Y_EN: 0
; COMPUTE_PGM_RSRC2:TGID_Z_EN: 0
; COMPUTE_PGM_RSRC2:TIDIG_COMP_CNT: 0
; COMPUTE_PGM_RSRC3_GFX90A:ACCUM_OFFSET: 0
; COMPUTE_PGM_RSRC3_GFX90A:TG_SPLIT: 0
	.section	.text._ZN7rocprim17ROCPRIM_400000_NS6detail17trampoline_kernelINS0_14default_configENS1_25partition_config_selectorILNS1_17partition_subalgoE8ElNS0_10empty_typeEbEEZZNS1_14partition_implILS5_8ELb0ES3_jPKlPS6_PKS6_NS0_5tupleIJPlS6_EEENSE_IJSB_SB_EEENS0_18inequality_wrapperIN6hipcub16HIPCUB_304000_NS8EqualityEEESF_JS6_EEE10hipError_tPvRmT3_T4_T5_T6_T7_T9_mT8_P12ihipStream_tbDpT10_ENKUlT_T0_E_clISt17integral_constantIbLb0EES16_EEDaS11_S12_EUlS11_E_NS1_11comp_targetILNS1_3genE9ELNS1_11target_archE1100ELNS1_3gpuE3ELNS1_3repE0EEENS1_30default_config_static_selectorELNS0_4arch9wavefront6targetE1EEEvT1_,"axG",@progbits,_ZN7rocprim17ROCPRIM_400000_NS6detail17trampoline_kernelINS0_14default_configENS1_25partition_config_selectorILNS1_17partition_subalgoE8ElNS0_10empty_typeEbEEZZNS1_14partition_implILS5_8ELb0ES3_jPKlPS6_PKS6_NS0_5tupleIJPlS6_EEENSE_IJSB_SB_EEENS0_18inequality_wrapperIN6hipcub16HIPCUB_304000_NS8EqualityEEESF_JS6_EEE10hipError_tPvRmT3_T4_T5_T6_T7_T9_mT8_P12ihipStream_tbDpT10_ENKUlT_T0_E_clISt17integral_constantIbLb0EES16_EEDaS11_S12_EUlS11_E_NS1_11comp_targetILNS1_3genE9ELNS1_11target_archE1100ELNS1_3gpuE3ELNS1_3repE0EEENS1_30default_config_static_selectorELNS0_4arch9wavefront6targetE1EEEvT1_,comdat
	.protected	_ZN7rocprim17ROCPRIM_400000_NS6detail17trampoline_kernelINS0_14default_configENS1_25partition_config_selectorILNS1_17partition_subalgoE8ElNS0_10empty_typeEbEEZZNS1_14partition_implILS5_8ELb0ES3_jPKlPS6_PKS6_NS0_5tupleIJPlS6_EEENSE_IJSB_SB_EEENS0_18inequality_wrapperIN6hipcub16HIPCUB_304000_NS8EqualityEEESF_JS6_EEE10hipError_tPvRmT3_T4_T5_T6_T7_T9_mT8_P12ihipStream_tbDpT10_ENKUlT_T0_E_clISt17integral_constantIbLb0EES16_EEDaS11_S12_EUlS11_E_NS1_11comp_targetILNS1_3genE9ELNS1_11target_archE1100ELNS1_3gpuE3ELNS1_3repE0EEENS1_30default_config_static_selectorELNS0_4arch9wavefront6targetE1EEEvT1_ ; -- Begin function _ZN7rocprim17ROCPRIM_400000_NS6detail17trampoline_kernelINS0_14default_configENS1_25partition_config_selectorILNS1_17partition_subalgoE8ElNS0_10empty_typeEbEEZZNS1_14partition_implILS5_8ELb0ES3_jPKlPS6_PKS6_NS0_5tupleIJPlS6_EEENSE_IJSB_SB_EEENS0_18inequality_wrapperIN6hipcub16HIPCUB_304000_NS8EqualityEEESF_JS6_EEE10hipError_tPvRmT3_T4_T5_T6_T7_T9_mT8_P12ihipStream_tbDpT10_ENKUlT_T0_E_clISt17integral_constantIbLb0EES16_EEDaS11_S12_EUlS11_E_NS1_11comp_targetILNS1_3genE9ELNS1_11target_archE1100ELNS1_3gpuE3ELNS1_3repE0EEENS1_30default_config_static_selectorELNS0_4arch9wavefront6targetE1EEEvT1_
	.globl	_ZN7rocprim17ROCPRIM_400000_NS6detail17trampoline_kernelINS0_14default_configENS1_25partition_config_selectorILNS1_17partition_subalgoE8ElNS0_10empty_typeEbEEZZNS1_14partition_implILS5_8ELb0ES3_jPKlPS6_PKS6_NS0_5tupleIJPlS6_EEENSE_IJSB_SB_EEENS0_18inequality_wrapperIN6hipcub16HIPCUB_304000_NS8EqualityEEESF_JS6_EEE10hipError_tPvRmT3_T4_T5_T6_T7_T9_mT8_P12ihipStream_tbDpT10_ENKUlT_T0_E_clISt17integral_constantIbLb0EES16_EEDaS11_S12_EUlS11_E_NS1_11comp_targetILNS1_3genE9ELNS1_11target_archE1100ELNS1_3gpuE3ELNS1_3repE0EEENS1_30default_config_static_selectorELNS0_4arch9wavefront6targetE1EEEvT1_
	.p2align	8
	.type	_ZN7rocprim17ROCPRIM_400000_NS6detail17trampoline_kernelINS0_14default_configENS1_25partition_config_selectorILNS1_17partition_subalgoE8ElNS0_10empty_typeEbEEZZNS1_14partition_implILS5_8ELb0ES3_jPKlPS6_PKS6_NS0_5tupleIJPlS6_EEENSE_IJSB_SB_EEENS0_18inequality_wrapperIN6hipcub16HIPCUB_304000_NS8EqualityEEESF_JS6_EEE10hipError_tPvRmT3_T4_T5_T6_T7_T9_mT8_P12ihipStream_tbDpT10_ENKUlT_T0_E_clISt17integral_constantIbLb0EES16_EEDaS11_S12_EUlS11_E_NS1_11comp_targetILNS1_3genE9ELNS1_11target_archE1100ELNS1_3gpuE3ELNS1_3repE0EEENS1_30default_config_static_selectorELNS0_4arch9wavefront6targetE1EEEvT1_,@function
_ZN7rocprim17ROCPRIM_400000_NS6detail17trampoline_kernelINS0_14default_configENS1_25partition_config_selectorILNS1_17partition_subalgoE8ElNS0_10empty_typeEbEEZZNS1_14partition_implILS5_8ELb0ES3_jPKlPS6_PKS6_NS0_5tupleIJPlS6_EEENSE_IJSB_SB_EEENS0_18inequality_wrapperIN6hipcub16HIPCUB_304000_NS8EqualityEEESF_JS6_EEE10hipError_tPvRmT3_T4_T5_T6_T7_T9_mT8_P12ihipStream_tbDpT10_ENKUlT_T0_E_clISt17integral_constantIbLb0EES16_EEDaS11_S12_EUlS11_E_NS1_11comp_targetILNS1_3genE9ELNS1_11target_archE1100ELNS1_3gpuE3ELNS1_3repE0EEENS1_30default_config_static_selectorELNS0_4arch9wavefront6targetE1EEEvT1_: ; @_ZN7rocprim17ROCPRIM_400000_NS6detail17trampoline_kernelINS0_14default_configENS1_25partition_config_selectorILNS1_17partition_subalgoE8ElNS0_10empty_typeEbEEZZNS1_14partition_implILS5_8ELb0ES3_jPKlPS6_PKS6_NS0_5tupleIJPlS6_EEENSE_IJSB_SB_EEENS0_18inequality_wrapperIN6hipcub16HIPCUB_304000_NS8EqualityEEESF_JS6_EEE10hipError_tPvRmT3_T4_T5_T6_T7_T9_mT8_P12ihipStream_tbDpT10_ENKUlT_T0_E_clISt17integral_constantIbLb0EES16_EEDaS11_S12_EUlS11_E_NS1_11comp_targetILNS1_3genE9ELNS1_11target_archE1100ELNS1_3gpuE3ELNS1_3repE0EEENS1_30default_config_static_selectorELNS0_4arch9wavefront6targetE1EEEvT1_
; %bb.0:
	.section	.rodata,"a",@progbits
	.p2align	6, 0x0
	.amdhsa_kernel _ZN7rocprim17ROCPRIM_400000_NS6detail17trampoline_kernelINS0_14default_configENS1_25partition_config_selectorILNS1_17partition_subalgoE8ElNS0_10empty_typeEbEEZZNS1_14partition_implILS5_8ELb0ES3_jPKlPS6_PKS6_NS0_5tupleIJPlS6_EEENSE_IJSB_SB_EEENS0_18inequality_wrapperIN6hipcub16HIPCUB_304000_NS8EqualityEEESF_JS6_EEE10hipError_tPvRmT3_T4_T5_T6_T7_T9_mT8_P12ihipStream_tbDpT10_ENKUlT_T0_E_clISt17integral_constantIbLb0EES16_EEDaS11_S12_EUlS11_E_NS1_11comp_targetILNS1_3genE9ELNS1_11target_archE1100ELNS1_3gpuE3ELNS1_3repE0EEENS1_30default_config_static_selectorELNS0_4arch9wavefront6targetE1EEEvT1_
		.amdhsa_group_segment_fixed_size 0
		.amdhsa_private_segment_fixed_size 0
		.amdhsa_kernarg_size 112
		.amdhsa_user_sgpr_count 2
		.amdhsa_user_sgpr_dispatch_ptr 0
		.amdhsa_user_sgpr_queue_ptr 0
		.amdhsa_user_sgpr_kernarg_segment_ptr 1
		.amdhsa_user_sgpr_dispatch_id 0
		.amdhsa_user_sgpr_kernarg_preload_length 0
		.amdhsa_user_sgpr_kernarg_preload_offset 0
		.amdhsa_user_sgpr_private_segment_size 0
		.amdhsa_uses_dynamic_stack 0
		.amdhsa_enable_private_segment 0
		.amdhsa_system_sgpr_workgroup_id_x 1
		.amdhsa_system_sgpr_workgroup_id_y 0
		.amdhsa_system_sgpr_workgroup_id_z 0
		.amdhsa_system_sgpr_workgroup_info 0
		.amdhsa_system_vgpr_workitem_id 0
		.amdhsa_next_free_vgpr 1
		.amdhsa_next_free_sgpr 0
		.amdhsa_accum_offset 4
		.amdhsa_reserve_vcc 0
		.amdhsa_float_round_mode_32 0
		.amdhsa_float_round_mode_16_64 0
		.amdhsa_float_denorm_mode_32 3
		.amdhsa_float_denorm_mode_16_64 3
		.amdhsa_dx10_clamp 1
		.amdhsa_ieee_mode 1
		.amdhsa_fp16_overflow 0
		.amdhsa_tg_split 0
		.amdhsa_exception_fp_ieee_invalid_op 0
		.amdhsa_exception_fp_denorm_src 0
		.amdhsa_exception_fp_ieee_div_zero 0
		.amdhsa_exception_fp_ieee_overflow 0
		.amdhsa_exception_fp_ieee_underflow 0
		.amdhsa_exception_fp_ieee_inexact 0
		.amdhsa_exception_int_div_zero 0
	.end_amdhsa_kernel
	.section	.text._ZN7rocprim17ROCPRIM_400000_NS6detail17trampoline_kernelINS0_14default_configENS1_25partition_config_selectorILNS1_17partition_subalgoE8ElNS0_10empty_typeEbEEZZNS1_14partition_implILS5_8ELb0ES3_jPKlPS6_PKS6_NS0_5tupleIJPlS6_EEENSE_IJSB_SB_EEENS0_18inequality_wrapperIN6hipcub16HIPCUB_304000_NS8EqualityEEESF_JS6_EEE10hipError_tPvRmT3_T4_T5_T6_T7_T9_mT8_P12ihipStream_tbDpT10_ENKUlT_T0_E_clISt17integral_constantIbLb0EES16_EEDaS11_S12_EUlS11_E_NS1_11comp_targetILNS1_3genE9ELNS1_11target_archE1100ELNS1_3gpuE3ELNS1_3repE0EEENS1_30default_config_static_selectorELNS0_4arch9wavefront6targetE1EEEvT1_,"axG",@progbits,_ZN7rocprim17ROCPRIM_400000_NS6detail17trampoline_kernelINS0_14default_configENS1_25partition_config_selectorILNS1_17partition_subalgoE8ElNS0_10empty_typeEbEEZZNS1_14partition_implILS5_8ELb0ES3_jPKlPS6_PKS6_NS0_5tupleIJPlS6_EEENSE_IJSB_SB_EEENS0_18inequality_wrapperIN6hipcub16HIPCUB_304000_NS8EqualityEEESF_JS6_EEE10hipError_tPvRmT3_T4_T5_T6_T7_T9_mT8_P12ihipStream_tbDpT10_ENKUlT_T0_E_clISt17integral_constantIbLb0EES16_EEDaS11_S12_EUlS11_E_NS1_11comp_targetILNS1_3genE9ELNS1_11target_archE1100ELNS1_3gpuE3ELNS1_3repE0EEENS1_30default_config_static_selectorELNS0_4arch9wavefront6targetE1EEEvT1_,comdat
.Lfunc_end485:
	.size	_ZN7rocprim17ROCPRIM_400000_NS6detail17trampoline_kernelINS0_14default_configENS1_25partition_config_selectorILNS1_17partition_subalgoE8ElNS0_10empty_typeEbEEZZNS1_14partition_implILS5_8ELb0ES3_jPKlPS6_PKS6_NS0_5tupleIJPlS6_EEENSE_IJSB_SB_EEENS0_18inequality_wrapperIN6hipcub16HIPCUB_304000_NS8EqualityEEESF_JS6_EEE10hipError_tPvRmT3_T4_T5_T6_T7_T9_mT8_P12ihipStream_tbDpT10_ENKUlT_T0_E_clISt17integral_constantIbLb0EES16_EEDaS11_S12_EUlS11_E_NS1_11comp_targetILNS1_3genE9ELNS1_11target_archE1100ELNS1_3gpuE3ELNS1_3repE0EEENS1_30default_config_static_selectorELNS0_4arch9wavefront6targetE1EEEvT1_, .Lfunc_end485-_ZN7rocprim17ROCPRIM_400000_NS6detail17trampoline_kernelINS0_14default_configENS1_25partition_config_selectorILNS1_17partition_subalgoE8ElNS0_10empty_typeEbEEZZNS1_14partition_implILS5_8ELb0ES3_jPKlPS6_PKS6_NS0_5tupleIJPlS6_EEENSE_IJSB_SB_EEENS0_18inequality_wrapperIN6hipcub16HIPCUB_304000_NS8EqualityEEESF_JS6_EEE10hipError_tPvRmT3_T4_T5_T6_T7_T9_mT8_P12ihipStream_tbDpT10_ENKUlT_T0_E_clISt17integral_constantIbLb0EES16_EEDaS11_S12_EUlS11_E_NS1_11comp_targetILNS1_3genE9ELNS1_11target_archE1100ELNS1_3gpuE3ELNS1_3repE0EEENS1_30default_config_static_selectorELNS0_4arch9wavefront6targetE1EEEvT1_
                                        ; -- End function
	.section	.AMDGPU.csdata,"",@progbits
; Kernel info:
; codeLenInByte = 0
; NumSgprs: 6
; NumVgprs: 0
; NumAgprs: 0
; TotalNumVgprs: 0
; ScratchSize: 0
; MemoryBound: 0
; FloatMode: 240
; IeeeMode: 1
; LDSByteSize: 0 bytes/workgroup (compile time only)
; SGPRBlocks: 0
; VGPRBlocks: 0
; NumSGPRsForWavesPerEU: 6
; NumVGPRsForWavesPerEU: 1
; AccumOffset: 4
; Occupancy: 8
; WaveLimiterHint : 0
; COMPUTE_PGM_RSRC2:SCRATCH_EN: 0
; COMPUTE_PGM_RSRC2:USER_SGPR: 2
; COMPUTE_PGM_RSRC2:TRAP_HANDLER: 0
; COMPUTE_PGM_RSRC2:TGID_X_EN: 1
; COMPUTE_PGM_RSRC2:TGID_Y_EN: 0
; COMPUTE_PGM_RSRC2:TGID_Z_EN: 0
; COMPUTE_PGM_RSRC2:TIDIG_COMP_CNT: 0
; COMPUTE_PGM_RSRC3_GFX90A:ACCUM_OFFSET: 0
; COMPUTE_PGM_RSRC3_GFX90A:TG_SPLIT: 0
	.section	.text._ZN7rocprim17ROCPRIM_400000_NS6detail17trampoline_kernelINS0_14default_configENS1_25partition_config_selectorILNS1_17partition_subalgoE8ElNS0_10empty_typeEbEEZZNS1_14partition_implILS5_8ELb0ES3_jPKlPS6_PKS6_NS0_5tupleIJPlS6_EEENSE_IJSB_SB_EEENS0_18inequality_wrapperIN6hipcub16HIPCUB_304000_NS8EqualityEEESF_JS6_EEE10hipError_tPvRmT3_T4_T5_T6_T7_T9_mT8_P12ihipStream_tbDpT10_ENKUlT_T0_E_clISt17integral_constantIbLb0EES16_EEDaS11_S12_EUlS11_E_NS1_11comp_targetILNS1_3genE8ELNS1_11target_archE1030ELNS1_3gpuE2ELNS1_3repE0EEENS1_30default_config_static_selectorELNS0_4arch9wavefront6targetE1EEEvT1_,"axG",@progbits,_ZN7rocprim17ROCPRIM_400000_NS6detail17trampoline_kernelINS0_14default_configENS1_25partition_config_selectorILNS1_17partition_subalgoE8ElNS0_10empty_typeEbEEZZNS1_14partition_implILS5_8ELb0ES3_jPKlPS6_PKS6_NS0_5tupleIJPlS6_EEENSE_IJSB_SB_EEENS0_18inequality_wrapperIN6hipcub16HIPCUB_304000_NS8EqualityEEESF_JS6_EEE10hipError_tPvRmT3_T4_T5_T6_T7_T9_mT8_P12ihipStream_tbDpT10_ENKUlT_T0_E_clISt17integral_constantIbLb0EES16_EEDaS11_S12_EUlS11_E_NS1_11comp_targetILNS1_3genE8ELNS1_11target_archE1030ELNS1_3gpuE2ELNS1_3repE0EEENS1_30default_config_static_selectorELNS0_4arch9wavefront6targetE1EEEvT1_,comdat
	.protected	_ZN7rocprim17ROCPRIM_400000_NS6detail17trampoline_kernelINS0_14default_configENS1_25partition_config_selectorILNS1_17partition_subalgoE8ElNS0_10empty_typeEbEEZZNS1_14partition_implILS5_8ELb0ES3_jPKlPS6_PKS6_NS0_5tupleIJPlS6_EEENSE_IJSB_SB_EEENS0_18inequality_wrapperIN6hipcub16HIPCUB_304000_NS8EqualityEEESF_JS6_EEE10hipError_tPvRmT3_T4_T5_T6_T7_T9_mT8_P12ihipStream_tbDpT10_ENKUlT_T0_E_clISt17integral_constantIbLb0EES16_EEDaS11_S12_EUlS11_E_NS1_11comp_targetILNS1_3genE8ELNS1_11target_archE1030ELNS1_3gpuE2ELNS1_3repE0EEENS1_30default_config_static_selectorELNS0_4arch9wavefront6targetE1EEEvT1_ ; -- Begin function _ZN7rocprim17ROCPRIM_400000_NS6detail17trampoline_kernelINS0_14default_configENS1_25partition_config_selectorILNS1_17partition_subalgoE8ElNS0_10empty_typeEbEEZZNS1_14partition_implILS5_8ELb0ES3_jPKlPS6_PKS6_NS0_5tupleIJPlS6_EEENSE_IJSB_SB_EEENS0_18inequality_wrapperIN6hipcub16HIPCUB_304000_NS8EqualityEEESF_JS6_EEE10hipError_tPvRmT3_T4_T5_T6_T7_T9_mT8_P12ihipStream_tbDpT10_ENKUlT_T0_E_clISt17integral_constantIbLb0EES16_EEDaS11_S12_EUlS11_E_NS1_11comp_targetILNS1_3genE8ELNS1_11target_archE1030ELNS1_3gpuE2ELNS1_3repE0EEENS1_30default_config_static_selectorELNS0_4arch9wavefront6targetE1EEEvT1_
	.globl	_ZN7rocprim17ROCPRIM_400000_NS6detail17trampoline_kernelINS0_14default_configENS1_25partition_config_selectorILNS1_17partition_subalgoE8ElNS0_10empty_typeEbEEZZNS1_14partition_implILS5_8ELb0ES3_jPKlPS6_PKS6_NS0_5tupleIJPlS6_EEENSE_IJSB_SB_EEENS0_18inequality_wrapperIN6hipcub16HIPCUB_304000_NS8EqualityEEESF_JS6_EEE10hipError_tPvRmT3_T4_T5_T6_T7_T9_mT8_P12ihipStream_tbDpT10_ENKUlT_T0_E_clISt17integral_constantIbLb0EES16_EEDaS11_S12_EUlS11_E_NS1_11comp_targetILNS1_3genE8ELNS1_11target_archE1030ELNS1_3gpuE2ELNS1_3repE0EEENS1_30default_config_static_selectorELNS0_4arch9wavefront6targetE1EEEvT1_
	.p2align	8
	.type	_ZN7rocprim17ROCPRIM_400000_NS6detail17trampoline_kernelINS0_14default_configENS1_25partition_config_selectorILNS1_17partition_subalgoE8ElNS0_10empty_typeEbEEZZNS1_14partition_implILS5_8ELb0ES3_jPKlPS6_PKS6_NS0_5tupleIJPlS6_EEENSE_IJSB_SB_EEENS0_18inequality_wrapperIN6hipcub16HIPCUB_304000_NS8EqualityEEESF_JS6_EEE10hipError_tPvRmT3_T4_T5_T6_T7_T9_mT8_P12ihipStream_tbDpT10_ENKUlT_T0_E_clISt17integral_constantIbLb0EES16_EEDaS11_S12_EUlS11_E_NS1_11comp_targetILNS1_3genE8ELNS1_11target_archE1030ELNS1_3gpuE2ELNS1_3repE0EEENS1_30default_config_static_selectorELNS0_4arch9wavefront6targetE1EEEvT1_,@function
_ZN7rocprim17ROCPRIM_400000_NS6detail17trampoline_kernelINS0_14default_configENS1_25partition_config_selectorILNS1_17partition_subalgoE8ElNS0_10empty_typeEbEEZZNS1_14partition_implILS5_8ELb0ES3_jPKlPS6_PKS6_NS0_5tupleIJPlS6_EEENSE_IJSB_SB_EEENS0_18inequality_wrapperIN6hipcub16HIPCUB_304000_NS8EqualityEEESF_JS6_EEE10hipError_tPvRmT3_T4_T5_T6_T7_T9_mT8_P12ihipStream_tbDpT10_ENKUlT_T0_E_clISt17integral_constantIbLb0EES16_EEDaS11_S12_EUlS11_E_NS1_11comp_targetILNS1_3genE8ELNS1_11target_archE1030ELNS1_3gpuE2ELNS1_3repE0EEENS1_30default_config_static_selectorELNS0_4arch9wavefront6targetE1EEEvT1_: ; @_ZN7rocprim17ROCPRIM_400000_NS6detail17trampoline_kernelINS0_14default_configENS1_25partition_config_selectorILNS1_17partition_subalgoE8ElNS0_10empty_typeEbEEZZNS1_14partition_implILS5_8ELb0ES3_jPKlPS6_PKS6_NS0_5tupleIJPlS6_EEENSE_IJSB_SB_EEENS0_18inequality_wrapperIN6hipcub16HIPCUB_304000_NS8EqualityEEESF_JS6_EEE10hipError_tPvRmT3_T4_T5_T6_T7_T9_mT8_P12ihipStream_tbDpT10_ENKUlT_T0_E_clISt17integral_constantIbLb0EES16_EEDaS11_S12_EUlS11_E_NS1_11comp_targetILNS1_3genE8ELNS1_11target_archE1030ELNS1_3gpuE2ELNS1_3repE0EEENS1_30default_config_static_selectorELNS0_4arch9wavefront6targetE1EEEvT1_
; %bb.0:
	.section	.rodata,"a",@progbits
	.p2align	6, 0x0
	.amdhsa_kernel _ZN7rocprim17ROCPRIM_400000_NS6detail17trampoline_kernelINS0_14default_configENS1_25partition_config_selectorILNS1_17partition_subalgoE8ElNS0_10empty_typeEbEEZZNS1_14partition_implILS5_8ELb0ES3_jPKlPS6_PKS6_NS0_5tupleIJPlS6_EEENSE_IJSB_SB_EEENS0_18inequality_wrapperIN6hipcub16HIPCUB_304000_NS8EqualityEEESF_JS6_EEE10hipError_tPvRmT3_T4_T5_T6_T7_T9_mT8_P12ihipStream_tbDpT10_ENKUlT_T0_E_clISt17integral_constantIbLb0EES16_EEDaS11_S12_EUlS11_E_NS1_11comp_targetILNS1_3genE8ELNS1_11target_archE1030ELNS1_3gpuE2ELNS1_3repE0EEENS1_30default_config_static_selectorELNS0_4arch9wavefront6targetE1EEEvT1_
		.amdhsa_group_segment_fixed_size 0
		.amdhsa_private_segment_fixed_size 0
		.amdhsa_kernarg_size 112
		.amdhsa_user_sgpr_count 2
		.amdhsa_user_sgpr_dispatch_ptr 0
		.amdhsa_user_sgpr_queue_ptr 0
		.amdhsa_user_sgpr_kernarg_segment_ptr 1
		.amdhsa_user_sgpr_dispatch_id 0
		.amdhsa_user_sgpr_kernarg_preload_length 0
		.amdhsa_user_sgpr_kernarg_preload_offset 0
		.amdhsa_user_sgpr_private_segment_size 0
		.amdhsa_uses_dynamic_stack 0
		.amdhsa_enable_private_segment 0
		.amdhsa_system_sgpr_workgroup_id_x 1
		.amdhsa_system_sgpr_workgroup_id_y 0
		.amdhsa_system_sgpr_workgroup_id_z 0
		.amdhsa_system_sgpr_workgroup_info 0
		.amdhsa_system_vgpr_workitem_id 0
		.amdhsa_next_free_vgpr 1
		.amdhsa_next_free_sgpr 0
		.amdhsa_accum_offset 4
		.amdhsa_reserve_vcc 0
		.amdhsa_float_round_mode_32 0
		.amdhsa_float_round_mode_16_64 0
		.amdhsa_float_denorm_mode_32 3
		.amdhsa_float_denorm_mode_16_64 3
		.amdhsa_dx10_clamp 1
		.amdhsa_ieee_mode 1
		.amdhsa_fp16_overflow 0
		.amdhsa_tg_split 0
		.amdhsa_exception_fp_ieee_invalid_op 0
		.amdhsa_exception_fp_denorm_src 0
		.amdhsa_exception_fp_ieee_div_zero 0
		.amdhsa_exception_fp_ieee_overflow 0
		.amdhsa_exception_fp_ieee_underflow 0
		.amdhsa_exception_fp_ieee_inexact 0
		.amdhsa_exception_int_div_zero 0
	.end_amdhsa_kernel
	.section	.text._ZN7rocprim17ROCPRIM_400000_NS6detail17trampoline_kernelINS0_14default_configENS1_25partition_config_selectorILNS1_17partition_subalgoE8ElNS0_10empty_typeEbEEZZNS1_14partition_implILS5_8ELb0ES3_jPKlPS6_PKS6_NS0_5tupleIJPlS6_EEENSE_IJSB_SB_EEENS0_18inequality_wrapperIN6hipcub16HIPCUB_304000_NS8EqualityEEESF_JS6_EEE10hipError_tPvRmT3_T4_T5_T6_T7_T9_mT8_P12ihipStream_tbDpT10_ENKUlT_T0_E_clISt17integral_constantIbLb0EES16_EEDaS11_S12_EUlS11_E_NS1_11comp_targetILNS1_3genE8ELNS1_11target_archE1030ELNS1_3gpuE2ELNS1_3repE0EEENS1_30default_config_static_selectorELNS0_4arch9wavefront6targetE1EEEvT1_,"axG",@progbits,_ZN7rocprim17ROCPRIM_400000_NS6detail17trampoline_kernelINS0_14default_configENS1_25partition_config_selectorILNS1_17partition_subalgoE8ElNS0_10empty_typeEbEEZZNS1_14partition_implILS5_8ELb0ES3_jPKlPS6_PKS6_NS0_5tupleIJPlS6_EEENSE_IJSB_SB_EEENS0_18inequality_wrapperIN6hipcub16HIPCUB_304000_NS8EqualityEEESF_JS6_EEE10hipError_tPvRmT3_T4_T5_T6_T7_T9_mT8_P12ihipStream_tbDpT10_ENKUlT_T0_E_clISt17integral_constantIbLb0EES16_EEDaS11_S12_EUlS11_E_NS1_11comp_targetILNS1_3genE8ELNS1_11target_archE1030ELNS1_3gpuE2ELNS1_3repE0EEENS1_30default_config_static_selectorELNS0_4arch9wavefront6targetE1EEEvT1_,comdat
.Lfunc_end486:
	.size	_ZN7rocprim17ROCPRIM_400000_NS6detail17trampoline_kernelINS0_14default_configENS1_25partition_config_selectorILNS1_17partition_subalgoE8ElNS0_10empty_typeEbEEZZNS1_14partition_implILS5_8ELb0ES3_jPKlPS6_PKS6_NS0_5tupleIJPlS6_EEENSE_IJSB_SB_EEENS0_18inequality_wrapperIN6hipcub16HIPCUB_304000_NS8EqualityEEESF_JS6_EEE10hipError_tPvRmT3_T4_T5_T6_T7_T9_mT8_P12ihipStream_tbDpT10_ENKUlT_T0_E_clISt17integral_constantIbLb0EES16_EEDaS11_S12_EUlS11_E_NS1_11comp_targetILNS1_3genE8ELNS1_11target_archE1030ELNS1_3gpuE2ELNS1_3repE0EEENS1_30default_config_static_selectorELNS0_4arch9wavefront6targetE1EEEvT1_, .Lfunc_end486-_ZN7rocprim17ROCPRIM_400000_NS6detail17trampoline_kernelINS0_14default_configENS1_25partition_config_selectorILNS1_17partition_subalgoE8ElNS0_10empty_typeEbEEZZNS1_14partition_implILS5_8ELb0ES3_jPKlPS6_PKS6_NS0_5tupleIJPlS6_EEENSE_IJSB_SB_EEENS0_18inequality_wrapperIN6hipcub16HIPCUB_304000_NS8EqualityEEESF_JS6_EEE10hipError_tPvRmT3_T4_T5_T6_T7_T9_mT8_P12ihipStream_tbDpT10_ENKUlT_T0_E_clISt17integral_constantIbLb0EES16_EEDaS11_S12_EUlS11_E_NS1_11comp_targetILNS1_3genE8ELNS1_11target_archE1030ELNS1_3gpuE2ELNS1_3repE0EEENS1_30default_config_static_selectorELNS0_4arch9wavefront6targetE1EEEvT1_
                                        ; -- End function
	.section	.AMDGPU.csdata,"",@progbits
; Kernel info:
; codeLenInByte = 0
; NumSgprs: 6
; NumVgprs: 0
; NumAgprs: 0
; TotalNumVgprs: 0
; ScratchSize: 0
; MemoryBound: 0
; FloatMode: 240
; IeeeMode: 1
; LDSByteSize: 0 bytes/workgroup (compile time only)
; SGPRBlocks: 0
; VGPRBlocks: 0
; NumSGPRsForWavesPerEU: 6
; NumVGPRsForWavesPerEU: 1
; AccumOffset: 4
; Occupancy: 8
; WaveLimiterHint : 0
; COMPUTE_PGM_RSRC2:SCRATCH_EN: 0
; COMPUTE_PGM_RSRC2:USER_SGPR: 2
; COMPUTE_PGM_RSRC2:TRAP_HANDLER: 0
; COMPUTE_PGM_RSRC2:TGID_X_EN: 1
; COMPUTE_PGM_RSRC2:TGID_Y_EN: 0
; COMPUTE_PGM_RSRC2:TGID_Z_EN: 0
; COMPUTE_PGM_RSRC2:TIDIG_COMP_CNT: 0
; COMPUTE_PGM_RSRC3_GFX90A:ACCUM_OFFSET: 0
; COMPUTE_PGM_RSRC3_GFX90A:TG_SPLIT: 0
	.section	.text._ZN7rocprim17ROCPRIM_400000_NS6detail17trampoline_kernelINS0_14default_configENS1_25partition_config_selectorILNS1_17partition_subalgoE8ElNS0_10empty_typeEbEEZZNS1_14partition_implILS5_8ELb0ES3_jPKlPS6_PKS6_NS0_5tupleIJPlS6_EEENSE_IJSB_SB_EEENS0_18inequality_wrapperIN6hipcub16HIPCUB_304000_NS8EqualityEEESF_JS6_EEE10hipError_tPvRmT3_T4_T5_T6_T7_T9_mT8_P12ihipStream_tbDpT10_ENKUlT_T0_E_clISt17integral_constantIbLb1EES16_EEDaS11_S12_EUlS11_E_NS1_11comp_targetILNS1_3genE0ELNS1_11target_archE4294967295ELNS1_3gpuE0ELNS1_3repE0EEENS1_30default_config_static_selectorELNS0_4arch9wavefront6targetE1EEEvT1_,"axG",@progbits,_ZN7rocprim17ROCPRIM_400000_NS6detail17trampoline_kernelINS0_14default_configENS1_25partition_config_selectorILNS1_17partition_subalgoE8ElNS0_10empty_typeEbEEZZNS1_14partition_implILS5_8ELb0ES3_jPKlPS6_PKS6_NS0_5tupleIJPlS6_EEENSE_IJSB_SB_EEENS0_18inequality_wrapperIN6hipcub16HIPCUB_304000_NS8EqualityEEESF_JS6_EEE10hipError_tPvRmT3_T4_T5_T6_T7_T9_mT8_P12ihipStream_tbDpT10_ENKUlT_T0_E_clISt17integral_constantIbLb1EES16_EEDaS11_S12_EUlS11_E_NS1_11comp_targetILNS1_3genE0ELNS1_11target_archE4294967295ELNS1_3gpuE0ELNS1_3repE0EEENS1_30default_config_static_selectorELNS0_4arch9wavefront6targetE1EEEvT1_,comdat
	.protected	_ZN7rocprim17ROCPRIM_400000_NS6detail17trampoline_kernelINS0_14default_configENS1_25partition_config_selectorILNS1_17partition_subalgoE8ElNS0_10empty_typeEbEEZZNS1_14partition_implILS5_8ELb0ES3_jPKlPS6_PKS6_NS0_5tupleIJPlS6_EEENSE_IJSB_SB_EEENS0_18inequality_wrapperIN6hipcub16HIPCUB_304000_NS8EqualityEEESF_JS6_EEE10hipError_tPvRmT3_T4_T5_T6_T7_T9_mT8_P12ihipStream_tbDpT10_ENKUlT_T0_E_clISt17integral_constantIbLb1EES16_EEDaS11_S12_EUlS11_E_NS1_11comp_targetILNS1_3genE0ELNS1_11target_archE4294967295ELNS1_3gpuE0ELNS1_3repE0EEENS1_30default_config_static_selectorELNS0_4arch9wavefront6targetE1EEEvT1_ ; -- Begin function _ZN7rocprim17ROCPRIM_400000_NS6detail17trampoline_kernelINS0_14default_configENS1_25partition_config_selectorILNS1_17partition_subalgoE8ElNS0_10empty_typeEbEEZZNS1_14partition_implILS5_8ELb0ES3_jPKlPS6_PKS6_NS0_5tupleIJPlS6_EEENSE_IJSB_SB_EEENS0_18inequality_wrapperIN6hipcub16HIPCUB_304000_NS8EqualityEEESF_JS6_EEE10hipError_tPvRmT3_T4_T5_T6_T7_T9_mT8_P12ihipStream_tbDpT10_ENKUlT_T0_E_clISt17integral_constantIbLb1EES16_EEDaS11_S12_EUlS11_E_NS1_11comp_targetILNS1_3genE0ELNS1_11target_archE4294967295ELNS1_3gpuE0ELNS1_3repE0EEENS1_30default_config_static_selectorELNS0_4arch9wavefront6targetE1EEEvT1_
	.globl	_ZN7rocprim17ROCPRIM_400000_NS6detail17trampoline_kernelINS0_14default_configENS1_25partition_config_selectorILNS1_17partition_subalgoE8ElNS0_10empty_typeEbEEZZNS1_14partition_implILS5_8ELb0ES3_jPKlPS6_PKS6_NS0_5tupleIJPlS6_EEENSE_IJSB_SB_EEENS0_18inequality_wrapperIN6hipcub16HIPCUB_304000_NS8EqualityEEESF_JS6_EEE10hipError_tPvRmT3_T4_T5_T6_T7_T9_mT8_P12ihipStream_tbDpT10_ENKUlT_T0_E_clISt17integral_constantIbLb1EES16_EEDaS11_S12_EUlS11_E_NS1_11comp_targetILNS1_3genE0ELNS1_11target_archE4294967295ELNS1_3gpuE0ELNS1_3repE0EEENS1_30default_config_static_selectorELNS0_4arch9wavefront6targetE1EEEvT1_
	.p2align	8
	.type	_ZN7rocprim17ROCPRIM_400000_NS6detail17trampoline_kernelINS0_14default_configENS1_25partition_config_selectorILNS1_17partition_subalgoE8ElNS0_10empty_typeEbEEZZNS1_14partition_implILS5_8ELb0ES3_jPKlPS6_PKS6_NS0_5tupleIJPlS6_EEENSE_IJSB_SB_EEENS0_18inequality_wrapperIN6hipcub16HIPCUB_304000_NS8EqualityEEESF_JS6_EEE10hipError_tPvRmT3_T4_T5_T6_T7_T9_mT8_P12ihipStream_tbDpT10_ENKUlT_T0_E_clISt17integral_constantIbLb1EES16_EEDaS11_S12_EUlS11_E_NS1_11comp_targetILNS1_3genE0ELNS1_11target_archE4294967295ELNS1_3gpuE0ELNS1_3repE0EEENS1_30default_config_static_selectorELNS0_4arch9wavefront6targetE1EEEvT1_,@function
_ZN7rocprim17ROCPRIM_400000_NS6detail17trampoline_kernelINS0_14default_configENS1_25partition_config_selectorILNS1_17partition_subalgoE8ElNS0_10empty_typeEbEEZZNS1_14partition_implILS5_8ELb0ES3_jPKlPS6_PKS6_NS0_5tupleIJPlS6_EEENSE_IJSB_SB_EEENS0_18inequality_wrapperIN6hipcub16HIPCUB_304000_NS8EqualityEEESF_JS6_EEE10hipError_tPvRmT3_T4_T5_T6_T7_T9_mT8_P12ihipStream_tbDpT10_ENKUlT_T0_E_clISt17integral_constantIbLb1EES16_EEDaS11_S12_EUlS11_E_NS1_11comp_targetILNS1_3genE0ELNS1_11target_archE4294967295ELNS1_3gpuE0ELNS1_3repE0EEENS1_30default_config_static_selectorELNS0_4arch9wavefront6targetE1EEEvT1_: ; @_ZN7rocprim17ROCPRIM_400000_NS6detail17trampoline_kernelINS0_14default_configENS1_25partition_config_selectorILNS1_17partition_subalgoE8ElNS0_10empty_typeEbEEZZNS1_14partition_implILS5_8ELb0ES3_jPKlPS6_PKS6_NS0_5tupleIJPlS6_EEENSE_IJSB_SB_EEENS0_18inequality_wrapperIN6hipcub16HIPCUB_304000_NS8EqualityEEESF_JS6_EEE10hipError_tPvRmT3_T4_T5_T6_T7_T9_mT8_P12ihipStream_tbDpT10_ENKUlT_T0_E_clISt17integral_constantIbLb1EES16_EEDaS11_S12_EUlS11_E_NS1_11comp_targetILNS1_3genE0ELNS1_11target_archE4294967295ELNS1_3gpuE0ELNS1_3repE0EEENS1_30default_config_static_selectorELNS0_4arch9wavefront6targetE1EEEvT1_
; %bb.0:
	.section	.rodata,"a",@progbits
	.p2align	6, 0x0
	.amdhsa_kernel _ZN7rocprim17ROCPRIM_400000_NS6detail17trampoline_kernelINS0_14default_configENS1_25partition_config_selectorILNS1_17partition_subalgoE8ElNS0_10empty_typeEbEEZZNS1_14partition_implILS5_8ELb0ES3_jPKlPS6_PKS6_NS0_5tupleIJPlS6_EEENSE_IJSB_SB_EEENS0_18inequality_wrapperIN6hipcub16HIPCUB_304000_NS8EqualityEEESF_JS6_EEE10hipError_tPvRmT3_T4_T5_T6_T7_T9_mT8_P12ihipStream_tbDpT10_ENKUlT_T0_E_clISt17integral_constantIbLb1EES16_EEDaS11_S12_EUlS11_E_NS1_11comp_targetILNS1_3genE0ELNS1_11target_archE4294967295ELNS1_3gpuE0ELNS1_3repE0EEENS1_30default_config_static_selectorELNS0_4arch9wavefront6targetE1EEEvT1_
		.amdhsa_group_segment_fixed_size 0
		.amdhsa_private_segment_fixed_size 0
		.amdhsa_kernarg_size 128
		.amdhsa_user_sgpr_count 2
		.amdhsa_user_sgpr_dispatch_ptr 0
		.amdhsa_user_sgpr_queue_ptr 0
		.amdhsa_user_sgpr_kernarg_segment_ptr 1
		.amdhsa_user_sgpr_dispatch_id 0
		.amdhsa_user_sgpr_kernarg_preload_length 0
		.amdhsa_user_sgpr_kernarg_preload_offset 0
		.amdhsa_user_sgpr_private_segment_size 0
		.amdhsa_uses_dynamic_stack 0
		.amdhsa_enable_private_segment 0
		.amdhsa_system_sgpr_workgroup_id_x 1
		.amdhsa_system_sgpr_workgroup_id_y 0
		.amdhsa_system_sgpr_workgroup_id_z 0
		.amdhsa_system_sgpr_workgroup_info 0
		.amdhsa_system_vgpr_workitem_id 0
		.amdhsa_next_free_vgpr 1
		.amdhsa_next_free_sgpr 0
		.amdhsa_accum_offset 4
		.amdhsa_reserve_vcc 0
		.amdhsa_float_round_mode_32 0
		.amdhsa_float_round_mode_16_64 0
		.amdhsa_float_denorm_mode_32 3
		.amdhsa_float_denorm_mode_16_64 3
		.amdhsa_dx10_clamp 1
		.amdhsa_ieee_mode 1
		.amdhsa_fp16_overflow 0
		.amdhsa_tg_split 0
		.amdhsa_exception_fp_ieee_invalid_op 0
		.amdhsa_exception_fp_denorm_src 0
		.amdhsa_exception_fp_ieee_div_zero 0
		.amdhsa_exception_fp_ieee_overflow 0
		.amdhsa_exception_fp_ieee_underflow 0
		.amdhsa_exception_fp_ieee_inexact 0
		.amdhsa_exception_int_div_zero 0
	.end_amdhsa_kernel
	.section	.text._ZN7rocprim17ROCPRIM_400000_NS6detail17trampoline_kernelINS0_14default_configENS1_25partition_config_selectorILNS1_17partition_subalgoE8ElNS0_10empty_typeEbEEZZNS1_14partition_implILS5_8ELb0ES3_jPKlPS6_PKS6_NS0_5tupleIJPlS6_EEENSE_IJSB_SB_EEENS0_18inequality_wrapperIN6hipcub16HIPCUB_304000_NS8EqualityEEESF_JS6_EEE10hipError_tPvRmT3_T4_T5_T6_T7_T9_mT8_P12ihipStream_tbDpT10_ENKUlT_T0_E_clISt17integral_constantIbLb1EES16_EEDaS11_S12_EUlS11_E_NS1_11comp_targetILNS1_3genE0ELNS1_11target_archE4294967295ELNS1_3gpuE0ELNS1_3repE0EEENS1_30default_config_static_selectorELNS0_4arch9wavefront6targetE1EEEvT1_,"axG",@progbits,_ZN7rocprim17ROCPRIM_400000_NS6detail17trampoline_kernelINS0_14default_configENS1_25partition_config_selectorILNS1_17partition_subalgoE8ElNS0_10empty_typeEbEEZZNS1_14partition_implILS5_8ELb0ES3_jPKlPS6_PKS6_NS0_5tupleIJPlS6_EEENSE_IJSB_SB_EEENS0_18inequality_wrapperIN6hipcub16HIPCUB_304000_NS8EqualityEEESF_JS6_EEE10hipError_tPvRmT3_T4_T5_T6_T7_T9_mT8_P12ihipStream_tbDpT10_ENKUlT_T0_E_clISt17integral_constantIbLb1EES16_EEDaS11_S12_EUlS11_E_NS1_11comp_targetILNS1_3genE0ELNS1_11target_archE4294967295ELNS1_3gpuE0ELNS1_3repE0EEENS1_30default_config_static_selectorELNS0_4arch9wavefront6targetE1EEEvT1_,comdat
.Lfunc_end487:
	.size	_ZN7rocprim17ROCPRIM_400000_NS6detail17trampoline_kernelINS0_14default_configENS1_25partition_config_selectorILNS1_17partition_subalgoE8ElNS0_10empty_typeEbEEZZNS1_14partition_implILS5_8ELb0ES3_jPKlPS6_PKS6_NS0_5tupleIJPlS6_EEENSE_IJSB_SB_EEENS0_18inequality_wrapperIN6hipcub16HIPCUB_304000_NS8EqualityEEESF_JS6_EEE10hipError_tPvRmT3_T4_T5_T6_T7_T9_mT8_P12ihipStream_tbDpT10_ENKUlT_T0_E_clISt17integral_constantIbLb1EES16_EEDaS11_S12_EUlS11_E_NS1_11comp_targetILNS1_3genE0ELNS1_11target_archE4294967295ELNS1_3gpuE0ELNS1_3repE0EEENS1_30default_config_static_selectorELNS0_4arch9wavefront6targetE1EEEvT1_, .Lfunc_end487-_ZN7rocprim17ROCPRIM_400000_NS6detail17trampoline_kernelINS0_14default_configENS1_25partition_config_selectorILNS1_17partition_subalgoE8ElNS0_10empty_typeEbEEZZNS1_14partition_implILS5_8ELb0ES3_jPKlPS6_PKS6_NS0_5tupleIJPlS6_EEENSE_IJSB_SB_EEENS0_18inequality_wrapperIN6hipcub16HIPCUB_304000_NS8EqualityEEESF_JS6_EEE10hipError_tPvRmT3_T4_T5_T6_T7_T9_mT8_P12ihipStream_tbDpT10_ENKUlT_T0_E_clISt17integral_constantIbLb1EES16_EEDaS11_S12_EUlS11_E_NS1_11comp_targetILNS1_3genE0ELNS1_11target_archE4294967295ELNS1_3gpuE0ELNS1_3repE0EEENS1_30default_config_static_selectorELNS0_4arch9wavefront6targetE1EEEvT1_
                                        ; -- End function
	.section	.AMDGPU.csdata,"",@progbits
; Kernel info:
; codeLenInByte = 0
; NumSgprs: 6
; NumVgprs: 0
; NumAgprs: 0
; TotalNumVgprs: 0
; ScratchSize: 0
; MemoryBound: 0
; FloatMode: 240
; IeeeMode: 1
; LDSByteSize: 0 bytes/workgroup (compile time only)
; SGPRBlocks: 0
; VGPRBlocks: 0
; NumSGPRsForWavesPerEU: 6
; NumVGPRsForWavesPerEU: 1
; AccumOffset: 4
; Occupancy: 8
; WaveLimiterHint : 0
; COMPUTE_PGM_RSRC2:SCRATCH_EN: 0
; COMPUTE_PGM_RSRC2:USER_SGPR: 2
; COMPUTE_PGM_RSRC2:TRAP_HANDLER: 0
; COMPUTE_PGM_RSRC2:TGID_X_EN: 1
; COMPUTE_PGM_RSRC2:TGID_Y_EN: 0
; COMPUTE_PGM_RSRC2:TGID_Z_EN: 0
; COMPUTE_PGM_RSRC2:TIDIG_COMP_CNT: 0
; COMPUTE_PGM_RSRC3_GFX90A:ACCUM_OFFSET: 0
; COMPUTE_PGM_RSRC3_GFX90A:TG_SPLIT: 0
	.section	.text._ZN7rocprim17ROCPRIM_400000_NS6detail17trampoline_kernelINS0_14default_configENS1_25partition_config_selectorILNS1_17partition_subalgoE8ElNS0_10empty_typeEbEEZZNS1_14partition_implILS5_8ELb0ES3_jPKlPS6_PKS6_NS0_5tupleIJPlS6_EEENSE_IJSB_SB_EEENS0_18inequality_wrapperIN6hipcub16HIPCUB_304000_NS8EqualityEEESF_JS6_EEE10hipError_tPvRmT3_T4_T5_T6_T7_T9_mT8_P12ihipStream_tbDpT10_ENKUlT_T0_E_clISt17integral_constantIbLb1EES16_EEDaS11_S12_EUlS11_E_NS1_11comp_targetILNS1_3genE5ELNS1_11target_archE942ELNS1_3gpuE9ELNS1_3repE0EEENS1_30default_config_static_selectorELNS0_4arch9wavefront6targetE1EEEvT1_,"axG",@progbits,_ZN7rocprim17ROCPRIM_400000_NS6detail17trampoline_kernelINS0_14default_configENS1_25partition_config_selectorILNS1_17partition_subalgoE8ElNS0_10empty_typeEbEEZZNS1_14partition_implILS5_8ELb0ES3_jPKlPS6_PKS6_NS0_5tupleIJPlS6_EEENSE_IJSB_SB_EEENS0_18inequality_wrapperIN6hipcub16HIPCUB_304000_NS8EqualityEEESF_JS6_EEE10hipError_tPvRmT3_T4_T5_T6_T7_T9_mT8_P12ihipStream_tbDpT10_ENKUlT_T0_E_clISt17integral_constantIbLb1EES16_EEDaS11_S12_EUlS11_E_NS1_11comp_targetILNS1_3genE5ELNS1_11target_archE942ELNS1_3gpuE9ELNS1_3repE0EEENS1_30default_config_static_selectorELNS0_4arch9wavefront6targetE1EEEvT1_,comdat
	.protected	_ZN7rocprim17ROCPRIM_400000_NS6detail17trampoline_kernelINS0_14default_configENS1_25partition_config_selectorILNS1_17partition_subalgoE8ElNS0_10empty_typeEbEEZZNS1_14partition_implILS5_8ELb0ES3_jPKlPS6_PKS6_NS0_5tupleIJPlS6_EEENSE_IJSB_SB_EEENS0_18inequality_wrapperIN6hipcub16HIPCUB_304000_NS8EqualityEEESF_JS6_EEE10hipError_tPvRmT3_T4_T5_T6_T7_T9_mT8_P12ihipStream_tbDpT10_ENKUlT_T0_E_clISt17integral_constantIbLb1EES16_EEDaS11_S12_EUlS11_E_NS1_11comp_targetILNS1_3genE5ELNS1_11target_archE942ELNS1_3gpuE9ELNS1_3repE0EEENS1_30default_config_static_selectorELNS0_4arch9wavefront6targetE1EEEvT1_ ; -- Begin function _ZN7rocprim17ROCPRIM_400000_NS6detail17trampoline_kernelINS0_14default_configENS1_25partition_config_selectorILNS1_17partition_subalgoE8ElNS0_10empty_typeEbEEZZNS1_14partition_implILS5_8ELb0ES3_jPKlPS6_PKS6_NS0_5tupleIJPlS6_EEENSE_IJSB_SB_EEENS0_18inequality_wrapperIN6hipcub16HIPCUB_304000_NS8EqualityEEESF_JS6_EEE10hipError_tPvRmT3_T4_T5_T6_T7_T9_mT8_P12ihipStream_tbDpT10_ENKUlT_T0_E_clISt17integral_constantIbLb1EES16_EEDaS11_S12_EUlS11_E_NS1_11comp_targetILNS1_3genE5ELNS1_11target_archE942ELNS1_3gpuE9ELNS1_3repE0EEENS1_30default_config_static_selectorELNS0_4arch9wavefront6targetE1EEEvT1_
	.globl	_ZN7rocprim17ROCPRIM_400000_NS6detail17trampoline_kernelINS0_14default_configENS1_25partition_config_selectorILNS1_17partition_subalgoE8ElNS0_10empty_typeEbEEZZNS1_14partition_implILS5_8ELb0ES3_jPKlPS6_PKS6_NS0_5tupleIJPlS6_EEENSE_IJSB_SB_EEENS0_18inequality_wrapperIN6hipcub16HIPCUB_304000_NS8EqualityEEESF_JS6_EEE10hipError_tPvRmT3_T4_T5_T6_T7_T9_mT8_P12ihipStream_tbDpT10_ENKUlT_T0_E_clISt17integral_constantIbLb1EES16_EEDaS11_S12_EUlS11_E_NS1_11comp_targetILNS1_3genE5ELNS1_11target_archE942ELNS1_3gpuE9ELNS1_3repE0EEENS1_30default_config_static_selectorELNS0_4arch9wavefront6targetE1EEEvT1_
	.p2align	8
	.type	_ZN7rocprim17ROCPRIM_400000_NS6detail17trampoline_kernelINS0_14default_configENS1_25partition_config_selectorILNS1_17partition_subalgoE8ElNS0_10empty_typeEbEEZZNS1_14partition_implILS5_8ELb0ES3_jPKlPS6_PKS6_NS0_5tupleIJPlS6_EEENSE_IJSB_SB_EEENS0_18inequality_wrapperIN6hipcub16HIPCUB_304000_NS8EqualityEEESF_JS6_EEE10hipError_tPvRmT3_T4_T5_T6_T7_T9_mT8_P12ihipStream_tbDpT10_ENKUlT_T0_E_clISt17integral_constantIbLb1EES16_EEDaS11_S12_EUlS11_E_NS1_11comp_targetILNS1_3genE5ELNS1_11target_archE942ELNS1_3gpuE9ELNS1_3repE0EEENS1_30default_config_static_selectorELNS0_4arch9wavefront6targetE1EEEvT1_,@function
_ZN7rocprim17ROCPRIM_400000_NS6detail17trampoline_kernelINS0_14default_configENS1_25partition_config_selectorILNS1_17partition_subalgoE8ElNS0_10empty_typeEbEEZZNS1_14partition_implILS5_8ELb0ES3_jPKlPS6_PKS6_NS0_5tupleIJPlS6_EEENSE_IJSB_SB_EEENS0_18inequality_wrapperIN6hipcub16HIPCUB_304000_NS8EqualityEEESF_JS6_EEE10hipError_tPvRmT3_T4_T5_T6_T7_T9_mT8_P12ihipStream_tbDpT10_ENKUlT_T0_E_clISt17integral_constantIbLb1EES16_EEDaS11_S12_EUlS11_E_NS1_11comp_targetILNS1_3genE5ELNS1_11target_archE942ELNS1_3gpuE9ELNS1_3repE0EEENS1_30default_config_static_selectorELNS0_4arch9wavefront6targetE1EEEvT1_: ; @_ZN7rocprim17ROCPRIM_400000_NS6detail17trampoline_kernelINS0_14default_configENS1_25partition_config_selectorILNS1_17partition_subalgoE8ElNS0_10empty_typeEbEEZZNS1_14partition_implILS5_8ELb0ES3_jPKlPS6_PKS6_NS0_5tupleIJPlS6_EEENSE_IJSB_SB_EEENS0_18inequality_wrapperIN6hipcub16HIPCUB_304000_NS8EqualityEEESF_JS6_EEE10hipError_tPvRmT3_T4_T5_T6_T7_T9_mT8_P12ihipStream_tbDpT10_ENKUlT_T0_E_clISt17integral_constantIbLb1EES16_EEDaS11_S12_EUlS11_E_NS1_11comp_targetILNS1_3genE5ELNS1_11target_archE942ELNS1_3gpuE9ELNS1_3repE0EEENS1_30default_config_static_selectorELNS0_4arch9wavefront6targetE1EEEvT1_
; %bb.0:
	s_load_dwordx2 s[24:25], s[0:1], 0x28
	s_load_dwordx4 s[20:23], s[0:1], 0x40
	s_load_dwordx2 s[8:9], s[0:1], 0x50
	s_load_dwordx2 s[30:31], s[0:1], 0x60
	v_cmp_ne_u32_e64 s[2:3], 0, v0
	v_cmp_eq_u32_e64 s[18:19], 0, v0
	s_and_saveexec_b64 s[4:5], s[18:19]
	s_cbranch_execz .LBB488_4
; %bb.1:
	s_mov_b64 s[10:11], exec
	v_mbcnt_lo_u32_b32 v1, s10, 0
	v_mbcnt_hi_u32_b32 v1, s11, v1
	v_cmp_eq_u32_e32 vcc, 0, v1
                                        ; implicit-def: $vgpr2
	s_and_saveexec_b64 s[6:7], vcc
	s_cbranch_execz .LBB488_3
; %bb.2:
	s_load_dwordx2 s[12:13], s[0:1], 0x70
	s_bcnt1_i32_b64 s10, s[10:11]
	v_mov_b32_e32 v2, 0
	v_mov_b32_e32 v3, s10
	s_waitcnt lgkmcnt(0)
	global_atomic_add v2, v2, v3, s[12:13] sc0
.LBB488_3:
	s_or_b64 exec, exec, s[6:7]
	s_waitcnt vmcnt(0)
	v_readfirstlane_b32 s6, v2
	v_mov_b32_e32 v2, 0
	s_nop 0
	v_add_u32_e32 v1, s6, v1
	ds_write_b32 v2, v1
.LBB488_4:
	s_or_b64 exec, exec, s[4:5]
	v_mov_b32_e32 v3, 0
	s_load_dwordx4 s[4:7], s[0:1], 0x8
	s_load_dword s10, s[0:1], 0x68
	s_waitcnt lgkmcnt(0)
	s_barrier
	ds_read_b32 v1, v3
	s_waitcnt lgkmcnt(0)
	s_barrier
	global_load_dwordx2 v[4:5], v3, s[22:23]
	s_lshl_b64 s[12:13], s[6:7], 3
	v_mov_b32_e32 v7, s9
	s_mul_i32 s9, s10, 0xe00
	s_add_u32 s4, s4, s12
	s_addc_u32 s5, s5, s13
	s_add_i32 s12, s9, s6
	s_add_i32 s10, s10, -1
	s_sub_i32 s36, s8, s12
	v_mov_b32_e32 v6, s8
	s_add_u32 s8, s6, s9
	s_addc_u32 s9, s7, 0
	v_readfirstlane_b32 s33, v1
	s_cmp_eq_u32 s33, s10
	s_movk_i32 s11, 0xe00
	v_cmp_ge_u64_e32 vcc, s[8:9], v[6:7]
	s_cselect_b64 s[26:27], -1, 0
	v_mul_lo_u32 v2, v1, s11
	s_and_b64 s[14:15], vcc, s[26:27]
	v_lshlrev_b64 v[6:7], 3, v[2:3]
	s_xor_b64 s[28:29], s[14:15], -1
	s_mov_b64 s[0:1], -1
	v_lshl_add_u64 v[18:19], s[4:5], 0, v[6:7]
	s_and_b64 vcc, exec, s[28:29]
	s_waitcnt vmcnt(0)
	v_readfirstlane_b32 s22, v4
	v_readfirstlane_b32 s23, v5
	s_cbranch_vccz .LBB488_6
; %bb.5:
	v_lshlrev_b32_e32 v2, 3, v0
	v_lshl_add_u64 v[4:5], v[18:19], 0, v[2:3]
	v_add_co_u32_e32 v8, vcc, 0x1000, v4
	v_readfirstlane_b32 s0, v18
	s_nop 0
	v_addc_co_u32_e32 v9, vcc, 0, v5, vcc
	v_add_co_u32_e32 v10, vcc, 0x2000, v4
	v_readfirstlane_b32 s1, v19
	s_nop 0
	v_addc_co_u32_e32 v11, vcc, 0, v5, vcc
	v_add_co_u32_e32 v12, vcc, 0x3000, v4
	s_nop 1
	v_addc_co_u32_e32 v13, vcc, 0, v5, vcc
	v_add_co_u32_e32 v14, vcc, 0x4000, v4
	global_load_dwordx2 v[6:7], v2, s[0:1]
	s_nop 0
	v_addc_co_u32_e32 v15, vcc, 0, v5, vcc
	global_load_dwordx2 v[16:17], v[8:9], off
	global_load_dwordx2 v[20:21], v[10:11], off
	;; [unrolled: 1-line block ×4, first 2 shown]
	v_add_co_u32_e32 v8, vcc, 0x5000, v4
	s_mov_b64 s[0:1], 0
	s_nop 0
	v_addc_co_u32_e32 v9, vcc, 0, v5, vcc
	v_add_co_u32_e32 v4, vcc, 0x6000, v4
	global_load_dwordx2 v[8:9], v[8:9], off
	s_nop 0
	v_addc_co_u32_e32 v5, vcc, 0, v5, vcc
	global_load_dwordx2 v[4:5], v[4:5], off
	s_waitcnt vmcnt(5)
	ds_write2st64_b64 v2, v[6:7], v[16:17] offset1:8
	s_waitcnt vmcnt(3)
	ds_write2st64_b64 v2, v[20:21], v[22:23] offset0:16 offset1:24
	s_waitcnt vmcnt(1)
	ds_write2st64_b64 v2, v[24:25], v[8:9] offset0:32 offset1:40
	s_waitcnt vmcnt(0)
	ds_write_b64 v2, v[4:5] offset:24576
	s_waitcnt lgkmcnt(0)
	s_barrier
.LBB488_6:
	s_andn2_b64 vcc, exec, s[0:1]
	s_addk_i32 s36, 0xe00
	s_cbranch_vccnz .LBB488_22
; %bb.7:
	v_cmp_gt_u32_e32 vcc, s36, v0
                                        ; implicit-def: $vgpr2_vgpr3_vgpr4_vgpr5_vgpr6_vgpr7_vgpr8_vgpr9_vgpr10_vgpr11_vgpr12_vgpr13_vgpr14_vgpr15_vgpr16_vgpr17
	s_and_saveexec_b64 s[0:1], vcc
	s_cbranch_execz .LBB488_9
; %bb.8:
	v_lshlrev_b32_e32 v1, 3, v0
	v_readfirstlane_b32 s4, v18
	v_readfirstlane_b32 s5, v19
	s_nop 4
	global_load_dwordx2 v[2:3], v1, s[4:5]
.LBB488_9:
	s_or_b64 exec, exec, s[0:1]
	v_or_b32_e32 v1, 0x200, v0
	v_cmp_gt_u32_e32 vcc, s36, v1
	s_and_saveexec_b64 s[0:1], vcc
	s_cbranch_execz .LBB488_11
; %bb.10:
	v_lshlrev_b32_e32 v1, 3, v1
	v_readfirstlane_b32 s4, v18
	v_readfirstlane_b32 s5, v19
	s_nop 4
	global_load_dwordx2 v[4:5], v1, s[4:5]
.LBB488_11:
	s_or_b64 exec, exec, s[0:1]
	v_or_b32_e32 v1, 0x400, v0
	v_cmp_gt_u32_e32 vcc, s36, v1
	;; [unrolled: 12-line block ×6, first 2 shown]
	s_and_saveexec_b64 s[0:1], vcc
	s_cbranch_execz .LBB488_21
; %bb.20:
	v_lshlrev_b32_e32 v1, 3, v1
	v_readfirstlane_b32 s4, v18
	v_readfirstlane_b32 s5, v19
	s_nop 4
	global_load_dwordx2 v[14:15], v1, s[4:5]
.LBB488_21:
	s_or_b64 exec, exec, s[0:1]
	v_lshlrev_b32_e32 v1, 3, v0
	s_waitcnt vmcnt(0)
	ds_write2st64_b64 v1, v[2:3], v[4:5] offset1:8
	ds_write2st64_b64 v1, v[6:7], v[8:9] offset0:16 offset1:24
	ds_write2st64_b64 v1, v[10:11], v[12:13] offset0:32 offset1:40
	ds_write_b64 v1, v[14:15] offset:24576
	s_waitcnt lgkmcnt(0)
	s_barrier
.LBB488_22:
	v_mul_u32_u24_e32 v20, 7, v0
	v_lshlrev_b32_e32 v1, 3, v20
	ds_read2_b64 v[10:13], v1 offset1:1
	ds_read2_b64 v[6:9], v1 offset0:2 offset1:3
	ds_read2_b64 v[2:5], v1 offset0:4 offset1:5
	ds_read_b64 v[14:15], v1 offset:48
	s_cmp_lg_u32 s33, 0
	s_cselect_b64 s[16:17], -1, 0
	s_cmp_lg_u64 s[6:7], 0
	s_cselect_b64 s[0:1], -1, 0
	s_or_b64 s[0:1], s[0:1], s[16:17]
	v_mad_u32_u24 v22, v0, 7, 1
	v_mad_u32_u24 v21, v0, 7, 2
	;; [unrolled: 1-line block ×6, first 2 shown]
	s_mov_b64 s[34:35], 0
	s_and_b64 vcc, exec, s[0:1]
	s_waitcnt lgkmcnt(0)
	s_barrier
	s_cbranch_vccz .LBB488_27
; %bb.23:
	global_load_dwordx2 v[16:17], v[18:19], off offset:-8
	v_lshlrev_b32_e32 v30, 3, v0
	s_and_b64 vcc, exec, s[28:29]
	ds_write_b64 v30, v[14:15]
	s_cbranch_vccz .LBB488_29
; %bb.24:
	s_waitcnt vmcnt(0)
	v_mov_b64_e32 v[18:19], v[16:17]
	s_waitcnt lgkmcnt(0)
	s_barrier
	s_and_saveexec_b64 s[0:1], s[2:3]
	s_cbranch_execz .LBB488_26
; %bb.25:
	v_add_u32_e32 v18, -8, v30
	ds_read_b64 v[18:19], v18
.LBB488_26:
	s_or_b64 exec, exec, s[0:1]
	v_cmp_ne_u64_e32 vcc, v[4:5], v[14:15]
	s_waitcnt lgkmcnt(0)
	v_cmp_ne_u64_e64 s[0:1], v[18:19], v[10:11]
	v_cndmask_b32_e64 v29, 0, 1, vcc
	v_cmp_ne_u64_e32 vcc, v[2:3], v[4:5]
	s_nop 1
	v_cndmask_b32_e64 v27, 0, 1, vcc
	v_cmp_ne_u64_e32 vcc, v[8:9], v[2:3]
	s_nop 1
	;; [unrolled: 3-line block ×3, first 2 shown]
	v_cndmask_b32_e64 v31, 0, 1, vcc
	v_cmp_ne_u64_e32 vcc, v[12:13], v[6:7]
	v_lshlrev_b16_e32 v18, 8, v31
	s_nop 0
	v_cndmask_b32_e64 v32, 0, 1, vcc
	v_cmp_ne_u64_e32 vcc, v[10:11], v[12:13]
	v_or_b32_sdwa v18, v32, v18 dst_sel:WORD_1 dst_unused:UNUSED_PAD src0_sel:DWORD src1_sel:DWORD
	s_nop 0
	v_cndmask_b32_e64 v33, 0, 1, vcc
	v_lshlrev_b16_e32 v19, 8, v33
	v_or_b32_e32 v18, v19, v18
	s_branch .LBB488_33
.LBB488_27:
                                        ; implicit-def: $sgpr0_sgpr1
                                        ; implicit-def: $vgpr29
                                        ; implicit-def: $vgpr27
                                        ; implicit-def: $vgpr28
                                        ; implicit-def: $vgpr18
	s_branch .LBB488_34
.LBB488_28:
                                        ; implicit-def: $vgpr16_vgpr17
	s_and_saveexec_b64 s[2:3], s[34:35]
	s_cbranch_execnz .LBB488_42
	s_branch .LBB488_43
.LBB488_29:
                                        ; implicit-def: $sgpr0_sgpr1
                                        ; implicit-def: $vgpr29
                                        ; implicit-def: $vgpr27
                                        ; implicit-def: $vgpr28
                                        ; implicit-def: $vgpr18
	s_cbranch_execz .LBB488_33
; %bb.30:
	s_waitcnt lgkmcnt(0)
	s_barrier
	s_and_saveexec_b64 s[0:1], s[2:3]
	s_cbranch_execz .LBB488_32
; %bb.31:
	s_waitcnt vmcnt(0)
	v_add_u32_e32 v16, -8, v30
	ds_read_b64 v[16:17], v16
.LBB488_32:
	s_or_b64 exec, exec, s[0:1]
	v_cmp_gt_u32_e32 vcc, s36, v24
	v_cmp_ne_u64_e64 s[0:1], v[4:5], v[14:15]
	s_and_b64 s[0:1], vcc, s[0:1]
	v_cmp_gt_u32_e32 vcc, s36, v26
	v_cndmask_b32_e64 v29, 0, 1, s[0:1]
	v_cmp_ne_u64_e64 s[0:1], v[2:3], v[4:5]
	s_and_b64 s[0:1], vcc, s[0:1]
	v_cmp_gt_u32_e32 vcc, s36, v23
	v_cndmask_b32_e64 v27, 0, 1, s[0:1]
	;; [unrolled: 4-line block ×6, first 2 shown]
	s_waitcnt vmcnt(0) lgkmcnt(0)
	v_cmp_ne_u64_e64 s[0:1], v[16:17], v[10:11]
	v_lshlrev_b16_e32 v16, 8, v18
	v_or_b32_sdwa v16, v19, v16 dst_sel:WORD_1 dst_unused:UNUSED_PAD src0_sel:DWORD src1_sel:DWORD
	v_lshlrev_b16_e32 v17, 8, v30
	s_and_b64 s[0:1], vcc, s[0:1]
	v_or_b32_e32 v18, v17, v16
.LBB488_33:
	s_mov_b64 s[34:35], -1
	s_cbranch_execnz .LBB488_28
.LBB488_34:
	s_movk_i32 s0, 0xffd0
	v_mad_i32_i24 v19, v0, s0, v1
	s_and_b64 vcc, exec, s[28:29]
	v_cmp_ne_u64_e64 s[0:1], v[4:5], v[14:15]
	v_cmp_ne_u64_e64 s[4:5], v[2:3], v[4:5]
	;; [unrolled: 1-line block ×6, first 2 shown]
	ds_write_b64 v19, v[14:15]
	s_cbranch_vccz .LBB488_38
; %bb.35:
	v_cndmask_b32_e64 v27, 0, 1, s[4:5]
	s_waitcnt vmcnt(0)
	v_cndmask_b32_e64 v16, 0, 1, s[8:9]
	v_cndmask_b32_e64 v28, 0, 1, s[6:7]
	;; [unrolled: 1-line block ×4, first 2 shown]
	v_lshlrev_b16_e32 v17, 8, v27
	v_lshlrev_b16_e32 v16, 8, v16
	v_or_b32_e32 v17, v28, v17
	v_or_b32_sdwa v16, v18, v16 dst_sel:WORD_1 dst_unused:UNUSED_PAD src0_sel:DWORD src1_sel:DWORD
	v_lshlrev_b16_e32 v18, 8, v30
	v_and_b32_e32 v17, 0xffff, v17
	v_cndmask_b32_e64 v29, 0, 1, s[0:1]
	v_or_b32_e32 v18, 1, v18
	v_lshl_or_b32 v17, v29, 16, v17
	v_or_b32_sdwa v16, v18, v16 dst_sel:DWORD dst_unused:UNUSED_PAD src0_sel:WORD_0 src1_sel:DWORD
	s_waitcnt lgkmcnt(0)
	s_barrier
	s_waitcnt lgkmcnt(0)
                                        ; implicit-def: $sgpr0_sgpr1
                                        ; implicit-def: $vgpr18
	s_and_saveexec_b64 s[4:5], s[2:3]
	s_xor_b64 s[4:5], exec, s[4:5]
	s_cbranch_execz .LBB488_37
; %bb.36:
	v_add_u32_e32 v17, -8, v19
	ds_read_b64 v[30:31], v17
	s_mov_b32 s0, 0x3020104
	v_perm_b32 v18, v16, v16, s0
	s_or_b64 s[34:35], s[34:35], exec
                                        ; implicit-def: $vgpr16_vgpr17
	s_waitcnt lgkmcnt(0)
	v_cmp_ne_u64_e32 vcc, v[30:31], v[10:11]
	s_and_b64 s[0:1], vcc, exec
.LBB488_37:
	s_or_b64 exec, exec, s[4:5]
	s_branch .LBB488_41
.LBB488_38:
                                        ; implicit-def: $sgpr0_sgpr1
                                        ; implicit-def: $vgpr29
                                        ; implicit-def: $vgpr27
                                        ; implicit-def: $vgpr28
                                        ; implicit-def: $vgpr18
                                        ; implicit-def: $vgpr16_vgpr17
	s_cbranch_execz .LBB488_41
; %bb.39:
	v_cmp_gt_u32_e64 s[4:5], s36, v26
	v_cmp_ne_u64_e64 s[6:7], v[2:3], v[4:5]
	s_and_b64 s[4:5], s[4:5], s[6:7]
	v_cndmask_b32_e64 v27, 0, 1, s[4:5]
	v_cmp_gt_u32_e64 s[4:5], s36, v23
	v_cmp_ne_u64_e64 s[6:7], v[8:9], v[2:3]
	s_and_b64 s[4:5], s[4:5], s[6:7]
	v_cndmask_b32_e64 v28, 0, 1, s[4:5]
	v_cmp_gt_u32_e64 s[4:5], s36, v25
	v_cmp_ne_u64_e64 s[6:7], v[6:7], v[8:9]
	s_and_b64 s[4:5], s[4:5], s[6:7]
	s_waitcnt vmcnt(0)
	v_cndmask_b32_e64 v16, 0, 1, s[4:5]
	v_cmp_gt_u32_e64 s[4:5], s36, v21
	v_cmp_ne_u64_e64 s[6:7], v[12:13], v[6:7]
	s_and_b64 s[4:5], s[4:5], s[6:7]
	v_cndmask_b32_e64 v18, 0, 1, s[4:5]
	v_cmp_gt_u32_e64 s[4:5], s36, v22
	v_cmp_ne_u64_e64 s[6:7], v[10:11], v[12:13]
	s_and_b64 s[4:5], s[4:5], s[6:7]
	v_cmp_gt_u32_e32 vcc, s36, v24
	v_cmp_ne_u64_e64 s[0:1], v[4:5], v[14:15]
	v_cndmask_b32_e64 v30, 0, 1, s[4:5]
	v_lshlrev_b16_e32 v17, 8, v27
	v_lshlrev_b16_e32 v16, 8, v16
	v_or_b32_e32 v17, v28, v17
	s_and_b64 s[0:1], vcc, s[0:1]
	v_or_b32_sdwa v16, v18, v16 dst_sel:WORD_1 dst_unused:UNUSED_PAD src0_sel:DWORD src1_sel:DWORD
	v_lshlrev_b16_e32 v18, 8, v30
	v_and_b32_e32 v17, 0xffff, v17
	v_cndmask_b32_e64 v29, 0, 1, s[0:1]
	v_or_b32_e32 v18, 1, v18
	v_lshl_or_b32 v17, v29, 16, v17
	v_or_b32_sdwa v16, v18, v16 dst_sel:DWORD dst_unused:UNUSED_PAD src0_sel:WORD_0 src1_sel:DWORD
	s_waitcnt lgkmcnt(0)
	s_barrier
	s_waitcnt lgkmcnt(0)
                                        ; implicit-def: $sgpr0_sgpr1
                                        ; implicit-def: $vgpr18
	s_and_saveexec_b64 s[4:5], s[2:3]
	s_cbranch_execz .LBB488_131
; %bb.40:
	v_add_u32_e32 v17, -8, v19
	ds_read_b64 v[30:31], v17
	s_mov_b32 s0, 0x3020104
	v_cmp_gt_u32_e32 vcc, s36, v20
	v_perm_b32 v18, v16, v16, s0
	s_or_b64 s[34:35], s[34:35], exec
	s_waitcnt lgkmcnt(0)
	v_cmp_ne_u64_e64 s[0:1], v[30:31], v[10:11]
	s_and_b64 s[0:1], vcc, s[0:1]
	s_and_b64 s[0:1], s[0:1], exec
                                        ; implicit-def: $vgpr16_vgpr17
	s_or_b64 exec, exec, s[4:5]
.LBB488_41:
	s_and_saveexec_b64 s[2:3], s[34:35]
	s_cbranch_execz .LBB488_43
.LBB488_42:
	s_waitcnt vmcnt(0)
	v_lshlrev_b16_e32 v17, 8, v27
	v_and_b32_e32 v19, 0xff, v29
	v_or_b32_sdwa v17, v28, v17 dst_sel:DWORD dst_unused:UNUSED_PAD src0_sel:BYTE_0 src1_sel:DWORD
	v_lshlrev_b32_e32 v19, 16, v19
	v_cndmask_b32_e64 v16, 0, 1, s[0:1]
	s_movk_i32 s0, 0xff
	v_or_b32_sdwa v17, v17, v19 dst_sel:DWORD dst_unused:UNUSED_PAD src0_sel:WORD_0 src1_sel:DWORD
	v_lshrrev_b32_e32 v19, 24, v18
	v_lshlrev_b16_e32 v19, 8, v19
	v_and_b32_sdwa v27, v18, s0 dst_sel:DWORD dst_unused:UNUSED_PAD src0_sel:WORD_1 src1_sel:DWORD
	v_or_b32_sdwa v19, v27, v19 dst_sel:WORD_1 dst_unused:UNUSED_PAD src0_sel:DWORD src1_sel:DWORD
	v_mov_b32_e32 v27, 8
	v_lshrrev_b32_sdwa v18, v27, v18 dst_sel:BYTE_1 dst_unused:UNUSED_PAD src0_sel:DWORD src1_sel:DWORD
	s_nop 0
	v_or_b32_e32 v16, v16, v18
	v_or_b32_sdwa v16, v16, v19 dst_sel:DWORD dst_unused:UNUSED_PAD src0_sel:WORD_0 src1_sel:DWORD
.LBB488_43:
	s_or_b64 exec, exec, s[2:3]
	s_andn2_b64 vcc, exec, s[14:15]
	s_cbranch_vccnz .LBB488_45
; %bb.44:
	s_waitcnt vmcnt(0)
	v_and_b32_e32 v18, 0xffff0000, v16
	v_cmp_gt_u32_e32 vcc, s36, v20
	s_mov_b32 s0, 0x40c0100
	s_nop 0
	v_cndmask_b32_e32 v18, v18, v16, vcc
	v_and_b32_e32 v18, 0xffff00ff, v18
	v_cmp_gt_u32_e32 vcc, s36, v22
	s_nop 1
	v_cndmask_b32_e32 v18, v18, v16, vcc
	v_lshrrev_b32_e32 v19, 24, v18
	v_perm_b32 v18, v19, v18, s0
	v_cmp_gt_u32_e32 vcc, s36, v21
	v_and_b32_e32 v19, 0xffffff00, v17
	s_nop 0
	v_cndmask_b32_e32 v18, v18, v16, vcc
	v_and_b32_e32 v18, 0xffffff, v18
	v_cmp_gt_u32_e32 vcc, s36, v25
	s_nop 1
	v_cndmask_b32_e32 v18, v18, v16, vcc
	v_cmp_gt_u32_e32 vcc, s36, v23
	s_nop 1
	v_cndmask_b32_e32 v19, v19, v17, vcc
	v_and_b32_e32 v19, 0xffff00ff, v19
	v_cndmask_b32_e32 v18, v18, v16, vcc
	v_cmp_gt_u32_e32 vcc, s36, v26
	s_nop 1
	v_cndmask_b32_e32 v19, v19, v17, vcc
	v_lshrrev_b32_e32 v20, 24, v19
	v_cndmask_b32_e32 v18, v18, v16, vcc
	v_perm_b32 v19, v20, v19, s0
	v_cmp_gt_u32_e32 vcc, s36, v24
	s_mov_b32 s0, 0x3020104
	s_nop 0
	v_cndmask_b32_e32 v16, v18, v16, vcc
	v_cndmask_b32_e32 v17, v19, v17, vcc
	v_mov_b32_e32 v18, 8
	v_lshrrev_b32_sdwa v18, v18, v17 dst_sel:BYTE_1 dst_unused:UNUSED_PAD src0_sel:DWORD src1_sel:DWORD
	v_perm_b32 v16, v16, v16, s0
	v_or_b32_sdwa v18, v17, v18 dst_sel:DWORD dst_unused:UNUSED_PAD src0_sel:BYTE_0 src1_sel:DWORD
	v_and_b32_e32 v18, 0xffff, v18
	v_bfe_u32 v17, v17, 16, 8
	v_lshl_or_b32 v17, v17, 16, v18
.LBB488_45:
	s_waitcnt vmcnt(0)
	v_and_b32_e32 v29, 0xff, v16
	v_bfe_u32 v31, v16, 8, 8
	v_bfe_u32 v33, v16, 16, 8
	v_alignbit_b32 v18, v17, v16, 24
	v_and_b32_e32 v35, 0xff, v18
	v_and_b32_e32 v36, 0xff, v17
	v_add3_u32 v19, v31, v29, v33
	v_bfe_u32 v37, v17, 8, 8
	v_bfe_u32 v18, v17, 16, 8
	v_add3_u32 v19, v19, v35, v36
	v_add3_u32 v40, v19, v37, v18
	v_mbcnt_lo_u32_b32 v18, -1, 0
	v_mbcnt_hi_u32_b32 v38, -1, v18
	v_and_b32_e32 v18, 15, v38
	v_cmp_eq_u32_e64 s[14:15], 0, v18
	v_cmp_lt_u32_e64 s[12:13], 1, v18
	v_cmp_lt_u32_e64 s[10:11], 3, v18
	;; [unrolled: 1-line block ×3, first 2 shown]
	v_and_b32_e32 v18, 16, v38
	v_cmp_eq_u32_e64 s[6:7], 0, v18
	v_or_b32_e32 v18, 63, v0
	v_cmp_lt_u32_e64 s[2:3], 31, v38
	v_lshrrev_b32_e32 v39, 6, v0
	v_cmp_eq_u32_e64 s[4:5], v18, v0
	s_and_b64 vcc, exec, s[16:17]
	s_waitcnt lgkmcnt(0)
	s_barrier
	s_cbranch_vccz .LBB488_76
; %bb.46:
	v_mov_b32_dpp v18, v40 row_shr:1 row_mask:0xf bank_mask:0xf
	v_cndmask_b32_e64 v18, v18, 0, s[14:15]
	v_add_u32_e32 v18, v18, v40
	s_nop 1
	v_mov_b32_dpp v19, v18 row_shr:2 row_mask:0xf bank_mask:0xf
	v_cndmask_b32_e64 v19, 0, v19, s[12:13]
	v_add_u32_e32 v18, v18, v19
	s_nop 1
	;; [unrolled: 4-line block ×4, first 2 shown]
	v_mov_b32_dpp v19, v18 row_bcast:15 row_mask:0xf bank_mask:0xf
	v_cndmask_b32_e64 v19, v19, 0, s[6:7]
	v_add_u32_e32 v18, v18, v19
	s_nop 1
	v_mov_b32_dpp v19, v18 row_bcast:31 row_mask:0xf bank_mask:0xf
	v_cndmask_b32_e64 v19, 0, v19, s[2:3]
	v_add_u32_e32 v18, v18, v19
	s_and_saveexec_b64 s[0:1], s[4:5]
	s_cbranch_execz .LBB488_48
; %bb.47:
	v_lshlrev_b32_e32 v19, 2, v39
	ds_write_b32 v19, v18
.LBB488_48:
	s_or_b64 exec, exec, s[0:1]
	v_cmp_gt_u32_e32 vcc, 8, v0
	s_waitcnt lgkmcnt(0)
	s_barrier
	s_and_saveexec_b64 s[0:1], vcc
	s_cbranch_execz .LBB488_50
; %bb.49:
	v_lshlrev_b32_e32 v19, 2, v0
	ds_read_b32 v20, v19
	v_and_b32_e32 v21, 7, v38
	v_cmp_ne_u32_e32 vcc, 0, v21
	s_waitcnt lgkmcnt(0)
	v_mov_b32_dpp v22, v20 row_shr:1 row_mask:0xf bank_mask:0xf
	v_cndmask_b32_e32 v22, 0, v22, vcc
	v_add_u32_e32 v20, v22, v20
	v_cmp_lt_u32_e32 vcc, 1, v21
	s_nop 0
	v_mov_b32_dpp v22, v20 row_shr:2 row_mask:0xf bank_mask:0xf
	v_cndmask_b32_e32 v22, 0, v22, vcc
	v_add_u32_e32 v20, v20, v22
	v_cmp_lt_u32_e32 vcc, 3, v21
	s_nop 0
	v_mov_b32_dpp v22, v20 row_shr:4 row_mask:0xf bank_mask:0xf
	v_cndmask_b32_e32 v21, 0, v22, vcc
	v_add_u32_e32 v20, v20, v21
	ds_write_b32 v19, v20
.LBB488_50:
	s_or_b64 exec, exec, s[0:1]
	v_cmp_gt_u32_e32 vcc, 64, v0
	v_cmp_lt_u32_e64 s[0:1], 63, v0
	s_waitcnt lgkmcnt(0)
	s_barrier
	s_waitcnt lgkmcnt(0)
                                        ; implicit-def: $vgpr28
	s_and_saveexec_b64 s[16:17], s[0:1]
	s_cbranch_execz .LBB488_52
; %bb.51:
	v_lshl_add_u32 v19, v39, 2, -4
	ds_read_b32 v28, v19
	s_waitcnt lgkmcnt(0)
	v_add_u32_e32 v18, v28, v18
.LBB488_52:
	s_or_b64 exec, exec, s[16:17]
	v_add_u32_e32 v19, -1, v38
	v_and_b32_e32 v20, 64, v38
	v_cmp_lt_i32_e64 s[0:1], v19, v20
	v_cmp_eq_u32_e64 s[16:17], 0, v38
	s_nop 0
	v_cndmask_b32_e64 v19, v19, v38, s[0:1]
	v_lshlrev_b32_e32 v19, 2, v19
	ds_bpermute_b32 v30, v19, v18
	s_and_saveexec_b64 s[0:1], vcc
	s_cbranch_execz .LBB488_75
; %bb.53:
	v_mov_b32_e32 v27, 0
	ds_read_b32 v18, v27 offset:28
	s_and_saveexec_b64 s[34:35], s[16:17]
	s_cbranch_execz .LBB488_55
; %bb.54:
	s_add_i32 s36, s33, 64
	s_mov_b32 s37, 0
	s_lshl_b64 s[36:37], s[36:37], 3
	s_add_u32 s36, s30, s36
	v_mov_b32_e32 v19, 1
	s_addc_u32 s37, s31, s37
	s_waitcnt lgkmcnt(0)
	global_store_dwordx2 v27, v[18:19], s[36:37] sc1
.LBB488_55:
	s_or_b64 exec, exec, s[34:35]
	v_xad_u32 v20, v38, -1, s33
	v_add_u32_e32 v26, 64, v20
	v_lshl_add_u64 v[22:23], v[26:27], 3, s[30:31]
	global_load_dwordx2 v[24:25], v[22:23], off sc1
	s_waitcnt vmcnt(0)
	v_cmp_eq_u16_sdwa s[36:37], v25, v27 src0_sel:BYTE_0 src1_sel:DWORD
	s_and_saveexec_b64 s[34:35], s[36:37]
	s_cbranch_execz .LBB488_61
; %bb.56:
	s_mov_b32 s38, 1
	s_mov_b64 s[36:37], 0
	v_mov_b32_e32 v19, 0
.LBB488_57:                             ; =>This Loop Header: Depth=1
                                        ;     Child Loop BB488_58 Depth 2
	s_max_u32 s39, s38, 1
.LBB488_58:                             ;   Parent Loop BB488_57 Depth=1
                                        ; =>  This Inner Loop Header: Depth=2
	s_add_i32 s39, s39, -1
	s_cmp_eq_u32 s39, 0
	s_sleep 1
	s_cbranch_scc0 .LBB488_58
; %bb.59:                               ;   in Loop: Header=BB488_57 Depth=1
	global_load_dwordx2 v[24:25], v[22:23], off sc1
	s_cmp_lt_u32 s38, 32
	s_cselect_b64 s[40:41], -1, 0
	s_cmp_lg_u64 s[40:41], 0
	s_addc_u32 s38, s38, 0
	s_waitcnt vmcnt(0)
	v_cmp_ne_u16_sdwa s[40:41], v25, v19 src0_sel:BYTE_0 src1_sel:DWORD
	s_or_b64 s[36:37], s[40:41], s[36:37]
	s_andn2_b64 exec, exec, s[36:37]
	s_cbranch_execnz .LBB488_57
; %bb.60:
	s_or_b64 exec, exec, s[36:37]
.LBB488_61:
	s_or_b64 exec, exec, s[34:35]
	v_and_b32_e32 v34, 63, v38
	v_mov_b32_e32 v32, 2
	v_cmp_ne_u32_e32 vcc, 63, v34
	v_cmp_eq_u16_sdwa s[34:35], v25, v32 src0_sel:BYTE_0 src1_sel:DWORD
	v_lshlrev_b64 v[22:23], v38, -1
	v_addc_co_u32_e32 v26, vcc, 0, v38, vcc
	v_and_b32_e32 v19, s35, v23
	v_lshlrev_b32_e32 v41, 2, v26
	v_or_b32_e32 v19, 0x80000000, v19
	ds_bpermute_b32 v26, v41, v24
	v_and_b32_e32 v21, s34, v22
	v_ffbl_b32_e32 v19, v19
	v_add_u32_e32 v19, 32, v19
	v_ffbl_b32_e32 v21, v21
	v_min_u32_e32 v19, v21, v19
	v_cmp_lt_u32_e32 vcc, v34, v19
	v_add_u32_e32 v43, 2, v34
	v_add_u32_e32 v45, 4, v34
	s_waitcnt lgkmcnt(0)
	v_cndmask_b32_e32 v21, 0, v26, vcc
	v_cmp_gt_u32_e32 vcc, 62, v34
	v_add_u32_e32 v21, v21, v24
	v_add_u32_e32 v47, 8, v34
	v_cndmask_b32_e64 v24, 0, 1, vcc
	v_lshlrev_b32_e32 v24, 1, v24
	v_add_lshl_u32 v42, v24, v38, 2
	ds_bpermute_b32 v24, v42, v21
	v_cmp_le_u32_e32 vcc, v43, v19
	v_add_u32_e32 v49, 16, v34
	v_add_u32_e32 v51, 32, v34
	s_waitcnt lgkmcnt(0)
	v_cndmask_b32_e32 v24, 0, v24, vcc
	v_cmp_gt_u32_e32 vcc, 60, v34
	v_add_u32_e32 v21, v21, v24
	s_nop 0
	v_cndmask_b32_e64 v24, 0, 1, vcc
	v_lshlrev_b32_e32 v24, 2, v24
	v_add_lshl_u32 v44, v24, v38, 2
	ds_bpermute_b32 v24, v44, v21
	v_cmp_le_u32_e32 vcc, v45, v19
	s_waitcnt lgkmcnt(0)
	s_nop 0
	v_cndmask_b32_e32 v24, 0, v24, vcc
	v_cmp_gt_u32_e32 vcc, 56, v34
	v_add_u32_e32 v21, v21, v24
	s_nop 0
	v_cndmask_b32_e64 v24, 0, 1, vcc
	v_lshlrev_b32_e32 v24, 3, v24
	v_add_lshl_u32 v46, v24, v38, 2
	ds_bpermute_b32 v24, v46, v21
	v_cmp_le_u32_e32 vcc, v47, v19
	s_waitcnt lgkmcnt(0)
	s_nop 0
	;; [unrolled: 11-line block ×4, first 2 shown]
	v_cndmask_b32_e32 v19, 0, v24, vcc
	v_add_u32_e32 v24, v21, v19
	v_mov_b32_e32 v21, 0
	s_branch .LBB488_63
.LBB488_62:                             ;   in Loop: Header=BB488_63 Depth=1
	s_or_b64 exec, exec, s[34:35]
	v_cmp_eq_u16_sdwa s[34:35], v25, v32 src0_sel:BYTE_0 src1_sel:DWORD
	ds_bpermute_b32 v52, v41, v24
	v_subrev_u32_e32 v20, 64, v20
	v_and_b32_e32 v26, s35, v23
	v_or_b32_e32 v26, 0x80000000, v26
	v_and_b32_e32 v27, s34, v22
	v_ffbl_b32_e32 v26, v26
	v_add_u32_e32 v26, 32, v26
	v_ffbl_b32_e32 v27, v27
	v_min_u32_e32 v26, v27, v26
	v_cmp_lt_u32_e32 vcc, v34, v26
	s_waitcnt lgkmcnt(0)
	s_nop 0
	v_cndmask_b32_e32 v27, 0, v52, vcc
	v_add_u32_e32 v24, v27, v24
	ds_bpermute_b32 v27, v42, v24
	v_cmp_le_u32_e32 vcc, v43, v26
	s_waitcnt lgkmcnt(0)
	s_nop 0
	v_cndmask_b32_e32 v27, 0, v27, vcc
	v_add_u32_e32 v24, v24, v27
	ds_bpermute_b32 v27, v44, v24
	v_cmp_le_u32_e32 vcc, v45, v26
	;; [unrolled: 6-line block ×5, first 2 shown]
	s_waitcnt lgkmcnt(0)
	s_nop 0
	v_cndmask_b32_e32 v26, 0, v27, vcc
	v_add3_u32 v24, v26, v19, v24
.LBB488_63:                             ; =>This Loop Header: Depth=1
                                        ;     Child Loop BB488_66 Depth 2
                                        ;       Child Loop BB488_67 Depth 3
	v_cmp_ne_u16_sdwa s[34:35], v25, v32 src0_sel:BYTE_0 src1_sel:DWORD
	s_nop 1
	v_cndmask_b32_e64 v19, 0, 1, s[34:35]
	;;#ASMSTART
	;;#ASMEND
	s_nop 0
	v_cmp_ne_u32_e32 vcc, 0, v19
	s_cmp_lg_u64 vcc, exec
	v_mov_b32_e32 v19, v24
	s_cbranch_scc1 .LBB488_70
; %bb.64:                               ;   in Loop: Header=BB488_63 Depth=1
	v_lshl_add_u64 v[26:27], v[20:21], 3, s[30:31]
	global_load_dwordx2 v[24:25], v[26:27], off sc1
	s_waitcnt vmcnt(0)
	v_cmp_eq_u16_sdwa s[36:37], v25, v21 src0_sel:BYTE_0 src1_sel:DWORD
	s_and_saveexec_b64 s[34:35], s[36:37]
	s_cbranch_execz .LBB488_62
; %bb.65:                               ;   in Loop: Header=BB488_63 Depth=1
	s_mov_b32 s38, 1
	s_mov_b64 s[36:37], 0
.LBB488_66:                             ;   Parent Loop BB488_63 Depth=1
                                        ; =>  This Loop Header: Depth=2
                                        ;       Child Loop BB488_67 Depth 3
	s_max_u32 s39, s38, 1
.LBB488_67:                             ;   Parent Loop BB488_63 Depth=1
                                        ;     Parent Loop BB488_66 Depth=2
                                        ; =>    This Inner Loop Header: Depth=3
	s_add_i32 s39, s39, -1
	s_cmp_eq_u32 s39, 0
	s_sleep 1
	s_cbranch_scc0 .LBB488_67
; %bb.68:                               ;   in Loop: Header=BB488_66 Depth=2
	global_load_dwordx2 v[24:25], v[26:27], off sc1
	s_cmp_lt_u32 s38, 32
	s_cselect_b64 s[40:41], -1, 0
	s_cmp_lg_u64 s[40:41], 0
	s_addc_u32 s38, s38, 0
	s_waitcnt vmcnt(0)
	v_cmp_ne_u16_sdwa s[40:41], v25, v21 src0_sel:BYTE_0 src1_sel:DWORD
	s_or_b64 s[36:37], s[40:41], s[36:37]
	s_andn2_b64 exec, exec, s[36:37]
	s_cbranch_execnz .LBB488_66
; %bb.69:                               ;   in Loop: Header=BB488_63 Depth=1
	s_or_b64 exec, exec, s[36:37]
	s_branch .LBB488_62
.LBB488_70:                             ;   in Loop: Header=BB488_63 Depth=1
                                        ; implicit-def: $vgpr24
                                        ; implicit-def: $vgpr25
	s_cbranch_execz .LBB488_63
; %bb.71:
	s_and_saveexec_b64 s[34:35], s[16:17]
	s_cbranch_execz .LBB488_73
; %bb.72:
	s_add_i32 s36, s33, 64
	s_mov_b32 s37, 0
	s_lshl_b64 s[36:37], s[36:37], 3
	s_add_u32 s36, s30, s36
	v_add_u32_e32 v20, v19, v18
	v_mov_b32_e32 v21, 2
	s_addc_u32 s37, s31, s37
	v_mov_b32_e32 v22, 0
	global_store_dwordx2 v22, v[20:21], s[36:37] sc1
	ds_write_b64 v22, v[18:19] offset:28672
.LBB488_73:
	s_or_b64 exec, exec, s[34:35]
	s_and_b64 exec, exec, s[18:19]
	s_cbranch_execz .LBB488_75
; %bb.74:
	v_mov_b32_e32 v18, 0
	ds_write_b32 v18, v19 offset:28
.LBB488_75:
	s_or_b64 exec, exec, s[0:1]
	v_mov_b32_e32 v18, 0
	s_waitcnt lgkmcnt(0)
	s_barrier
	ds_read_b32 v19, v18 offset:28
	v_cndmask_b32_e64 v20, v30, v28, s[16:17]
	v_cndmask_b32_e64 v20, v20, 0, s[18:19]
	s_waitcnt lgkmcnt(0)
	s_barrier
	v_add_u32_e32 v34, v19, v20
	v_add_u32_e32 v32, v34, v29
	;; [unrolled: 1-line block ×3, first 2 shown]
	ds_read_b64 v[18:19], v18 offset:28672
	v_add_u32_e32 v28, v30, v33
	v_add_u32_e32 v26, v28, v35
	;; [unrolled: 1-line block ×4, first 2 shown]
	v_lshrrev_b64 v[20:21], 24, v[16:17]
	s_branch .LBB488_86
.LBB488_76:
                                        ; implicit-def: $vgpr19
                                        ; implicit-def: $vgpr22
                                        ; implicit-def: $vgpr24
                                        ; implicit-def: $vgpr26
                                        ; implicit-def: $vgpr28
                                        ; implicit-def: $vgpr30
                                        ; implicit-def: $vgpr32
                                        ; implicit-def: $vgpr34
	v_lshrrev_b64 v[20:21], 24, v[16:17]
	s_cbranch_execz .LBB488_86
; %bb.77:
	s_waitcnt lgkmcnt(0)
	v_mov_b32_dpp v18, v40 row_shr:1 row_mask:0xf bank_mask:0xf
	v_cndmask_b32_e64 v18, v18, 0, s[14:15]
	v_add_u32_e32 v18, v18, v40
	s_nop 1
	v_mov_b32_dpp v19, v18 row_shr:2 row_mask:0xf bank_mask:0xf
	v_cndmask_b32_e64 v19, 0, v19, s[12:13]
	v_add_u32_e32 v18, v18, v19
	s_nop 1
	;; [unrolled: 4-line block ×4, first 2 shown]
	v_mov_b32_dpp v19, v18 row_bcast:15 row_mask:0xf bank_mask:0xf
	v_cndmask_b32_e64 v19, v19, 0, s[6:7]
	v_add_u32_e32 v18, v18, v19
	s_nop 1
	v_mov_b32_dpp v19, v18 row_bcast:31 row_mask:0xf bank_mask:0xf
	v_cndmask_b32_e64 v19, 0, v19, s[2:3]
	v_add_u32_e32 v18, v18, v19
	s_and_saveexec_b64 s[0:1], s[4:5]
	s_cbranch_execz .LBB488_79
; %bb.78:
	v_lshlrev_b32_e32 v19, 2, v39
	ds_write_b32 v19, v18
.LBB488_79:
	s_or_b64 exec, exec, s[0:1]
	v_cmp_gt_u32_e32 vcc, 8, v0
	s_waitcnt lgkmcnt(0)
	s_barrier
	s_and_saveexec_b64 s[0:1], vcc
	s_cbranch_execz .LBB488_81
; %bb.80:
	s_movk_i32 s2, 0xffcc
	v_mad_i32_i24 v1, v0, s2, v1
	ds_read_b32 v19, v1
	v_and_b32_e32 v21, 7, v38
	v_cmp_ne_u32_e32 vcc, 0, v21
	s_waitcnt lgkmcnt(0)
	v_mov_b32_dpp v22, v19 row_shr:1 row_mask:0xf bank_mask:0xf
	v_cndmask_b32_e32 v22, 0, v22, vcc
	v_add_u32_e32 v19, v22, v19
	v_cmp_lt_u32_e32 vcc, 1, v21
	s_nop 0
	v_mov_b32_dpp v22, v19 row_shr:2 row_mask:0xf bank_mask:0xf
	v_cndmask_b32_e32 v22, 0, v22, vcc
	v_add_u32_e32 v19, v19, v22
	v_cmp_lt_u32_e32 vcc, 3, v21
	s_nop 0
	v_mov_b32_dpp v22, v19 row_shr:4 row_mask:0xf bank_mask:0xf
	v_cndmask_b32_e32 v21, 0, v22, vcc
	v_add_u32_e32 v19, v19, v21
	ds_write_b32 v1, v19
.LBB488_81:
	s_or_b64 exec, exec, s[0:1]
	v_cmp_lt_u32_e32 vcc, 63, v0
	v_mov_b32_e32 v19, 0
	v_mov_b32_e32 v1, 0
	s_waitcnt lgkmcnt(0)
	s_barrier
	s_and_saveexec_b64 s[0:1], vcc
	s_cbranch_execz .LBB488_83
; %bb.82:
	v_lshl_add_u32 v1, v39, 2, -4
	ds_read_b32 v1, v1
.LBB488_83:
	s_or_b64 exec, exec, s[0:1]
	v_add_u32_e32 v21, -1, v38
	v_and_b32_e32 v22, 64, v38
	v_cmp_lt_i32_e32 vcc, v21, v22
	s_waitcnt lgkmcnt(0)
	v_add_u32_e32 v18, v1, v18
	v_cndmask_b32_e32 v21, v21, v38, vcc
	v_lshlrev_b32_e32 v21, 2, v21
	ds_bpermute_b32 v21, v21, v18
	ds_read_b32 v18, v19 offset:28
	s_and_saveexec_b64 s[0:1], s[18:19]
	s_cbranch_execz .LBB488_85
; %bb.84:
	v_mov_b32_e32 v22, 0
	v_mov_b32_e32 v19, 2
	s_waitcnt lgkmcnt(0)
	global_store_dwordx2 v22, v[18:19], s[30:31] offset:512 sc1
.LBB488_85:
	s_or_b64 exec, exec, s[0:1]
	v_cmp_eq_u32_e32 vcc, 0, v38
	v_mov_b32_e32 v19, 0
	s_waitcnt lgkmcnt(0)
	v_cndmask_b32_e32 v1, v21, v1, vcc
	v_cndmask_b32_e64 v34, v1, 0, s[18:19]
	v_add_u32_e32 v32, v34, v29
	v_add_u32_e32 v30, v32, v31
	;; [unrolled: 1-line block ×6, first 2 shown]
	s_barrier
.LBB488_86:
	s_movk_i32 s0, 0x201
	s_waitcnt lgkmcnt(0)
	v_cmp_gt_u32_e32 vcc, s0, v18
	v_lshrrev_b32_e32 v21, 8, v16
	v_lshrrev_b32_e32 v1, 8, v17
	s_mov_b64 s[0:1], -1
	s_cbranch_vccnz .LBB488_90
; %bb.87:
	s_and_b64 vcc, exec, s[0:1]
	s_cbranch_vccnz .LBB488_112
.LBB488_88:
	s_and_b64 s[0:1], s[18:19], s[26:27]
	s_and_saveexec_b64 s[2:3], s[0:1]
	s_cbranch_execnz .LBB488_130
.LBB488_89:
	s_endpgm
.LBB488_90:
	v_add_u32_e32 v23, v19, v18
	v_cmp_lt_u32_e32 vcc, v34, v23
	s_or_b64 s[2:3], s[28:29], vcc
	s_and_saveexec_b64 s[0:1], s[2:3]
	s_cbranch_execz .LBB488_93
; %bb.91:
	v_and_b32_e32 v25, 1, v16
	v_cmp_eq_u32_e32 vcc, 1, v25
	s_and_b64 exec, exec, vcc
	s_cbranch_execz .LBB488_93
; %bb.92:
	s_lshl_b64 s[2:3], s[22:23], 3
	s_add_u32 s2, s24, s2
	s_addc_u32 s3, s25, s3
	v_mov_b32_e32 v35, 0
	v_lshl_add_u64 v[36:37], v[34:35], 3, s[2:3]
	global_store_dwordx2 v[36:37], v[10:11], off
.LBB488_93:
	s_or_b64 exec, exec, s[0:1]
	v_cmp_lt_u32_e32 vcc, v32, v23
	s_or_b64 s[2:3], s[28:29], vcc
	s_and_saveexec_b64 s[0:1], s[2:3]
	s_cbranch_execz .LBB488_96
; %bb.94:
	v_and_b32_e32 v25, 1, v21
	v_cmp_eq_u32_e32 vcc, 1, v25
	s_and_b64 exec, exec, vcc
	s_cbranch_execz .LBB488_96
; %bb.95:
	s_lshl_b64 s[2:3], s[22:23], 3
	s_add_u32 s2, s24, s2
	s_addc_u32 s3, s25, s3
	v_mov_b32_e32 v33, 0
	v_lshl_add_u64 v[36:37], v[32:33], 3, s[2:3]
	global_store_dwordx2 v[36:37], v[12:13], off
.LBB488_96:
	s_or_b64 exec, exec, s[0:1]
	v_cmp_lt_u32_e32 vcc, v30, v23
	s_or_b64 s[2:3], s[28:29], vcc
	s_and_saveexec_b64 s[0:1], s[2:3]
	s_cbranch_execz .LBB488_99
; %bb.97:
	v_mov_b32_e32 v25, 1
	v_and_b32_sdwa v25, v25, v16 dst_sel:DWORD dst_unused:UNUSED_PAD src0_sel:DWORD src1_sel:WORD_1
	v_cmp_eq_u32_e32 vcc, 1, v25
	s_and_b64 exec, exec, vcc
	s_cbranch_execz .LBB488_99
; %bb.98:
	s_lshl_b64 s[2:3], s[22:23], 3
	s_add_u32 s2, s24, s2
	s_addc_u32 s3, s25, s3
	v_mov_b32_e32 v31, 0
	v_lshl_add_u64 v[36:37], v[30:31], 3, s[2:3]
	global_store_dwordx2 v[36:37], v[6:7], off
.LBB488_99:
	s_or_b64 exec, exec, s[0:1]
	v_cmp_lt_u32_e32 vcc, v28, v23
	s_or_b64 s[2:3], s[28:29], vcc
	s_and_saveexec_b64 s[0:1], s[2:3]
	s_cbranch_execz .LBB488_102
; %bb.100:
	v_and_b32_e32 v25, 1, v20
	v_cmp_eq_u32_e32 vcc, 1, v25
	s_and_b64 exec, exec, vcc
	s_cbranch_execz .LBB488_102
; %bb.101:
	s_lshl_b64 s[2:3], s[22:23], 3
	s_add_u32 s2, s24, s2
	s_addc_u32 s3, s25, s3
	v_mov_b32_e32 v29, 0
	v_lshl_add_u64 v[36:37], v[28:29], 3, s[2:3]
	global_store_dwordx2 v[36:37], v[8:9], off
.LBB488_102:
	s_or_b64 exec, exec, s[0:1]
	v_cmp_lt_u32_e32 vcc, v26, v23
	s_or_b64 s[2:3], s[28:29], vcc
	s_and_saveexec_b64 s[0:1], s[2:3]
	s_cbranch_execz .LBB488_105
; %bb.103:
	v_and_b32_e32 v25, 1, v17
	v_cmp_eq_u32_e32 vcc, 1, v25
	s_and_b64 exec, exec, vcc
	s_cbranch_execz .LBB488_105
; %bb.104:
	s_lshl_b64 s[2:3], s[22:23], 3
	s_add_u32 s2, s24, s2
	s_addc_u32 s3, s25, s3
	v_mov_b32_e32 v27, 0
	v_lshl_add_u64 v[36:37], v[26:27], 3, s[2:3]
	global_store_dwordx2 v[36:37], v[2:3], off
.LBB488_105:
	;; [unrolled: 18-line block ×3, first 2 shown]
	s_or_b64 exec, exec, s[0:1]
	v_cmp_lt_u32_e32 vcc, v22, v23
	s_or_b64 s[2:3], s[28:29], vcc
	s_and_saveexec_b64 s[0:1], s[2:3]
	s_cbranch_execz .LBB488_111
; %bb.109:
	v_mov_b32_e32 v23, 1
	v_and_b32_sdwa v23, v23, v17 dst_sel:DWORD dst_unused:UNUSED_PAD src0_sel:DWORD src1_sel:WORD_1
	v_cmp_eq_u32_e32 vcc, 1, v23
	s_and_b64 exec, exec, vcc
	s_cbranch_execz .LBB488_111
; %bb.110:
	s_lshl_b64 s[2:3], s[22:23], 3
	s_add_u32 s2, s24, s2
	s_addc_u32 s3, s25, s3
	v_mov_b32_e32 v23, 0
	v_lshl_add_u64 v[36:37], v[22:23], 3, s[2:3]
	global_store_dwordx2 v[36:37], v[14:15], off
.LBB488_111:
	s_or_b64 exec, exec, s[0:1]
	s_branch .LBB488_88
.LBB488_112:
	v_and_b32_e32 v23, 1, v16
	v_cmp_eq_u32_e32 vcc, 1, v23
	s_and_saveexec_b64 s[0:1], vcc
	s_cbranch_execz .LBB488_114
; %bb.113:
	v_sub_u32_e32 v23, v34, v19
	v_lshlrev_b32_e32 v23, 3, v23
	ds_write_b64 v23, v[10:11]
.LBB488_114:
	s_or_b64 exec, exec, s[0:1]
	v_and_b32_e32 v10, 1, v21
	v_cmp_eq_u32_e32 vcc, 1, v10
	s_and_saveexec_b64 s[0:1], vcc
	s_cbranch_execz .LBB488_116
; %bb.115:
	v_sub_u32_e32 v10, v32, v19
	v_lshlrev_b32_e32 v10, 3, v10
	ds_write_b64 v10, v[12:13]
.LBB488_116:
	s_or_b64 exec, exec, s[0:1]
	v_mov_b32_e32 v10, 1
	v_and_b32_sdwa v10, v10, v16 dst_sel:DWORD dst_unused:UNUSED_PAD src0_sel:DWORD src1_sel:WORD_1
	v_cmp_eq_u32_e32 vcc, 1, v10
	s_and_saveexec_b64 s[0:1], vcc
	s_cbranch_execz .LBB488_118
; %bb.117:
	v_sub_u32_e32 v10, v30, v19
	v_lshlrev_b32_e32 v10, 3, v10
	ds_write_b64 v10, v[6:7]
.LBB488_118:
	s_or_b64 exec, exec, s[0:1]
	v_and_b32_e32 v6, 1, v20
	v_cmp_eq_u32_e32 vcc, 1, v6
	s_and_saveexec_b64 s[0:1], vcc
	s_cbranch_execz .LBB488_120
; %bb.119:
	v_sub_u32_e32 v6, v28, v19
	v_lshlrev_b32_e32 v6, 3, v6
	ds_write_b64 v6, v[8:9]
.LBB488_120:
	s_or_b64 exec, exec, s[0:1]
	v_and_b32_e32 v6, 1, v17
	;; [unrolled: 10-line block ×3, first 2 shown]
	v_cmp_eq_u32_e32 vcc, 1, v1
	s_and_saveexec_b64 s[0:1], vcc
	s_cbranch_execz .LBB488_124
; %bb.123:
	v_sub_u32_e32 v1, v24, v19
	v_lshlrev_b32_e32 v1, 3, v1
	ds_write_b64 v1, v[4:5]
.LBB488_124:
	s_or_b64 exec, exec, s[0:1]
	v_mov_b32_e32 v1, 1
	v_and_b32_sdwa v1, v1, v17 dst_sel:DWORD dst_unused:UNUSED_PAD src0_sel:DWORD src1_sel:WORD_1
	v_cmp_eq_u32_e32 vcc, 1, v1
	s_and_saveexec_b64 s[0:1], vcc
	s_cbranch_execz .LBB488_126
; %bb.125:
	v_sub_u32_e32 v1, v22, v19
	v_lshlrev_b32_e32 v1, 3, v1
	ds_write_b64 v1, v[14:15]
.LBB488_126:
	s_or_b64 exec, exec, s[0:1]
	v_cmp_lt_u32_e32 vcc, v0, v18
	s_waitcnt lgkmcnt(0)
	s_barrier
	s_and_saveexec_b64 s[0:1], vcc
	s_cbranch_execz .LBB488_129
; %bb.127:
	v_mov_b32_e32 v5, 0
	v_mov_b32_e32 v4, v19
	s_lshl_b64 s[2:3], s[22:23], 3
	v_lshlrev_b64 v[6:7], 3, v[4:5]
	v_lshl_add_u64 v[6:7], s[2:3], 0, v[6:7]
	v_lshlrev_b32_e32 v2, 3, v0
	v_mov_b32_e32 v3, v5
	v_lshl_add_u64 v[4:5], s[24:25], 0, v[6:7]
	v_lshl_add_u64 v[4:5], v[4:5], 0, v[2:3]
	s_mov_b64 s[2:3], 0
	s_mov_b64 s[4:5], 0x1000
.LBB488_128:                            ; =>This Inner Loop Header: Depth=1
	ds_read_b64 v[6:7], v2
	v_add_u32_e32 v0, 0x200, v0
	v_cmp_ge_u32_e32 vcc, v0, v18
	v_add_u32_e32 v2, 0x1000, v2
	s_or_b64 s[2:3], vcc, s[2:3]
	s_waitcnt lgkmcnt(0)
	global_store_dwordx2 v[4:5], v[6:7], off
	v_lshl_add_u64 v[4:5], v[4:5], 0, s[4:5]
	s_andn2_b64 exec, exec, s[2:3]
	s_cbranch_execnz .LBB488_128
.LBB488_129:
	s_or_b64 exec, exec, s[0:1]
	s_and_b64 s[0:1], s[18:19], s[26:27]
	s_and_saveexec_b64 s[2:3], s[0:1]
	s_cbranch_execz .LBB488_89
.LBB488_130:
	v_mov_b32_e32 v1, 0
	v_mov_b32_e32 v0, v18
	v_lshl_add_u64 v[2:3], s[22:23], 0, v[0:1]
	v_mov_b32_e32 v0, v19
	v_lshl_add_u64 v[2:3], v[2:3], 0, v[0:1]
	global_store_dwordx2 v1, v[2:3], s[20:21]
	s_endpgm
.LBB488_131:
	s_or_b64 exec, exec, s[4:5]
	s_and_saveexec_b64 s[2:3], s[34:35]
	s_cbranch_execnz .LBB488_42
	s_branch .LBB488_43
	.section	.rodata,"a",@progbits
	.p2align	6, 0x0
	.amdhsa_kernel _ZN7rocprim17ROCPRIM_400000_NS6detail17trampoline_kernelINS0_14default_configENS1_25partition_config_selectorILNS1_17partition_subalgoE8ElNS0_10empty_typeEbEEZZNS1_14partition_implILS5_8ELb0ES3_jPKlPS6_PKS6_NS0_5tupleIJPlS6_EEENSE_IJSB_SB_EEENS0_18inequality_wrapperIN6hipcub16HIPCUB_304000_NS8EqualityEEESF_JS6_EEE10hipError_tPvRmT3_T4_T5_T6_T7_T9_mT8_P12ihipStream_tbDpT10_ENKUlT_T0_E_clISt17integral_constantIbLb1EES16_EEDaS11_S12_EUlS11_E_NS1_11comp_targetILNS1_3genE5ELNS1_11target_archE942ELNS1_3gpuE9ELNS1_3repE0EEENS1_30default_config_static_selectorELNS0_4arch9wavefront6targetE1EEEvT1_
		.amdhsa_group_segment_fixed_size 28680
		.amdhsa_private_segment_fixed_size 0
		.amdhsa_kernarg_size 128
		.amdhsa_user_sgpr_count 2
		.amdhsa_user_sgpr_dispatch_ptr 0
		.amdhsa_user_sgpr_queue_ptr 0
		.amdhsa_user_sgpr_kernarg_segment_ptr 1
		.amdhsa_user_sgpr_dispatch_id 0
		.amdhsa_user_sgpr_kernarg_preload_length 0
		.amdhsa_user_sgpr_kernarg_preload_offset 0
		.amdhsa_user_sgpr_private_segment_size 0
		.amdhsa_uses_dynamic_stack 0
		.amdhsa_enable_private_segment 0
		.amdhsa_system_sgpr_workgroup_id_x 1
		.amdhsa_system_sgpr_workgroup_id_y 0
		.amdhsa_system_sgpr_workgroup_id_z 0
		.amdhsa_system_sgpr_workgroup_info 0
		.amdhsa_system_vgpr_workitem_id 0
		.amdhsa_next_free_vgpr 53
		.amdhsa_next_free_sgpr 42
		.amdhsa_accum_offset 56
		.amdhsa_reserve_vcc 1
		.amdhsa_float_round_mode_32 0
		.amdhsa_float_round_mode_16_64 0
		.amdhsa_float_denorm_mode_32 3
		.amdhsa_float_denorm_mode_16_64 3
		.amdhsa_dx10_clamp 1
		.amdhsa_ieee_mode 1
		.amdhsa_fp16_overflow 0
		.amdhsa_tg_split 0
		.amdhsa_exception_fp_ieee_invalid_op 0
		.amdhsa_exception_fp_denorm_src 0
		.amdhsa_exception_fp_ieee_div_zero 0
		.amdhsa_exception_fp_ieee_overflow 0
		.amdhsa_exception_fp_ieee_underflow 0
		.amdhsa_exception_fp_ieee_inexact 0
		.amdhsa_exception_int_div_zero 0
	.end_amdhsa_kernel
	.section	.text._ZN7rocprim17ROCPRIM_400000_NS6detail17trampoline_kernelINS0_14default_configENS1_25partition_config_selectorILNS1_17partition_subalgoE8ElNS0_10empty_typeEbEEZZNS1_14partition_implILS5_8ELb0ES3_jPKlPS6_PKS6_NS0_5tupleIJPlS6_EEENSE_IJSB_SB_EEENS0_18inequality_wrapperIN6hipcub16HIPCUB_304000_NS8EqualityEEESF_JS6_EEE10hipError_tPvRmT3_T4_T5_T6_T7_T9_mT8_P12ihipStream_tbDpT10_ENKUlT_T0_E_clISt17integral_constantIbLb1EES16_EEDaS11_S12_EUlS11_E_NS1_11comp_targetILNS1_3genE5ELNS1_11target_archE942ELNS1_3gpuE9ELNS1_3repE0EEENS1_30default_config_static_selectorELNS0_4arch9wavefront6targetE1EEEvT1_,"axG",@progbits,_ZN7rocprim17ROCPRIM_400000_NS6detail17trampoline_kernelINS0_14default_configENS1_25partition_config_selectorILNS1_17partition_subalgoE8ElNS0_10empty_typeEbEEZZNS1_14partition_implILS5_8ELb0ES3_jPKlPS6_PKS6_NS0_5tupleIJPlS6_EEENSE_IJSB_SB_EEENS0_18inequality_wrapperIN6hipcub16HIPCUB_304000_NS8EqualityEEESF_JS6_EEE10hipError_tPvRmT3_T4_T5_T6_T7_T9_mT8_P12ihipStream_tbDpT10_ENKUlT_T0_E_clISt17integral_constantIbLb1EES16_EEDaS11_S12_EUlS11_E_NS1_11comp_targetILNS1_3genE5ELNS1_11target_archE942ELNS1_3gpuE9ELNS1_3repE0EEENS1_30default_config_static_selectorELNS0_4arch9wavefront6targetE1EEEvT1_,comdat
.Lfunc_end488:
	.size	_ZN7rocprim17ROCPRIM_400000_NS6detail17trampoline_kernelINS0_14default_configENS1_25partition_config_selectorILNS1_17partition_subalgoE8ElNS0_10empty_typeEbEEZZNS1_14partition_implILS5_8ELb0ES3_jPKlPS6_PKS6_NS0_5tupleIJPlS6_EEENSE_IJSB_SB_EEENS0_18inequality_wrapperIN6hipcub16HIPCUB_304000_NS8EqualityEEESF_JS6_EEE10hipError_tPvRmT3_T4_T5_T6_T7_T9_mT8_P12ihipStream_tbDpT10_ENKUlT_T0_E_clISt17integral_constantIbLb1EES16_EEDaS11_S12_EUlS11_E_NS1_11comp_targetILNS1_3genE5ELNS1_11target_archE942ELNS1_3gpuE9ELNS1_3repE0EEENS1_30default_config_static_selectorELNS0_4arch9wavefront6targetE1EEEvT1_, .Lfunc_end488-_ZN7rocprim17ROCPRIM_400000_NS6detail17trampoline_kernelINS0_14default_configENS1_25partition_config_selectorILNS1_17partition_subalgoE8ElNS0_10empty_typeEbEEZZNS1_14partition_implILS5_8ELb0ES3_jPKlPS6_PKS6_NS0_5tupleIJPlS6_EEENSE_IJSB_SB_EEENS0_18inequality_wrapperIN6hipcub16HIPCUB_304000_NS8EqualityEEESF_JS6_EEE10hipError_tPvRmT3_T4_T5_T6_T7_T9_mT8_P12ihipStream_tbDpT10_ENKUlT_T0_E_clISt17integral_constantIbLb1EES16_EEDaS11_S12_EUlS11_E_NS1_11comp_targetILNS1_3genE5ELNS1_11target_archE942ELNS1_3gpuE9ELNS1_3repE0EEENS1_30default_config_static_selectorELNS0_4arch9wavefront6targetE1EEEvT1_
                                        ; -- End function
	.section	.AMDGPU.csdata,"",@progbits
; Kernel info:
; codeLenInByte = 5700
; NumSgprs: 48
; NumVgprs: 53
; NumAgprs: 0
; TotalNumVgprs: 53
; ScratchSize: 0
; MemoryBound: 0
; FloatMode: 240
; IeeeMode: 1
; LDSByteSize: 28680 bytes/workgroup (compile time only)
; SGPRBlocks: 5
; VGPRBlocks: 6
; NumSGPRsForWavesPerEU: 48
; NumVGPRsForWavesPerEU: 53
; AccumOffset: 56
; Occupancy: 4
; WaveLimiterHint : 1
; COMPUTE_PGM_RSRC2:SCRATCH_EN: 0
; COMPUTE_PGM_RSRC2:USER_SGPR: 2
; COMPUTE_PGM_RSRC2:TRAP_HANDLER: 0
; COMPUTE_PGM_RSRC2:TGID_X_EN: 1
; COMPUTE_PGM_RSRC2:TGID_Y_EN: 0
; COMPUTE_PGM_RSRC2:TGID_Z_EN: 0
; COMPUTE_PGM_RSRC2:TIDIG_COMP_CNT: 0
; COMPUTE_PGM_RSRC3_GFX90A:ACCUM_OFFSET: 13
; COMPUTE_PGM_RSRC3_GFX90A:TG_SPLIT: 0
	.section	.text._ZN7rocprim17ROCPRIM_400000_NS6detail17trampoline_kernelINS0_14default_configENS1_25partition_config_selectorILNS1_17partition_subalgoE8ElNS0_10empty_typeEbEEZZNS1_14partition_implILS5_8ELb0ES3_jPKlPS6_PKS6_NS0_5tupleIJPlS6_EEENSE_IJSB_SB_EEENS0_18inequality_wrapperIN6hipcub16HIPCUB_304000_NS8EqualityEEESF_JS6_EEE10hipError_tPvRmT3_T4_T5_T6_T7_T9_mT8_P12ihipStream_tbDpT10_ENKUlT_T0_E_clISt17integral_constantIbLb1EES16_EEDaS11_S12_EUlS11_E_NS1_11comp_targetILNS1_3genE4ELNS1_11target_archE910ELNS1_3gpuE8ELNS1_3repE0EEENS1_30default_config_static_selectorELNS0_4arch9wavefront6targetE1EEEvT1_,"axG",@progbits,_ZN7rocprim17ROCPRIM_400000_NS6detail17trampoline_kernelINS0_14default_configENS1_25partition_config_selectorILNS1_17partition_subalgoE8ElNS0_10empty_typeEbEEZZNS1_14partition_implILS5_8ELb0ES3_jPKlPS6_PKS6_NS0_5tupleIJPlS6_EEENSE_IJSB_SB_EEENS0_18inequality_wrapperIN6hipcub16HIPCUB_304000_NS8EqualityEEESF_JS6_EEE10hipError_tPvRmT3_T4_T5_T6_T7_T9_mT8_P12ihipStream_tbDpT10_ENKUlT_T0_E_clISt17integral_constantIbLb1EES16_EEDaS11_S12_EUlS11_E_NS1_11comp_targetILNS1_3genE4ELNS1_11target_archE910ELNS1_3gpuE8ELNS1_3repE0EEENS1_30default_config_static_selectorELNS0_4arch9wavefront6targetE1EEEvT1_,comdat
	.protected	_ZN7rocprim17ROCPRIM_400000_NS6detail17trampoline_kernelINS0_14default_configENS1_25partition_config_selectorILNS1_17partition_subalgoE8ElNS0_10empty_typeEbEEZZNS1_14partition_implILS5_8ELb0ES3_jPKlPS6_PKS6_NS0_5tupleIJPlS6_EEENSE_IJSB_SB_EEENS0_18inequality_wrapperIN6hipcub16HIPCUB_304000_NS8EqualityEEESF_JS6_EEE10hipError_tPvRmT3_T4_T5_T6_T7_T9_mT8_P12ihipStream_tbDpT10_ENKUlT_T0_E_clISt17integral_constantIbLb1EES16_EEDaS11_S12_EUlS11_E_NS1_11comp_targetILNS1_3genE4ELNS1_11target_archE910ELNS1_3gpuE8ELNS1_3repE0EEENS1_30default_config_static_selectorELNS0_4arch9wavefront6targetE1EEEvT1_ ; -- Begin function _ZN7rocprim17ROCPRIM_400000_NS6detail17trampoline_kernelINS0_14default_configENS1_25partition_config_selectorILNS1_17partition_subalgoE8ElNS0_10empty_typeEbEEZZNS1_14partition_implILS5_8ELb0ES3_jPKlPS6_PKS6_NS0_5tupleIJPlS6_EEENSE_IJSB_SB_EEENS0_18inequality_wrapperIN6hipcub16HIPCUB_304000_NS8EqualityEEESF_JS6_EEE10hipError_tPvRmT3_T4_T5_T6_T7_T9_mT8_P12ihipStream_tbDpT10_ENKUlT_T0_E_clISt17integral_constantIbLb1EES16_EEDaS11_S12_EUlS11_E_NS1_11comp_targetILNS1_3genE4ELNS1_11target_archE910ELNS1_3gpuE8ELNS1_3repE0EEENS1_30default_config_static_selectorELNS0_4arch9wavefront6targetE1EEEvT1_
	.globl	_ZN7rocprim17ROCPRIM_400000_NS6detail17trampoline_kernelINS0_14default_configENS1_25partition_config_selectorILNS1_17partition_subalgoE8ElNS0_10empty_typeEbEEZZNS1_14partition_implILS5_8ELb0ES3_jPKlPS6_PKS6_NS0_5tupleIJPlS6_EEENSE_IJSB_SB_EEENS0_18inequality_wrapperIN6hipcub16HIPCUB_304000_NS8EqualityEEESF_JS6_EEE10hipError_tPvRmT3_T4_T5_T6_T7_T9_mT8_P12ihipStream_tbDpT10_ENKUlT_T0_E_clISt17integral_constantIbLb1EES16_EEDaS11_S12_EUlS11_E_NS1_11comp_targetILNS1_3genE4ELNS1_11target_archE910ELNS1_3gpuE8ELNS1_3repE0EEENS1_30default_config_static_selectorELNS0_4arch9wavefront6targetE1EEEvT1_
	.p2align	8
	.type	_ZN7rocprim17ROCPRIM_400000_NS6detail17trampoline_kernelINS0_14default_configENS1_25partition_config_selectorILNS1_17partition_subalgoE8ElNS0_10empty_typeEbEEZZNS1_14partition_implILS5_8ELb0ES3_jPKlPS6_PKS6_NS0_5tupleIJPlS6_EEENSE_IJSB_SB_EEENS0_18inequality_wrapperIN6hipcub16HIPCUB_304000_NS8EqualityEEESF_JS6_EEE10hipError_tPvRmT3_T4_T5_T6_T7_T9_mT8_P12ihipStream_tbDpT10_ENKUlT_T0_E_clISt17integral_constantIbLb1EES16_EEDaS11_S12_EUlS11_E_NS1_11comp_targetILNS1_3genE4ELNS1_11target_archE910ELNS1_3gpuE8ELNS1_3repE0EEENS1_30default_config_static_selectorELNS0_4arch9wavefront6targetE1EEEvT1_,@function
_ZN7rocprim17ROCPRIM_400000_NS6detail17trampoline_kernelINS0_14default_configENS1_25partition_config_selectorILNS1_17partition_subalgoE8ElNS0_10empty_typeEbEEZZNS1_14partition_implILS5_8ELb0ES3_jPKlPS6_PKS6_NS0_5tupleIJPlS6_EEENSE_IJSB_SB_EEENS0_18inequality_wrapperIN6hipcub16HIPCUB_304000_NS8EqualityEEESF_JS6_EEE10hipError_tPvRmT3_T4_T5_T6_T7_T9_mT8_P12ihipStream_tbDpT10_ENKUlT_T0_E_clISt17integral_constantIbLb1EES16_EEDaS11_S12_EUlS11_E_NS1_11comp_targetILNS1_3genE4ELNS1_11target_archE910ELNS1_3gpuE8ELNS1_3repE0EEENS1_30default_config_static_selectorELNS0_4arch9wavefront6targetE1EEEvT1_: ; @_ZN7rocprim17ROCPRIM_400000_NS6detail17trampoline_kernelINS0_14default_configENS1_25partition_config_selectorILNS1_17partition_subalgoE8ElNS0_10empty_typeEbEEZZNS1_14partition_implILS5_8ELb0ES3_jPKlPS6_PKS6_NS0_5tupleIJPlS6_EEENSE_IJSB_SB_EEENS0_18inequality_wrapperIN6hipcub16HIPCUB_304000_NS8EqualityEEESF_JS6_EEE10hipError_tPvRmT3_T4_T5_T6_T7_T9_mT8_P12ihipStream_tbDpT10_ENKUlT_T0_E_clISt17integral_constantIbLb1EES16_EEDaS11_S12_EUlS11_E_NS1_11comp_targetILNS1_3genE4ELNS1_11target_archE910ELNS1_3gpuE8ELNS1_3repE0EEENS1_30default_config_static_selectorELNS0_4arch9wavefront6targetE1EEEvT1_
; %bb.0:
	.section	.rodata,"a",@progbits
	.p2align	6, 0x0
	.amdhsa_kernel _ZN7rocprim17ROCPRIM_400000_NS6detail17trampoline_kernelINS0_14default_configENS1_25partition_config_selectorILNS1_17partition_subalgoE8ElNS0_10empty_typeEbEEZZNS1_14partition_implILS5_8ELb0ES3_jPKlPS6_PKS6_NS0_5tupleIJPlS6_EEENSE_IJSB_SB_EEENS0_18inequality_wrapperIN6hipcub16HIPCUB_304000_NS8EqualityEEESF_JS6_EEE10hipError_tPvRmT3_T4_T5_T6_T7_T9_mT8_P12ihipStream_tbDpT10_ENKUlT_T0_E_clISt17integral_constantIbLb1EES16_EEDaS11_S12_EUlS11_E_NS1_11comp_targetILNS1_3genE4ELNS1_11target_archE910ELNS1_3gpuE8ELNS1_3repE0EEENS1_30default_config_static_selectorELNS0_4arch9wavefront6targetE1EEEvT1_
		.amdhsa_group_segment_fixed_size 0
		.amdhsa_private_segment_fixed_size 0
		.amdhsa_kernarg_size 128
		.amdhsa_user_sgpr_count 2
		.amdhsa_user_sgpr_dispatch_ptr 0
		.amdhsa_user_sgpr_queue_ptr 0
		.amdhsa_user_sgpr_kernarg_segment_ptr 1
		.amdhsa_user_sgpr_dispatch_id 0
		.amdhsa_user_sgpr_kernarg_preload_length 0
		.amdhsa_user_sgpr_kernarg_preload_offset 0
		.amdhsa_user_sgpr_private_segment_size 0
		.amdhsa_uses_dynamic_stack 0
		.amdhsa_enable_private_segment 0
		.amdhsa_system_sgpr_workgroup_id_x 1
		.amdhsa_system_sgpr_workgroup_id_y 0
		.amdhsa_system_sgpr_workgroup_id_z 0
		.amdhsa_system_sgpr_workgroup_info 0
		.amdhsa_system_vgpr_workitem_id 0
		.amdhsa_next_free_vgpr 1
		.amdhsa_next_free_sgpr 0
		.amdhsa_accum_offset 4
		.amdhsa_reserve_vcc 0
		.amdhsa_float_round_mode_32 0
		.amdhsa_float_round_mode_16_64 0
		.amdhsa_float_denorm_mode_32 3
		.amdhsa_float_denorm_mode_16_64 3
		.amdhsa_dx10_clamp 1
		.amdhsa_ieee_mode 1
		.amdhsa_fp16_overflow 0
		.amdhsa_tg_split 0
		.amdhsa_exception_fp_ieee_invalid_op 0
		.amdhsa_exception_fp_denorm_src 0
		.amdhsa_exception_fp_ieee_div_zero 0
		.amdhsa_exception_fp_ieee_overflow 0
		.amdhsa_exception_fp_ieee_underflow 0
		.amdhsa_exception_fp_ieee_inexact 0
		.amdhsa_exception_int_div_zero 0
	.end_amdhsa_kernel
	.section	.text._ZN7rocprim17ROCPRIM_400000_NS6detail17trampoline_kernelINS0_14default_configENS1_25partition_config_selectorILNS1_17partition_subalgoE8ElNS0_10empty_typeEbEEZZNS1_14partition_implILS5_8ELb0ES3_jPKlPS6_PKS6_NS0_5tupleIJPlS6_EEENSE_IJSB_SB_EEENS0_18inequality_wrapperIN6hipcub16HIPCUB_304000_NS8EqualityEEESF_JS6_EEE10hipError_tPvRmT3_T4_T5_T6_T7_T9_mT8_P12ihipStream_tbDpT10_ENKUlT_T0_E_clISt17integral_constantIbLb1EES16_EEDaS11_S12_EUlS11_E_NS1_11comp_targetILNS1_3genE4ELNS1_11target_archE910ELNS1_3gpuE8ELNS1_3repE0EEENS1_30default_config_static_selectorELNS0_4arch9wavefront6targetE1EEEvT1_,"axG",@progbits,_ZN7rocprim17ROCPRIM_400000_NS6detail17trampoline_kernelINS0_14default_configENS1_25partition_config_selectorILNS1_17partition_subalgoE8ElNS0_10empty_typeEbEEZZNS1_14partition_implILS5_8ELb0ES3_jPKlPS6_PKS6_NS0_5tupleIJPlS6_EEENSE_IJSB_SB_EEENS0_18inequality_wrapperIN6hipcub16HIPCUB_304000_NS8EqualityEEESF_JS6_EEE10hipError_tPvRmT3_T4_T5_T6_T7_T9_mT8_P12ihipStream_tbDpT10_ENKUlT_T0_E_clISt17integral_constantIbLb1EES16_EEDaS11_S12_EUlS11_E_NS1_11comp_targetILNS1_3genE4ELNS1_11target_archE910ELNS1_3gpuE8ELNS1_3repE0EEENS1_30default_config_static_selectorELNS0_4arch9wavefront6targetE1EEEvT1_,comdat
.Lfunc_end489:
	.size	_ZN7rocprim17ROCPRIM_400000_NS6detail17trampoline_kernelINS0_14default_configENS1_25partition_config_selectorILNS1_17partition_subalgoE8ElNS0_10empty_typeEbEEZZNS1_14partition_implILS5_8ELb0ES3_jPKlPS6_PKS6_NS0_5tupleIJPlS6_EEENSE_IJSB_SB_EEENS0_18inequality_wrapperIN6hipcub16HIPCUB_304000_NS8EqualityEEESF_JS6_EEE10hipError_tPvRmT3_T4_T5_T6_T7_T9_mT8_P12ihipStream_tbDpT10_ENKUlT_T0_E_clISt17integral_constantIbLb1EES16_EEDaS11_S12_EUlS11_E_NS1_11comp_targetILNS1_3genE4ELNS1_11target_archE910ELNS1_3gpuE8ELNS1_3repE0EEENS1_30default_config_static_selectorELNS0_4arch9wavefront6targetE1EEEvT1_, .Lfunc_end489-_ZN7rocprim17ROCPRIM_400000_NS6detail17trampoline_kernelINS0_14default_configENS1_25partition_config_selectorILNS1_17partition_subalgoE8ElNS0_10empty_typeEbEEZZNS1_14partition_implILS5_8ELb0ES3_jPKlPS6_PKS6_NS0_5tupleIJPlS6_EEENSE_IJSB_SB_EEENS0_18inequality_wrapperIN6hipcub16HIPCUB_304000_NS8EqualityEEESF_JS6_EEE10hipError_tPvRmT3_T4_T5_T6_T7_T9_mT8_P12ihipStream_tbDpT10_ENKUlT_T0_E_clISt17integral_constantIbLb1EES16_EEDaS11_S12_EUlS11_E_NS1_11comp_targetILNS1_3genE4ELNS1_11target_archE910ELNS1_3gpuE8ELNS1_3repE0EEENS1_30default_config_static_selectorELNS0_4arch9wavefront6targetE1EEEvT1_
                                        ; -- End function
	.section	.AMDGPU.csdata,"",@progbits
; Kernel info:
; codeLenInByte = 0
; NumSgprs: 6
; NumVgprs: 0
; NumAgprs: 0
; TotalNumVgprs: 0
; ScratchSize: 0
; MemoryBound: 0
; FloatMode: 240
; IeeeMode: 1
; LDSByteSize: 0 bytes/workgroup (compile time only)
; SGPRBlocks: 0
; VGPRBlocks: 0
; NumSGPRsForWavesPerEU: 6
; NumVGPRsForWavesPerEU: 1
; AccumOffset: 4
; Occupancy: 8
; WaveLimiterHint : 0
; COMPUTE_PGM_RSRC2:SCRATCH_EN: 0
; COMPUTE_PGM_RSRC2:USER_SGPR: 2
; COMPUTE_PGM_RSRC2:TRAP_HANDLER: 0
; COMPUTE_PGM_RSRC2:TGID_X_EN: 1
; COMPUTE_PGM_RSRC2:TGID_Y_EN: 0
; COMPUTE_PGM_RSRC2:TGID_Z_EN: 0
; COMPUTE_PGM_RSRC2:TIDIG_COMP_CNT: 0
; COMPUTE_PGM_RSRC3_GFX90A:ACCUM_OFFSET: 0
; COMPUTE_PGM_RSRC3_GFX90A:TG_SPLIT: 0
	.section	.text._ZN7rocprim17ROCPRIM_400000_NS6detail17trampoline_kernelINS0_14default_configENS1_25partition_config_selectorILNS1_17partition_subalgoE8ElNS0_10empty_typeEbEEZZNS1_14partition_implILS5_8ELb0ES3_jPKlPS6_PKS6_NS0_5tupleIJPlS6_EEENSE_IJSB_SB_EEENS0_18inequality_wrapperIN6hipcub16HIPCUB_304000_NS8EqualityEEESF_JS6_EEE10hipError_tPvRmT3_T4_T5_T6_T7_T9_mT8_P12ihipStream_tbDpT10_ENKUlT_T0_E_clISt17integral_constantIbLb1EES16_EEDaS11_S12_EUlS11_E_NS1_11comp_targetILNS1_3genE3ELNS1_11target_archE908ELNS1_3gpuE7ELNS1_3repE0EEENS1_30default_config_static_selectorELNS0_4arch9wavefront6targetE1EEEvT1_,"axG",@progbits,_ZN7rocprim17ROCPRIM_400000_NS6detail17trampoline_kernelINS0_14default_configENS1_25partition_config_selectorILNS1_17partition_subalgoE8ElNS0_10empty_typeEbEEZZNS1_14partition_implILS5_8ELb0ES3_jPKlPS6_PKS6_NS0_5tupleIJPlS6_EEENSE_IJSB_SB_EEENS0_18inequality_wrapperIN6hipcub16HIPCUB_304000_NS8EqualityEEESF_JS6_EEE10hipError_tPvRmT3_T4_T5_T6_T7_T9_mT8_P12ihipStream_tbDpT10_ENKUlT_T0_E_clISt17integral_constantIbLb1EES16_EEDaS11_S12_EUlS11_E_NS1_11comp_targetILNS1_3genE3ELNS1_11target_archE908ELNS1_3gpuE7ELNS1_3repE0EEENS1_30default_config_static_selectorELNS0_4arch9wavefront6targetE1EEEvT1_,comdat
	.protected	_ZN7rocprim17ROCPRIM_400000_NS6detail17trampoline_kernelINS0_14default_configENS1_25partition_config_selectorILNS1_17partition_subalgoE8ElNS0_10empty_typeEbEEZZNS1_14partition_implILS5_8ELb0ES3_jPKlPS6_PKS6_NS0_5tupleIJPlS6_EEENSE_IJSB_SB_EEENS0_18inequality_wrapperIN6hipcub16HIPCUB_304000_NS8EqualityEEESF_JS6_EEE10hipError_tPvRmT3_T4_T5_T6_T7_T9_mT8_P12ihipStream_tbDpT10_ENKUlT_T0_E_clISt17integral_constantIbLb1EES16_EEDaS11_S12_EUlS11_E_NS1_11comp_targetILNS1_3genE3ELNS1_11target_archE908ELNS1_3gpuE7ELNS1_3repE0EEENS1_30default_config_static_selectorELNS0_4arch9wavefront6targetE1EEEvT1_ ; -- Begin function _ZN7rocprim17ROCPRIM_400000_NS6detail17trampoline_kernelINS0_14default_configENS1_25partition_config_selectorILNS1_17partition_subalgoE8ElNS0_10empty_typeEbEEZZNS1_14partition_implILS5_8ELb0ES3_jPKlPS6_PKS6_NS0_5tupleIJPlS6_EEENSE_IJSB_SB_EEENS0_18inequality_wrapperIN6hipcub16HIPCUB_304000_NS8EqualityEEESF_JS6_EEE10hipError_tPvRmT3_T4_T5_T6_T7_T9_mT8_P12ihipStream_tbDpT10_ENKUlT_T0_E_clISt17integral_constantIbLb1EES16_EEDaS11_S12_EUlS11_E_NS1_11comp_targetILNS1_3genE3ELNS1_11target_archE908ELNS1_3gpuE7ELNS1_3repE0EEENS1_30default_config_static_selectorELNS0_4arch9wavefront6targetE1EEEvT1_
	.globl	_ZN7rocprim17ROCPRIM_400000_NS6detail17trampoline_kernelINS0_14default_configENS1_25partition_config_selectorILNS1_17partition_subalgoE8ElNS0_10empty_typeEbEEZZNS1_14partition_implILS5_8ELb0ES3_jPKlPS6_PKS6_NS0_5tupleIJPlS6_EEENSE_IJSB_SB_EEENS0_18inequality_wrapperIN6hipcub16HIPCUB_304000_NS8EqualityEEESF_JS6_EEE10hipError_tPvRmT3_T4_T5_T6_T7_T9_mT8_P12ihipStream_tbDpT10_ENKUlT_T0_E_clISt17integral_constantIbLb1EES16_EEDaS11_S12_EUlS11_E_NS1_11comp_targetILNS1_3genE3ELNS1_11target_archE908ELNS1_3gpuE7ELNS1_3repE0EEENS1_30default_config_static_selectorELNS0_4arch9wavefront6targetE1EEEvT1_
	.p2align	8
	.type	_ZN7rocprim17ROCPRIM_400000_NS6detail17trampoline_kernelINS0_14default_configENS1_25partition_config_selectorILNS1_17partition_subalgoE8ElNS0_10empty_typeEbEEZZNS1_14partition_implILS5_8ELb0ES3_jPKlPS6_PKS6_NS0_5tupleIJPlS6_EEENSE_IJSB_SB_EEENS0_18inequality_wrapperIN6hipcub16HIPCUB_304000_NS8EqualityEEESF_JS6_EEE10hipError_tPvRmT3_T4_T5_T6_T7_T9_mT8_P12ihipStream_tbDpT10_ENKUlT_T0_E_clISt17integral_constantIbLb1EES16_EEDaS11_S12_EUlS11_E_NS1_11comp_targetILNS1_3genE3ELNS1_11target_archE908ELNS1_3gpuE7ELNS1_3repE0EEENS1_30default_config_static_selectorELNS0_4arch9wavefront6targetE1EEEvT1_,@function
_ZN7rocprim17ROCPRIM_400000_NS6detail17trampoline_kernelINS0_14default_configENS1_25partition_config_selectorILNS1_17partition_subalgoE8ElNS0_10empty_typeEbEEZZNS1_14partition_implILS5_8ELb0ES3_jPKlPS6_PKS6_NS0_5tupleIJPlS6_EEENSE_IJSB_SB_EEENS0_18inequality_wrapperIN6hipcub16HIPCUB_304000_NS8EqualityEEESF_JS6_EEE10hipError_tPvRmT3_T4_T5_T6_T7_T9_mT8_P12ihipStream_tbDpT10_ENKUlT_T0_E_clISt17integral_constantIbLb1EES16_EEDaS11_S12_EUlS11_E_NS1_11comp_targetILNS1_3genE3ELNS1_11target_archE908ELNS1_3gpuE7ELNS1_3repE0EEENS1_30default_config_static_selectorELNS0_4arch9wavefront6targetE1EEEvT1_: ; @_ZN7rocprim17ROCPRIM_400000_NS6detail17trampoline_kernelINS0_14default_configENS1_25partition_config_selectorILNS1_17partition_subalgoE8ElNS0_10empty_typeEbEEZZNS1_14partition_implILS5_8ELb0ES3_jPKlPS6_PKS6_NS0_5tupleIJPlS6_EEENSE_IJSB_SB_EEENS0_18inequality_wrapperIN6hipcub16HIPCUB_304000_NS8EqualityEEESF_JS6_EEE10hipError_tPvRmT3_T4_T5_T6_T7_T9_mT8_P12ihipStream_tbDpT10_ENKUlT_T0_E_clISt17integral_constantIbLb1EES16_EEDaS11_S12_EUlS11_E_NS1_11comp_targetILNS1_3genE3ELNS1_11target_archE908ELNS1_3gpuE7ELNS1_3repE0EEENS1_30default_config_static_selectorELNS0_4arch9wavefront6targetE1EEEvT1_
; %bb.0:
	.section	.rodata,"a",@progbits
	.p2align	6, 0x0
	.amdhsa_kernel _ZN7rocprim17ROCPRIM_400000_NS6detail17trampoline_kernelINS0_14default_configENS1_25partition_config_selectorILNS1_17partition_subalgoE8ElNS0_10empty_typeEbEEZZNS1_14partition_implILS5_8ELb0ES3_jPKlPS6_PKS6_NS0_5tupleIJPlS6_EEENSE_IJSB_SB_EEENS0_18inequality_wrapperIN6hipcub16HIPCUB_304000_NS8EqualityEEESF_JS6_EEE10hipError_tPvRmT3_T4_T5_T6_T7_T9_mT8_P12ihipStream_tbDpT10_ENKUlT_T0_E_clISt17integral_constantIbLb1EES16_EEDaS11_S12_EUlS11_E_NS1_11comp_targetILNS1_3genE3ELNS1_11target_archE908ELNS1_3gpuE7ELNS1_3repE0EEENS1_30default_config_static_selectorELNS0_4arch9wavefront6targetE1EEEvT1_
		.amdhsa_group_segment_fixed_size 0
		.amdhsa_private_segment_fixed_size 0
		.amdhsa_kernarg_size 128
		.amdhsa_user_sgpr_count 2
		.amdhsa_user_sgpr_dispatch_ptr 0
		.amdhsa_user_sgpr_queue_ptr 0
		.amdhsa_user_sgpr_kernarg_segment_ptr 1
		.amdhsa_user_sgpr_dispatch_id 0
		.amdhsa_user_sgpr_kernarg_preload_length 0
		.amdhsa_user_sgpr_kernarg_preload_offset 0
		.amdhsa_user_sgpr_private_segment_size 0
		.amdhsa_uses_dynamic_stack 0
		.amdhsa_enable_private_segment 0
		.amdhsa_system_sgpr_workgroup_id_x 1
		.amdhsa_system_sgpr_workgroup_id_y 0
		.amdhsa_system_sgpr_workgroup_id_z 0
		.amdhsa_system_sgpr_workgroup_info 0
		.amdhsa_system_vgpr_workitem_id 0
		.amdhsa_next_free_vgpr 1
		.amdhsa_next_free_sgpr 0
		.amdhsa_accum_offset 4
		.amdhsa_reserve_vcc 0
		.amdhsa_float_round_mode_32 0
		.amdhsa_float_round_mode_16_64 0
		.amdhsa_float_denorm_mode_32 3
		.amdhsa_float_denorm_mode_16_64 3
		.amdhsa_dx10_clamp 1
		.amdhsa_ieee_mode 1
		.amdhsa_fp16_overflow 0
		.amdhsa_tg_split 0
		.amdhsa_exception_fp_ieee_invalid_op 0
		.amdhsa_exception_fp_denorm_src 0
		.amdhsa_exception_fp_ieee_div_zero 0
		.amdhsa_exception_fp_ieee_overflow 0
		.amdhsa_exception_fp_ieee_underflow 0
		.amdhsa_exception_fp_ieee_inexact 0
		.amdhsa_exception_int_div_zero 0
	.end_amdhsa_kernel
	.section	.text._ZN7rocprim17ROCPRIM_400000_NS6detail17trampoline_kernelINS0_14default_configENS1_25partition_config_selectorILNS1_17partition_subalgoE8ElNS0_10empty_typeEbEEZZNS1_14partition_implILS5_8ELb0ES3_jPKlPS6_PKS6_NS0_5tupleIJPlS6_EEENSE_IJSB_SB_EEENS0_18inequality_wrapperIN6hipcub16HIPCUB_304000_NS8EqualityEEESF_JS6_EEE10hipError_tPvRmT3_T4_T5_T6_T7_T9_mT8_P12ihipStream_tbDpT10_ENKUlT_T0_E_clISt17integral_constantIbLb1EES16_EEDaS11_S12_EUlS11_E_NS1_11comp_targetILNS1_3genE3ELNS1_11target_archE908ELNS1_3gpuE7ELNS1_3repE0EEENS1_30default_config_static_selectorELNS0_4arch9wavefront6targetE1EEEvT1_,"axG",@progbits,_ZN7rocprim17ROCPRIM_400000_NS6detail17trampoline_kernelINS0_14default_configENS1_25partition_config_selectorILNS1_17partition_subalgoE8ElNS0_10empty_typeEbEEZZNS1_14partition_implILS5_8ELb0ES3_jPKlPS6_PKS6_NS0_5tupleIJPlS6_EEENSE_IJSB_SB_EEENS0_18inequality_wrapperIN6hipcub16HIPCUB_304000_NS8EqualityEEESF_JS6_EEE10hipError_tPvRmT3_T4_T5_T6_T7_T9_mT8_P12ihipStream_tbDpT10_ENKUlT_T0_E_clISt17integral_constantIbLb1EES16_EEDaS11_S12_EUlS11_E_NS1_11comp_targetILNS1_3genE3ELNS1_11target_archE908ELNS1_3gpuE7ELNS1_3repE0EEENS1_30default_config_static_selectorELNS0_4arch9wavefront6targetE1EEEvT1_,comdat
.Lfunc_end490:
	.size	_ZN7rocprim17ROCPRIM_400000_NS6detail17trampoline_kernelINS0_14default_configENS1_25partition_config_selectorILNS1_17partition_subalgoE8ElNS0_10empty_typeEbEEZZNS1_14partition_implILS5_8ELb0ES3_jPKlPS6_PKS6_NS0_5tupleIJPlS6_EEENSE_IJSB_SB_EEENS0_18inequality_wrapperIN6hipcub16HIPCUB_304000_NS8EqualityEEESF_JS6_EEE10hipError_tPvRmT3_T4_T5_T6_T7_T9_mT8_P12ihipStream_tbDpT10_ENKUlT_T0_E_clISt17integral_constantIbLb1EES16_EEDaS11_S12_EUlS11_E_NS1_11comp_targetILNS1_3genE3ELNS1_11target_archE908ELNS1_3gpuE7ELNS1_3repE0EEENS1_30default_config_static_selectorELNS0_4arch9wavefront6targetE1EEEvT1_, .Lfunc_end490-_ZN7rocprim17ROCPRIM_400000_NS6detail17trampoline_kernelINS0_14default_configENS1_25partition_config_selectorILNS1_17partition_subalgoE8ElNS0_10empty_typeEbEEZZNS1_14partition_implILS5_8ELb0ES3_jPKlPS6_PKS6_NS0_5tupleIJPlS6_EEENSE_IJSB_SB_EEENS0_18inequality_wrapperIN6hipcub16HIPCUB_304000_NS8EqualityEEESF_JS6_EEE10hipError_tPvRmT3_T4_T5_T6_T7_T9_mT8_P12ihipStream_tbDpT10_ENKUlT_T0_E_clISt17integral_constantIbLb1EES16_EEDaS11_S12_EUlS11_E_NS1_11comp_targetILNS1_3genE3ELNS1_11target_archE908ELNS1_3gpuE7ELNS1_3repE0EEENS1_30default_config_static_selectorELNS0_4arch9wavefront6targetE1EEEvT1_
                                        ; -- End function
	.section	.AMDGPU.csdata,"",@progbits
; Kernel info:
; codeLenInByte = 0
; NumSgprs: 6
; NumVgprs: 0
; NumAgprs: 0
; TotalNumVgprs: 0
; ScratchSize: 0
; MemoryBound: 0
; FloatMode: 240
; IeeeMode: 1
; LDSByteSize: 0 bytes/workgroup (compile time only)
; SGPRBlocks: 0
; VGPRBlocks: 0
; NumSGPRsForWavesPerEU: 6
; NumVGPRsForWavesPerEU: 1
; AccumOffset: 4
; Occupancy: 8
; WaveLimiterHint : 0
; COMPUTE_PGM_RSRC2:SCRATCH_EN: 0
; COMPUTE_PGM_RSRC2:USER_SGPR: 2
; COMPUTE_PGM_RSRC2:TRAP_HANDLER: 0
; COMPUTE_PGM_RSRC2:TGID_X_EN: 1
; COMPUTE_PGM_RSRC2:TGID_Y_EN: 0
; COMPUTE_PGM_RSRC2:TGID_Z_EN: 0
; COMPUTE_PGM_RSRC2:TIDIG_COMP_CNT: 0
; COMPUTE_PGM_RSRC3_GFX90A:ACCUM_OFFSET: 0
; COMPUTE_PGM_RSRC3_GFX90A:TG_SPLIT: 0
	.section	.text._ZN7rocprim17ROCPRIM_400000_NS6detail17trampoline_kernelINS0_14default_configENS1_25partition_config_selectorILNS1_17partition_subalgoE8ElNS0_10empty_typeEbEEZZNS1_14partition_implILS5_8ELb0ES3_jPKlPS6_PKS6_NS0_5tupleIJPlS6_EEENSE_IJSB_SB_EEENS0_18inequality_wrapperIN6hipcub16HIPCUB_304000_NS8EqualityEEESF_JS6_EEE10hipError_tPvRmT3_T4_T5_T6_T7_T9_mT8_P12ihipStream_tbDpT10_ENKUlT_T0_E_clISt17integral_constantIbLb1EES16_EEDaS11_S12_EUlS11_E_NS1_11comp_targetILNS1_3genE2ELNS1_11target_archE906ELNS1_3gpuE6ELNS1_3repE0EEENS1_30default_config_static_selectorELNS0_4arch9wavefront6targetE1EEEvT1_,"axG",@progbits,_ZN7rocprim17ROCPRIM_400000_NS6detail17trampoline_kernelINS0_14default_configENS1_25partition_config_selectorILNS1_17partition_subalgoE8ElNS0_10empty_typeEbEEZZNS1_14partition_implILS5_8ELb0ES3_jPKlPS6_PKS6_NS0_5tupleIJPlS6_EEENSE_IJSB_SB_EEENS0_18inequality_wrapperIN6hipcub16HIPCUB_304000_NS8EqualityEEESF_JS6_EEE10hipError_tPvRmT3_T4_T5_T6_T7_T9_mT8_P12ihipStream_tbDpT10_ENKUlT_T0_E_clISt17integral_constantIbLb1EES16_EEDaS11_S12_EUlS11_E_NS1_11comp_targetILNS1_3genE2ELNS1_11target_archE906ELNS1_3gpuE6ELNS1_3repE0EEENS1_30default_config_static_selectorELNS0_4arch9wavefront6targetE1EEEvT1_,comdat
	.protected	_ZN7rocprim17ROCPRIM_400000_NS6detail17trampoline_kernelINS0_14default_configENS1_25partition_config_selectorILNS1_17partition_subalgoE8ElNS0_10empty_typeEbEEZZNS1_14partition_implILS5_8ELb0ES3_jPKlPS6_PKS6_NS0_5tupleIJPlS6_EEENSE_IJSB_SB_EEENS0_18inequality_wrapperIN6hipcub16HIPCUB_304000_NS8EqualityEEESF_JS6_EEE10hipError_tPvRmT3_T4_T5_T6_T7_T9_mT8_P12ihipStream_tbDpT10_ENKUlT_T0_E_clISt17integral_constantIbLb1EES16_EEDaS11_S12_EUlS11_E_NS1_11comp_targetILNS1_3genE2ELNS1_11target_archE906ELNS1_3gpuE6ELNS1_3repE0EEENS1_30default_config_static_selectorELNS0_4arch9wavefront6targetE1EEEvT1_ ; -- Begin function _ZN7rocprim17ROCPRIM_400000_NS6detail17trampoline_kernelINS0_14default_configENS1_25partition_config_selectorILNS1_17partition_subalgoE8ElNS0_10empty_typeEbEEZZNS1_14partition_implILS5_8ELb0ES3_jPKlPS6_PKS6_NS0_5tupleIJPlS6_EEENSE_IJSB_SB_EEENS0_18inequality_wrapperIN6hipcub16HIPCUB_304000_NS8EqualityEEESF_JS6_EEE10hipError_tPvRmT3_T4_T5_T6_T7_T9_mT8_P12ihipStream_tbDpT10_ENKUlT_T0_E_clISt17integral_constantIbLb1EES16_EEDaS11_S12_EUlS11_E_NS1_11comp_targetILNS1_3genE2ELNS1_11target_archE906ELNS1_3gpuE6ELNS1_3repE0EEENS1_30default_config_static_selectorELNS0_4arch9wavefront6targetE1EEEvT1_
	.globl	_ZN7rocprim17ROCPRIM_400000_NS6detail17trampoline_kernelINS0_14default_configENS1_25partition_config_selectorILNS1_17partition_subalgoE8ElNS0_10empty_typeEbEEZZNS1_14partition_implILS5_8ELb0ES3_jPKlPS6_PKS6_NS0_5tupleIJPlS6_EEENSE_IJSB_SB_EEENS0_18inequality_wrapperIN6hipcub16HIPCUB_304000_NS8EqualityEEESF_JS6_EEE10hipError_tPvRmT3_T4_T5_T6_T7_T9_mT8_P12ihipStream_tbDpT10_ENKUlT_T0_E_clISt17integral_constantIbLb1EES16_EEDaS11_S12_EUlS11_E_NS1_11comp_targetILNS1_3genE2ELNS1_11target_archE906ELNS1_3gpuE6ELNS1_3repE0EEENS1_30default_config_static_selectorELNS0_4arch9wavefront6targetE1EEEvT1_
	.p2align	8
	.type	_ZN7rocprim17ROCPRIM_400000_NS6detail17trampoline_kernelINS0_14default_configENS1_25partition_config_selectorILNS1_17partition_subalgoE8ElNS0_10empty_typeEbEEZZNS1_14partition_implILS5_8ELb0ES3_jPKlPS6_PKS6_NS0_5tupleIJPlS6_EEENSE_IJSB_SB_EEENS0_18inequality_wrapperIN6hipcub16HIPCUB_304000_NS8EqualityEEESF_JS6_EEE10hipError_tPvRmT3_T4_T5_T6_T7_T9_mT8_P12ihipStream_tbDpT10_ENKUlT_T0_E_clISt17integral_constantIbLb1EES16_EEDaS11_S12_EUlS11_E_NS1_11comp_targetILNS1_3genE2ELNS1_11target_archE906ELNS1_3gpuE6ELNS1_3repE0EEENS1_30default_config_static_selectorELNS0_4arch9wavefront6targetE1EEEvT1_,@function
_ZN7rocprim17ROCPRIM_400000_NS6detail17trampoline_kernelINS0_14default_configENS1_25partition_config_selectorILNS1_17partition_subalgoE8ElNS0_10empty_typeEbEEZZNS1_14partition_implILS5_8ELb0ES3_jPKlPS6_PKS6_NS0_5tupleIJPlS6_EEENSE_IJSB_SB_EEENS0_18inequality_wrapperIN6hipcub16HIPCUB_304000_NS8EqualityEEESF_JS6_EEE10hipError_tPvRmT3_T4_T5_T6_T7_T9_mT8_P12ihipStream_tbDpT10_ENKUlT_T0_E_clISt17integral_constantIbLb1EES16_EEDaS11_S12_EUlS11_E_NS1_11comp_targetILNS1_3genE2ELNS1_11target_archE906ELNS1_3gpuE6ELNS1_3repE0EEENS1_30default_config_static_selectorELNS0_4arch9wavefront6targetE1EEEvT1_: ; @_ZN7rocprim17ROCPRIM_400000_NS6detail17trampoline_kernelINS0_14default_configENS1_25partition_config_selectorILNS1_17partition_subalgoE8ElNS0_10empty_typeEbEEZZNS1_14partition_implILS5_8ELb0ES3_jPKlPS6_PKS6_NS0_5tupleIJPlS6_EEENSE_IJSB_SB_EEENS0_18inequality_wrapperIN6hipcub16HIPCUB_304000_NS8EqualityEEESF_JS6_EEE10hipError_tPvRmT3_T4_T5_T6_T7_T9_mT8_P12ihipStream_tbDpT10_ENKUlT_T0_E_clISt17integral_constantIbLb1EES16_EEDaS11_S12_EUlS11_E_NS1_11comp_targetILNS1_3genE2ELNS1_11target_archE906ELNS1_3gpuE6ELNS1_3repE0EEENS1_30default_config_static_selectorELNS0_4arch9wavefront6targetE1EEEvT1_
; %bb.0:
	.section	.rodata,"a",@progbits
	.p2align	6, 0x0
	.amdhsa_kernel _ZN7rocprim17ROCPRIM_400000_NS6detail17trampoline_kernelINS0_14default_configENS1_25partition_config_selectorILNS1_17partition_subalgoE8ElNS0_10empty_typeEbEEZZNS1_14partition_implILS5_8ELb0ES3_jPKlPS6_PKS6_NS0_5tupleIJPlS6_EEENSE_IJSB_SB_EEENS0_18inequality_wrapperIN6hipcub16HIPCUB_304000_NS8EqualityEEESF_JS6_EEE10hipError_tPvRmT3_T4_T5_T6_T7_T9_mT8_P12ihipStream_tbDpT10_ENKUlT_T0_E_clISt17integral_constantIbLb1EES16_EEDaS11_S12_EUlS11_E_NS1_11comp_targetILNS1_3genE2ELNS1_11target_archE906ELNS1_3gpuE6ELNS1_3repE0EEENS1_30default_config_static_selectorELNS0_4arch9wavefront6targetE1EEEvT1_
		.amdhsa_group_segment_fixed_size 0
		.amdhsa_private_segment_fixed_size 0
		.amdhsa_kernarg_size 128
		.amdhsa_user_sgpr_count 2
		.amdhsa_user_sgpr_dispatch_ptr 0
		.amdhsa_user_sgpr_queue_ptr 0
		.amdhsa_user_sgpr_kernarg_segment_ptr 1
		.amdhsa_user_sgpr_dispatch_id 0
		.amdhsa_user_sgpr_kernarg_preload_length 0
		.amdhsa_user_sgpr_kernarg_preload_offset 0
		.amdhsa_user_sgpr_private_segment_size 0
		.amdhsa_uses_dynamic_stack 0
		.amdhsa_enable_private_segment 0
		.amdhsa_system_sgpr_workgroup_id_x 1
		.amdhsa_system_sgpr_workgroup_id_y 0
		.amdhsa_system_sgpr_workgroup_id_z 0
		.amdhsa_system_sgpr_workgroup_info 0
		.amdhsa_system_vgpr_workitem_id 0
		.amdhsa_next_free_vgpr 1
		.amdhsa_next_free_sgpr 0
		.amdhsa_accum_offset 4
		.amdhsa_reserve_vcc 0
		.amdhsa_float_round_mode_32 0
		.amdhsa_float_round_mode_16_64 0
		.amdhsa_float_denorm_mode_32 3
		.amdhsa_float_denorm_mode_16_64 3
		.amdhsa_dx10_clamp 1
		.amdhsa_ieee_mode 1
		.amdhsa_fp16_overflow 0
		.amdhsa_tg_split 0
		.amdhsa_exception_fp_ieee_invalid_op 0
		.amdhsa_exception_fp_denorm_src 0
		.amdhsa_exception_fp_ieee_div_zero 0
		.amdhsa_exception_fp_ieee_overflow 0
		.amdhsa_exception_fp_ieee_underflow 0
		.amdhsa_exception_fp_ieee_inexact 0
		.amdhsa_exception_int_div_zero 0
	.end_amdhsa_kernel
	.section	.text._ZN7rocprim17ROCPRIM_400000_NS6detail17trampoline_kernelINS0_14default_configENS1_25partition_config_selectorILNS1_17partition_subalgoE8ElNS0_10empty_typeEbEEZZNS1_14partition_implILS5_8ELb0ES3_jPKlPS6_PKS6_NS0_5tupleIJPlS6_EEENSE_IJSB_SB_EEENS0_18inequality_wrapperIN6hipcub16HIPCUB_304000_NS8EqualityEEESF_JS6_EEE10hipError_tPvRmT3_T4_T5_T6_T7_T9_mT8_P12ihipStream_tbDpT10_ENKUlT_T0_E_clISt17integral_constantIbLb1EES16_EEDaS11_S12_EUlS11_E_NS1_11comp_targetILNS1_3genE2ELNS1_11target_archE906ELNS1_3gpuE6ELNS1_3repE0EEENS1_30default_config_static_selectorELNS0_4arch9wavefront6targetE1EEEvT1_,"axG",@progbits,_ZN7rocprim17ROCPRIM_400000_NS6detail17trampoline_kernelINS0_14default_configENS1_25partition_config_selectorILNS1_17partition_subalgoE8ElNS0_10empty_typeEbEEZZNS1_14partition_implILS5_8ELb0ES3_jPKlPS6_PKS6_NS0_5tupleIJPlS6_EEENSE_IJSB_SB_EEENS0_18inequality_wrapperIN6hipcub16HIPCUB_304000_NS8EqualityEEESF_JS6_EEE10hipError_tPvRmT3_T4_T5_T6_T7_T9_mT8_P12ihipStream_tbDpT10_ENKUlT_T0_E_clISt17integral_constantIbLb1EES16_EEDaS11_S12_EUlS11_E_NS1_11comp_targetILNS1_3genE2ELNS1_11target_archE906ELNS1_3gpuE6ELNS1_3repE0EEENS1_30default_config_static_selectorELNS0_4arch9wavefront6targetE1EEEvT1_,comdat
.Lfunc_end491:
	.size	_ZN7rocprim17ROCPRIM_400000_NS6detail17trampoline_kernelINS0_14default_configENS1_25partition_config_selectorILNS1_17partition_subalgoE8ElNS0_10empty_typeEbEEZZNS1_14partition_implILS5_8ELb0ES3_jPKlPS6_PKS6_NS0_5tupleIJPlS6_EEENSE_IJSB_SB_EEENS0_18inequality_wrapperIN6hipcub16HIPCUB_304000_NS8EqualityEEESF_JS6_EEE10hipError_tPvRmT3_T4_T5_T6_T7_T9_mT8_P12ihipStream_tbDpT10_ENKUlT_T0_E_clISt17integral_constantIbLb1EES16_EEDaS11_S12_EUlS11_E_NS1_11comp_targetILNS1_3genE2ELNS1_11target_archE906ELNS1_3gpuE6ELNS1_3repE0EEENS1_30default_config_static_selectorELNS0_4arch9wavefront6targetE1EEEvT1_, .Lfunc_end491-_ZN7rocprim17ROCPRIM_400000_NS6detail17trampoline_kernelINS0_14default_configENS1_25partition_config_selectorILNS1_17partition_subalgoE8ElNS0_10empty_typeEbEEZZNS1_14partition_implILS5_8ELb0ES3_jPKlPS6_PKS6_NS0_5tupleIJPlS6_EEENSE_IJSB_SB_EEENS0_18inequality_wrapperIN6hipcub16HIPCUB_304000_NS8EqualityEEESF_JS6_EEE10hipError_tPvRmT3_T4_T5_T6_T7_T9_mT8_P12ihipStream_tbDpT10_ENKUlT_T0_E_clISt17integral_constantIbLb1EES16_EEDaS11_S12_EUlS11_E_NS1_11comp_targetILNS1_3genE2ELNS1_11target_archE906ELNS1_3gpuE6ELNS1_3repE0EEENS1_30default_config_static_selectorELNS0_4arch9wavefront6targetE1EEEvT1_
                                        ; -- End function
	.section	.AMDGPU.csdata,"",@progbits
; Kernel info:
; codeLenInByte = 0
; NumSgprs: 6
; NumVgprs: 0
; NumAgprs: 0
; TotalNumVgprs: 0
; ScratchSize: 0
; MemoryBound: 0
; FloatMode: 240
; IeeeMode: 1
; LDSByteSize: 0 bytes/workgroup (compile time only)
; SGPRBlocks: 0
; VGPRBlocks: 0
; NumSGPRsForWavesPerEU: 6
; NumVGPRsForWavesPerEU: 1
; AccumOffset: 4
; Occupancy: 8
; WaveLimiterHint : 0
; COMPUTE_PGM_RSRC2:SCRATCH_EN: 0
; COMPUTE_PGM_RSRC2:USER_SGPR: 2
; COMPUTE_PGM_RSRC2:TRAP_HANDLER: 0
; COMPUTE_PGM_RSRC2:TGID_X_EN: 1
; COMPUTE_PGM_RSRC2:TGID_Y_EN: 0
; COMPUTE_PGM_RSRC2:TGID_Z_EN: 0
; COMPUTE_PGM_RSRC2:TIDIG_COMP_CNT: 0
; COMPUTE_PGM_RSRC3_GFX90A:ACCUM_OFFSET: 0
; COMPUTE_PGM_RSRC3_GFX90A:TG_SPLIT: 0
	.section	.text._ZN7rocprim17ROCPRIM_400000_NS6detail17trampoline_kernelINS0_14default_configENS1_25partition_config_selectorILNS1_17partition_subalgoE8ElNS0_10empty_typeEbEEZZNS1_14partition_implILS5_8ELb0ES3_jPKlPS6_PKS6_NS0_5tupleIJPlS6_EEENSE_IJSB_SB_EEENS0_18inequality_wrapperIN6hipcub16HIPCUB_304000_NS8EqualityEEESF_JS6_EEE10hipError_tPvRmT3_T4_T5_T6_T7_T9_mT8_P12ihipStream_tbDpT10_ENKUlT_T0_E_clISt17integral_constantIbLb1EES16_EEDaS11_S12_EUlS11_E_NS1_11comp_targetILNS1_3genE10ELNS1_11target_archE1200ELNS1_3gpuE4ELNS1_3repE0EEENS1_30default_config_static_selectorELNS0_4arch9wavefront6targetE1EEEvT1_,"axG",@progbits,_ZN7rocprim17ROCPRIM_400000_NS6detail17trampoline_kernelINS0_14default_configENS1_25partition_config_selectorILNS1_17partition_subalgoE8ElNS0_10empty_typeEbEEZZNS1_14partition_implILS5_8ELb0ES3_jPKlPS6_PKS6_NS0_5tupleIJPlS6_EEENSE_IJSB_SB_EEENS0_18inequality_wrapperIN6hipcub16HIPCUB_304000_NS8EqualityEEESF_JS6_EEE10hipError_tPvRmT3_T4_T5_T6_T7_T9_mT8_P12ihipStream_tbDpT10_ENKUlT_T0_E_clISt17integral_constantIbLb1EES16_EEDaS11_S12_EUlS11_E_NS1_11comp_targetILNS1_3genE10ELNS1_11target_archE1200ELNS1_3gpuE4ELNS1_3repE0EEENS1_30default_config_static_selectorELNS0_4arch9wavefront6targetE1EEEvT1_,comdat
	.protected	_ZN7rocprim17ROCPRIM_400000_NS6detail17trampoline_kernelINS0_14default_configENS1_25partition_config_selectorILNS1_17partition_subalgoE8ElNS0_10empty_typeEbEEZZNS1_14partition_implILS5_8ELb0ES3_jPKlPS6_PKS6_NS0_5tupleIJPlS6_EEENSE_IJSB_SB_EEENS0_18inequality_wrapperIN6hipcub16HIPCUB_304000_NS8EqualityEEESF_JS6_EEE10hipError_tPvRmT3_T4_T5_T6_T7_T9_mT8_P12ihipStream_tbDpT10_ENKUlT_T0_E_clISt17integral_constantIbLb1EES16_EEDaS11_S12_EUlS11_E_NS1_11comp_targetILNS1_3genE10ELNS1_11target_archE1200ELNS1_3gpuE4ELNS1_3repE0EEENS1_30default_config_static_selectorELNS0_4arch9wavefront6targetE1EEEvT1_ ; -- Begin function _ZN7rocprim17ROCPRIM_400000_NS6detail17trampoline_kernelINS0_14default_configENS1_25partition_config_selectorILNS1_17partition_subalgoE8ElNS0_10empty_typeEbEEZZNS1_14partition_implILS5_8ELb0ES3_jPKlPS6_PKS6_NS0_5tupleIJPlS6_EEENSE_IJSB_SB_EEENS0_18inequality_wrapperIN6hipcub16HIPCUB_304000_NS8EqualityEEESF_JS6_EEE10hipError_tPvRmT3_T4_T5_T6_T7_T9_mT8_P12ihipStream_tbDpT10_ENKUlT_T0_E_clISt17integral_constantIbLb1EES16_EEDaS11_S12_EUlS11_E_NS1_11comp_targetILNS1_3genE10ELNS1_11target_archE1200ELNS1_3gpuE4ELNS1_3repE0EEENS1_30default_config_static_selectorELNS0_4arch9wavefront6targetE1EEEvT1_
	.globl	_ZN7rocprim17ROCPRIM_400000_NS6detail17trampoline_kernelINS0_14default_configENS1_25partition_config_selectorILNS1_17partition_subalgoE8ElNS0_10empty_typeEbEEZZNS1_14partition_implILS5_8ELb0ES3_jPKlPS6_PKS6_NS0_5tupleIJPlS6_EEENSE_IJSB_SB_EEENS0_18inequality_wrapperIN6hipcub16HIPCUB_304000_NS8EqualityEEESF_JS6_EEE10hipError_tPvRmT3_T4_T5_T6_T7_T9_mT8_P12ihipStream_tbDpT10_ENKUlT_T0_E_clISt17integral_constantIbLb1EES16_EEDaS11_S12_EUlS11_E_NS1_11comp_targetILNS1_3genE10ELNS1_11target_archE1200ELNS1_3gpuE4ELNS1_3repE0EEENS1_30default_config_static_selectorELNS0_4arch9wavefront6targetE1EEEvT1_
	.p2align	8
	.type	_ZN7rocprim17ROCPRIM_400000_NS6detail17trampoline_kernelINS0_14default_configENS1_25partition_config_selectorILNS1_17partition_subalgoE8ElNS0_10empty_typeEbEEZZNS1_14partition_implILS5_8ELb0ES3_jPKlPS6_PKS6_NS0_5tupleIJPlS6_EEENSE_IJSB_SB_EEENS0_18inequality_wrapperIN6hipcub16HIPCUB_304000_NS8EqualityEEESF_JS6_EEE10hipError_tPvRmT3_T4_T5_T6_T7_T9_mT8_P12ihipStream_tbDpT10_ENKUlT_T0_E_clISt17integral_constantIbLb1EES16_EEDaS11_S12_EUlS11_E_NS1_11comp_targetILNS1_3genE10ELNS1_11target_archE1200ELNS1_3gpuE4ELNS1_3repE0EEENS1_30default_config_static_selectorELNS0_4arch9wavefront6targetE1EEEvT1_,@function
_ZN7rocprim17ROCPRIM_400000_NS6detail17trampoline_kernelINS0_14default_configENS1_25partition_config_selectorILNS1_17partition_subalgoE8ElNS0_10empty_typeEbEEZZNS1_14partition_implILS5_8ELb0ES3_jPKlPS6_PKS6_NS0_5tupleIJPlS6_EEENSE_IJSB_SB_EEENS0_18inequality_wrapperIN6hipcub16HIPCUB_304000_NS8EqualityEEESF_JS6_EEE10hipError_tPvRmT3_T4_T5_T6_T7_T9_mT8_P12ihipStream_tbDpT10_ENKUlT_T0_E_clISt17integral_constantIbLb1EES16_EEDaS11_S12_EUlS11_E_NS1_11comp_targetILNS1_3genE10ELNS1_11target_archE1200ELNS1_3gpuE4ELNS1_3repE0EEENS1_30default_config_static_selectorELNS0_4arch9wavefront6targetE1EEEvT1_: ; @_ZN7rocprim17ROCPRIM_400000_NS6detail17trampoline_kernelINS0_14default_configENS1_25partition_config_selectorILNS1_17partition_subalgoE8ElNS0_10empty_typeEbEEZZNS1_14partition_implILS5_8ELb0ES3_jPKlPS6_PKS6_NS0_5tupleIJPlS6_EEENSE_IJSB_SB_EEENS0_18inequality_wrapperIN6hipcub16HIPCUB_304000_NS8EqualityEEESF_JS6_EEE10hipError_tPvRmT3_T4_T5_T6_T7_T9_mT8_P12ihipStream_tbDpT10_ENKUlT_T0_E_clISt17integral_constantIbLb1EES16_EEDaS11_S12_EUlS11_E_NS1_11comp_targetILNS1_3genE10ELNS1_11target_archE1200ELNS1_3gpuE4ELNS1_3repE0EEENS1_30default_config_static_selectorELNS0_4arch9wavefront6targetE1EEEvT1_
; %bb.0:
	.section	.rodata,"a",@progbits
	.p2align	6, 0x0
	.amdhsa_kernel _ZN7rocprim17ROCPRIM_400000_NS6detail17trampoline_kernelINS0_14default_configENS1_25partition_config_selectorILNS1_17partition_subalgoE8ElNS0_10empty_typeEbEEZZNS1_14partition_implILS5_8ELb0ES3_jPKlPS6_PKS6_NS0_5tupleIJPlS6_EEENSE_IJSB_SB_EEENS0_18inequality_wrapperIN6hipcub16HIPCUB_304000_NS8EqualityEEESF_JS6_EEE10hipError_tPvRmT3_T4_T5_T6_T7_T9_mT8_P12ihipStream_tbDpT10_ENKUlT_T0_E_clISt17integral_constantIbLb1EES16_EEDaS11_S12_EUlS11_E_NS1_11comp_targetILNS1_3genE10ELNS1_11target_archE1200ELNS1_3gpuE4ELNS1_3repE0EEENS1_30default_config_static_selectorELNS0_4arch9wavefront6targetE1EEEvT1_
		.amdhsa_group_segment_fixed_size 0
		.amdhsa_private_segment_fixed_size 0
		.amdhsa_kernarg_size 128
		.amdhsa_user_sgpr_count 2
		.amdhsa_user_sgpr_dispatch_ptr 0
		.amdhsa_user_sgpr_queue_ptr 0
		.amdhsa_user_sgpr_kernarg_segment_ptr 1
		.amdhsa_user_sgpr_dispatch_id 0
		.amdhsa_user_sgpr_kernarg_preload_length 0
		.amdhsa_user_sgpr_kernarg_preload_offset 0
		.amdhsa_user_sgpr_private_segment_size 0
		.amdhsa_uses_dynamic_stack 0
		.amdhsa_enable_private_segment 0
		.amdhsa_system_sgpr_workgroup_id_x 1
		.amdhsa_system_sgpr_workgroup_id_y 0
		.amdhsa_system_sgpr_workgroup_id_z 0
		.amdhsa_system_sgpr_workgroup_info 0
		.amdhsa_system_vgpr_workitem_id 0
		.amdhsa_next_free_vgpr 1
		.amdhsa_next_free_sgpr 0
		.amdhsa_accum_offset 4
		.amdhsa_reserve_vcc 0
		.amdhsa_float_round_mode_32 0
		.amdhsa_float_round_mode_16_64 0
		.amdhsa_float_denorm_mode_32 3
		.amdhsa_float_denorm_mode_16_64 3
		.amdhsa_dx10_clamp 1
		.amdhsa_ieee_mode 1
		.amdhsa_fp16_overflow 0
		.amdhsa_tg_split 0
		.amdhsa_exception_fp_ieee_invalid_op 0
		.amdhsa_exception_fp_denorm_src 0
		.amdhsa_exception_fp_ieee_div_zero 0
		.amdhsa_exception_fp_ieee_overflow 0
		.amdhsa_exception_fp_ieee_underflow 0
		.amdhsa_exception_fp_ieee_inexact 0
		.amdhsa_exception_int_div_zero 0
	.end_amdhsa_kernel
	.section	.text._ZN7rocprim17ROCPRIM_400000_NS6detail17trampoline_kernelINS0_14default_configENS1_25partition_config_selectorILNS1_17partition_subalgoE8ElNS0_10empty_typeEbEEZZNS1_14partition_implILS5_8ELb0ES3_jPKlPS6_PKS6_NS0_5tupleIJPlS6_EEENSE_IJSB_SB_EEENS0_18inequality_wrapperIN6hipcub16HIPCUB_304000_NS8EqualityEEESF_JS6_EEE10hipError_tPvRmT3_T4_T5_T6_T7_T9_mT8_P12ihipStream_tbDpT10_ENKUlT_T0_E_clISt17integral_constantIbLb1EES16_EEDaS11_S12_EUlS11_E_NS1_11comp_targetILNS1_3genE10ELNS1_11target_archE1200ELNS1_3gpuE4ELNS1_3repE0EEENS1_30default_config_static_selectorELNS0_4arch9wavefront6targetE1EEEvT1_,"axG",@progbits,_ZN7rocprim17ROCPRIM_400000_NS6detail17trampoline_kernelINS0_14default_configENS1_25partition_config_selectorILNS1_17partition_subalgoE8ElNS0_10empty_typeEbEEZZNS1_14partition_implILS5_8ELb0ES3_jPKlPS6_PKS6_NS0_5tupleIJPlS6_EEENSE_IJSB_SB_EEENS0_18inequality_wrapperIN6hipcub16HIPCUB_304000_NS8EqualityEEESF_JS6_EEE10hipError_tPvRmT3_T4_T5_T6_T7_T9_mT8_P12ihipStream_tbDpT10_ENKUlT_T0_E_clISt17integral_constantIbLb1EES16_EEDaS11_S12_EUlS11_E_NS1_11comp_targetILNS1_3genE10ELNS1_11target_archE1200ELNS1_3gpuE4ELNS1_3repE0EEENS1_30default_config_static_selectorELNS0_4arch9wavefront6targetE1EEEvT1_,comdat
.Lfunc_end492:
	.size	_ZN7rocprim17ROCPRIM_400000_NS6detail17trampoline_kernelINS0_14default_configENS1_25partition_config_selectorILNS1_17partition_subalgoE8ElNS0_10empty_typeEbEEZZNS1_14partition_implILS5_8ELb0ES3_jPKlPS6_PKS6_NS0_5tupleIJPlS6_EEENSE_IJSB_SB_EEENS0_18inequality_wrapperIN6hipcub16HIPCUB_304000_NS8EqualityEEESF_JS6_EEE10hipError_tPvRmT3_T4_T5_T6_T7_T9_mT8_P12ihipStream_tbDpT10_ENKUlT_T0_E_clISt17integral_constantIbLb1EES16_EEDaS11_S12_EUlS11_E_NS1_11comp_targetILNS1_3genE10ELNS1_11target_archE1200ELNS1_3gpuE4ELNS1_3repE0EEENS1_30default_config_static_selectorELNS0_4arch9wavefront6targetE1EEEvT1_, .Lfunc_end492-_ZN7rocprim17ROCPRIM_400000_NS6detail17trampoline_kernelINS0_14default_configENS1_25partition_config_selectorILNS1_17partition_subalgoE8ElNS0_10empty_typeEbEEZZNS1_14partition_implILS5_8ELb0ES3_jPKlPS6_PKS6_NS0_5tupleIJPlS6_EEENSE_IJSB_SB_EEENS0_18inequality_wrapperIN6hipcub16HIPCUB_304000_NS8EqualityEEESF_JS6_EEE10hipError_tPvRmT3_T4_T5_T6_T7_T9_mT8_P12ihipStream_tbDpT10_ENKUlT_T0_E_clISt17integral_constantIbLb1EES16_EEDaS11_S12_EUlS11_E_NS1_11comp_targetILNS1_3genE10ELNS1_11target_archE1200ELNS1_3gpuE4ELNS1_3repE0EEENS1_30default_config_static_selectorELNS0_4arch9wavefront6targetE1EEEvT1_
                                        ; -- End function
	.section	.AMDGPU.csdata,"",@progbits
; Kernel info:
; codeLenInByte = 0
; NumSgprs: 6
; NumVgprs: 0
; NumAgprs: 0
; TotalNumVgprs: 0
; ScratchSize: 0
; MemoryBound: 0
; FloatMode: 240
; IeeeMode: 1
; LDSByteSize: 0 bytes/workgroup (compile time only)
; SGPRBlocks: 0
; VGPRBlocks: 0
; NumSGPRsForWavesPerEU: 6
; NumVGPRsForWavesPerEU: 1
; AccumOffset: 4
; Occupancy: 8
; WaveLimiterHint : 0
; COMPUTE_PGM_RSRC2:SCRATCH_EN: 0
; COMPUTE_PGM_RSRC2:USER_SGPR: 2
; COMPUTE_PGM_RSRC2:TRAP_HANDLER: 0
; COMPUTE_PGM_RSRC2:TGID_X_EN: 1
; COMPUTE_PGM_RSRC2:TGID_Y_EN: 0
; COMPUTE_PGM_RSRC2:TGID_Z_EN: 0
; COMPUTE_PGM_RSRC2:TIDIG_COMP_CNT: 0
; COMPUTE_PGM_RSRC3_GFX90A:ACCUM_OFFSET: 0
; COMPUTE_PGM_RSRC3_GFX90A:TG_SPLIT: 0
	.section	.text._ZN7rocprim17ROCPRIM_400000_NS6detail17trampoline_kernelINS0_14default_configENS1_25partition_config_selectorILNS1_17partition_subalgoE8ElNS0_10empty_typeEbEEZZNS1_14partition_implILS5_8ELb0ES3_jPKlPS6_PKS6_NS0_5tupleIJPlS6_EEENSE_IJSB_SB_EEENS0_18inequality_wrapperIN6hipcub16HIPCUB_304000_NS8EqualityEEESF_JS6_EEE10hipError_tPvRmT3_T4_T5_T6_T7_T9_mT8_P12ihipStream_tbDpT10_ENKUlT_T0_E_clISt17integral_constantIbLb1EES16_EEDaS11_S12_EUlS11_E_NS1_11comp_targetILNS1_3genE9ELNS1_11target_archE1100ELNS1_3gpuE3ELNS1_3repE0EEENS1_30default_config_static_selectorELNS0_4arch9wavefront6targetE1EEEvT1_,"axG",@progbits,_ZN7rocprim17ROCPRIM_400000_NS6detail17trampoline_kernelINS0_14default_configENS1_25partition_config_selectorILNS1_17partition_subalgoE8ElNS0_10empty_typeEbEEZZNS1_14partition_implILS5_8ELb0ES3_jPKlPS6_PKS6_NS0_5tupleIJPlS6_EEENSE_IJSB_SB_EEENS0_18inequality_wrapperIN6hipcub16HIPCUB_304000_NS8EqualityEEESF_JS6_EEE10hipError_tPvRmT3_T4_T5_T6_T7_T9_mT8_P12ihipStream_tbDpT10_ENKUlT_T0_E_clISt17integral_constantIbLb1EES16_EEDaS11_S12_EUlS11_E_NS1_11comp_targetILNS1_3genE9ELNS1_11target_archE1100ELNS1_3gpuE3ELNS1_3repE0EEENS1_30default_config_static_selectorELNS0_4arch9wavefront6targetE1EEEvT1_,comdat
	.protected	_ZN7rocprim17ROCPRIM_400000_NS6detail17trampoline_kernelINS0_14default_configENS1_25partition_config_selectorILNS1_17partition_subalgoE8ElNS0_10empty_typeEbEEZZNS1_14partition_implILS5_8ELb0ES3_jPKlPS6_PKS6_NS0_5tupleIJPlS6_EEENSE_IJSB_SB_EEENS0_18inequality_wrapperIN6hipcub16HIPCUB_304000_NS8EqualityEEESF_JS6_EEE10hipError_tPvRmT3_T4_T5_T6_T7_T9_mT8_P12ihipStream_tbDpT10_ENKUlT_T0_E_clISt17integral_constantIbLb1EES16_EEDaS11_S12_EUlS11_E_NS1_11comp_targetILNS1_3genE9ELNS1_11target_archE1100ELNS1_3gpuE3ELNS1_3repE0EEENS1_30default_config_static_selectorELNS0_4arch9wavefront6targetE1EEEvT1_ ; -- Begin function _ZN7rocprim17ROCPRIM_400000_NS6detail17trampoline_kernelINS0_14default_configENS1_25partition_config_selectorILNS1_17partition_subalgoE8ElNS0_10empty_typeEbEEZZNS1_14partition_implILS5_8ELb0ES3_jPKlPS6_PKS6_NS0_5tupleIJPlS6_EEENSE_IJSB_SB_EEENS0_18inequality_wrapperIN6hipcub16HIPCUB_304000_NS8EqualityEEESF_JS6_EEE10hipError_tPvRmT3_T4_T5_T6_T7_T9_mT8_P12ihipStream_tbDpT10_ENKUlT_T0_E_clISt17integral_constantIbLb1EES16_EEDaS11_S12_EUlS11_E_NS1_11comp_targetILNS1_3genE9ELNS1_11target_archE1100ELNS1_3gpuE3ELNS1_3repE0EEENS1_30default_config_static_selectorELNS0_4arch9wavefront6targetE1EEEvT1_
	.globl	_ZN7rocprim17ROCPRIM_400000_NS6detail17trampoline_kernelINS0_14default_configENS1_25partition_config_selectorILNS1_17partition_subalgoE8ElNS0_10empty_typeEbEEZZNS1_14partition_implILS5_8ELb0ES3_jPKlPS6_PKS6_NS0_5tupleIJPlS6_EEENSE_IJSB_SB_EEENS0_18inequality_wrapperIN6hipcub16HIPCUB_304000_NS8EqualityEEESF_JS6_EEE10hipError_tPvRmT3_T4_T5_T6_T7_T9_mT8_P12ihipStream_tbDpT10_ENKUlT_T0_E_clISt17integral_constantIbLb1EES16_EEDaS11_S12_EUlS11_E_NS1_11comp_targetILNS1_3genE9ELNS1_11target_archE1100ELNS1_3gpuE3ELNS1_3repE0EEENS1_30default_config_static_selectorELNS0_4arch9wavefront6targetE1EEEvT1_
	.p2align	8
	.type	_ZN7rocprim17ROCPRIM_400000_NS6detail17trampoline_kernelINS0_14default_configENS1_25partition_config_selectorILNS1_17partition_subalgoE8ElNS0_10empty_typeEbEEZZNS1_14partition_implILS5_8ELb0ES3_jPKlPS6_PKS6_NS0_5tupleIJPlS6_EEENSE_IJSB_SB_EEENS0_18inequality_wrapperIN6hipcub16HIPCUB_304000_NS8EqualityEEESF_JS6_EEE10hipError_tPvRmT3_T4_T5_T6_T7_T9_mT8_P12ihipStream_tbDpT10_ENKUlT_T0_E_clISt17integral_constantIbLb1EES16_EEDaS11_S12_EUlS11_E_NS1_11comp_targetILNS1_3genE9ELNS1_11target_archE1100ELNS1_3gpuE3ELNS1_3repE0EEENS1_30default_config_static_selectorELNS0_4arch9wavefront6targetE1EEEvT1_,@function
_ZN7rocprim17ROCPRIM_400000_NS6detail17trampoline_kernelINS0_14default_configENS1_25partition_config_selectorILNS1_17partition_subalgoE8ElNS0_10empty_typeEbEEZZNS1_14partition_implILS5_8ELb0ES3_jPKlPS6_PKS6_NS0_5tupleIJPlS6_EEENSE_IJSB_SB_EEENS0_18inequality_wrapperIN6hipcub16HIPCUB_304000_NS8EqualityEEESF_JS6_EEE10hipError_tPvRmT3_T4_T5_T6_T7_T9_mT8_P12ihipStream_tbDpT10_ENKUlT_T0_E_clISt17integral_constantIbLb1EES16_EEDaS11_S12_EUlS11_E_NS1_11comp_targetILNS1_3genE9ELNS1_11target_archE1100ELNS1_3gpuE3ELNS1_3repE0EEENS1_30default_config_static_selectorELNS0_4arch9wavefront6targetE1EEEvT1_: ; @_ZN7rocprim17ROCPRIM_400000_NS6detail17trampoline_kernelINS0_14default_configENS1_25partition_config_selectorILNS1_17partition_subalgoE8ElNS0_10empty_typeEbEEZZNS1_14partition_implILS5_8ELb0ES3_jPKlPS6_PKS6_NS0_5tupleIJPlS6_EEENSE_IJSB_SB_EEENS0_18inequality_wrapperIN6hipcub16HIPCUB_304000_NS8EqualityEEESF_JS6_EEE10hipError_tPvRmT3_T4_T5_T6_T7_T9_mT8_P12ihipStream_tbDpT10_ENKUlT_T0_E_clISt17integral_constantIbLb1EES16_EEDaS11_S12_EUlS11_E_NS1_11comp_targetILNS1_3genE9ELNS1_11target_archE1100ELNS1_3gpuE3ELNS1_3repE0EEENS1_30default_config_static_selectorELNS0_4arch9wavefront6targetE1EEEvT1_
; %bb.0:
	.section	.rodata,"a",@progbits
	.p2align	6, 0x0
	.amdhsa_kernel _ZN7rocprim17ROCPRIM_400000_NS6detail17trampoline_kernelINS0_14default_configENS1_25partition_config_selectorILNS1_17partition_subalgoE8ElNS0_10empty_typeEbEEZZNS1_14partition_implILS5_8ELb0ES3_jPKlPS6_PKS6_NS0_5tupleIJPlS6_EEENSE_IJSB_SB_EEENS0_18inequality_wrapperIN6hipcub16HIPCUB_304000_NS8EqualityEEESF_JS6_EEE10hipError_tPvRmT3_T4_T5_T6_T7_T9_mT8_P12ihipStream_tbDpT10_ENKUlT_T0_E_clISt17integral_constantIbLb1EES16_EEDaS11_S12_EUlS11_E_NS1_11comp_targetILNS1_3genE9ELNS1_11target_archE1100ELNS1_3gpuE3ELNS1_3repE0EEENS1_30default_config_static_selectorELNS0_4arch9wavefront6targetE1EEEvT1_
		.amdhsa_group_segment_fixed_size 0
		.amdhsa_private_segment_fixed_size 0
		.amdhsa_kernarg_size 128
		.amdhsa_user_sgpr_count 2
		.amdhsa_user_sgpr_dispatch_ptr 0
		.amdhsa_user_sgpr_queue_ptr 0
		.amdhsa_user_sgpr_kernarg_segment_ptr 1
		.amdhsa_user_sgpr_dispatch_id 0
		.amdhsa_user_sgpr_kernarg_preload_length 0
		.amdhsa_user_sgpr_kernarg_preload_offset 0
		.amdhsa_user_sgpr_private_segment_size 0
		.amdhsa_uses_dynamic_stack 0
		.amdhsa_enable_private_segment 0
		.amdhsa_system_sgpr_workgroup_id_x 1
		.amdhsa_system_sgpr_workgroup_id_y 0
		.amdhsa_system_sgpr_workgroup_id_z 0
		.amdhsa_system_sgpr_workgroup_info 0
		.amdhsa_system_vgpr_workitem_id 0
		.amdhsa_next_free_vgpr 1
		.amdhsa_next_free_sgpr 0
		.amdhsa_accum_offset 4
		.amdhsa_reserve_vcc 0
		.amdhsa_float_round_mode_32 0
		.amdhsa_float_round_mode_16_64 0
		.amdhsa_float_denorm_mode_32 3
		.amdhsa_float_denorm_mode_16_64 3
		.amdhsa_dx10_clamp 1
		.amdhsa_ieee_mode 1
		.amdhsa_fp16_overflow 0
		.amdhsa_tg_split 0
		.amdhsa_exception_fp_ieee_invalid_op 0
		.amdhsa_exception_fp_denorm_src 0
		.amdhsa_exception_fp_ieee_div_zero 0
		.amdhsa_exception_fp_ieee_overflow 0
		.amdhsa_exception_fp_ieee_underflow 0
		.amdhsa_exception_fp_ieee_inexact 0
		.amdhsa_exception_int_div_zero 0
	.end_amdhsa_kernel
	.section	.text._ZN7rocprim17ROCPRIM_400000_NS6detail17trampoline_kernelINS0_14default_configENS1_25partition_config_selectorILNS1_17partition_subalgoE8ElNS0_10empty_typeEbEEZZNS1_14partition_implILS5_8ELb0ES3_jPKlPS6_PKS6_NS0_5tupleIJPlS6_EEENSE_IJSB_SB_EEENS0_18inequality_wrapperIN6hipcub16HIPCUB_304000_NS8EqualityEEESF_JS6_EEE10hipError_tPvRmT3_T4_T5_T6_T7_T9_mT8_P12ihipStream_tbDpT10_ENKUlT_T0_E_clISt17integral_constantIbLb1EES16_EEDaS11_S12_EUlS11_E_NS1_11comp_targetILNS1_3genE9ELNS1_11target_archE1100ELNS1_3gpuE3ELNS1_3repE0EEENS1_30default_config_static_selectorELNS0_4arch9wavefront6targetE1EEEvT1_,"axG",@progbits,_ZN7rocprim17ROCPRIM_400000_NS6detail17trampoline_kernelINS0_14default_configENS1_25partition_config_selectorILNS1_17partition_subalgoE8ElNS0_10empty_typeEbEEZZNS1_14partition_implILS5_8ELb0ES3_jPKlPS6_PKS6_NS0_5tupleIJPlS6_EEENSE_IJSB_SB_EEENS0_18inequality_wrapperIN6hipcub16HIPCUB_304000_NS8EqualityEEESF_JS6_EEE10hipError_tPvRmT3_T4_T5_T6_T7_T9_mT8_P12ihipStream_tbDpT10_ENKUlT_T0_E_clISt17integral_constantIbLb1EES16_EEDaS11_S12_EUlS11_E_NS1_11comp_targetILNS1_3genE9ELNS1_11target_archE1100ELNS1_3gpuE3ELNS1_3repE0EEENS1_30default_config_static_selectorELNS0_4arch9wavefront6targetE1EEEvT1_,comdat
.Lfunc_end493:
	.size	_ZN7rocprim17ROCPRIM_400000_NS6detail17trampoline_kernelINS0_14default_configENS1_25partition_config_selectorILNS1_17partition_subalgoE8ElNS0_10empty_typeEbEEZZNS1_14partition_implILS5_8ELb0ES3_jPKlPS6_PKS6_NS0_5tupleIJPlS6_EEENSE_IJSB_SB_EEENS0_18inequality_wrapperIN6hipcub16HIPCUB_304000_NS8EqualityEEESF_JS6_EEE10hipError_tPvRmT3_T4_T5_T6_T7_T9_mT8_P12ihipStream_tbDpT10_ENKUlT_T0_E_clISt17integral_constantIbLb1EES16_EEDaS11_S12_EUlS11_E_NS1_11comp_targetILNS1_3genE9ELNS1_11target_archE1100ELNS1_3gpuE3ELNS1_3repE0EEENS1_30default_config_static_selectorELNS0_4arch9wavefront6targetE1EEEvT1_, .Lfunc_end493-_ZN7rocprim17ROCPRIM_400000_NS6detail17trampoline_kernelINS0_14default_configENS1_25partition_config_selectorILNS1_17partition_subalgoE8ElNS0_10empty_typeEbEEZZNS1_14partition_implILS5_8ELb0ES3_jPKlPS6_PKS6_NS0_5tupleIJPlS6_EEENSE_IJSB_SB_EEENS0_18inequality_wrapperIN6hipcub16HIPCUB_304000_NS8EqualityEEESF_JS6_EEE10hipError_tPvRmT3_T4_T5_T6_T7_T9_mT8_P12ihipStream_tbDpT10_ENKUlT_T0_E_clISt17integral_constantIbLb1EES16_EEDaS11_S12_EUlS11_E_NS1_11comp_targetILNS1_3genE9ELNS1_11target_archE1100ELNS1_3gpuE3ELNS1_3repE0EEENS1_30default_config_static_selectorELNS0_4arch9wavefront6targetE1EEEvT1_
                                        ; -- End function
	.section	.AMDGPU.csdata,"",@progbits
; Kernel info:
; codeLenInByte = 0
; NumSgprs: 6
; NumVgprs: 0
; NumAgprs: 0
; TotalNumVgprs: 0
; ScratchSize: 0
; MemoryBound: 0
; FloatMode: 240
; IeeeMode: 1
; LDSByteSize: 0 bytes/workgroup (compile time only)
; SGPRBlocks: 0
; VGPRBlocks: 0
; NumSGPRsForWavesPerEU: 6
; NumVGPRsForWavesPerEU: 1
; AccumOffset: 4
; Occupancy: 8
; WaveLimiterHint : 0
; COMPUTE_PGM_RSRC2:SCRATCH_EN: 0
; COMPUTE_PGM_RSRC2:USER_SGPR: 2
; COMPUTE_PGM_RSRC2:TRAP_HANDLER: 0
; COMPUTE_PGM_RSRC2:TGID_X_EN: 1
; COMPUTE_PGM_RSRC2:TGID_Y_EN: 0
; COMPUTE_PGM_RSRC2:TGID_Z_EN: 0
; COMPUTE_PGM_RSRC2:TIDIG_COMP_CNT: 0
; COMPUTE_PGM_RSRC3_GFX90A:ACCUM_OFFSET: 0
; COMPUTE_PGM_RSRC3_GFX90A:TG_SPLIT: 0
	.section	.text._ZN7rocprim17ROCPRIM_400000_NS6detail17trampoline_kernelINS0_14default_configENS1_25partition_config_selectorILNS1_17partition_subalgoE8ElNS0_10empty_typeEbEEZZNS1_14partition_implILS5_8ELb0ES3_jPKlPS6_PKS6_NS0_5tupleIJPlS6_EEENSE_IJSB_SB_EEENS0_18inequality_wrapperIN6hipcub16HIPCUB_304000_NS8EqualityEEESF_JS6_EEE10hipError_tPvRmT3_T4_T5_T6_T7_T9_mT8_P12ihipStream_tbDpT10_ENKUlT_T0_E_clISt17integral_constantIbLb1EES16_EEDaS11_S12_EUlS11_E_NS1_11comp_targetILNS1_3genE8ELNS1_11target_archE1030ELNS1_3gpuE2ELNS1_3repE0EEENS1_30default_config_static_selectorELNS0_4arch9wavefront6targetE1EEEvT1_,"axG",@progbits,_ZN7rocprim17ROCPRIM_400000_NS6detail17trampoline_kernelINS0_14default_configENS1_25partition_config_selectorILNS1_17partition_subalgoE8ElNS0_10empty_typeEbEEZZNS1_14partition_implILS5_8ELb0ES3_jPKlPS6_PKS6_NS0_5tupleIJPlS6_EEENSE_IJSB_SB_EEENS0_18inequality_wrapperIN6hipcub16HIPCUB_304000_NS8EqualityEEESF_JS6_EEE10hipError_tPvRmT3_T4_T5_T6_T7_T9_mT8_P12ihipStream_tbDpT10_ENKUlT_T0_E_clISt17integral_constantIbLb1EES16_EEDaS11_S12_EUlS11_E_NS1_11comp_targetILNS1_3genE8ELNS1_11target_archE1030ELNS1_3gpuE2ELNS1_3repE0EEENS1_30default_config_static_selectorELNS0_4arch9wavefront6targetE1EEEvT1_,comdat
	.protected	_ZN7rocprim17ROCPRIM_400000_NS6detail17trampoline_kernelINS0_14default_configENS1_25partition_config_selectorILNS1_17partition_subalgoE8ElNS0_10empty_typeEbEEZZNS1_14partition_implILS5_8ELb0ES3_jPKlPS6_PKS6_NS0_5tupleIJPlS6_EEENSE_IJSB_SB_EEENS0_18inequality_wrapperIN6hipcub16HIPCUB_304000_NS8EqualityEEESF_JS6_EEE10hipError_tPvRmT3_T4_T5_T6_T7_T9_mT8_P12ihipStream_tbDpT10_ENKUlT_T0_E_clISt17integral_constantIbLb1EES16_EEDaS11_S12_EUlS11_E_NS1_11comp_targetILNS1_3genE8ELNS1_11target_archE1030ELNS1_3gpuE2ELNS1_3repE0EEENS1_30default_config_static_selectorELNS0_4arch9wavefront6targetE1EEEvT1_ ; -- Begin function _ZN7rocprim17ROCPRIM_400000_NS6detail17trampoline_kernelINS0_14default_configENS1_25partition_config_selectorILNS1_17partition_subalgoE8ElNS0_10empty_typeEbEEZZNS1_14partition_implILS5_8ELb0ES3_jPKlPS6_PKS6_NS0_5tupleIJPlS6_EEENSE_IJSB_SB_EEENS0_18inequality_wrapperIN6hipcub16HIPCUB_304000_NS8EqualityEEESF_JS6_EEE10hipError_tPvRmT3_T4_T5_T6_T7_T9_mT8_P12ihipStream_tbDpT10_ENKUlT_T0_E_clISt17integral_constantIbLb1EES16_EEDaS11_S12_EUlS11_E_NS1_11comp_targetILNS1_3genE8ELNS1_11target_archE1030ELNS1_3gpuE2ELNS1_3repE0EEENS1_30default_config_static_selectorELNS0_4arch9wavefront6targetE1EEEvT1_
	.globl	_ZN7rocprim17ROCPRIM_400000_NS6detail17trampoline_kernelINS0_14default_configENS1_25partition_config_selectorILNS1_17partition_subalgoE8ElNS0_10empty_typeEbEEZZNS1_14partition_implILS5_8ELb0ES3_jPKlPS6_PKS6_NS0_5tupleIJPlS6_EEENSE_IJSB_SB_EEENS0_18inequality_wrapperIN6hipcub16HIPCUB_304000_NS8EqualityEEESF_JS6_EEE10hipError_tPvRmT3_T4_T5_T6_T7_T9_mT8_P12ihipStream_tbDpT10_ENKUlT_T0_E_clISt17integral_constantIbLb1EES16_EEDaS11_S12_EUlS11_E_NS1_11comp_targetILNS1_3genE8ELNS1_11target_archE1030ELNS1_3gpuE2ELNS1_3repE0EEENS1_30default_config_static_selectorELNS0_4arch9wavefront6targetE1EEEvT1_
	.p2align	8
	.type	_ZN7rocprim17ROCPRIM_400000_NS6detail17trampoline_kernelINS0_14default_configENS1_25partition_config_selectorILNS1_17partition_subalgoE8ElNS0_10empty_typeEbEEZZNS1_14partition_implILS5_8ELb0ES3_jPKlPS6_PKS6_NS0_5tupleIJPlS6_EEENSE_IJSB_SB_EEENS0_18inequality_wrapperIN6hipcub16HIPCUB_304000_NS8EqualityEEESF_JS6_EEE10hipError_tPvRmT3_T4_T5_T6_T7_T9_mT8_P12ihipStream_tbDpT10_ENKUlT_T0_E_clISt17integral_constantIbLb1EES16_EEDaS11_S12_EUlS11_E_NS1_11comp_targetILNS1_3genE8ELNS1_11target_archE1030ELNS1_3gpuE2ELNS1_3repE0EEENS1_30default_config_static_selectorELNS0_4arch9wavefront6targetE1EEEvT1_,@function
_ZN7rocprim17ROCPRIM_400000_NS6detail17trampoline_kernelINS0_14default_configENS1_25partition_config_selectorILNS1_17partition_subalgoE8ElNS0_10empty_typeEbEEZZNS1_14partition_implILS5_8ELb0ES3_jPKlPS6_PKS6_NS0_5tupleIJPlS6_EEENSE_IJSB_SB_EEENS0_18inequality_wrapperIN6hipcub16HIPCUB_304000_NS8EqualityEEESF_JS6_EEE10hipError_tPvRmT3_T4_T5_T6_T7_T9_mT8_P12ihipStream_tbDpT10_ENKUlT_T0_E_clISt17integral_constantIbLb1EES16_EEDaS11_S12_EUlS11_E_NS1_11comp_targetILNS1_3genE8ELNS1_11target_archE1030ELNS1_3gpuE2ELNS1_3repE0EEENS1_30default_config_static_selectorELNS0_4arch9wavefront6targetE1EEEvT1_: ; @_ZN7rocprim17ROCPRIM_400000_NS6detail17trampoline_kernelINS0_14default_configENS1_25partition_config_selectorILNS1_17partition_subalgoE8ElNS0_10empty_typeEbEEZZNS1_14partition_implILS5_8ELb0ES3_jPKlPS6_PKS6_NS0_5tupleIJPlS6_EEENSE_IJSB_SB_EEENS0_18inequality_wrapperIN6hipcub16HIPCUB_304000_NS8EqualityEEESF_JS6_EEE10hipError_tPvRmT3_T4_T5_T6_T7_T9_mT8_P12ihipStream_tbDpT10_ENKUlT_T0_E_clISt17integral_constantIbLb1EES16_EEDaS11_S12_EUlS11_E_NS1_11comp_targetILNS1_3genE8ELNS1_11target_archE1030ELNS1_3gpuE2ELNS1_3repE0EEENS1_30default_config_static_selectorELNS0_4arch9wavefront6targetE1EEEvT1_
; %bb.0:
	.section	.rodata,"a",@progbits
	.p2align	6, 0x0
	.amdhsa_kernel _ZN7rocprim17ROCPRIM_400000_NS6detail17trampoline_kernelINS0_14default_configENS1_25partition_config_selectorILNS1_17partition_subalgoE8ElNS0_10empty_typeEbEEZZNS1_14partition_implILS5_8ELb0ES3_jPKlPS6_PKS6_NS0_5tupleIJPlS6_EEENSE_IJSB_SB_EEENS0_18inequality_wrapperIN6hipcub16HIPCUB_304000_NS8EqualityEEESF_JS6_EEE10hipError_tPvRmT3_T4_T5_T6_T7_T9_mT8_P12ihipStream_tbDpT10_ENKUlT_T0_E_clISt17integral_constantIbLb1EES16_EEDaS11_S12_EUlS11_E_NS1_11comp_targetILNS1_3genE8ELNS1_11target_archE1030ELNS1_3gpuE2ELNS1_3repE0EEENS1_30default_config_static_selectorELNS0_4arch9wavefront6targetE1EEEvT1_
		.amdhsa_group_segment_fixed_size 0
		.amdhsa_private_segment_fixed_size 0
		.amdhsa_kernarg_size 128
		.amdhsa_user_sgpr_count 2
		.amdhsa_user_sgpr_dispatch_ptr 0
		.amdhsa_user_sgpr_queue_ptr 0
		.amdhsa_user_sgpr_kernarg_segment_ptr 1
		.amdhsa_user_sgpr_dispatch_id 0
		.amdhsa_user_sgpr_kernarg_preload_length 0
		.amdhsa_user_sgpr_kernarg_preload_offset 0
		.amdhsa_user_sgpr_private_segment_size 0
		.amdhsa_uses_dynamic_stack 0
		.amdhsa_enable_private_segment 0
		.amdhsa_system_sgpr_workgroup_id_x 1
		.amdhsa_system_sgpr_workgroup_id_y 0
		.amdhsa_system_sgpr_workgroup_id_z 0
		.amdhsa_system_sgpr_workgroup_info 0
		.amdhsa_system_vgpr_workitem_id 0
		.amdhsa_next_free_vgpr 1
		.amdhsa_next_free_sgpr 0
		.amdhsa_accum_offset 4
		.amdhsa_reserve_vcc 0
		.amdhsa_float_round_mode_32 0
		.amdhsa_float_round_mode_16_64 0
		.amdhsa_float_denorm_mode_32 3
		.amdhsa_float_denorm_mode_16_64 3
		.amdhsa_dx10_clamp 1
		.amdhsa_ieee_mode 1
		.amdhsa_fp16_overflow 0
		.amdhsa_tg_split 0
		.amdhsa_exception_fp_ieee_invalid_op 0
		.amdhsa_exception_fp_denorm_src 0
		.amdhsa_exception_fp_ieee_div_zero 0
		.amdhsa_exception_fp_ieee_overflow 0
		.amdhsa_exception_fp_ieee_underflow 0
		.amdhsa_exception_fp_ieee_inexact 0
		.amdhsa_exception_int_div_zero 0
	.end_amdhsa_kernel
	.section	.text._ZN7rocprim17ROCPRIM_400000_NS6detail17trampoline_kernelINS0_14default_configENS1_25partition_config_selectorILNS1_17partition_subalgoE8ElNS0_10empty_typeEbEEZZNS1_14partition_implILS5_8ELb0ES3_jPKlPS6_PKS6_NS0_5tupleIJPlS6_EEENSE_IJSB_SB_EEENS0_18inequality_wrapperIN6hipcub16HIPCUB_304000_NS8EqualityEEESF_JS6_EEE10hipError_tPvRmT3_T4_T5_T6_T7_T9_mT8_P12ihipStream_tbDpT10_ENKUlT_T0_E_clISt17integral_constantIbLb1EES16_EEDaS11_S12_EUlS11_E_NS1_11comp_targetILNS1_3genE8ELNS1_11target_archE1030ELNS1_3gpuE2ELNS1_3repE0EEENS1_30default_config_static_selectorELNS0_4arch9wavefront6targetE1EEEvT1_,"axG",@progbits,_ZN7rocprim17ROCPRIM_400000_NS6detail17trampoline_kernelINS0_14default_configENS1_25partition_config_selectorILNS1_17partition_subalgoE8ElNS0_10empty_typeEbEEZZNS1_14partition_implILS5_8ELb0ES3_jPKlPS6_PKS6_NS0_5tupleIJPlS6_EEENSE_IJSB_SB_EEENS0_18inequality_wrapperIN6hipcub16HIPCUB_304000_NS8EqualityEEESF_JS6_EEE10hipError_tPvRmT3_T4_T5_T6_T7_T9_mT8_P12ihipStream_tbDpT10_ENKUlT_T0_E_clISt17integral_constantIbLb1EES16_EEDaS11_S12_EUlS11_E_NS1_11comp_targetILNS1_3genE8ELNS1_11target_archE1030ELNS1_3gpuE2ELNS1_3repE0EEENS1_30default_config_static_selectorELNS0_4arch9wavefront6targetE1EEEvT1_,comdat
.Lfunc_end494:
	.size	_ZN7rocprim17ROCPRIM_400000_NS6detail17trampoline_kernelINS0_14default_configENS1_25partition_config_selectorILNS1_17partition_subalgoE8ElNS0_10empty_typeEbEEZZNS1_14partition_implILS5_8ELb0ES3_jPKlPS6_PKS6_NS0_5tupleIJPlS6_EEENSE_IJSB_SB_EEENS0_18inequality_wrapperIN6hipcub16HIPCUB_304000_NS8EqualityEEESF_JS6_EEE10hipError_tPvRmT3_T4_T5_T6_T7_T9_mT8_P12ihipStream_tbDpT10_ENKUlT_T0_E_clISt17integral_constantIbLb1EES16_EEDaS11_S12_EUlS11_E_NS1_11comp_targetILNS1_3genE8ELNS1_11target_archE1030ELNS1_3gpuE2ELNS1_3repE0EEENS1_30default_config_static_selectorELNS0_4arch9wavefront6targetE1EEEvT1_, .Lfunc_end494-_ZN7rocprim17ROCPRIM_400000_NS6detail17trampoline_kernelINS0_14default_configENS1_25partition_config_selectorILNS1_17partition_subalgoE8ElNS0_10empty_typeEbEEZZNS1_14partition_implILS5_8ELb0ES3_jPKlPS6_PKS6_NS0_5tupleIJPlS6_EEENSE_IJSB_SB_EEENS0_18inequality_wrapperIN6hipcub16HIPCUB_304000_NS8EqualityEEESF_JS6_EEE10hipError_tPvRmT3_T4_T5_T6_T7_T9_mT8_P12ihipStream_tbDpT10_ENKUlT_T0_E_clISt17integral_constantIbLb1EES16_EEDaS11_S12_EUlS11_E_NS1_11comp_targetILNS1_3genE8ELNS1_11target_archE1030ELNS1_3gpuE2ELNS1_3repE0EEENS1_30default_config_static_selectorELNS0_4arch9wavefront6targetE1EEEvT1_
                                        ; -- End function
	.section	.AMDGPU.csdata,"",@progbits
; Kernel info:
; codeLenInByte = 0
; NumSgprs: 6
; NumVgprs: 0
; NumAgprs: 0
; TotalNumVgprs: 0
; ScratchSize: 0
; MemoryBound: 0
; FloatMode: 240
; IeeeMode: 1
; LDSByteSize: 0 bytes/workgroup (compile time only)
; SGPRBlocks: 0
; VGPRBlocks: 0
; NumSGPRsForWavesPerEU: 6
; NumVGPRsForWavesPerEU: 1
; AccumOffset: 4
; Occupancy: 8
; WaveLimiterHint : 0
; COMPUTE_PGM_RSRC2:SCRATCH_EN: 0
; COMPUTE_PGM_RSRC2:USER_SGPR: 2
; COMPUTE_PGM_RSRC2:TRAP_HANDLER: 0
; COMPUTE_PGM_RSRC2:TGID_X_EN: 1
; COMPUTE_PGM_RSRC2:TGID_Y_EN: 0
; COMPUTE_PGM_RSRC2:TGID_Z_EN: 0
; COMPUTE_PGM_RSRC2:TIDIG_COMP_CNT: 0
; COMPUTE_PGM_RSRC3_GFX90A:ACCUM_OFFSET: 0
; COMPUTE_PGM_RSRC3_GFX90A:TG_SPLIT: 0
	.section	.text._ZN7rocprim17ROCPRIM_400000_NS6detail17trampoline_kernelINS0_14default_configENS1_25partition_config_selectorILNS1_17partition_subalgoE8ElNS0_10empty_typeEbEEZZNS1_14partition_implILS5_8ELb0ES3_jPKlPS6_PKS6_NS0_5tupleIJPlS6_EEENSE_IJSB_SB_EEENS0_18inequality_wrapperIN6hipcub16HIPCUB_304000_NS8EqualityEEESF_JS6_EEE10hipError_tPvRmT3_T4_T5_T6_T7_T9_mT8_P12ihipStream_tbDpT10_ENKUlT_T0_E_clISt17integral_constantIbLb1EES15_IbLb0EEEEDaS11_S12_EUlS11_E_NS1_11comp_targetILNS1_3genE0ELNS1_11target_archE4294967295ELNS1_3gpuE0ELNS1_3repE0EEENS1_30default_config_static_selectorELNS0_4arch9wavefront6targetE1EEEvT1_,"axG",@progbits,_ZN7rocprim17ROCPRIM_400000_NS6detail17trampoline_kernelINS0_14default_configENS1_25partition_config_selectorILNS1_17partition_subalgoE8ElNS0_10empty_typeEbEEZZNS1_14partition_implILS5_8ELb0ES3_jPKlPS6_PKS6_NS0_5tupleIJPlS6_EEENSE_IJSB_SB_EEENS0_18inequality_wrapperIN6hipcub16HIPCUB_304000_NS8EqualityEEESF_JS6_EEE10hipError_tPvRmT3_T4_T5_T6_T7_T9_mT8_P12ihipStream_tbDpT10_ENKUlT_T0_E_clISt17integral_constantIbLb1EES15_IbLb0EEEEDaS11_S12_EUlS11_E_NS1_11comp_targetILNS1_3genE0ELNS1_11target_archE4294967295ELNS1_3gpuE0ELNS1_3repE0EEENS1_30default_config_static_selectorELNS0_4arch9wavefront6targetE1EEEvT1_,comdat
	.protected	_ZN7rocprim17ROCPRIM_400000_NS6detail17trampoline_kernelINS0_14default_configENS1_25partition_config_selectorILNS1_17partition_subalgoE8ElNS0_10empty_typeEbEEZZNS1_14partition_implILS5_8ELb0ES3_jPKlPS6_PKS6_NS0_5tupleIJPlS6_EEENSE_IJSB_SB_EEENS0_18inequality_wrapperIN6hipcub16HIPCUB_304000_NS8EqualityEEESF_JS6_EEE10hipError_tPvRmT3_T4_T5_T6_T7_T9_mT8_P12ihipStream_tbDpT10_ENKUlT_T0_E_clISt17integral_constantIbLb1EES15_IbLb0EEEEDaS11_S12_EUlS11_E_NS1_11comp_targetILNS1_3genE0ELNS1_11target_archE4294967295ELNS1_3gpuE0ELNS1_3repE0EEENS1_30default_config_static_selectorELNS0_4arch9wavefront6targetE1EEEvT1_ ; -- Begin function _ZN7rocprim17ROCPRIM_400000_NS6detail17trampoline_kernelINS0_14default_configENS1_25partition_config_selectorILNS1_17partition_subalgoE8ElNS0_10empty_typeEbEEZZNS1_14partition_implILS5_8ELb0ES3_jPKlPS6_PKS6_NS0_5tupleIJPlS6_EEENSE_IJSB_SB_EEENS0_18inequality_wrapperIN6hipcub16HIPCUB_304000_NS8EqualityEEESF_JS6_EEE10hipError_tPvRmT3_T4_T5_T6_T7_T9_mT8_P12ihipStream_tbDpT10_ENKUlT_T0_E_clISt17integral_constantIbLb1EES15_IbLb0EEEEDaS11_S12_EUlS11_E_NS1_11comp_targetILNS1_3genE0ELNS1_11target_archE4294967295ELNS1_3gpuE0ELNS1_3repE0EEENS1_30default_config_static_selectorELNS0_4arch9wavefront6targetE1EEEvT1_
	.globl	_ZN7rocprim17ROCPRIM_400000_NS6detail17trampoline_kernelINS0_14default_configENS1_25partition_config_selectorILNS1_17partition_subalgoE8ElNS0_10empty_typeEbEEZZNS1_14partition_implILS5_8ELb0ES3_jPKlPS6_PKS6_NS0_5tupleIJPlS6_EEENSE_IJSB_SB_EEENS0_18inequality_wrapperIN6hipcub16HIPCUB_304000_NS8EqualityEEESF_JS6_EEE10hipError_tPvRmT3_T4_T5_T6_T7_T9_mT8_P12ihipStream_tbDpT10_ENKUlT_T0_E_clISt17integral_constantIbLb1EES15_IbLb0EEEEDaS11_S12_EUlS11_E_NS1_11comp_targetILNS1_3genE0ELNS1_11target_archE4294967295ELNS1_3gpuE0ELNS1_3repE0EEENS1_30default_config_static_selectorELNS0_4arch9wavefront6targetE1EEEvT1_
	.p2align	8
	.type	_ZN7rocprim17ROCPRIM_400000_NS6detail17trampoline_kernelINS0_14default_configENS1_25partition_config_selectorILNS1_17partition_subalgoE8ElNS0_10empty_typeEbEEZZNS1_14partition_implILS5_8ELb0ES3_jPKlPS6_PKS6_NS0_5tupleIJPlS6_EEENSE_IJSB_SB_EEENS0_18inequality_wrapperIN6hipcub16HIPCUB_304000_NS8EqualityEEESF_JS6_EEE10hipError_tPvRmT3_T4_T5_T6_T7_T9_mT8_P12ihipStream_tbDpT10_ENKUlT_T0_E_clISt17integral_constantIbLb1EES15_IbLb0EEEEDaS11_S12_EUlS11_E_NS1_11comp_targetILNS1_3genE0ELNS1_11target_archE4294967295ELNS1_3gpuE0ELNS1_3repE0EEENS1_30default_config_static_selectorELNS0_4arch9wavefront6targetE1EEEvT1_,@function
_ZN7rocprim17ROCPRIM_400000_NS6detail17trampoline_kernelINS0_14default_configENS1_25partition_config_selectorILNS1_17partition_subalgoE8ElNS0_10empty_typeEbEEZZNS1_14partition_implILS5_8ELb0ES3_jPKlPS6_PKS6_NS0_5tupleIJPlS6_EEENSE_IJSB_SB_EEENS0_18inequality_wrapperIN6hipcub16HIPCUB_304000_NS8EqualityEEESF_JS6_EEE10hipError_tPvRmT3_T4_T5_T6_T7_T9_mT8_P12ihipStream_tbDpT10_ENKUlT_T0_E_clISt17integral_constantIbLb1EES15_IbLb0EEEEDaS11_S12_EUlS11_E_NS1_11comp_targetILNS1_3genE0ELNS1_11target_archE4294967295ELNS1_3gpuE0ELNS1_3repE0EEENS1_30default_config_static_selectorELNS0_4arch9wavefront6targetE1EEEvT1_: ; @_ZN7rocprim17ROCPRIM_400000_NS6detail17trampoline_kernelINS0_14default_configENS1_25partition_config_selectorILNS1_17partition_subalgoE8ElNS0_10empty_typeEbEEZZNS1_14partition_implILS5_8ELb0ES3_jPKlPS6_PKS6_NS0_5tupleIJPlS6_EEENSE_IJSB_SB_EEENS0_18inequality_wrapperIN6hipcub16HIPCUB_304000_NS8EqualityEEESF_JS6_EEE10hipError_tPvRmT3_T4_T5_T6_T7_T9_mT8_P12ihipStream_tbDpT10_ENKUlT_T0_E_clISt17integral_constantIbLb1EES15_IbLb0EEEEDaS11_S12_EUlS11_E_NS1_11comp_targetILNS1_3genE0ELNS1_11target_archE4294967295ELNS1_3gpuE0ELNS1_3repE0EEENS1_30default_config_static_selectorELNS0_4arch9wavefront6targetE1EEEvT1_
; %bb.0:
	.section	.rodata,"a",@progbits
	.p2align	6, 0x0
	.amdhsa_kernel _ZN7rocprim17ROCPRIM_400000_NS6detail17trampoline_kernelINS0_14default_configENS1_25partition_config_selectorILNS1_17partition_subalgoE8ElNS0_10empty_typeEbEEZZNS1_14partition_implILS5_8ELb0ES3_jPKlPS6_PKS6_NS0_5tupleIJPlS6_EEENSE_IJSB_SB_EEENS0_18inequality_wrapperIN6hipcub16HIPCUB_304000_NS8EqualityEEESF_JS6_EEE10hipError_tPvRmT3_T4_T5_T6_T7_T9_mT8_P12ihipStream_tbDpT10_ENKUlT_T0_E_clISt17integral_constantIbLb1EES15_IbLb0EEEEDaS11_S12_EUlS11_E_NS1_11comp_targetILNS1_3genE0ELNS1_11target_archE4294967295ELNS1_3gpuE0ELNS1_3repE0EEENS1_30default_config_static_selectorELNS0_4arch9wavefront6targetE1EEEvT1_
		.amdhsa_group_segment_fixed_size 0
		.amdhsa_private_segment_fixed_size 0
		.amdhsa_kernarg_size 112
		.amdhsa_user_sgpr_count 2
		.amdhsa_user_sgpr_dispatch_ptr 0
		.amdhsa_user_sgpr_queue_ptr 0
		.amdhsa_user_sgpr_kernarg_segment_ptr 1
		.amdhsa_user_sgpr_dispatch_id 0
		.amdhsa_user_sgpr_kernarg_preload_length 0
		.amdhsa_user_sgpr_kernarg_preload_offset 0
		.amdhsa_user_sgpr_private_segment_size 0
		.amdhsa_uses_dynamic_stack 0
		.amdhsa_enable_private_segment 0
		.amdhsa_system_sgpr_workgroup_id_x 1
		.amdhsa_system_sgpr_workgroup_id_y 0
		.amdhsa_system_sgpr_workgroup_id_z 0
		.amdhsa_system_sgpr_workgroup_info 0
		.amdhsa_system_vgpr_workitem_id 0
		.amdhsa_next_free_vgpr 1
		.amdhsa_next_free_sgpr 0
		.amdhsa_accum_offset 4
		.amdhsa_reserve_vcc 0
		.amdhsa_float_round_mode_32 0
		.amdhsa_float_round_mode_16_64 0
		.amdhsa_float_denorm_mode_32 3
		.amdhsa_float_denorm_mode_16_64 3
		.amdhsa_dx10_clamp 1
		.amdhsa_ieee_mode 1
		.amdhsa_fp16_overflow 0
		.amdhsa_tg_split 0
		.amdhsa_exception_fp_ieee_invalid_op 0
		.amdhsa_exception_fp_denorm_src 0
		.amdhsa_exception_fp_ieee_div_zero 0
		.amdhsa_exception_fp_ieee_overflow 0
		.amdhsa_exception_fp_ieee_underflow 0
		.amdhsa_exception_fp_ieee_inexact 0
		.amdhsa_exception_int_div_zero 0
	.end_amdhsa_kernel
	.section	.text._ZN7rocprim17ROCPRIM_400000_NS6detail17trampoline_kernelINS0_14default_configENS1_25partition_config_selectorILNS1_17partition_subalgoE8ElNS0_10empty_typeEbEEZZNS1_14partition_implILS5_8ELb0ES3_jPKlPS6_PKS6_NS0_5tupleIJPlS6_EEENSE_IJSB_SB_EEENS0_18inequality_wrapperIN6hipcub16HIPCUB_304000_NS8EqualityEEESF_JS6_EEE10hipError_tPvRmT3_T4_T5_T6_T7_T9_mT8_P12ihipStream_tbDpT10_ENKUlT_T0_E_clISt17integral_constantIbLb1EES15_IbLb0EEEEDaS11_S12_EUlS11_E_NS1_11comp_targetILNS1_3genE0ELNS1_11target_archE4294967295ELNS1_3gpuE0ELNS1_3repE0EEENS1_30default_config_static_selectorELNS0_4arch9wavefront6targetE1EEEvT1_,"axG",@progbits,_ZN7rocprim17ROCPRIM_400000_NS6detail17trampoline_kernelINS0_14default_configENS1_25partition_config_selectorILNS1_17partition_subalgoE8ElNS0_10empty_typeEbEEZZNS1_14partition_implILS5_8ELb0ES3_jPKlPS6_PKS6_NS0_5tupleIJPlS6_EEENSE_IJSB_SB_EEENS0_18inequality_wrapperIN6hipcub16HIPCUB_304000_NS8EqualityEEESF_JS6_EEE10hipError_tPvRmT3_T4_T5_T6_T7_T9_mT8_P12ihipStream_tbDpT10_ENKUlT_T0_E_clISt17integral_constantIbLb1EES15_IbLb0EEEEDaS11_S12_EUlS11_E_NS1_11comp_targetILNS1_3genE0ELNS1_11target_archE4294967295ELNS1_3gpuE0ELNS1_3repE0EEENS1_30default_config_static_selectorELNS0_4arch9wavefront6targetE1EEEvT1_,comdat
.Lfunc_end495:
	.size	_ZN7rocprim17ROCPRIM_400000_NS6detail17trampoline_kernelINS0_14default_configENS1_25partition_config_selectorILNS1_17partition_subalgoE8ElNS0_10empty_typeEbEEZZNS1_14partition_implILS5_8ELb0ES3_jPKlPS6_PKS6_NS0_5tupleIJPlS6_EEENSE_IJSB_SB_EEENS0_18inequality_wrapperIN6hipcub16HIPCUB_304000_NS8EqualityEEESF_JS6_EEE10hipError_tPvRmT3_T4_T5_T6_T7_T9_mT8_P12ihipStream_tbDpT10_ENKUlT_T0_E_clISt17integral_constantIbLb1EES15_IbLb0EEEEDaS11_S12_EUlS11_E_NS1_11comp_targetILNS1_3genE0ELNS1_11target_archE4294967295ELNS1_3gpuE0ELNS1_3repE0EEENS1_30default_config_static_selectorELNS0_4arch9wavefront6targetE1EEEvT1_, .Lfunc_end495-_ZN7rocprim17ROCPRIM_400000_NS6detail17trampoline_kernelINS0_14default_configENS1_25partition_config_selectorILNS1_17partition_subalgoE8ElNS0_10empty_typeEbEEZZNS1_14partition_implILS5_8ELb0ES3_jPKlPS6_PKS6_NS0_5tupleIJPlS6_EEENSE_IJSB_SB_EEENS0_18inequality_wrapperIN6hipcub16HIPCUB_304000_NS8EqualityEEESF_JS6_EEE10hipError_tPvRmT3_T4_T5_T6_T7_T9_mT8_P12ihipStream_tbDpT10_ENKUlT_T0_E_clISt17integral_constantIbLb1EES15_IbLb0EEEEDaS11_S12_EUlS11_E_NS1_11comp_targetILNS1_3genE0ELNS1_11target_archE4294967295ELNS1_3gpuE0ELNS1_3repE0EEENS1_30default_config_static_selectorELNS0_4arch9wavefront6targetE1EEEvT1_
                                        ; -- End function
	.section	.AMDGPU.csdata,"",@progbits
; Kernel info:
; codeLenInByte = 0
; NumSgprs: 6
; NumVgprs: 0
; NumAgprs: 0
; TotalNumVgprs: 0
; ScratchSize: 0
; MemoryBound: 0
; FloatMode: 240
; IeeeMode: 1
; LDSByteSize: 0 bytes/workgroup (compile time only)
; SGPRBlocks: 0
; VGPRBlocks: 0
; NumSGPRsForWavesPerEU: 6
; NumVGPRsForWavesPerEU: 1
; AccumOffset: 4
; Occupancy: 8
; WaveLimiterHint : 0
; COMPUTE_PGM_RSRC2:SCRATCH_EN: 0
; COMPUTE_PGM_RSRC2:USER_SGPR: 2
; COMPUTE_PGM_RSRC2:TRAP_HANDLER: 0
; COMPUTE_PGM_RSRC2:TGID_X_EN: 1
; COMPUTE_PGM_RSRC2:TGID_Y_EN: 0
; COMPUTE_PGM_RSRC2:TGID_Z_EN: 0
; COMPUTE_PGM_RSRC2:TIDIG_COMP_CNT: 0
; COMPUTE_PGM_RSRC3_GFX90A:ACCUM_OFFSET: 0
; COMPUTE_PGM_RSRC3_GFX90A:TG_SPLIT: 0
	.section	.text._ZN7rocprim17ROCPRIM_400000_NS6detail17trampoline_kernelINS0_14default_configENS1_25partition_config_selectorILNS1_17partition_subalgoE8ElNS0_10empty_typeEbEEZZNS1_14partition_implILS5_8ELb0ES3_jPKlPS6_PKS6_NS0_5tupleIJPlS6_EEENSE_IJSB_SB_EEENS0_18inequality_wrapperIN6hipcub16HIPCUB_304000_NS8EqualityEEESF_JS6_EEE10hipError_tPvRmT3_T4_T5_T6_T7_T9_mT8_P12ihipStream_tbDpT10_ENKUlT_T0_E_clISt17integral_constantIbLb1EES15_IbLb0EEEEDaS11_S12_EUlS11_E_NS1_11comp_targetILNS1_3genE5ELNS1_11target_archE942ELNS1_3gpuE9ELNS1_3repE0EEENS1_30default_config_static_selectorELNS0_4arch9wavefront6targetE1EEEvT1_,"axG",@progbits,_ZN7rocprim17ROCPRIM_400000_NS6detail17trampoline_kernelINS0_14default_configENS1_25partition_config_selectorILNS1_17partition_subalgoE8ElNS0_10empty_typeEbEEZZNS1_14partition_implILS5_8ELb0ES3_jPKlPS6_PKS6_NS0_5tupleIJPlS6_EEENSE_IJSB_SB_EEENS0_18inequality_wrapperIN6hipcub16HIPCUB_304000_NS8EqualityEEESF_JS6_EEE10hipError_tPvRmT3_T4_T5_T6_T7_T9_mT8_P12ihipStream_tbDpT10_ENKUlT_T0_E_clISt17integral_constantIbLb1EES15_IbLb0EEEEDaS11_S12_EUlS11_E_NS1_11comp_targetILNS1_3genE5ELNS1_11target_archE942ELNS1_3gpuE9ELNS1_3repE0EEENS1_30default_config_static_selectorELNS0_4arch9wavefront6targetE1EEEvT1_,comdat
	.protected	_ZN7rocprim17ROCPRIM_400000_NS6detail17trampoline_kernelINS0_14default_configENS1_25partition_config_selectorILNS1_17partition_subalgoE8ElNS0_10empty_typeEbEEZZNS1_14partition_implILS5_8ELb0ES3_jPKlPS6_PKS6_NS0_5tupleIJPlS6_EEENSE_IJSB_SB_EEENS0_18inequality_wrapperIN6hipcub16HIPCUB_304000_NS8EqualityEEESF_JS6_EEE10hipError_tPvRmT3_T4_T5_T6_T7_T9_mT8_P12ihipStream_tbDpT10_ENKUlT_T0_E_clISt17integral_constantIbLb1EES15_IbLb0EEEEDaS11_S12_EUlS11_E_NS1_11comp_targetILNS1_3genE5ELNS1_11target_archE942ELNS1_3gpuE9ELNS1_3repE0EEENS1_30default_config_static_selectorELNS0_4arch9wavefront6targetE1EEEvT1_ ; -- Begin function _ZN7rocprim17ROCPRIM_400000_NS6detail17trampoline_kernelINS0_14default_configENS1_25partition_config_selectorILNS1_17partition_subalgoE8ElNS0_10empty_typeEbEEZZNS1_14partition_implILS5_8ELb0ES3_jPKlPS6_PKS6_NS0_5tupleIJPlS6_EEENSE_IJSB_SB_EEENS0_18inequality_wrapperIN6hipcub16HIPCUB_304000_NS8EqualityEEESF_JS6_EEE10hipError_tPvRmT3_T4_T5_T6_T7_T9_mT8_P12ihipStream_tbDpT10_ENKUlT_T0_E_clISt17integral_constantIbLb1EES15_IbLb0EEEEDaS11_S12_EUlS11_E_NS1_11comp_targetILNS1_3genE5ELNS1_11target_archE942ELNS1_3gpuE9ELNS1_3repE0EEENS1_30default_config_static_selectorELNS0_4arch9wavefront6targetE1EEEvT1_
	.globl	_ZN7rocprim17ROCPRIM_400000_NS6detail17trampoline_kernelINS0_14default_configENS1_25partition_config_selectorILNS1_17partition_subalgoE8ElNS0_10empty_typeEbEEZZNS1_14partition_implILS5_8ELb0ES3_jPKlPS6_PKS6_NS0_5tupleIJPlS6_EEENSE_IJSB_SB_EEENS0_18inequality_wrapperIN6hipcub16HIPCUB_304000_NS8EqualityEEESF_JS6_EEE10hipError_tPvRmT3_T4_T5_T6_T7_T9_mT8_P12ihipStream_tbDpT10_ENKUlT_T0_E_clISt17integral_constantIbLb1EES15_IbLb0EEEEDaS11_S12_EUlS11_E_NS1_11comp_targetILNS1_3genE5ELNS1_11target_archE942ELNS1_3gpuE9ELNS1_3repE0EEENS1_30default_config_static_selectorELNS0_4arch9wavefront6targetE1EEEvT1_
	.p2align	8
	.type	_ZN7rocprim17ROCPRIM_400000_NS6detail17trampoline_kernelINS0_14default_configENS1_25partition_config_selectorILNS1_17partition_subalgoE8ElNS0_10empty_typeEbEEZZNS1_14partition_implILS5_8ELb0ES3_jPKlPS6_PKS6_NS0_5tupleIJPlS6_EEENSE_IJSB_SB_EEENS0_18inequality_wrapperIN6hipcub16HIPCUB_304000_NS8EqualityEEESF_JS6_EEE10hipError_tPvRmT3_T4_T5_T6_T7_T9_mT8_P12ihipStream_tbDpT10_ENKUlT_T0_E_clISt17integral_constantIbLb1EES15_IbLb0EEEEDaS11_S12_EUlS11_E_NS1_11comp_targetILNS1_3genE5ELNS1_11target_archE942ELNS1_3gpuE9ELNS1_3repE0EEENS1_30default_config_static_selectorELNS0_4arch9wavefront6targetE1EEEvT1_,@function
_ZN7rocprim17ROCPRIM_400000_NS6detail17trampoline_kernelINS0_14default_configENS1_25partition_config_selectorILNS1_17partition_subalgoE8ElNS0_10empty_typeEbEEZZNS1_14partition_implILS5_8ELb0ES3_jPKlPS6_PKS6_NS0_5tupleIJPlS6_EEENSE_IJSB_SB_EEENS0_18inequality_wrapperIN6hipcub16HIPCUB_304000_NS8EqualityEEESF_JS6_EEE10hipError_tPvRmT3_T4_T5_T6_T7_T9_mT8_P12ihipStream_tbDpT10_ENKUlT_T0_E_clISt17integral_constantIbLb1EES15_IbLb0EEEEDaS11_S12_EUlS11_E_NS1_11comp_targetILNS1_3genE5ELNS1_11target_archE942ELNS1_3gpuE9ELNS1_3repE0EEENS1_30default_config_static_selectorELNS0_4arch9wavefront6targetE1EEEvT1_: ; @_ZN7rocprim17ROCPRIM_400000_NS6detail17trampoline_kernelINS0_14default_configENS1_25partition_config_selectorILNS1_17partition_subalgoE8ElNS0_10empty_typeEbEEZZNS1_14partition_implILS5_8ELb0ES3_jPKlPS6_PKS6_NS0_5tupleIJPlS6_EEENSE_IJSB_SB_EEENS0_18inequality_wrapperIN6hipcub16HIPCUB_304000_NS8EqualityEEESF_JS6_EEE10hipError_tPvRmT3_T4_T5_T6_T7_T9_mT8_P12ihipStream_tbDpT10_ENKUlT_T0_E_clISt17integral_constantIbLb1EES15_IbLb0EEEEDaS11_S12_EUlS11_E_NS1_11comp_targetILNS1_3genE5ELNS1_11target_archE942ELNS1_3gpuE9ELNS1_3repE0EEENS1_30default_config_static_selectorELNS0_4arch9wavefront6targetE1EEEvT1_
; %bb.0:
	s_load_dwordx2 s[8:9], s[0:1], 0x50
	s_load_dwordx4 s[4:7], s[0:1], 0x8
	s_load_dwordx4 s[20:23], s[0:1], 0x40
	s_load_dword s3, s[0:1], 0x68
	s_waitcnt lgkmcnt(0)
	v_mov_b32_e32 v3, s9
	s_lshl_b64 s[10:11], s[6:7], 3
	s_add_u32 s10, s4, s10
	s_mul_i32 s9, s3, 0xe00
	s_addc_u32 s11, s5, s11
	s_add_i32 s12, s3, -1
	s_add_i32 s3, s9, s6
	s_sub_i32 s3, s8, s3
	v_mov_b32_e32 v2, s8
	s_add_u32 s8, s6, s9
	s_addc_u32 s9, s7, 0
	s_cmp_eq_u32 s2, s12
	s_load_dwordx2 s[22:23], s[22:23], 0x0
	v_cmp_ge_u64_e32 vcc, s[8:9], v[2:3]
	s_cselect_b64 s[24:25], -1, 0
	s_mul_i32 s4, s2, 0xe00
	s_mov_b32 s5, 0
	s_and_b64 s[16:17], s[24:25], vcc
	s_xor_b64 s[26:27], s[16:17], -1
	s_lshl_b64 s[4:5], s[4:5], 3
	s_add_u32 s4, s10, s4
	s_mov_b64 s[8:9], -1
	s_addc_u32 s5, s11, s5
	s_and_b64 vcc, exec, s[26:27]
	s_cbranch_vccz .LBB496_2
; %bb.1:
	v_lshlrev_b32_e32 v2, 3, v0
	v_mov_b32_e32 v3, 0
	v_lshl_add_u64 v[4:5], s[4:5], 0, v[2:3]
	v_add_co_u32_e32 v8, vcc, 0x1000, v4
	global_load_dwordx2 v[6:7], v2, s[4:5]
	s_nop 0
	v_addc_co_u32_e32 v9, vcc, 0, v5, vcc
	v_add_co_u32_e32 v10, vcc, 0x2000, v4
	s_mov_b64 s[8:9], 0
	s_nop 0
	v_addc_co_u32_e32 v11, vcc, 0, v5, vcc
	v_add_co_u32_e32 v12, vcc, 0x3000, v4
	s_nop 1
	v_addc_co_u32_e32 v13, vcc, 0, v5, vcc
	v_add_co_u32_e32 v14, vcc, 0x4000, v4
	s_nop 1
	v_addc_co_u32_e32 v15, vcc, 0, v5, vcc
	global_load_dwordx2 v[16:17], v[8:9], off
	global_load_dwordx2 v[18:19], v[10:11], off
	;; [unrolled: 1-line block ×4, first 2 shown]
	v_add_co_u32_e32 v8, vcc, 0x5000, v4
	s_nop 1
	v_addc_co_u32_e32 v9, vcc, 0, v5, vcc
	v_add_co_u32_e32 v4, vcc, 0x6000, v4
	global_load_dwordx2 v[8:9], v[8:9], off
	s_nop 0
	v_addc_co_u32_e32 v5, vcc, 0, v5, vcc
	global_load_dwordx2 v[4:5], v[4:5], off
	s_waitcnt vmcnt(5)
	ds_write2st64_b64 v2, v[6:7], v[16:17] offset1:8
	s_waitcnt vmcnt(3)
	ds_write2st64_b64 v2, v[18:19], v[20:21] offset0:16 offset1:24
	s_waitcnt vmcnt(1)
	ds_write2st64_b64 v2, v[22:23], v[8:9] offset0:32 offset1:40
	s_waitcnt vmcnt(0)
	ds_write_b64 v2, v[4:5] offset:24576
	s_waitcnt lgkmcnt(0)
	s_barrier
.LBB496_2:
	s_andn2_b64 vcc, exec, s[8:9]
	s_addk_i32 s3, 0xe00
	s_cbranch_vccnz .LBB496_18
; %bb.3:
	v_cmp_gt_u32_e32 vcc, s3, v0
                                        ; implicit-def: $vgpr2_vgpr3_vgpr4_vgpr5_vgpr6_vgpr7_vgpr8_vgpr9_vgpr10_vgpr11_vgpr12_vgpr13_vgpr14_vgpr15_vgpr16_vgpr17
	s_and_saveexec_b64 s[8:9], vcc
	s_cbranch_execz .LBB496_5
; %bb.4:
	v_lshlrev_b32_e32 v1, 3, v0
	global_load_dwordx2 v[2:3], v1, s[4:5]
.LBB496_5:
	s_or_b64 exec, exec, s[8:9]
	v_or_b32_e32 v1, 0x200, v0
	v_cmp_gt_u32_e32 vcc, s3, v1
	s_and_saveexec_b64 s[8:9], vcc
	s_cbranch_execz .LBB496_7
; %bb.6:
	v_lshlrev_b32_e32 v1, 3, v1
	global_load_dwordx2 v[4:5], v1, s[4:5]
.LBB496_7:
	s_or_b64 exec, exec, s[8:9]
	v_or_b32_e32 v1, 0x400, v0
	v_cmp_gt_u32_e32 vcc, s3, v1
	;; [unrolled: 9-line block ×6, first 2 shown]
	s_and_saveexec_b64 s[8:9], vcc
	s_cbranch_execz .LBB496_17
; %bb.16:
	v_lshlrev_b32_e32 v1, 3, v1
	global_load_dwordx2 v[14:15], v1, s[4:5]
.LBB496_17:
	s_or_b64 exec, exec, s[8:9]
	v_lshlrev_b32_e32 v1, 3, v0
	s_waitcnt vmcnt(0)
	ds_write2st64_b64 v1, v[2:3], v[4:5] offset1:8
	ds_write2st64_b64 v1, v[6:7], v[8:9] offset0:16 offset1:24
	ds_write2st64_b64 v1, v[10:11], v[12:13] offset0:32 offset1:40
	ds_write_b64 v1, v[14:15] offset:24576
	s_waitcnt lgkmcnt(0)
	s_barrier
.LBB496_18:
	v_mul_u32_u24_e32 v18, 7, v0
	v_lshlrev_b32_e32 v1, 3, v18
	s_waitcnt lgkmcnt(0)
	ds_read2_b64 v[10:13], v1 offset1:1
	ds_read2_b64 v[6:9], v1 offset0:2 offset1:3
	ds_read2_b64 v[2:5], v1 offset0:4 offset1:5
	ds_read_b64 v[14:15], v1 offset:48
	s_cmp_lg_u32 s2, 0
	s_cselect_b64 s[30:31], -1, 0
	s_cmp_lg_u64 s[6:7], 0
	s_cselect_b64 s[6:7], -1, 0
	s_or_b64 s[6:7], s[30:31], s[6:7]
	v_mad_u32_u24 v20, v0, 7, 1
	v_mad_u32_u24 v19, v0, 7, 2
	;; [unrolled: 1-line block ×6, first 2 shown]
	s_mov_b64 s[18:19], 0
	s_and_b64 vcc, exec, s[6:7]
	s_waitcnt lgkmcnt(0)
	s_barrier
	s_cbranch_vccz .LBB496_23
; %bb.19:
	s_add_u32 s4, s4, -8
	s_addc_u32 s5, s5, -1
	s_load_dwordx2 s[6:7], s[4:5], 0x0
	v_lshlrev_b32_e32 v29, 3, v0
	s_and_b64 vcc, exec, s[26:27]
	ds_write_b64 v29, v[14:15]
	s_cbranch_vccz .LBB496_25
; %bb.20:
	v_cmp_ne_u32_e32 vcc, 0, v0
	s_waitcnt lgkmcnt(0)
	v_mov_b64_e32 v[16:17], s[6:7]
	s_barrier
	s_and_saveexec_b64 s[4:5], vcc
	s_cbranch_execz .LBB496_22
; %bb.21:
	v_add_u32_e32 v16, -8, v29
	ds_read_b64 v[16:17], v16
.LBB496_22:
	s_or_b64 exec, exec, s[4:5]
	v_cmp_ne_u64_e32 vcc, v[4:5], v[14:15]
	s_waitcnt lgkmcnt(0)
	v_cmp_ne_u64_e64 s[4:5], v[16:17], v[10:11]
	v_cndmask_b32_e64 v27, 0, 1, vcc
	v_cmp_ne_u64_e32 vcc, v[2:3], v[4:5]
	s_nop 1
	v_cndmask_b32_e64 v25, 0, 1, vcc
	v_cmp_ne_u64_e32 vcc, v[8:9], v[2:3]
	s_nop 1
	;; [unrolled: 3-line block ×3, first 2 shown]
	v_cndmask_b32_e64 v28, 0, 1, vcc
	v_cmp_ne_u64_e32 vcc, v[12:13], v[6:7]
	v_lshlrev_b16_e32 v16, 8, v28
	s_nop 0
	v_cndmask_b32_e64 v30, 0, 1, vcc
	v_cmp_ne_u64_e32 vcc, v[10:11], v[12:13]
	v_or_b32_sdwa v16, v30, v16 dst_sel:WORD_1 dst_unused:UNUSED_PAD src0_sel:DWORD src1_sel:DWORD
	s_nop 0
	v_cndmask_b32_e64 v31, 0, 1, vcc
	v_lshlrev_b16_e32 v17, 8, v31
	v_or_b32_e32 v28, v17, v16
	s_branch .LBB496_29
.LBB496_23:
                                        ; implicit-def: $sgpr4_sgpr5
                                        ; implicit-def: $vgpr27
                                        ; implicit-def: $vgpr25
                                        ; implicit-def: $vgpr26
                                        ; implicit-def: $vgpr28
	s_branch .LBB496_30
.LBB496_24:
                                        ; implicit-def: $vgpr16_vgpr17
	s_and_saveexec_b64 s[6:7], s[18:19]
	s_cbranch_execnz .LBB496_38
	s_branch .LBB496_39
.LBB496_25:
                                        ; implicit-def: $sgpr4_sgpr5
                                        ; implicit-def: $vgpr27
                                        ; implicit-def: $vgpr25
                                        ; implicit-def: $vgpr26
                                        ; implicit-def: $vgpr28
	s_cbranch_execz .LBB496_29
; %bb.26:
	v_cmp_ne_u32_e32 vcc, 0, v0
	s_waitcnt lgkmcnt(0)
	v_mov_b64_e32 v[16:17], s[6:7]
	s_barrier
	s_and_saveexec_b64 s[4:5], vcc
	s_cbranch_execz .LBB496_28
; %bb.27:
	v_add_u32_e32 v16, -8, v29
	ds_read_b64 v[16:17], v16
.LBB496_28:
	s_or_b64 exec, exec, s[4:5]
	v_cmp_gt_u32_e32 vcc, s3, v22
	v_cmp_ne_u64_e64 s[4:5], v[4:5], v[14:15]
	s_and_b64 s[4:5], vcc, s[4:5]
	v_cmp_gt_u32_e32 vcc, s3, v24
	v_cndmask_b32_e64 v27, 0, 1, s[4:5]
	v_cmp_ne_u64_e64 s[4:5], v[2:3], v[4:5]
	s_and_b64 s[4:5], vcc, s[4:5]
	v_cmp_gt_u32_e32 vcc, s3, v21
	v_cndmask_b32_e64 v25, 0, 1, s[4:5]
	;; [unrolled: 4-line block ×6, first 2 shown]
	s_waitcnt lgkmcnt(0)
	v_cmp_ne_u64_e64 s[4:5], v[16:17], v[10:11]
	v_lshlrev_b16_e32 v16, 8, v28
	v_or_b32_sdwa v16, v29, v16 dst_sel:WORD_1 dst_unused:UNUSED_PAD src0_sel:DWORD src1_sel:DWORD
	v_lshlrev_b16_e32 v17, 8, v30
	s_and_b64 s[4:5], vcc, s[4:5]
	v_or_b32_e32 v28, v17, v16
.LBB496_29:
	s_waitcnt lgkmcnt(0)
	s_mov_b64 s[18:19], -1
	s_cbranch_execnz .LBB496_24
.LBB496_30:
	s_movk_i32 s4, 0xffd0
	v_mad_i32_i24 v29, v0, s4, v1
	s_and_b64 vcc, exec, s[26:27]
	v_cmp_ne_u64_e64 s[14:15], v[4:5], v[14:15]
	v_cmp_ne_u64_e64 s[4:5], v[2:3], v[4:5]
	;; [unrolled: 1-line block ×6, first 2 shown]
	ds_write_b64 v29, v[14:15]
	s_cbranch_vccz .LBB496_34
; %bb.31:
	v_cndmask_b32_e64 v25, 0, 1, s[4:5]
	v_cndmask_b32_e64 v16, 0, 1, s[8:9]
	;; [unrolled: 1-line block ×5, first 2 shown]
	v_lshlrev_b16_e32 v17, 8, v25
	v_lshlrev_b16_e32 v16, 8, v16
	v_or_b32_e32 v17, v26, v17
	v_or_b32_sdwa v16, v28, v16 dst_sel:WORD_1 dst_unused:UNUSED_PAD src0_sel:DWORD src1_sel:DWORD
	v_lshlrev_b16_e32 v28, 8, v30
	v_and_b32_e32 v17, 0xffff, v17
	v_cndmask_b32_e64 v27, 0, 1, s[14:15]
	v_or_b32_e32 v28, 1, v28
	v_lshl_or_b32 v17, v27, 16, v17
	v_or_b32_sdwa v16, v28, v16 dst_sel:DWORD dst_unused:UNUSED_PAD src0_sel:WORD_0 src1_sel:DWORD
	v_cmp_ne_u32_e32 vcc, 0, v0
	s_waitcnt lgkmcnt(0)
	s_barrier
	s_waitcnt lgkmcnt(0)
                                        ; implicit-def: $sgpr4_sgpr5
                                        ; implicit-def: $vgpr28
	s_and_saveexec_b64 s[6:7], vcc
	s_xor_b64 s[6:7], exec, s[6:7]
	s_cbranch_execz .LBB496_33
; %bb.32:
	v_add_u32_e32 v17, -8, v29
	ds_read_b64 v[30:31], v17
	s_mov_b32 s4, 0x3020104
	v_perm_b32 v28, v16, v16, s4
	s_or_b64 s[18:19], s[18:19], exec
                                        ; implicit-def: $vgpr16_vgpr17
	s_waitcnt lgkmcnt(0)
	v_cmp_ne_u64_e32 vcc, v[30:31], v[10:11]
	s_and_b64 s[4:5], vcc, exec
.LBB496_33:
	s_or_b64 exec, exec, s[6:7]
	s_branch .LBB496_37
.LBB496_34:
                                        ; implicit-def: $sgpr4_sgpr5
                                        ; implicit-def: $vgpr27
                                        ; implicit-def: $vgpr25
                                        ; implicit-def: $vgpr26
                                        ; implicit-def: $vgpr28
                                        ; implicit-def: $vgpr16_vgpr17
	s_cbranch_execz .LBB496_37
; %bb.35:
	v_cmp_gt_u32_e64 s[6:7], s3, v24
	v_cmp_ne_u64_e64 s[8:9], v[2:3], v[4:5]
	s_and_b64 s[6:7], s[6:7], s[8:9]
	v_cndmask_b32_e64 v25, 0, 1, s[6:7]
	v_cmp_gt_u32_e64 s[6:7], s3, v21
	v_cmp_ne_u64_e64 s[8:9], v[8:9], v[2:3]
	s_and_b64 s[6:7], s[6:7], s[8:9]
	v_cndmask_b32_e64 v26, 0, 1, s[6:7]
	;; [unrolled: 4-line block ×4, first 2 shown]
	v_cmp_gt_u32_e64 s[6:7], s3, v20
	v_cmp_ne_u64_e64 s[8:9], v[10:11], v[12:13]
	s_and_b64 s[6:7], s[6:7], s[8:9]
	v_cmp_gt_u32_e32 vcc, s3, v22
	v_cmp_ne_u64_e64 s[4:5], v[4:5], v[14:15]
	v_cndmask_b32_e64 v30, 0, 1, s[6:7]
	v_lshlrev_b16_e32 v17, 8, v25
	v_lshlrev_b16_e32 v16, 8, v16
	v_or_b32_e32 v17, v26, v17
	s_and_b64 s[4:5], vcc, s[4:5]
	v_or_b32_sdwa v16, v28, v16 dst_sel:WORD_1 dst_unused:UNUSED_PAD src0_sel:DWORD src1_sel:DWORD
	v_lshlrev_b16_e32 v28, 8, v30
	v_and_b32_e32 v17, 0xffff, v17
	v_cndmask_b32_e64 v27, 0, 1, s[4:5]
	v_or_b32_e32 v28, 1, v28
	v_lshl_or_b32 v17, v27, 16, v17
	v_or_b32_sdwa v16, v28, v16 dst_sel:DWORD dst_unused:UNUSED_PAD src0_sel:WORD_0 src1_sel:DWORD
	v_cmp_ne_u32_e32 vcc, 0, v0
	s_waitcnt lgkmcnt(0)
	s_barrier
	s_waitcnt lgkmcnt(0)
                                        ; implicit-def: $sgpr4_sgpr5
                                        ; implicit-def: $vgpr28
	s_and_saveexec_b64 s[6:7], vcc
	s_cbranch_execz .LBB496_127
; %bb.36:
	v_add_u32_e32 v17, -8, v29
	ds_read_b64 v[30:31], v17
	s_mov_b32 s4, 0x3020104
	v_cmp_gt_u32_e32 vcc, s3, v18
	v_perm_b32 v28, v16, v16, s4
	s_or_b64 s[18:19], s[18:19], exec
	s_waitcnt lgkmcnt(0)
	v_cmp_ne_u64_e64 s[4:5], v[30:31], v[10:11]
	s_and_b64 s[4:5], vcc, s[4:5]
	s_and_b64 s[4:5], s[4:5], exec
                                        ; implicit-def: $vgpr16_vgpr17
	s_or_b64 exec, exec, s[6:7]
.LBB496_37:
	s_and_saveexec_b64 s[6:7], s[18:19]
	s_cbranch_execz .LBB496_39
.LBB496_38:
	v_lshlrev_b16_e32 v17, 8, v25
	v_and_b32_e32 v25, 0xff, v27
	v_or_b32_sdwa v17, v26, v17 dst_sel:DWORD dst_unused:UNUSED_PAD src0_sel:BYTE_0 src1_sel:DWORD
	v_lshlrev_b32_e32 v25, 16, v25
	v_cndmask_b32_e64 v16, 0, 1, s[4:5]
	s_movk_i32 s4, 0xff
	v_or_b32_sdwa v17, v17, v25 dst_sel:DWORD dst_unused:UNUSED_PAD src0_sel:WORD_0 src1_sel:DWORD
	v_lshrrev_b32_e32 v25, 24, v28
	v_lshlrev_b16_e32 v25, 8, v25
	v_and_b32_sdwa v26, v28, s4 dst_sel:DWORD dst_unused:UNUSED_PAD src0_sel:WORD_1 src1_sel:DWORD
	v_or_b32_sdwa v25, v26, v25 dst_sel:WORD_1 dst_unused:UNUSED_PAD src0_sel:DWORD src1_sel:DWORD
	v_mov_b32_e32 v26, 8
	v_lshrrev_b32_sdwa v26, v26, v28 dst_sel:BYTE_1 dst_unused:UNUSED_PAD src0_sel:DWORD src1_sel:DWORD
	s_nop 0
	v_or_b32_e32 v16, v16, v26
	v_or_b32_sdwa v16, v16, v25 dst_sel:DWORD dst_unused:UNUSED_PAD src0_sel:WORD_0 src1_sel:DWORD
.LBB496_39:
	s_or_b64 exec, exec, s[6:7]
	s_load_dwordx2 s[28:29], s[0:1], 0x60
	s_andn2_b64 vcc, exec, s[16:17]
	s_cbranch_vccnz .LBB496_41
; %bb.40:
	v_and_b32_e32 v25, 0xffff0000, v16
	v_cmp_gt_u32_e32 vcc, s3, v18
	s_mov_b32 s4, 0x40c0100
	s_nop 0
	v_cndmask_b32_e32 v18, v25, v16, vcc
	v_and_b32_e32 v18, 0xffff00ff, v18
	v_cmp_gt_u32_e32 vcc, s3, v20
	s_nop 1
	v_cndmask_b32_e32 v18, v18, v16, vcc
	v_lshrrev_b32_e32 v20, 24, v18
	v_perm_b32 v18, v20, v18, s4
	v_cmp_gt_u32_e32 vcc, s3, v19
	v_and_b32_e32 v19, 0xffffff00, v17
	s_nop 0
	v_cndmask_b32_e32 v18, v18, v16, vcc
	v_and_b32_e32 v18, 0xffffff, v18
	v_cmp_gt_u32_e32 vcc, s3, v23
	s_nop 1
	v_cndmask_b32_e32 v18, v18, v16, vcc
	v_cmp_gt_u32_e32 vcc, s3, v21
	s_nop 1
	v_cndmask_b32_e32 v19, v19, v17, vcc
	v_and_b32_e32 v19, 0xffff00ff, v19
	v_cndmask_b32_e32 v18, v18, v16, vcc
	v_cmp_gt_u32_e32 vcc, s3, v24
	s_nop 1
	v_cndmask_b32_e32 v19, v19, v17, vcc
	v_lshrrev_b32_e32 v20, 24, v19
	v_cndmask_b32_e32 v18, v18, v16, vcc
	v_perm_b32 v19, v20, v19, s4
	v_cmp_gt_u32_e32 vcc, s3, v22
	s_mov_b32 s3, 0x3020104
	s_nop 0
	v_cndmask_b32_e32 v16, v18, v16, vcc
	v_cndmask_b32_e32 v17, v19, v17, vcc
	v_mov_b32_e32 v18, 8
	v_lshrrev_b32_sdwa v18, v18, v17 dst_sel:BYTE_1 dst_unused:UNUSED_PAD src0_sel:DWORD src1_sel:DWORD
	v_perm_b32 v16, v16, v16, s3
	v_or_b32_sdwa v18, v17, v18 dst_sel:DWORD dst_unused:UNUSED_PAD src0_sel:BYTE_0 src1_sel:DWORD
	v_and_b32_e32 v18, 0xffff, v18
	v_bfe_u32 v17, v17, 16, 8
	v_lshl_or_b32 v17, v17, 16, v18
.LBB496_41:
	v_and_b32_e32 v29, 0xff, v16
	v_bfe_u32 v31, v16, 8, 8
	v_bfe_u32 v33, v16, 16, 8
	v_alignbit_b32 v18, v17, v16, 24
	v_and_b32_e32 v35, 0xff, v18
	v_and_b32_e32 v36, 0xff, v17
	v_add3_u32 v19, v31, v29, v33
	v_bfe_u32 v37, v17, 8, 8
	v_bfe_u32 v18, v17, 16, 8
	v_add3_u32 v19, v19, v35, v36
	v_add3_u32 v40, v19, v37, v18
	v_mbcnt_lo_u32_b32 v18, -1, 0
	v_mbcnt_hi_u32_b32 v38, -1, v18
	v_and_b32_e32 v18, 15, v38
	v_cmp_eq_u32_e64 s[14:15], 0, v18
	v_cmp_lt_u32_e64 s[12:13], 1, v18
	v_cmp_lt_u32_e64 s[10:11], 3, v18
	;; [unrolled: 1-line block ×3, first 2 shown]
	v_and_b32_e32 v18, 16, v38
	v_cmp_eq_u32_e64 s[6:7], 0, v18
	v_or_b32_e32 v18, 63, v0
	v_cmp_lt_u32_e64 s[18:19], 31, v38
	v_lshrrev_b32_e32 v39, 6, v0
	v_cmp_eq_u32_e64 s[4:5], v18, v0
	s_and_b64 vcc, exec, s[30:31]
	s_waitcnt lgkmcnt(0)
	s_barrier
	s_cbranch_vccz .LBB496_72
; %bb.42:
	v_mov_b32_dpp v18, v40 row_shr:1 row_mask:0xf bank_mask:0xf
	v_cndmask_b32_e64 v18, v18, 0, s[14:15]
	v_add_u32_e32 v18, v18, v40
	s_nop 1
	v_mov_b32_dpp v19, v18 row_shr:2 row_mask:0xf bank_mask:0xf
	v_cndmask_b32_e64 v19, 0, v19, s[12:13]
	v_add_u32_e32 v18, v18, v19
	s_nop 1
	;; [unrolled: 4-line block ×4, first 2 shown]
	v_mov_b32_dpp v19, v18 row_bcast:15 row_mask:0xf bank_mask:0xf
	v_cndmask_b32_e64 v19, v19, 0, s[6:7]
	v_add_u32_e32 v18, v18, v19
	s_nop 1
	v_mov_b32_dpp v19, v18 row_bcast:31 row_mask:0xf bank_mask:0xf
	v_cndmask_b32_e64 v19, 0, v19, s[18:19]
	v_add_u32_e32 v18, v18, v19
	s_and_saveexec_b64 s[16:17], s[4:5]
	s_cbranch_execz .LBB496_44
; %bb.43:
	v_lshlrev_b32_e32 v19, 2, v39
	ds_write_b32 v19, v18
.LBB496_44:
	s_or_b64 exec, exec, s[16:17]
	v_cmp_gt_u32_e32 vcc, 8, v0
	s_waitcnt lgkmcnt(0)
	s_barrier
	s_and_saveexec_b64 s[16:17], vcc
	s_cbranch_execz .LBB496_46
; %bb.45:
	v_lshlrev_b32_e32 v19, 2, v0
	ds_read_b32 v20, v19
	v_and_b32_e32 v21, 7, v38
	v_cmp_ne_u32_e32 vcc, 0, v21
	s_waitcnt lgkmcnt(0)
	v_mov_b32_dpp v22, v20 row_shr:1 row_mask:0xf bank_mask:0xf
	v_cndmask_b32_e32 v22, 0, v22, vcc
	v_add_u32_e32 v20, v22, v20
	v_cmp_lt_u32_e32 vcc, 1, v21
	s_nop 0
	v_mov_b32_dpp v22, v20 row_shr:2 row_mask:0xf bank_mask:0xf
	v_cndmask_b32_e32 v22, 0, v22, vcc
	v_add_u32_e32 v20, v20, v22
	v_cmp_lt_u32_e32 vcc, 3, v21
	s_nop 0
	v_mov_b32_dpp v22, v20 row_shr:4 row_mask:0xf bank_mask:0xf
	v_cndmask_b32_e32 v21, 0, v22, vcc
	v_add_u32_e32 v20, v20, v21
	ds_write_b32 v19, v20
.LBB496_46:
	s_or_b64 exec, exec, s[16:17]
	v_cmp_gt_u32_e32 vcc, 64, v0
	v_cmp_lt_u32_e64 s[16:17], 63, v0
	s_waitcnt lgkmcnt(0)
	s_barrier
	s_waitcnt lgkmcnt(0)
                                        ; implicit-def: $vgpr28
	s_and_saveexec_b64 s[30:31], s[16:17]
	s_cbranch_execz .LBB496_48
; %bb.47:
	v_lshl_add_u32 v19, v39, 2, -4
	ds_read_b32 v28, v19
	s_waitcnt lgkmcnt(0)
	v_add_u32_e32 v18, v28, v18
.LBB496_48:
	s_or_b64 exec, exec, s[30:31]
	v_add_u32_e32 v19, -1, v38
	v_and_b32_e32 v20, 64, v38
	v_cmp_lt_i32_e64 s[16:17], v19, v20
	s_nop 1
	v_cndmask_b32_e64 v19, v19, v38, s[16:17]
	v_lshlrev_b32_e32 v19, 2, v19
	ds_bpermute_b32 v30, v19, v18
	v_cmp_eq_u32_e64 s[16:17], 0, v38
	s_and_saveexec_b64 s[30:31], vcc
	s_cbranch_execz .LBB496_71
; %bb.49:
	v_mov_b32_e32 v27, 0
	ds_read_b32 v18, v27 offset:28
	s_and_saveexec_b64 s[34:35], s[16:17]
	s_cbranch_execz .LBB496_51
; %bb.50:
	s_add_i32 s36, s2, 64
	s_mov_b32 s37, 0
	s_lshl_b64 s[36:37], s[36:37], 3
	s_add_u32 s36, s28, s36
	v_mov_b32_e32 v19, 1
	s_addc_u32 s37, s29, s37
	s_waitcnt lgkmcnt(0)
	global_store_dwordx2 v27, v[18:19], s[36:37] sc1
.LBB496_51:
	s_or_b64 exec, exec, s[34:35]
	v_xad_u32 v20, v38, -1, s2
	v_add_u32_e32 v26, 64, v20
	v_lshl_add_u64 v[22:23], v[26:27], 3, s[28:29]
	global_load_dwordx2 v[24:25], v[22:23], off sc1
	s_waitcnt vmcnt(0)
	v_cmp_eq_u16_sdwa s[36:37], v25, v27 src0_sel:BYTE_0 src1_sel:DWORD
	s_and_saveexec_b64 s[34:35], s[36:37]
	s_cbranch_execz .LBB496_57
; %bb.52:
	s_mov_b32 s3, 1
	s_mov_b64 s[36:37], 0
	v_mov_b32_e32 v19, 0
.LBB496_53:                             ; =>This Loop Header: Depth=1
                                        ;     Child Loop BB496_54 Depth 2
	s_max_u32 s33, s3, 1
.LBB496_54:                             ;   Parent Loop BB496_53 Depth=1
                                        ; =>  This Inner Loop Header: Depth=2
	s_add_i32 s33, s33, -1
	s_cmp_eq_u32 s33, 0
	s_sleep 1
	s_cbranch_scc0 .LBB496_54
; %bb.55:                               ;   in Loop: Header=BB496_53 Depth=1
	global_load_dwordx2 v[24:25], v[22:23], off sc1
	s_cmp_lt_u32 s3, 32
	s_cselect_b64 s[38:39], -1, 0
	s_cmp_lg_u64 s[38:39], 0
	s_addc_u32 s3, s3, 0
	s_waitcnt vmcnt(0)
	v_cmp_ne_u16_sdwa s[38:39], v25, v19 src0_sel:BYTE_0 src1_sel:DWORD
	s_or_b64 s[36:37], s[38:39], s[36:37]
	s_andn2_b64 exec, exec, s[36:37]
	s_cbranch_execnz .LBB496_53
; %bb.56:
	s_or_b64 exec, exec, s[36:37]
.LBB496_57:
	s_or_b64 exec, exec, s[34:35]
	v_and_b32_e32 v34, 63, v38
	v_mov_b32_e32 v32, 2
	v_cmp_ne_u32_e32 vcc, 63, v34
	v_cmp_eq_u16_sdwa s[34:35], v25, v32 src0_sel:BYTE_0 src1_sel:DWORD
	v_lshlrev_b64 v[22:23], v38, -1
	v_addc_co_u32_e32 v26, vcc, 0, v38, vcc
	v_and_b32_e32 v19, s35, v23
	v_lshlrev_b32_e32 v41, 2, v26
	v_or_b32_e32 v19, 0x80000000, v19
	ds_bpermute_b32 v26, v41, v24
	v_and_b32_e32 v21, s34, v22
	v_ffbl_b32_e32 v19, v19
	v_add_u32_e32 v19, 32, v19
	v_ffbl_b32_e32 v21, v21
	v_min_u32_e32 v19, v21, v19
	v_cmp_lt_u32_e32 vcc, v34, v19
	v_add_u32_e32 v43, 2, v34
	v_add_u32_e32 v45, 4, v34
	s_waitcnt lgkmcnt(0)
	v_cndmask_b32_e32 v21, 0, v26, vcc
	v_cmp_gt_u32_e32 vcc, 62, v34
	v_add_u32_e32 v21, v21, v24
	v_add_u32_e32 v47, 8, v34
	v_cndmask_b32_e64 v24, 0, 1, vcc
	v_lshlrev_b32_e32 v24, 1, v24
	v_add_lshl_u32 v42, v24, v38, 2
	ds_bpermute_b32 v24, v42, v21
	v_cmp_le_u32_e32 vcc, v43, v19
	v_add_u32_e32 v49, 16, v34
	v_add_u32_e32 v51, 32, v34
	s_waitcnt lgkmcnt(0)
	v_cndmask_b32_e32 v24, 0, v24, vcc
	v_cmp_gt_u32_e32 vcc, 60, v34
	v_add_u32_e32 v21, v21, v24
	s_nop 0
	v_cndmask_b32_e64 v24, 0, 1, vcc
	v_lshlrev_b32_e32 v24, 2, v24
	v_add_lshl_u32 v44, v24, v38, 2
	ds_bpermute_b32 v24, v44, v21
	v_cmp_le_u32_e32 vcc, v45, v19
	s_waitcnt lgkmcnt(0)
	s_nop 0
	v_cndmask_b32_e32 v24, 0, v24, vcc
	v_cmp_gt_u32_e32 vcc, 56, v34
	v_add_u32_e32 v21, v21, v24
	s_nop 0
	v_cndmask_b32_e64 v24, 0, 1, vcc
	v_lshlrev_b32_e32 v24, 3, v24
	v_add_lshl_u32 v46, v24, v38, 2
	ds_bpermute_b32 v24, v46, v21
	v_cmp_le_u32_e32 vcc, v47, v19
	s_waitcnt lgkmcnt(0)
	s_nop 0
	;; [unrolled: 11-line block ×4, first 2 shown]
	v_cndmask_b32_e32 v19, 0, v24, vcc
	v_add_u32_e32 v24, v21, v19
	v_mov_b32_e32 v21, 0
	s_branch .LBB496_59
.LBB496_58:                             ;   in Loop: Header=BB496_59 Depth=1
	s_or_b64 exec, exec, s[34:35]
	v_cmp_eq_u16_sdwa s[34:35], v25, v32 src0_sel:BYTE_0 src1_sel:DWORD
	ds_bpermute_b32 v52, v41, v24
	v_subrev_u32_e32 v20, 64, v20
	v_and_b32_e32 v26, s35, v23
	v_or_b32_e32 v26, 0x80000000, v26
	v_and_b32_e32 v27, s34, v22
	v_ffbl_b32_e32 v26, v26
	v_add_u32_e32 v26, 32, v26
	v_ffbl_b32_e32 v27, v27
	v_min_u32_e32 v26, v27, v26
	v_cmp_lt_u32_e32 vcc, v34, v26
	s_waitcnt lgkmcnt(0)
	s_nop 0
	v_cndmask_b32_e32 v27, 0, v52, vcc
	v_add_u32_e32 v24, v27, v24
	ds_bpermute_b32 v27, v42, v24
	v_cmp_le_u32_e32 vcc, v43, v26
	s_waitcnt lgkmcnt(0)
	s_nop 0
	v_cndmask_b32_e32 v27, 0, v27, vcc
	v_add_u32_e32 v24, v24, v27
	ds_bpermute_b32 v27, v44, v24
	v_cmp_le_u32_e32 vcc, v45, v26
	;; [unrolled: 6-line block ×5, first 2 shown]
	s_waitcnt lgkmcnt(0)
	s_nop 0
	v_cndmask_b32_e32 v26, 0, v27, vcc
	v_add3_u32 v24, v26, v19, v24
.LBB496_59:                             ; =>This Loop Header: Depth=1
                                        ;     Child Loop BB496_62 Depth 2
                                        ;       Child Loop BB496_63 Depth 3
	v_cmp_ne_u16_sdwa s[34:35], v25, v32 src0_sel:BYTE_0 src1_sel:DWORD
	s_nop 1
	v_cndmask_b32_e64 v19, 0, 1, s[34:35]
	;;#ASMSTART
	;;#ASMEND
	s_nop 0
	v_cmp_ne_u32_e32 vcc, 0, v19
	s_cmp_lg_u64 vcc, exec
	v_mov_b32_e32 v19, v24
	s_cbranch_scc1 .LBB496_66
; %bb.60:                               ;   in Loop: Header=BB496_59 Depth=1
	v_lshl_add_u64 v[26:27], v[20:21], 3, s[28:29]
	global_load_dwordx2 v[24:25], v[26:27], off sc1
	s_waitcnt vmcnt(0)
	v_cmp_eq_u16_sdwa s[36:37], v25, v21 src0_sel:BYTE_0 src1_sel:DWORD
	s_and_saveexec_b64 s[34:35], s[36:37]
	s_cbranch_execz .LBB496_58
; %bb.61:                               ;   in Loop: Header=BB496_59 Depth=1
	s_mov_b32 s3, 1
	s_mov_b64 s[36:37], 0
.LBB496_62:                             ;   Parent Loop BB496_59 Depth=1
                                        ; =>  This Loop Header: Depth=2
                                        ;       Child Loop BB496_63 Depth 3
	s_max_u32 s33, s3, 1
.LBB496_63:                             ;   Parent Loop BB496_59 Depth=1
                                        ;     Parent Loop BB496_62 Depth=2
                                        ; =>    This Inner Loop Header: Depth=3
	s_add_i32 s33, s33, -1
	s_cmp_eq_u32 s33, 0
	s_sleep 1
	s_cbranch_scc0 .LBB496_63
; %bb.64:                               ;   in Loop: Header=BB496_62 Depth=2
	global_load_dwordx2 v[24:25], v[26:27], off sc1
	s_cmp_lt_u32 s3, 32
	s_cselect_b64 s[38:39], -1, 0
	s_cmp_lg_u64 s[38:39], 0
	s_addc_u32 s3, s3, 0
	s_waitcnt vmcnt(0)
	v_cmp_ne_u16_sdwa s[38:39], v25, v21 src0_sel:BYTE_0 src1_sel:DWORD
	s_or_b64 s[36:37], s[38:39], s[36:37]
	s_andn2_b64 exec, exec, s[36:37]
	s_cbranch_execnz .LBB496_62
; %bb.65:                               ;   in Loop: Header=BB496_59 Depth=1
	s_or_b64 exec, exec, s[36:37]
	s_branch .LBB496_58
.LBB496_66:                             ;   in Loop: Header=BB496_59 Depth=1
                                        ; implicit-def: $vgpr24
                                        ; implicit-def: $vgpr25
	s_cbranch_execz .LBB496_59
; %bb.67:
	s_and_saveexec_b64 s[34:35], s[16:17]
	s_cbranch_execz .LBB496_69
; %bb.68:
	s_add_i32 s2, s2, 64
	s_mov_b32 s3, 0
	s_lshl_b64 s[2:3], s[2:3], 3
	s_add_u32 s2, s28, s2
	v_add_u32_e32 v20, v19, v18
	v_mov_b32_e32 v21, 2
	s_addc_u32 s3, s29, s3
	v_mov_b32_e32 v22, 0
	global_store_dwordx2 v22, v[20:21], s[2:3] sc1
	ds_write_b64 v22, v[18:19] offset:28672
.LBB496_69:
	s_or_b64 exec, exec, s[34:35]
	v_cmp_eq_u32_e32 vcc, 0, v0
	s_and_b64 exec, exec, vcc
	s_cbranch_execz .LBB496_71
; %bb.70:
	v_mov_b32_e32 v18, 0
	ds_write_b32 v18, v19 offset:28
.LBB496_71:
	s_or_b64 exec, exec, s[30:31]
	v_mov_b32_e32 v18, 0
	s_waitcnt lgkmcnt(0)
	s_barrier
	ds_read_b32 v19, v18 offset:28
	v_cndmask_b32_e64 v20, v30, v28, s[16:17]
	v_cmp_ne_u32_e32 vcc, 0, v0
	s_waitcnt lgkmcnt(0)
	s_barrier
	v_cndmask_b32_e32 v20, 0, v20, vcc
	v_add_u32_e32 v34, v19, v20
	v_add_u32_e32 v32, v34, v29
	;; [unrolled: 1-line block ×3, first 2 shown]
	ds_read_b64 v[18:19], v18 offset:28672
	v_add_u32_e32 v28, v30, v33
	v_add_u32_e32 v26, v28, v35
	;; [unrolled: 1-line block ×4, first 2 shown]
	s_load_dwordx2 s[2:3], s[0:1], 0x28
	v_lshrrev_b64 v[20:21], 24, v[16:17]
	s_branch .LBB496_82
.LBB496_72:
                                        ; implicit-def: $vgpr19
                                        ; implicit-def: $vgpr22
                                        ; implicit-def: $vgpr24
                                        ; implicit-def: $vgpr26
                                        ; implicit-def: $vgpr28
                                        ; implicit-def: $vgpr30
                                        ; implicit-def: $vgpr32
                                        ; implicit-def: $vgpr34
	s_load_dwordx2 s[2:3], s[0:1], 0x28
	v_lshrrev_b64 v[20:21], 24, v[16:17]
	s_cbranch_execz .LBB496_82
; %bb.73:
	s_waitcnt lgkmcnt(0)
	v_mov_b32_dpp v18, v40 row_shr:1 row_mask:0xf bank_mask:0xf
	v_cndmask_b32_e64 v18, v18, 0, s[14:15]
	v_add_u32_e32 v18, v18, v40
	s_nop 1
	v_mov_b32_dpp v19, v18 row_shr:2 row_mask:0xf bank_mask:0xf
	v_cndmask_b32_e64 v19, 0, v19, s[12:13]
	v_add_u32_e32 v18, v18, v19
	s_nop 1
	;; [unrolled: 4-line block ×4, first 2 shown]
	v_mov_b32_dpp v19, v18 row_bcast:15 row_mask:0xf bank_mask:0xf
	v_cndmask_b32_e64 v19, v19, 0, s[6:7]
	v_add_u32_e32 v18, v18, v19
	s_nop 1
	v_mov_b32_dpp v19, v18 row_bcast:31 row_mask:0xf bank_mask:0xf
	v_cndmask_b32_e64 v19, 0, v19, s[18:19]
	v_add_u32_e32 v18, v18, v19
	s_and_saveexec_b64 s[0:1], s[4:5]
	s_cbranch_execz .LBB496_75
; %bb.74:
	v_lshlrev_b32_e32 v19, 2, v39
	ds_write_b32 v19, v18
.LBB496_75:
	s_or_b64 exec, exec, s[0:1]
	v_cmp_gt_u32_e32 vcc, 8, v0
	s_waitcnt lgkmcnt(0)
	s_barrier
	s_and_saveexec_b64 s[0:1], vcc
	s_cbranch_execz .LBB496_77
; %bb.76:
	s_movk_i32 s4, 0xffcc
	v_mad_i32_i24 v1, v0, s4, v1
	ds_read_b32 v19, v1
	v_and_b32_e32 v21, 7, v38
	v_cmp_ne_u32_e32 vcc, 0, v21
	s_waitcnt lgkmcnt(0)
	v_mov_b32_dpp v22, v19 row_shr:1 row_mask:0xf bank_mask:0xf
	v_cndmask_b32_e32 v22, 0, v22, vcc
	v_add_u32_e32 v19, v22, v19
	v_cmp_lt_u32_e32 vcc, 1, v21
	s_nop 0
	v_mov_b32_dpp v22, v19 row_shr:2 row_mask:0xf bank_mask:0xf
	v_cndmask_b32_e32 v22, 0, v22, vcc
	v_add_u32_e32 v19, v19, v22
	v_cmp_lt_u32_e32 vcc, 3, v21
	s_nop 0
	v_mov_b32_dpp v22, v19 row_shr:4 row_mask:0xf bank_mask:0xf
	v_cndmask_b32_e32 v21, 0, v22, vcc
	v_add_u32_e32 v19, v19, v21
	ds_write_b32 v1, v19
.LBB496_77:
	s_or_b64 exec, exec, s[0:1]
	v_cmp_lt_u32_e32 vcc, 63, v0
	v_mov_b32_e32 v19, 0
	v_mov_b32_e32 v1, 0
	s_waitcnt lgkmcnt(0)
	s_barrier
	s_and_saveexec_b64 s[0:1], vcc
	s_cbranch_execz .LBB496_79
; %bb.78:
	v_lshl_add_u32 v1, v39, 2, -4
	ds_read_b32 v1, v1
.LBB496_79:
	s_or_b64 exec, exec, s[0:1]
	v_add_u32_e32 v21, -1, v38
	v_and_b32_e32 v22, 64, v38
	v_cmp_lt_i32_e32 vcc, v21, v22
	s_waitcnt lgkmcnt(0)
	v_add_u32_e32 v18, v1, v18
	v_cndmask_b32_e32 v21, v21, v38, vcc
	v_lshlrev_b32_e32 v21, 2, v21
	ds_bpermute_b32 v21, v21, v18
	ds_read_b32 v18, v19 offset:28
	v_cmp_eq_u32_e32 vcc, 0, v0
	s_and_saveexec_b64 s[0:1], vcc
	s_cbranch_execz .LBB496_81
; %bb.80:
	v_mov_b32_e32 v22, 0
	v_mov_b32_e32 v19, 2
	s_waitcnt lgkmcnt(0)
	global_store_dwordx2 v22, v[18:19], s[28:29] offset:512 sc1
.LBB496_81:
	s_or_b64 exec, exec, s[0:1]
	v_cmp_eq_u32_e64 s[0:1], 0, v38
	v_mov_b32_e32 v19, 0
	s_waitcnt lgkmcnt(0)
	v_cndmask_b32_e64 v1, v21, v1, s[0:1]
	v_cndmask_b32_e64 v34, v1, 0, vcc
	v_add_u32_e32 v32, v34, v29
	v_add_u32_e32 v30, v32, v31
	;; [unrolled: 1-line block ×6, first 2 shown]
	s_barrier
.LBB496_82:
	s_movk_i32 s0, 0x201
	s_waitcnt lgkmcnt(0)
	v_cmp_gt_u32_e32 vcc, s0, v18
	v_lshrrev_b32_e32 v21, 8, v16
	v_lshrrev_b32_e32 v1, 8, v17
	s_mov_b64 s[0:1], -1
	s_cbranch_vccnz .LBB496_86
; %bb.83:
	s_and_b64 vcc, exec, s[0:1]
	s_cbranch_vccnz .LBB496_108
.LBB496_84:
	v_cmp_eq_u32_e32 vcc, 0, v0
	s_and_b64 s[0:1], vcc, s[24:25]
	s_and_saveexec_b64 s[2:3], s[0:1]
	s_cbranch_execnz .LBB496_126
.LBB496_85:
	s_endpgm
.LBB496_86:
	v_add_u32_e32 v23, v19, v18
	v_cmp_lt_u32_e32 vcc, v34, v23
	s_or_b64 s[4:5], s[26:27], vcc
	s_and_saveexec_b64 s[0:1], s[4:5]
	s_cbranch_execz .LBB496_89
; %bb.87:
	v_and_b32_e32 v25, 1, v16
	v_cmp_eq_u32_e32 vcc, 1, v25
	s_and_b64 exec, exec, vcc
	s_cbranch_execz .LBB496_89
; %bb.88:
	s_lshl_b64 s[4:5], s[22:23], 3
	s_add_u32 s4, s2, s4
	s_addc_u32 s5, s3, s5
	v_mov_b32_e32 v35, 0
	v_lshl_add_u64 v[36:37], v[34:35], 3, s[4:5]
	global_store_dwordx2 v[36:37], v[10:11], off
.LBB496_89:
	s_or_b64 exec, exec, s[0:1]
	v_cmp_lt_u32_e32 vcc, v32, v23
	s_or_b64 s[4:5], s[26:27], vcc
	s_and_saveexec_b64 s[0:1], s[4:5]
	s_cbranch_execz .LBB496_92
; %bb.90:
	v_and_b32_e32 v25, 1, v21
	v_cmp_eq_u32_e32 vcc, 1, v25
	s_and_b64 exec, exec, vcc
	s_cbranch_execz .LBB496_92
; %bb.91:
	s_lshl_b64 s[4:5], s[22:23], 3
	s_add_u32 s4, s2, s4
	s_addc_u32 s5, s3, s5
	v_mov_b32_e32 v33, 0
	v_lshl_add_u64 v[36:37], v[32:33], 3, s[4:5]
	global_store_dwordx2 v[36:37], v[12:13], off
.LBB496_92:
	s_or_b64 exec, exec, s[0:1]
	v_cmp_lt_u32_e32 vcc, v30, v23
	s_or_b64 s[4:5], s[26:27], vcc
	s_and_saveexec_b64 s[0:1], s[4:5]
	s_cbranch_execz .LBB496_95
; %bb.93:
	v_mov_b32_e32 v25, 1
	v_and_b32_sdwa v25, v25, v16 dst_sel:DWORD dst_unused:UNUSED_PAD src0_sel:DWORD src1_sel:WORD_1
	v_cmp_eq_u32_e32 vcc, 1, v25
	s_and_b64 exec, exec, vcc
	s_cbranch_execz .LBB496_95
; %bb.94:
	s_lshl_b64 s[4:5], s[22:23], 3
	s_add_u32 s4, s2, s4
	s_addc_u32 s5, s3, s5
	v_mov_b32_e32 v31, 0
	v_lshl_add_u64 v[36:37], v[30:31], 3, s[4:5]
	global_store_dwordx2 v[36:37], v[6:7], off
.LBB496_95:
	s_or_b64 exec, exec, s[0:1]
	v_cmp_lt_u32_e32 vcc, v28, v23
	s_or_b64 s[4:5], s[26:27], vcc
	s_and_saveexec_b64 s[0:1], s[4:5]
	s_cbranch_execz .LBB496_98
; %bb.96:
	v_and_b32_e32 v25, 1, v20
	v_cmp_eq_u32_e32 vcc, 1, v25
	s_and_b64 exec, exec, vcc
	s_cbranch_execz .LBB496_98
; %bb.97:
	s_lshl_b64 s[4:5], s[22:23], 3
	s_add_u32 s4, s2, s4
	s_addc_u32 s5, s3, s5
	v_mov_b32_e32 v29, 0
	v_lshl_add_u64 v[36:37], v[28:29], 3, s[4:5]
	global_store_dwordx2 v[36:37], v[8:9], off
.LBB496_98:
	s_or_b64 exec, exec, s[0:1]
	v_cmp_lt_u32_e32 vcc, v26, v23
	s_or_b64 s[4:5], s[26:27], vcc
	s_and_saveexec_b64 s[0:1], s[4:5]
	s_cbranch_execz .LBB496_101
; %bb.99:
	v_and_b32_e32 v25, 1, v17
	v_cmp_eq_u32_e32 vcc, 1, v25
	s_and_b64 exec, exec, vcc
	s_cbranch_execz .LBB496_101
; %bb.100:
	s_lshl_b64 s[4:5], s[22:23], 3
	s_add_u32 s4, s2, s4
	s_addc_u32 s5, s3, s5
	v_mov_b32_e32 v27, 0
	v_lshl_add_u64 v[36:37], v[26:27], 3, s[4:5]
	global_store_dwordx2 v[36:37], v[2:3], off
.LBB496_101:
	s_or_b64 exec, exec, s[0:1]
	v_cmp_lt_u32_e32 vcc, v24, v23
	s_or_b64 s[4:5], s[26:27], vcc
	s_and_saveexec_b64 s[0:1], s[4:5]
	s_cbranch_execz .LBB496_104
; %bb.102:
	v_and_b32_e32 v25, 1, v1
	v_cmp_eq_u32_e32 vcc, 1, v25
	s_and_b64 exec, exec, vcc
	s_cbranch_execz .LBB496_104
; %bb.103:
	s_lshl_b64 s[4:5], s[22:23], 3
	s_add_u32 s4, s2, s4
	s_addc_u32 s5, s3, s5
	v_mov_b32_e32 v25, 0
	v_lshl_add_u64 v[36:37], v[24:25], 3, s[4:5]
	global_store_dwordx2 v[36:37], v[4:5], off
.LBB496_104:
	s_or_b64 exec, exec, s[0:1]
	v_cmp_lt_u32_e32 vcc, v22, v23
	s_or_b64 s[4:5], s[26:27], vcc
	s_and_saveexec_b64 s[0:1], s[4:5]
	s_cbranch_execz .LBB496_107
; %bb.105:
	v_mov_b32_e32 v23, 1
	v_and_b32_sdwa v23, v23, v17 dst_sel:DWORD dst_unused:UNUSED_PAD src0_sel:DWORD src1_sel:WORD_1
	v_cmp_eq_u32_e32 vcc, 1, v23
	s_and_b64 exec, exec, vcc
	s_cbranch_execz .LBB496_107
; %bb.106:
	s_lshl_b64 s[4:5], s[22:23], 3
	s_add_u32 s4, s2, s4
	s_addc_u32 s5, s3, s5
	v_mov_b32_e32 v23, 0
	v_lshl_add_u64 v[36:37], v[22:23], 3, s[4:5]
	global_store_dwordx2 v[36:37], v[14:15], off
.LBB496_107:
	s_or_b64 exec, exec, s[0:1]
	s_branch .LBB496_84
.LBB496_108:
	v_and_b32_e32 v23, 1, v16
	v_cmp_eq_u32_e32 vcc, 1, v23
	s_and_saveexec_b64 s[0:1], vcc
	s_cbranch_execz .LBB496_110
; %bb.109:
	v_sub_u32_e32 v23, v34, v19
	v_lshlrev_b32_e32 v23, 3, v23
	ds_write_b64 v23, v[10:11]
.LBB496_110:
	s_or_b64 exec, exec, s[0:1]
	v_and_b32_e32 v10, 1, v21
	v_cmp_eq_u32_e32 vcc, 1, v10
	s_and_saveexec_b64 s[0:1], vcc
	s_cbranch_execz .LBB496_112
; %bb.111:
	v_sub_u32_e32 v10, v32, v19
	v_lshlrev_b32_e32 v10, 3, v10
	ds_write_b64 v10, v[12:13]
.LBB496_112:
	s_or_b64 exec, exec, s[0:1]
	v_mov_b32_e32 v10, 1
	v_and_b32_sdwa v10, v10, v16 dst_sel:DWORD dst_unused:UNUSED_PAD src0_sel:DWORD src1_sel:WORD_1
	v_cmp_eq_u32_e32 vcc, 1, v10
	s_and_saveexec_b64 s[0:1], vcc
	s_cbranch_execz .LBB496_114
; %bb.113:
	v_sub_u32_e32 v10, v30, v19
	v_lshlrev_b32_e32 v10, 3, v10
	ds_write_b64 v10, v[6:7]
.LBB496_114:
	s_or_b64 exec, exec, s[0:1]
	v_and_b32_e32 v6, 1, v20
	v_cmp_eq_u32_e32 vcc, 1, v6
	s_and_saveexec_b64 s[0:1], vcc
	s_cbranch_execz .LBB496_116
; %bb.115:
	v_sub_u32_e32 v6, v28, v19
	v_lshlrev_b32_e32 v6, 3, v6
	ds_write_b64 v6, v[8:9]
.LBB496_116:
	s_or_b64 exec, exec, s[0:1]
	v_and_b32_e32 v6, 1, v17
	;; [unrolled: 10-line block ×3, first 2 shown]
	v_cmp_eq_u32_e32 vcc, 1, v1
	s_and_saveexec_b64 s[0:1], vcc
	s_cbranch_execz .LBB496_120
; %bb.119:
	v_sub_u32_e32 v1, v24, v19
	v_lshlrev_b32_e32 v1, 3, v1
	ds_write_b64 v1, v[4:5]
.LBB496_120:
	s_or_b64 exec, exec, s[0:1]
	v_mov_b32_e32 v1, 1
	v_and_b32_sdwa v1, v1, v17 dst_sel:DWORD dst_unused:UNUSED_PAD src0_sel:DWORD src1_sel:WORD_1
	v_cmp_eq_u32_e32 vcc, 1, v1
	s_and_saveexec_b64 s[0:1], vcc
	s_cbranch_execz .LBB496_122
; %bb.121:
	v_sub_u32_e32 v1, v22, v19
	v_lshlrev_b32_e32 v1, 3, v1
	ds_write_b64 v1, v[14:15]
.LBB496_122:
	s_or_b64 exec, exec, s[0:1]
	v_cmp_lt_u32_e32 vcc, v0, v18
	s_waitcnt lgkmcnt(0)
	s_barrier
	s_and_saveexec_b64 s[0:1], vcc
	s_cbranch_execz .LBB496_125
; %bb.123:
	v_mov_b32_e32 v5, 0
	v_mov_b32_e32 v4, v19
	s_lshl_b64 s[4:5], s[22:23], 3
	v_lshlrev_b64 v[6:7], 3, v[4:5]
	v_lshl_add_u64 v[6:7], s[4:5], 0, v[6:7]
	v_lshlrev_b32_e32 v2, 3, v0
	v_mov_b32_e32 v3, v5
	v_lshl_add_u64 v[4:5], s[2:3], 0, v[6:7]
	v_lshl_add_u64 v[4:5], v[4:5], 0, v[2:3]
	s_mov_b64 s[2:3], 0
	s_mov_b64 s[4:5], 0x1000
	v_mov_b32_e32 v1, v0
.LBB496_124:                            ; =>This Inner Loop Header: Depth=1
	ds_read_b64 v[6:7], v2
	v_add_u32_e32 v1, 0x200, v1
	v_cmp_ge_u32_e32 vcc, v1, v18
	v_add_u32_e32 v2, 0x1000, v2
	s_or_b64 s[2:3], vcc, s[2:3]
	s_waitcnt lgkmcnt(0)
	global_store_dwordx2 v[4:5], v[6:7], off
	v_lshl_add_u64 v[4:5], v[4:5], 0, s[4:5]
	s_andn2_b64 exec, exec, s[2:3]
	s_cbranch_execnz .LBB496_124
.LBB496_125:
	s_or_b64 exec, exec, s[0:1]
	v_cmp_eq_u32_e32 vcc, 0, v0
	s_and_b64 s[0:1], vcc, s[24:25]
	s_and_saveexec_b64 s[2:3], s[0:1]
	s_cbranch_execz .LBB496_85
.LBB496_126:
	v_mov_b32_e32 v1, 0
	v_mov_b32_e32 v0, v18
	v_lshl_add_u64 v[2:3], s[22:23], 0, v[0:1]
	v_mov_b32_e32 v0, v19
	v_lshl_add_u64 v[2:3], v[2:3], 0, v[0:1]
	global_store_dwordx2 v1, v[2:3], s[20:21]
	s_endpgm
.LBB496_127:
	s_or_b64 exec, exec, s[6:7]
	s_and_saveexec_b64 s[6:7], s[18:19]
	s_cbranch_execnz .LBB496_38
	s_branch .LBB496_39
	.section	.rodata,"a",@progbits
	.p2align	6, 0x0
	.amdhsa_kernel _ZN7rocprim17ROCPRIM_400000_NS6detail17trampoline_kernelINS0_14default_configENS1_25partition_config_selectorILNS1_17partition_subalgoE8ElNS0_10empty_typeEbEEZZNS1_14partition_implILS5_8ELb0ES3_jPKlPS6_PKS6_NS0_5tupleIJPlS6_EEENSE_IJSB_SB_EEENS0_18inequality_wrapperIN6hipcub16HIPCUB_304000_NS8EqualityEEESF_JS6_EEE10hipError_tPvRmT3_T4_T5_T6_T7_T9_mT8_P12ihipStream_tbDpT10_ENKUlT_T0_E_clISt17integral_constantIbLb1EES15_IbLb0EEEEDaS11_S12_EUlS11_E_NS1_11comp_targetILNS1_3genE5ELNS1_11target_archE942ELNS1_3gpuE9ELNS1_3repE0EEENS1_30default_config_static_selectorELNS0_4arch9wavefront6targetE1EEEvT1_
		.amdhsa_group_segment_fixed_size 28680
		.amdhsa_private_segment_fixed_size 0
		.amdhsa_kernarg_size 112
		.amdhsa_user_sgpr_count 2
		.amdhsa_user_sgpr_dispatch_ptr 0
		.amdhsa_user_sgpr_queue_ptr 0
		.amdhsa_user_sgpr_kernarg_segment_ptr 1
		.amdhsa_user_sgpr_dispatch_id 0
		.amdhsa_user_sgpr_kernarg_preload_length 0
		.amdhsa_user_sgpr_kernarg_preload_offset 0
		.amdhsa_user_sgpr_private_segment_size 0
		.amdhsa_uses_dynamic_stack 0
		.amdhsa_enable_private_segment 0
		.amdhsa_system_sgpr_workgroup_id_x 1
		.amdhsa_system_sgpr_workgroup_id_y 0
		.amdhsa_system_sgpr_workgroup_id_z 0
		.amdhsa_system_sgpr_workgroup_info 0
		.amdhsa_system_vgpr_workitem_id 0
		.amdhsa_next_free_vgpr 53
		.amdhsa_next_free_sgpr 40
		.amdhsa_accum_offset 56
		.amdhsa_reserve_vcc 1
		.amdhsa_float_round_mode_32 0
		.amdhsa_float_round_mode_16_64 0
		.amdhsa_float_denorm_mode_32 3
		.amdhsa_float_denorm_mode_16_64 3
		.amdhsa_dx10_clamp 1
		.amdhsa_ieee_mode 1
		.amdhsa_fp16_overflow 0
		.amdhsa_tg_split 0
		.amdhsa_exception_fp_ieee_invalid_op 0
		.amdhsa_exception_fp_denorm_src 0
		.amdhsa_exception_fp_ieee_div_zero 0
		.amdhsa_exception_fp_ieee_overflow 0
		.amdhsa_exception_fp_ieee_underflow 0
		.amdhsa_exception_fp_ieee_inexact 0
		.amdhsa_exception_int_div_zero 0
	.end_amdhsa_kernel
	.section	.text._ZN7rocprim17ROCPRIM_400000_NS6detail17trampoline_kernelINS0_14default_configENS1_25partition_config_selectorILNS1_17partition_subalgoE8ElNS0_10empty_typeEbEEZZNS1_14partition_implILS5_8ELb0ES3_jPKlPS6_PKS6_NS0_5tupleIJPlS6_EEENSE_IJSB_SB_EEENS0_18inequality_wrapperIN6hipcub16HIPCUB_304000_NS8EqualityEEESF_JS6_EEE10hipError_tPvRmT3_T4_T5_T6_T7_T9_mT8_P12ihipStream_tbDpT10_ENKUlT_T0_E_clISt17integral_constantIbLb1EES15_IbLb0EEEEDaS11_S12_EUlS11_E_NS1_11comp_targetILNS1_3genE5ELNS1_11target_archE942ELNS1_3gpuE9ELNS1_3repE0EEENS1_30default_config_static_selectorELNS0_4arch9wavefront6targetE1EEEvT1_,"axG",@progbits,_ZN7rocprim17ROCPRIM_400000_NS6detail17trampoline_kernelINS0_14default_configENS1_25partition_config_selectorILNS1_17partition_subalgoE8ElNS0_10empty_typeEbEEZZNS1_14partition_implILS5_8ELb0ES3_jPKlPS6_PKS6_NS0_5tupleIJPlS6_EEENSE_IJSB_SB_EEENS0_18inequality_wrapperIN6hipcub16HIPCUB_304000_NS8EqualityEEESF_JS6_EEE10hipError_tPvRmT3_T4_T5_T6_T7_T9_mT8_P12ihipStream_tbDpT10_ENKUlT_T0_E_clISt17integral_constantIbLb1EES15_IbLb0EEEEDaS11_S12_EUlS11_E_NS1_11comp_targetILNS1_3genE5ELNS1_11target_archE942ELNS1_3gpuE9ELNS1_3repE0EEENS1_30default_config_static_selectorELNS0_4arch9wavefront6targetE1EEEvT1_,comdat
.Lfunc_end496:
	.size	_ZN7rocprim17ROCPRIM_400000_NS6detail17trampoline_kernelINS0_14default_configENS1_25partition_config_selectorILNS1_17partition_subalgoE8ElNS0_10empty_typeEbEEZZNS1_14partition_implILS5_8ELb0ES3_jPKlPS6_PKS6_NS0_5tupleIJPlS6_EEENSE_IJSB_SB_EEENS0_18inequality_wrapperIN6hipcub16HIPCUB_304000_NS8EqualityEEESF_JS6_EEE10hipError_tPvRmT3_T4_T5_T6_T7_T9_mT8_P12ihipStream_tbDpT10_ENKUlT_T0_E_clISt17integral_constantIbLb1EES15_IbLb0EEEEDaS11_S12_EUlS11_E_NS1_11comp_targetILNS1_3genE5ELNS1_11target_archE942ELNS1_3gpuE9ELNS1_3repE0EEENS1_30default_config_static_selectorELNS0_4arch9wavefront6targetE1EEEvT1_, .Lfunc_end496-_ZN7rocprim17ROCPRIM_400000_NS6detail17trampoline_kernelINS0_14default_configENS1_25partition_config_selectorILNS1_17partition_subalgoE8ElNS0_10empty_typeEbEEZZNS1_14partition_implILS5_8ELb0ES3_jPKlPS6_PKS6_NS0_5tupleIJPlS6_EEENSE_IJSB_SB_EEENS0_18inequality_wrapperIN6hipcub16HIPCUB_304000_NS8EqualityEEESF_JS6_EEE10hipError_tPvRmT3_T4_T5_T6_T7_T9_mT8_P12ihipStream_tbDpT10_ENKUlT_T0_E_clISt17integral_constantIbLb1EES15_IbLb0EEEEDaS11_S12_EUlS11_E_NS1_11comp_targetILNS1_3genE5ELNS1_11target_archE942ELNS1_3gpuE9ELNS1_3repE0EEENS1_30default_config_static_selectorELNS0_4arch9wavefront6targetE1EEEvT1_
                                        ; -- End function
	.section	.AMDGPU.csdata,"",@progbits
; Kernel info:
; codeLenInByte = 5488
; NumSgprs: 46
; NumVgprs: 53
; NumAgprs: 0
; TotalNumVgprs: 53
; ScratchSize: 0
; MemoryBound: 0
; FloatMode: 240
; IeeeMode: 1
; LDSByteSize: 28680 bytes/workgroup (compile time only)
; SGPRBlocks: 5
; VGPRBlocks: 6
; NumSGPRsForWavesPerEU: 46
; NumVGPRsForWavesPerEU: 53
; AccumOffset: 56
; Occupancy: 4
; WaveLimiterHint : 1
; COMPUTE_PGM_RSRC2:SCRATCH_EN: 0
; COMPUTE_PGM_RSRC2:USER_SGPR: 2
; COMPUTE_PGM_RSRC2:TRAP_HANDLER: 0
; COMPUTE_PGM_RSRC2:TGID_X_EN: 1
; COMPUTE_PGM_RSRC2:TGID_Y_EN: 0
; COMPUTE_PGM_RSRC2:TGID_Z_EN: 0
; COMPUTE_PGM_RSRC2:TIDIG_COMP_CNT: 0
; COMPUTE_PGM_RSRC3_GFX90A:ACCUM_OFFSET: 13
; COMPUTE_PGM_RSRC3_GFX90A:TG_SPLIT: 0
	.section	.text._ZN7rocprim17ROCPRIM_400000_NS6detail17trampoline_kernelINS0_14default_configENS1_25partition_config_selectorILNS1_17partition_subalgoE8ElNS0_10empty_typeEbEEZZNS1_14partition_implILS5_8ELb0ES3_jPKlPS6_PKS6_NS0_5tupleIJPlS6_EEENSE_IJSB_SB_EEENS0_18inequality_wrapperIN6hipcub16HIPCUB_304000_NS8EqualityEEESF_JS6_EEE10hipError_tPvRmT3_T4_T5_T6_T7_T9_mT8_P12ihipStream_tbDpT10_ENKUlT_T0_E_clISt17integral_constantIbLb1EES15_IbLb0EEEEDaS11_S12_EUlS11_E_NS1_11comp_targetILNS1_3genE4ELNS1_11target_archE910ELNS1_3gpuE8ELNS1_3repE0EEENS1_30default_config_static_selectorELNS0_4arch9wavefront6targetE1EEEvT1_,"axG",@progbits,_ZN7rocprim17ROCPRIM_400000_NS6detail17trampoline_kernelINS0_14default_configENS1_25partition_config_selectorILNS1_17partition_subalgoE8ElNS0_10empty_typeEbEEZZNS1_14partition_implILS5_8ELb0ES3_jPKlPS6_PKS6_NS0_5tupleIJPlS6_EEENSE_IJSB_SB_EEENS0_18inequality_wrapperIN6hipcub16HIPCUB_304000_NS8EqualityEEESF_JS6_EEE10hipError_tPvRmT3_T4_T5_T6_T7_T9_mT8_P12ihipStream_tbDpT10_ENKUlT_T0_E_clISt17integral_constantIbLb1EES15_IbLb0EEEEDaS11_S12_EUlS11_E_NS1_11comp_targetILNS1_3genE4ELNS1_11target_archE910ELNS1_3gpuE8ELNS1_3repE0EEENS1_30default_config_static_selectorELNS0_4arch9wavefront6targetE1EEEvT1_,comdat
	.protected	_ZN7rocprim17ROCPRIM_400000_NS6detail17trampoline_kernelINS0_14default_configENS1_25partition_config_selectorILNS1_17partition_subalgoE8ElNS0_10empty_typeEbEEZZNS1_14partition_implILS5_8ELb0ES3_jPKlPS6_PKS6_NS0_5tupleIJPlS6_EEENSE_IJSB_SB_EEENS0_18inequality_wrapperIN6hipcub16HIPCUB_304000_NS8EqualityEEESF_JS6_EEE10hipError_tPvRmT3_T4_T5_T6_T7_T9_mT8_P12ihipStream_tbDpT10_ENKUlT_T0_E_clISt17integral_constantIbLb1EES15_IbLb0EEEEDaS11_S12_EUlS11_E_NS1_11comp_targetILNS1_3genE4ELNS1_11target_archE910ELNS1_3gpuE8ELNS1_3repE0EEENS1_30default_config_static_selectorELNS0_4arch9wavefront6targetE1EEEvT1_ ; -- Begin function _ZN7rocprim17ROCPRIM_400000_NS6detail17trampoline_kernelINS0_14default_configENS1_25partition_config_selectorILNS1_17partition_subalgoE8ElNS0_10empty_typeEbEEZZNS1_14partition_implILS5_8ELb0ES3_jPKlPS6_PKS6_NS0_5tupleIJPlS6_EEENSE_IJSB_SB_EEENS0_18inequality_wrapperIN6hipcub16HIPCUB_304000_NS8EqualityEEESF_JS6_EEE10hipError_tPvRmT3_T4_T5_T6_T7_T9_mT8_P12ihipStream_tbDpT10_ENKUlT_T0_E_clISt17integral_constantIbLb1EES15_IbLb0EEEEDaS11_S12_EUlS11_E_NS1_11comp_targetILNS1_3genE4ELNS1_11target_archE910ELNS1_3gpuE8ELNS1_3repE0EEENS1_30default_config_static_selectorELNS0_4arch9wavefront6targetE1EEEvT1_
	.globl	_ZN7rocprim17ROCPRIM_400000_NS6detail17trampoline_kernelINS0_14default_configENS1_25partition_config_selectorILNS1_17partition_subalgoE8ElNS0_10empty_typeEbEEZZNS1_14partition_implILS5_8ELb0ES3_jPKlPS6_PKS6_NS0_5tupleIJPlS6_EEENSE_IJSB_SB_EEENS0_18inequality_wrapperIN6hipcub16HIPCUB_304000_NS8EqualityEEESF_JS6_EEE10hipError_tPvRmT3_T4_T5_T6_T7_T9_mT8_P12ihipStream_tbDpT10_ENKUlT_T0_E_clISt17integral_constantIbLb1EES15_IbLb0EEEEDaS11_S12_EUlS11_E_NS1_11comp_targetILNS1_3genE4ELNS1_11target_archE910ELNS1_3gpuE8ELNS1_3repE0EEENS1_30default_config_static_selectorELNS0_4arch9wavefront6targetE1EEEvT1_
	.p2align	8
	.type	_ZN7rocprim17ROCPRIM_400000_NS6detail17trampoline_kernelINS0_14default_configENS1_25partition_config_selectorILNS1_17partition_subalgoE8ElNS0_10empty_typeEbEEZZNS1_14partition_implILS5_8ELb0ES3_jPKlPS6_PKS6_NS0_5tupleIJPlS6_EEENSE_IJSB_SB_EEENS0_18inequality_wrapperIN6hipcub16HIPCUB_304000_NS8EqualityEEESF_JS6_EEE10hipError_tPvRmT3_T4_T5_T6_T7_T9_mT8_P12ihipStream_tbDpT10_ENKUlT_T0_E_clISt17integral_constantIbLb1EES15_IbLb0EEEEDaS11_S12_EUlS11_E_NS1_11comp_targetILNS1_3genE4ELNS1_11target_archE910ELNS1_3gpuE8ELNS1_3repE0EEENS1_30default_config_static_selectorELNS0_4arch9wavefront6targetE1EEEvT1_,@function
_ZN7rocprim17ROCPRIM_400000_NS6detail17trampoline_kernelINS0_14default_configENS1_25partition_config_selectorILNS1_17partition_subalgoE8ElNS0_10empty_typeEbEEZZNS1_14partition_implILS5_8ELb0ES3_jPKlPS6_PKS6_NS0_5tupleIJPlS6_EEENSE_IJSB_SB_EEENS0_18inequality_wrapperIN6hipcub16HIPCUB_304000_NS8EqualityEEESF_JS6_EEE10hipError_tPvRmT3_T4_T5_T6_T7_T9_mT8_P12ihipStream_tbDpT10_ENKUlT_T0_E_clISt17integral_constantIbLb1EES15_IbLb0EEEEDaS11_S12_EUlS11_E_NS1_11comp_targetILNS1_3genE4ELNS1_11target_archE910ELNS1_3gpuE8ELNS1_3repE0EEENS1_30default_config_static_selectorELNS0_4arch9wavefront6targetE1EEEvT1_: ; @_ZN7rocprim17ROCPRIM_400000_NS6detail17trampoline_kernelINS0_14default_configENS1_25partition_config_selectorILNS1_17partition_subalgoE8ElNS0_10empty_typeEbEEZZNS1_14partition_implILS5_8ELb0ES3_jPKlPS6_PKS6_NS0_5tupleIJPlS6_EEENSE_IJSB_SB_EEENS0_18inequality_wrapperIN6hipcub16HIPCUB_304000_NS8EqualityEEESF_JS6_EEE10hipError_tPvRmT3_T4_T5_T6_T7_T9_mT8_P12ihipStream_tbDpT10_ENKUlT_T0_E_clISt17integral_constantIbLb1EES15_IbLb0EEEEDaS11_S12_EUlS11_E_NS1_11comp_targetILNS1_3genE4ELNS1_11target_archE910ELNS1_3gpuE8ELNS1_3repE0EEENS1_30default_config_static_selectorELNS0_4arch9wavefront6targetE1EEEvT1_
; %bb.0:
	.section	.rodata,"a",@progbits
	.p2align	6, 0x0
	.amdhsa_kernel _ZN7rocprim17ROCPRIM_400000_NS6detail17trampoline_kernelINS0_14default_configENS1_25partition_config_selectorILNS1_17partition_subalgoE8ElNS0_10empty_typeEbEEZZNS1_14partition_implILS5_8ELb0ES3_jPKlPS6_PKS6_NS0_5tupleIJPlS6_EEENSE_IJSB_SB_EEENS0_18inequality_wrapperIN6hipcub16HIPCUB_304000_NS8EqualityEEESF_JS6_EEE10hipError_tPvRmT3_T4_T5_T6_T7_T9_mT8_P12ihipStream_tbDpT10_ENKUlT_T0_E_clISt17integral_constantIbLb1EES15_IbLb0EEEEDaS11_S12_EUlS11_E_NS1_11comp_targetILNS1_3genE4ELNS1_11target_archE910ELNS1_3gpuE8ELNS1_3repE0EEENS1_30default_config_static_selectorELNS0_4arch9wavefront6targetE1EEEvT1_
		.amdhsa_group_segment_fixed_size 0
		.amdhsa_private_segment_fixed_size 0
		.amdhsa_kernarg_size 112
		.amdhsa_user_sgpr_count 2
		.amdhsa_user_sgpr_dispatch_ptr 0
		.amdhsa_user_sgpr_queue_ptr 0
		.amdhsa_user_sgpr_kernarg_segment_ptr 1
		.amdhsa_user_sgpr_dispatch_id 0
		.amdhsa_user_sgpr_kernarg_preload_length 0
		.amdhsa_user_sgpr_kernarg_preload_offset 0
		.amdhsa_user_sgpr_private_segment_size 0
		.amdhsa_uses_dynamic_stack 0
		.amdhsa_enable_private_segment 0
		.amdhsa_system_sgpr_workgroup_id_x 1
		.amdhsa_system_sgpr_workgroup_id_y 0
		.amdhsa_system_sgpr_workgroup_id_z 0
		.amdhsa_system_sgpr_workgroup_info 0
		.amdhsa_system_vgpr_workitem_id 0
		.amdhsa_next_free_vgpr 1
		.amdhsa_next_free_sgpr 0
		.amdhsa_accum_offset 4
		.amdhsa_reserve_vcc 0
		.amdhsa_float_round_mode_32 0
		.amdhsa_float_round_mode_16_64 0
		.amdhsa_float_denorm_mode_32 3
		.amdhsa_float_denorm_mode_16_64 3
		.amdhsa_dx10_clamp 1
		.amdhsa_ieee_mode 1
		.amdhsa_fp16_overflow 0
		.amdhsa_tg_split 0
		.amdhsa_exception_fp_ieee_invalid_op 0
		.amdhsa_exception_fp_denorm_src 0
		.amdhsa_exception_fp_ieee_div_zero 0
		.amdhsa_exception_fp_ieee_overflow 0
		.amdhsa_exception_fp_ieee_underflow 0
		.amdhsa_exception_fp_ieee_inexact 0
		.amdhsa_exception_int_div_zero 0
	.end_amdhsa_kernel
	.section	.text._ZN7rocprim17ROCPRIM_400000_NS6detail17trampoline_kernelINS0_14default_configENS1_25partition_config_selectorILNS1_17partition_subalgoE8ElNS0_10empty_typeEbEEZZNS1_14partition_implILS5_8ELb0ES3_jPKlPS6_PKS6_NS0_5tupleIJPlS6_EEENSE_IJSB_SB_EEENS0_18inequality_wrapperIN6hipcub16HIPCUB_304000_NS8EqualityEEESF_JS6_EEE10hipError_tPvRmT3_T4_T5_T6_T7_T9_mT8_P12ihipStream_tbDpT10_ENKUlT_T0_E_clISt17integral_constantIbLb1EES15_IbLb0EEEEDaS11_S12_EUlS11_E_NS1_11comp_targetILNS1_3genE4ELNS1_11target_archE910ELNS1_3gpuE8ELNS1_3repE0EEENS1_30default_config_static_selectorELNS0_4arch9wavefront6targetE1EEEvT1_,"axG",@progbits,_ZN7rocprim17ROCPRIM_400000_NS6detail17trampoline_kernelINS0_14default_configENS1_25partition_config_selectorILNS1_17partition_subalgoE8ElNS0_10empty_typeEbEEZZNS1_14partition_implILS5_8ELb0ES3_jPKlPS6_PKS6_NS0_5tupleIJPlS6_EEENSE_IJSB_SB_EEENS0_18inequality_wrapperIN6hipcub16HIPCUB_304000_NS8EqualityEEESF_JS6_EEE10hipError_tPvRmT3_T4_T5_T6_T7_T9_mT8_P12ihipStream_tbDpT10_ENKUlT_T0_E_clISt17integral_constantIbLb1EES15_IbLb0EEEEDaS11_S12_EUlS11_E_NS1_11comp_targetILNS1_3genE4ELNS1_11target_archE910ELNS1_3gpuE8ELNS1_3repE0EEENS1_30default_config_static_selectorELNS0_4arch9wavefront6targetE1EEEvT1_,comdat
.Lfunc_end497:
	.size	_ZN7rocprim17ROCPRIM_400000_NS6detail17trampoline_kernelINS0_14default_configENS1_25partition_config_selectorILNS1_17partition_subalgoE8ElNS0_10empty_typeEbEEZZNS1_14partition_implILS5_8ELb0ES3_jPKlPS6_PKS6_NS0_5tupleIJPlS6_EEENSE_IJSB_SB_EEENS0_18inequality_wrapperIN6hipcub16HIPCUB_304000_NS8EqualityEEESF_JS6_EEE10hipError_tPvRmT3_T4_T5_T6_T7_T9_mT8_P12ihipStream_tbDpT10_ENKUlT_T0_E_clISt17integral_constantIbLb1EES15_IbLb0EEEEDaS11_S12_EUlS11_E_NS1_11comp_targetILNS1_3genE4ELNS1_11target_archE910ELNS1_3gpuE8ELNS1_3repE0EEENS1_30default_config_static_selectorELNS0_4arch9wavefront6targetE1EEEvT1_, .Lfunc_end497-_ZN7rocprim17ROCPRIM_400000_NS6detail17trampoline_kernelINS0_14default_configENS1_25partition_config_selectorILNS1_17partition_subalgoE8ElNS0_10empty_typeEbEEZZNS1_14partition_implILS5_8ELb0ES3_jPKlPS6_PKS6_NS0_5tupleIJPlS6_EEENSE_IJSB_SB_EEENS0_18inequality_wrapperIN6hipcub16HIPCUB_304000_NS8EqualityEEESF_JS6_EEE10hipError_tPvRmT3_T4_T5_T6_T7_T9_mT8_P12ihipStream_tbDpT10_ENKUlT_T0_E_clISt17integral_constantIbLb1EES15_IbLb0EEEEDaS11_S12_EUlS11_E_NS1_11comp_targetILNS1_3genE4ELNS1_11target_archE910ELNS1_3gpuE8ELNS1_3repE0EEENS1_30default_config_static_selectorELNS0_4arch9wavefront6targetE1EEEvT1_
                                        ; -- End function
	.section	.AMDGPU.csdata,"",@progbits
; Kernel info:
; codeLenInByte = 0
; NumSgprs: 6
; NumVgprs: 0
; NumAgprs: 0
; TotalNumVgprs: 0
; ScratchSize: 0
; MemoryBound: 0
; FloatMode: 240
; IeeeMode: 1
; LDSByteSize: 0 bytes/workgroup (compile time only)
; SGPRBlocks: 0
; VGPRBlocks: 0
; NumSGPRsForWavesPerEU: 6
; NumVGPRsForWavesPerEU: 1
; AccumOffset: 4
; Occupancy: 8
; WaveLimiterHint : 0
; COMPUTE_PGM_RSRC2:SCRATCH_EN: 0
; COMPUTE_PGM_RSRC2:USER_SGPR: 2
; COMPUTE_PGM_RSRC2:TRAP_HANDLER: 0
; COMPUTE_PGM_RSRC2:TGID_X_EN: 1
; COMPUTE_PGM_RSRC2:TGID_Y_EN: 0
; COMPUTE_PGM_RSRC2:TGID_Z_EN: 0
; COMPUTE_PGM_RSRC2:TIDIG_COMP_CNT: 0
; COMPUTE_PGM_RSRC3_GFX90A:ACCUM_OFFSET: 0
; COMPUTE_PGM_RSRC3_GFX90A:TG_SPLIT: 0
	.section	.text._ZN7rocprim17ROCPRIM_400000_NS6detail17trampoline_kernelINS0_14default_configENS1_25partition_config_selectorILNS1_17partition_subalgoE8ElNS0_10empty_typeEbEEZZNS1_14partition_implILS5_8ELb0ES3_jPKlPS6_PKS6_NS0_5tupleIJPlS6_EEENSE_IJSB_SB_EEENS0_18inequality_wrapperIN6hipcub16HIPCUB_304000_NS8EqualityEEESF_JS6_EEE10hipError_tPvRmT3_T4_T5_T6_T7_T9_mT8_P12ihipStream_tbDpT10_ENKUlT_T0_E_clISt17integral_constantIbLb1EES15_IbLb0EEEEDaS11_S12_EUlS11_E_NS1_11comp_targetILNS1_3genE3ELNS1_11target_archE908ELNS1_3gpuE7ELNS1_3repE0EEENS1_30default_config_static_selectorELNS0_4arch9wavefront6targetE1EEEvT1_,"axG",@progbits,_ZN7rocprim17ROCPRIM_400000_NS6detail17trampoline_kernelINS0_14default_configENS1_25partition_config_selectorILNS1_17partition_subalgoE8ElNS0_10empty_typeEbEEZZNS1_14partition_implILS5_8ELb0ES3_jPKlPS6_PKS6_NS0_5tupleIJPlS6_EEENSE_IJSB_SB_EEENS0_18inequality_wrapperIN6hipcub16HIPCUB_304000_NS8EqualityEEESF_JS6_EEE10hipError_tPvRmT3_T4_T5_T6_T7_T9_mT8_P12ihipStream_tbDpT10_ENKUlT_T0_E_clISt17integral_constantIbLb1EES15_IbLb0EEEEDaS11_S12_EUlS11_E_NS1_11comp_targetILNS1_3genE3ELNS1_11target_archE908ELNS1_3gpuE7ELNS1_3repE0EEENS1_30default_config_static_selectorELNS0_4arch9wavefront6targetE1EEEvT1_,comdat
	.protected	_ZN7rocprim17ROCPRIM_400000_NS6detail17trampoline_kernelINS0_14default_configENS1_25partition_config_selectorILNS1_17partition_subalgoE8ElNS0_10empty_typeEbEEZZNS1_14partition_implILS5_8ELb0ES3_jPKlPS6_PKS6_NS0_5tupleIJPlS6_EEENSE_IJSB_SB_EEENS0_18inequality_wrapperIN6hipcub16HIPCUB_304000_NS8EqualityEEESF_JS6_EEE10hipError_tPvRmT3_T4_T5_T6_T7_T9_mT8_P12ihipStream_tbDpT10_ENKUlT_T0_E_clISt17integral_constantIbLb1EES15_IbLb0EEEEDaS11_S12_EUlS11_E_NS1_11comp_targetILNS1_3genE3ELNS1_11target_archE908ELNS1_3gpuE7ELNS1_3repE0EEENS1_30default_config_static_selectorELNS0_4arch9wavefront6targetE1EEEvT1_ ; -- Begin function _ZN7rocprim17ROCPRIM_400000_NS6detail17trampoline_kernelINS0_14default_configENS1_25partition_config_selectorILNS1_17partition_subalgoE8ElNS0_10empty_typeEbEEZZNS1_14partition_implILS5_8ELb0ES3_jPKlPS6_PKS6_NS0_5tupleIJPlS6_EEENSE_IJSB_SB_EEENS0_18inequality_wrapperIN6hipcub16HIPCUB_304000_NS8EqualityEEESF_JS6_EEE10hipError_tPvRmT3_T4_T5_T6_T7_T9_mT8_P12ihipStream_tbDpT10_ENKUlT_T0_E_clISt17integral_constantIbLb1EES15_IbLb0EEEEDaS11_S12_EUlS11_E_NS1_11comp_targetILNS1_3genE3ELNS1_11target_archE908ELNS1_3gpuE7ELNS1_3repE0EEENS1_30default_config_static_selectorELNS0_4arch9wavefront6targetE1EEEvT1_
	.globl	_ZN7rocprim17ROCPRIM_400000_NS6detail17trampoline_kernelINS0_14default_configENS1_25partition_config_selectorILNS1_17partition_subalgoE8ElNS0_10empty_typeEbEEZZNS1_14partition_implILS5_8ELb0ES3_jPKlPS6_PKS6_NS0_5tupleIJPlS6_EEENSE_IJSB_SB_EEENS0_18inequality_wrapperIN6hipcub16HIPCUB_304000_NS8EqualityEEESF_JS6_EEE10hipError_tPvRmT3_T4_T5_T6_T7_T9_mT8_P12ihipStream_tbDpT10_ENKUlT_T0_E_clISt17integral_constantIbLb1EES15_IbLb0EEEEDaS11_S12_EUlS11_E_NS1_11comp_targetILNS1_3genE3ELNS1_11target_archE908ELNS1_3gpuE7ELNS1_3repE0EEENS1_30default_config_static_selectorELNS0_4arch9wavefront6targetE1EEEvT1_
	.p2align	8
	.type	_ZN7rocprim17ROCPRIM_400000_NS6detail17trampoline_kernelINS0_14default_configENS1_25partition_config_selectorILNS1_17partition_subalgoE8ElNS0_10empty_typeEbEEZZNS1_14partition_implILS5_8ELb0ES3_jPKlPS6_PKS6_NS0_5tupleIJPlS6_EEENSE_IJSB_SB_EEENS0_18inequality_wrapperIN6hipcub16HIPCUB_304000_NS8EqualityEEESF_JS6_EEE10hipError_tPvRmT3_T4_T5_T6_T7_T9_mT8_P12ihipStream_tbDpT10_ENKUlT_T0_E_clISt17integral_constantIbLb1EES15_IbLb0EEEEDaS11_S12_EUlS11_E_NS1_11comp_targetILNS1_3genE3ELNS1_11target_archE908ELNS1_3gpuE7ELNS1_3repE0EEENS1_30default_config_static_selectorELNS0_4arch9wavefront6targetE1EEEvT1_,@function
_ZN7rocprim17ROCPRIM_400000_NS6detail17trampoline_kernelINS0_14default_configENS1_25partition_config_selectorILNS1_17partition_subalgoE8ElNS0_10empty_typeEbEEZZNS1_14partition_implILS5_8ELb0ES3_jPKlPS6_PKS6_NS0_5tupleIJPlS6_EEENSE_IJSB_SB_EEENS0_18inequality_wrapperIN6hipcub16HIPCUB_304000_NS8EqualityEEESF_JS6_EEE10hipError_tPvRmT3_T4_T5_T6_T7_T9_mT8_P12ihipStream_tbDpT10_ENKUlT_T0_E_clISt17integral_constantIbLb1EES15_IbLb0EEEEDaS11_S12_EUlS11_E_NS1_11comp_targetILNS1_3genE3ELNS1_11target_archE908ELNS1_3gpuE7ELNS1_3repE0EEENS1_30default_config_static_selectorELNS0_4arch9wavefront6targetE1EEEvT1_: ; @_ZN7rocprim17ROCPRIM_400000_NS6detail17trampoline_kernelINS0_14default_configENS1_25partition_config_selectorILNS1_17partition_subalgoE8ElNS0_10empty_typeEbEEZZNS1_14partition_implILS5_8ELb0ES3_jPKlPS6_PKS6_NS0_5tupleIJPlS6_EEENSE_IJSB_SB_EEENS0_18inequality_wrapperIN6hipcub16HIPCUB_304000_NS8EqualityEEESF_JS6_EEE10hipError_tPvRmT3_T4_T5_T6_T7_T9_mT8_P12ihipStream_tbDpT10_ENKUlT_T0_E_clISt17integral_constantIbLb1EES15_IbLb0EEEEDaS11_S12_EUlS11_E_NS1_11comp_targetILNS1_3genE3ELNS1_11target_archE908ELNS1_3gpuE7ELNS1_3repE0EEENS1_30default_config_static_selectorELNS0_4arch9wavefront6targetE1EEEvT1_
; %bb.0:
	.section	.rodata,"a",@progbits
	.p2align	6, 0x0
	.amdhsa_kernel _ZN7rocprim17ROCPRIM_400000_NS6detail17trampoline_kernelINS0_14default_configENS1_25partition_config_selectorILNS1_17partition_subalgoE8ElNS0_10empty_typeEbEEZZNS1_14partition_implILS5_8ELb0ES3_jPKlPS6_PKS6_NS0_5tupleIJPlS6_EEENSE_IJSB_SB_EEENS0_18inequality_wrapperIN6hipcub16HIPCUB_304000_NS8EqualityEEESF_JS6_EEE10hipError_tPvRmT3_T4_T5_T6_T7_T9_mT8_P12ihipStream_tbDpT10_ENKUlT_T0_E_clISt17integral_constantIbLb1EES15_IbLb0EEEEDaS11_S12_EUlS11_E_NS1_11comp_targetILNS1_3genE3ELNS1_11target_archE908ELNS1_3gpuE7ELNS1_3repE0EEENS1_30default_config_static_selectorELNS0_4arch9wavefront6targetE1EEEvT1_
		.amdhsa_group_segment_fixed_size 0
		.amdhsa_private_segment_fixed_size 0
		.amdhsa_kernarg_size 112
		.amdhsa_user_sgpr_count 2
		.amdhsa_user_sgpr_dispatch_ptr 0
		.amdhsa_user_sgpr_queue_ptr 0
		.amdhsa_user_sgpr_kernarg_segment_ptr 1
		.amdhsa_user_sgpr_dispatch_id 0
		.amdhsa_user_sgpr_kernarg_preload_length 0
		.amdhsa_user_sgpr_kernarg_preload_offset 0
		.amdhsa_user_sgpr_private_segment_size 0
		.amdhsa_uses_dynamic_stack 0
		.amdhsa_enable_private_segment 0
		.amdhsa_system_sgpr_workgroup_id_x 1
		.amdhsa_system_sgpr_workgroup_id_y 0
		.amdhsa_system_sgpr_workgroup_id_z 0
		.amdhsa_system_sgpr_workgroup_info 0
		.amdhsa_system_vgpr_workitem_id 0
		.amdhsa_next_free_vgpr 1
		.amdhsa_next_free_sgpr 0
		.amdhsa_accum_offset 4
		.amdhsa_reserve_vcc 0
		.amdhsa_float_round_mode_32 0
		.amdhsa_float_round_mode_16_64 0
		.amdhsa_float_denorm_mode_32 3
		.amdhsa_float_denorm_mode_16_64 3
		.amdhsa_dx10_clamp 1
		.amdhsa_ieee_mode 1
		.amdhsa_fp16_overflow 0
		.amdhsa_tg_split 0
		.amdhsa_exception_fp_ieee_invalid_op 0
		.amdhsa_exception_fp_denorm_src 0
		.amdhsa_exception_fp_ieee_div_zero 0
		.amdhsa_exception_fp_ieee_overflow 0
		.amdhsa_exception_fp_ieee_underflow 0
		.amdhsa_exception_fp_ieee_inexact 0
		.amdhsa_exception_int_div_zero 0
	.end_amdhsa_kernel
	.section	.text._ZN7rocprim17ROCPRIM_400000_NS6detail17trampoline_kernelINS0_14default_configENS1_25partition_config_selectorILNS1_17partition_subalgoE8ElNS0_10empty_typeEbEEZZNS1_14partition_implILS5_8ELb0ES3_jPKlPS6_PKS6_NS0_5tupleIJPlS6_EEENSE_IJSB_SB_EEENS0_18inequality_wrapperIN6hipcub16HIPCUB_304000_NS8EqualityEEESF_JS6_EEE10hipError_tPvRmT3_T4_T5_T6_T7_T9_mT8_P12ihipStream_tbDpT10_ENKUlT_T0_E_clISt17integral_constantIbLb1EES15_IbLb0EEEEDaS11_S12_EUlS11_E_NS1_11comp_targetILNS1_3genE3ELNS1_11target_archE908ELNS1_3gpuE7ELNS1_3repE0EEENS1_30default_config_static_selectorELNS0_4arch9wavefront6targetE1EEEvT1_,"axG",@progbits,_ZN7rocprim17ROCPRIM_400000_NS6detail17trampoline_kernelINS0_14default_configENS1_25partition_config_selectorILNS1_17partition_subalgoE8ElNS0_10empty_typeEbEEZZNS1_14partition_implILS5_8ELb0ES3_jPKlPS6_PKS6_NS0_5tupleIJPlS6_EEENSE_IJSB_SB_EEENS0_18inequality_wrapperIN6hipcub16HIPCUB_304000_NS8EqualityEEESF_JS6_EEE10hipError_tPvRmT3_T4_T5_T6_T7_T9_mT8_P12ihipStream_tbDpT10_ENKUlT_T0_E_clISt17integral_constantIbLb1EES15_IbLb0EEEEDaS11_S12_EUlS11_E_NS1_11comp_targetILNS1_3genE3ELNS1_11target_archE908ELNS1_3gpuE7ELNS1_3repE0EEENS1_30default_config_static_selectorELNS0_4arch9wavefront6targetE1EEEvT1_,comdat
.Lfunc_end498:
	.size	_ZN7rocprim17ROCPRIM_400000_NS6detail17trampoline_kernelINS0_14default_configENS1_25partition_config_selectorILNS1_17partition_subalgoE8ElNS0_10empty_typeEbEEZZNS1_14partition_implILS5_8ELb0ES3_jPKlPS6_PKS6_NS0_5tupleIJPlS6_EEENSE_IJSB_SB_EEENS0_18inequality_wrapperIN6hipcub16HIPCUB_304000_NS8EqualityEEESF_JS6_EEE10hipError_tPvRmT3_T4_T5_T6_T7_T9_mT8_P12ihipStream_tbDpT10_ENKUlT_T0_E_clISt17integral_constantIbLb1EES15_IbLb0EEEEDaS11_S12_EUlS11_E_NS1_11comp_targetILNS1_3genE3ELNS1_11target_archE908ELNS1_3gpuE7ELNS1_3repE0EEENS1_30default_config_static_selectorELNS0_4arch9wavefront6targetE1EEEvT1_, .Lfunc_end498-_ZN7rocprim17ROCPRIM_400000_NS6detail17trampoline_kernelINS0_14default_configENS1_25partition_config_selectorILNS1_17partition_subalgoE8ElNS0_10empty_typeEbEEZZNS1_14partition_implILS5_8ELb0ES3_jPKlPS6_PKS6_NS0_5tupleIJPlS6_EEENSE_IJSB_SB_EEENS0_18inequality_wrapperIN6hipcub16HIPCUB_304000_NS8EqualityEEESF_JS6_EEE10hipError_tPvRmT3_T4_T5_T6_T7_T9_mT8_P12ihipStream_tbDpT10_ENKUlT_T0_E_clISt17integral_constantIbLb1EES15_IbLb0EEEEDaS11_S12_EUlS11_E_NS1_11comp_targetILNS1_3genE3ELNS1_11target_archE908ELNS1_3gpuE7ELNS1_3repE0EEENS1_30default_config_static_selectorELNS0_4arch9wavefront6targetE1EEEvT1_
                                        ; -- End function
	.section	.AMDGPU.csdata,"",@progbits
; Kernel info:
; codeLenInByte = 0
; NumSgprs: 6
; NumVgprs: 0
; NumAgprs: 0
; TotalNumVgprs: 0
; ScratchSize: 0
; MemoryBound: 0
; FloatMode: 240
; IeeeMode: 1
; LDSByteSize: 0 bytes/workgroup (compile time only)
; SGPRBlocks: 0
; VGPRBlocks: 0
; NumSGPRsForWavesPerEU: 6
; NumVGPRsForWavesPerEU: 1
; AccumOffset: 4
; Occupancy: 8
; WaveLimiterHint : 0
; COMPUTE_PGM_RSRC2:SCRATCH_EN: 0
; COMPUTE_PGM_RSRC2:USER_SGPR: 2
; COMPUTE_PGM_RSRC2:TRAP_HANDLER: 0
; COMPUTE_PGM_RSRC2:TGID_X_EN: 1
; COMPUTE_PGM_RSRC2:TGID_Y_EN: 0
; COMPUTE_PGM_RSRC2:TGID_Z_EN: 0
; COMPUTE_PGM_RSRC2:TIDIG_COMP_CNT: 0
; COMPUTE_PGM_RSRC3_GFX90A:ACCUM_OFFSET: 0
; COMPUTE_PGM_RSRC3_GFX90A:TG_SPLIT: 0
	.section	.text._ZN7rocprim17ROCPRIM_400000_NS6detail17trampoline_kernelINS0_14default_configENS1_25partition_config_selectorILNS1_17partition_subalgoE8ElNS0_10empty_typeEbEEZZNS1_14partition_implILS5_8ELb0ES3_jPKlPS6_PKS6_NS0_5tupleIJPlS6_EEENSE_IJSB_SB_EEENS0_18inequality_wrapperIN6hipcub16HIPCUB_304000_NS8EqualityEEESF_JS6_EEE10hipError_tPvRmT3_T4_T5_T6_T7_T9_mT8_P12ihipStream_tbDpT10_ENKUlT_T0_E_clISt17integral_constantIbLb1EES15_IbLb0EEEEDaS11_S12_EUlS11_E_NS1_11comp_targetILNS1_3genE2ELNS1_11target_archE906ELNS1_3gpuE6ELNS1_3repE0EEENS1_30default_config_static_selectorELNS0_4arch9wavefront6targetE1EEEvT1_,"axG",@progbits,_ZN7rocprim17ROCPRIM_400000_NS6detail17trampoline_kernelINS0_14default_configENS1_25partition_config_selectorILNS1_17partition_subalgoE8ElNS0_10empty_typeEbEEZZNS1_14partition_implILS5_8ELb0ES3_jPKlPS6_PKS6_NS0_5tupleIJPlS6_EEENSE_IJSB_SB_EEENS0_18inequality_wrapperIN6hipcub16HIPCUB_304000_NS8EqualityEEESF_JS6_EEE10hipError_tPvRmT3_T4_T5_T6_T7_T9_mT8_P12ihipStream_tbDpT10_ENKUlT_T0_E_clISt17integral_constantIbLb1EES15_IbLb0EEEEDaS11_S12_EUlS11_E_NS1_11comp_targetILNS1_3genE2ELNS1_11target_archE906ELNS1_3gpuE6ELNS1_3repE0EEENS1_30default_config_static_selectorELNS0_4arch9wavefront6targetE1EEEvT1_,comdat
	.protected	_ZN7rocprim17ROCPRIM_400000_NS6detail17trampoline_kernelINS0_14default_configENS1_25partition_config_selectorILNS1_17partition_subalgoE8ElNS0_10empty_typeEbEEZZNS1_14partition_implILS5_8ELb0ES3_jPKlPS6_PKS6_NS0_5tupleIJPlS6_EEENSE_IJSB_SB_EEENS0_18inequality_wrapperIN6hipcub16HIPCUB_304000_NS8EqualityEEESF_JS6_EEE10hipError_tPvRmT3_T4_T5_T6_T7_T9_mT8_P12ihipStream_tbDpT10_ENKUlT_T0_E_clISt17integral_constantIbLb1EES15_IbLb0EEEEDaS11_S12_EUlS11_E_NS1_11comp_targetILNS1_3genE2ELNS1_11target_archE906ELNS1_3gpuE6ELNS1_3repE0EEENS1_30default_config_static_selectorELNS0_4arch9wavefront6targetE1EEEvT1_ ; -- Begin function _ZN7rocprim17ROCPRIM_400000_NS6detail17trampoline_kernelINS0_14default_configENS1_25partition_config_selectorILNS1_17partition_subalgoE8ElNS0_10empty_typeEbEEZZNS1_14partition_implILS5_8ELb0ES3_jPKlPS6_PKS6_NS0_5tupleIJPlS6_EEENSE_IJSB_SB_EEENS0_18inequality_wrapperIN6hipcub16HIPCUB_304000_NS8EqualityEEESF_JS6_EEE10hipError_tPvRmT3_T4_T5_T6_T7_T9_mT8_P12ihipStream_tbDpT10_ENKUlT_T0_E_clISt17integral_constantIbLb1EES15_IbLb0EEEEDaS11_S12_EUlS11_E_NS1_11comp_targetILNS1_3genE2ELNS1_11target_archE906ELNS1_3gpuE6ELNS1_3repE0EEENS1_30default_config_static_selectorELNS0_4arch9wavefront6targetE1EEEvT1_
	.globl	_ZN7rocprim17ROCPRIM_400000_NS6detail17trampoline_kernelINS0_14default_configENS1_25partition_config_selectorILNS1_17partition_subalgoE8ElNS0_10empty_typeEbEEZZNS1_14partition_implILS5_8ELb0ES3_jPKlPS6_PKS6_NS0_5tupleIJPlS6_EEENSE_IJSB_SB_EEENS0_18inequality_wrapperIN6hipcub16HIPCUB_304000_NS8EqualityEEESF_JS6_EEE10hipError_tPvRmT3_T4_T5_T6_T7_T9_mT8_P12ihipStream_tbDpT10_ENKUlT_T0_E_clISt17integral_constantIbLb1EES15_IbLb0EEEEDaS11_S12_EUlS11_E_NS1_11comp_targetILNS1_3genE2ELNS1_11target_archE906ELNS1_3gpuE6ELNS1_3repE0EEENS1_30default_config_static_selectorELNS0_4arch9wavefront6targetE1EEEvT1_
	.p2align	8
	.type	_ZN7rocprim17ROCPRIM_400000_NS6detail17trampoline_kernelINS0_14default_configENS1_25partition_config_selectorILNS1_17partition_subalgoE8ElNS0_10empty_typeEbEEZZNS1_14partition_implILS5_8ELb0ES3_jPKlPS6_PKS6_NS0_5tupleIJPlS6_EEENSE_IJSB_SB_EEENS0_18inequality_wrapperIN6hipcub16HIPCUB_304000_NS8EqualityEEESF_JS6_EEE10hipError_tPvRmT3_T4_T5_T6_T7_T9_mT8_P12ihipStream_tbDpT10_ENKUlT_T0_E_clISt17integral_constantIbLb1EES15_IbLb0EEEEDaS11_S12_EUlS11_E_NS1_11comp_targetILNS1_3genE2ELNS1_11target_archE906ELNS1_3gpuE6ELNS1_3repE0EEENS1_30default_config_static_selectorELNS0_4arch9wavefront6targetE1EEEvT1_,@function
_ZN7rocprim17ROCPRIM_400000_NS6detail17trampoline_kernelINS0_14default_configENS1_25partition_config_selectorILNS1_17partition_subalgoE8ElNS0_10empty_typeEbEEZZNS1_14partition_implILS5_8ELb0ES3_jPKlPS6_PKS6_NS0_5tupleIJPlS6_EEENSE_IJSB_SB_EEENS0_18inequality_wrapperIN6hipcub16HIPCUB_304000_NS8EqualityEEESF_JS6_EEE10hipError_tPvRmT3_T4_T5_T6_T7_T9_mT8_P12ihipStream_tbDpT10_ENKUlT_T0_E_clISt17integral_constantIbLb1EES15_IbLb0EEEEDaS11_S12_EUlS11_E_NS1_11comp_targetILNS1_3genE2ELNS1_11target_archE906ELNS1_3gpuE6ELNS1_3repE0EEENS1_30default_config_static_selectorELNS0_4arch9wavefront6targetE1EEEvT1_: ; @_ZN7rocprim17ROCPRIM_400000_NS6detail17trampoline_kernelINS0_14default_configENS1_25partition_config_selectorILNS1_17partition_subalgoE8ElNS0_10empty_typeEbEEZZNS1_14partition_implILS5_8ELb0ES3_jPKlPS6_PKS6_NS0_5tupleIJPlS6_EEENSE_IJSB_SB_EEENS0_18inequality_wrapperIN6hipcub16HIPCUB_304000_NS8EqualityEEESF_JS6_EEE10hipError_tPvRmT3_T4_T5_T6_T7_T9_mT8_P12ihipStream_tbDpT10_ENKUlT_T0_E_clISt17integral_constantIbLb1EES15_IbLb0EEEEDaS11_S12_EUlS11_E_NS1_11comp_targetILNS1_3genE2ELNS1_11target_archE906ELNS1_3gpuE6ELNS1_3repE0EEENS1_30default_config_static_selectorELNS0_4arch9wavefront6targetE1EEEvT1_
; %bb.0:
	.section	.rodata,"a",@progbits
	.p2align	6, 0x0
	.amdhsa_kernel _ZN7rocprim17ROCPRIM_400000_NS6detail17trampoline_kernelINS0_14default_configENS1_25partition_config_selectorILNS1_17partition_subalgoE8ElNS0_10empty_typeEbEEZZNS1_14partition_implILS5_8ELb0ES3_jPKlPS6_PKS6_NS0_5tupleIJPlS6_EEENSE_IJSB_SB_EEENS0_18inequality_wrapperIN6hipcub16HIPCUB_304000_NS8EqualityEEESF_JS6_EEE10hipError_tPvRmT3_T4_T5_T6_T7_T9_mT8_P12ihipStream_tbDpT10_ENKUlT_T0_E_clISt17integral_constantIbLb1EES15_IbLb0EEEEDaS11_S12_EUlS11_E_NS1_11comp_targetILNS1_3genE2ELNS1_11target_archE906ELNS1_3gpuE6ELNS1_3repE0EEENS1_30default_config_static_selectorELNS0_4arch9wavefront6targetE1EEEvT1_
		.amdhsa_group_segment_fixed_size 0
		.amdhsa_private_segment_fixed_size 0
		.amdhsa_kernarg_size 112
		.amdhsa_user_sgpr_count 2
		.amdhsa_user_sgpr_dispatch_ptr 0
		.amdhsa_user_sgpr_queue_ptr 0
		.amdhsa_user_sgpr_kernarg_segment_ptr 1
		.amdhsa_user_sgpr_dispatch_id 0
		.amdhsa_user_sgpr_kernarg_preload_length 0
		.amdhsa_user_sgpr_kernarg_preload_offset 0
		.amdhsa_user_sgpr_private_segment_size 0
		.amdhsa_uses_dynamic_stack 0
		.amdhsa_enable_private_segment 0
		.amdhsa_system_sgpr_workgroup_id_x 1
		.amdhsa_system_sgpr_workgroup_id_y 0
		.amdhsa_system_sgpr_workgroup_id_z 0
		.amdhsa_system_sgpr_workgroup_info 0
		.amdhsa_system_vgpr_workitem_id 0
		.amdhsa_next_free_vgpr 1
		.amdhsa_next_free_sgpr 0
		.amdhsa_accum_offset 4
		.amdhsa_reserve_vcc 0
		.amdhsa_float_round_mode_32 0
		.amdhsa_float_round_mode_16_64 0
		.amdhsa_float_denorm_mode_32 3
		.amdhsa_float_denorm_mode_16_64 3
		.amdhsa_dx10_clamp 1
		.amdhsa_ieee_mode 1
		.amdhsa_fp16_overflow 0
		.amdhsa_tg_split 0
		.amdhsa_exception_fp_ieee_invalid_op 0
		.amdhsa_exception_fp_denorm_src 0
		.amdhsa_exception_fp_ieee_div_zero 0
		.amdhsa_exception_fp_ieee_overflow 0
		.amdhsa_exception_fp_ieee_underflow 0
		.amdhsa_exception_fp_ieee_inexact 0
		.amdhsa_exception_int_div_zero 0
	.end_amdhsa_kernel
	.section	.text._ZN7rocprim17ROCPRIM_400000_NS6detail17trampoline_kernelINS0_14default_configENS1_25partition_config_selectorILNS1_17partition_subalgoE8ElNS0_10empty_typeEbEEZZNS1_14partition_implILS5_8ELb0ES3_jPKlPS6_PKS6_NS0_5tupleIJPlS6_EEENSE_IJSB_SB_EEENS0_18inequality_wrapperIN6hipcub16HIPCUB_304000_NS8EqualityEEESF_JS6_EEE10hipError_tPvRmT3_T4_T5_T6_T7_T9_mT8_P12ihipStream_tbDpT10_ENKUlT_T0_E_clISt17integral_constantIbLb1EES15_IbLb0EEEEDaS11_S12_EUlS11_E_NS1_11comp_targetILNS1_3genE2ELNS1_11target_archE906ELNS1_3gpuE6ELNS1_3repE0EEENS1_30default_config_static_selectorELNS0_4arch9wavefront6targetE1EEEvT1_,"axG",@progbits,_ZN7rocprim17ROCPRIM_400000_NS6detail17trampoline_kernelINS0_14default_configENS1_25partition_config_selectorILNS1_17partition_subalgoE8ElNS0_10empty_typeEbEEZZNS1_14partition_implILS5_8ELb0ES3_jPKlPS6_PKS6_NS0_5tupleIJPlS6_EEENSE_IJSB_SB_EEENS0_18inequality_wrapperIN6hipcub16HIPCUB_304000_NS8EqualityEEESF_JS6_EEE10hipError_tPvRmT3_T4_T5_T6_T7_T9_mT8_P12ihipStream_tbDpT10_ENKUlT_T0_E_clISt17integral_constantIbLb1EES15_IbLb0EEEEDaS11_S12_EUlS11_E_NS1_11comp_targetILNS1_3genE2ELNS1_11target_archE906ELNS1_3gpuE6ELNS1_3repE0EEENS1_30default_config_static_selectorELNS0_4arch9wavefront6targetE1EEEvT1_,comdat
.Lfunc_end499:
	.size	_ZN7rocprim17ROCPRIM_400000_NS6detail17trampoline_kernelINS0_14default_configENS1_25partition_config_selectorILNS1_17partition_subalgoE8ElNS0_10empty_typeEbEEZZNS1_14partition_implILS5_8ELb0ES3_jPKlPS6_PKS6_NS0_5tupleIJPlS6_EEENSE_IJSB_SB_EEENS0_18inequality_wrapperIN6hipcub16HIPCUB_304000_NS8EqualityEEESF_JS6_EEE10hipError_tPvRmT3_T4_T5_T6_T7_T9_mT8_P12ihipStream_tbDpT10_ENKUlT_T0_E_clISt17integral_constantIbLb1EES15_IbLb0EEEEDaS11_S12_EUlS11_E_NS1_11comp_targetILNS1_3genE2ELNS1_11target_archE906ELNS1_3gpuE6ELNS1_3repE0EEENS1_30default_config_static_selectorELNS0_4arch9wavefront6targetE1EEEvT1_, .Lfunc_end499-_ZN7rocprim17ROCPRIM_400000_NS6detail17trampoline_kernelINS0_14default_configENS1_25partition_config_selectorILNS1_17partition_subalgoE8ElNS0_10empty_typeEbEEZZNS1_14partition_implILS5_8ELb0ES3_jPKlPS6_PKS6_NS0_5tupleIJPlS6_EEENSE_IJSB_SB_EEENS0_18inequality_wrapperIN6hipcub16HIPCUB_304000_NS8EqualityEEESF_JS6_EEE10hipError_tPvRmT3_T4_T5_T6_T7_T9_mT8_P12ihipStream_tbDpT10_ENKUlT_T0_E_clISt17integral_constantIbLb1EES15_IbLb0EEEEDaS11_S12_EUlS11_E_NS1_11comp_targetILNS1_3genE2ELNS1_11target_archE906ELNS1_3gpuE6ELNS1_3repE0EEENS1_30default_config_static_selectorELNS0_4arch9wavefront6targetE1EEEvT1_
                                        ; -- End function
	.section	.AMDGPU.csdata,"",@progbits
; Kernel info:
; codeLenInByte = 0
; NumSgprs: 6
; NumVgprs: 0
; NumAgprs: 0
; TotalNumVgprs: 0
; ScratchSize: 0
; MemoryBound: 0
; FloatMode: 240
; IeeeMode: 1
; LDSByteSize: 0 bytes/workgroup (compile time only)
; SGPRBlocks: 0
; VGPRBlocks: 0
; NumSGPRsForWavesPerEU: 6
; NumVGPRsForWavesPerEU: 1
; AccumOffset: 4
; Occupancy: 8
; WaveLimiterHint : 0
; COMPUTE_PGM_RSRC2:SCRATCH_EN: 0
; COMPUTE_PGM_RSRC2:USER_SGPR: 2
; COMPUTE_PGM_RSRC2:TRAP_HANDLER: 0
; COMPUTE_PGM_RSRC2:TGID_X_EN: 1
; COMPUTE_PGM_RSRC2:TGID_Y_EN: 0
; COMPUTE_PGM_RSRC2:TGID_Z_EN: 0
; COMPUTE_PGM_RSRC2:TIDIG_COMP_CNT: 0
; COMPUTE_PGM_RSRC3_GFX90A:ACCUM_OFFSET: 0
; COMPUTE_PGM_RSRC3_GFX90A:TG_SPLIT: 0
	.section	.text._ZN7rocprim17ROCPRIM_400000_NS6detail17trampoline_kernelINS0_14default_configENS1_25partition_config_selectorILNS1_17partition_subalgoE8ElNS0_10empty_typeEbEEZZNS1_14partition_implILS5_8ELb0ES3_jPKlPS6_PKS6_NS0_5tupleIJPlS6_EEENSE_IJSB_SB_EEENS0_18inequality_wrapperIN6hipcub16HIPCUB_304000_NS8EqualityEEESF_JS6_EEE10hipError_tPvRmT3_T4_T5_T6_T7_T9_mT8_P12ihipStream_tbDpT10_ENKUlT_T0_E_clISt17integral_constantIbLb1EES15_IbLb0EEEEDaS11_S12_EUlS11_E_NS1_11comp_targetILNS1_3genE10ELNS1_11target_archE1200ELNS1_3gpuE4ELNS1_3repE0EEENS1_30default_config_static_selectorELNS0_4arch9wavefront6targetE1EEEvT1_,"axG",@progbits,_ZN7rocprim17ROCPRIM_400000_NS6detail17trampoline_kernelINS0_14default_configENS1_25partition_config_selectorILNS1_17partition_subalgoE8ElNS0_10empty_typeEbEEZZNS1_14partition_implILS5_8ELb0ES3_jPKlPS6_PKS6_NS0_5tupleIJPlS6_EEENSE_IJSB_SB_EEENS0_18inequality_wrapperIN6hipcub16HIPCUB_304000_NS8EqualityEEESF_JS6_EEE10hipError_tPvRmT3_T4_T5_T6_T7_T9_mT8_P12ihipStream_tbDpT10_ENKUlT_T0_E_clISt17integral_constantIbLb1EES15_IbLb0EEEEDaS11_S12_EUlS11_E_NS1_11comp_targetILNS1_3genE10ELNS1_11target_archE1200ELNS1_3gpuE4ELNS1_3repE0EEENS1_30default_config_static_selectorELNS0_4arch9wavefront6targetE1EEEvT1_,comdat
	.protected	_ZN7rocprim17ROCPRIM_400000_NS6detail17trampoline_kernelINS0_14default_configENS1_25partition_config_selectorILNS1_17partition_subalgoE8ElNS0_10empty_typeEbEEZZNS1_14partition_implILS5_8ELb0ES3_jPKlPS6_PKS6_NS0_5tupleIJPlS6_EEENSE_IJSB_SB_EEENS0_18inequality_wrapperIN6hipcub16HIPCUB_304000_NS8EqualityEEESF_JS6_EEE10hipError_tPvRmT3_T4_T5_T6_T7_T9_mT8_P12ihipStream_tbDpT10_ENKUlT_T0_E_clISt17integral_constantIbLb1EES15_IbLb0EEEEDaS11_S12_EUlS11_E_NS1_11comp_targetILNS1_3genE10ELNS1_11target_archE1200ELNS1_3gpuE4ELNS1_3repE0EEENS1_30default_config_static_selectorELNS0_4arch9wavefront6targetE1EEEvT1_ ; -- Begin function _ZN7rocprim17ROCPRIM_400000_NS6detail17trampoline_kernelINS0_14default_configENS1_25partition_config_selectorILNS1_17partition_subalgoE8ElNS0_10empty_typeEbEEZZNS1_14partition_implILS5_8ELb0ES3_jPKlPS6_PKS6_NS0_5tupleIJPlS6_EEENSE_IJSB_SB_EEENS0_18inequality_wrapperIN6hipcub16HIPCUB_304000_NS8EqualityEEESF_JS6_EEE10hipError_tPvRmT3_T4_T5_T6_T7_T9_mT8_P12ihipStream_tbDpT10_ENKUlT_T0_E_clISt17integral_constantIbLb1EES15_IbLb0EEEEDaS11_S12_EUlS11_E_NS1_11comp_targetILNS1_3genE10ELNS1_11target_archE1200ELNS1_3gpuE4ELNS1_3repE0EEENS1_30default_config_static_selectorELNS0_4arch9wavefront6targetE1EEEvT1_
	.globl	_ZN7rocprim17ROCPRIM_400000_NS6detail17trampoline_kernelINS0_14default_configENS1_25partition_config_selectorILNS1_17partition_subalgoE8ElNS0_10empty_typeEbEEZZNS1_14partition_implILS5_8ELb0ES3_jPKlPS6_PKS6_NS0_5tupleIJPlS6_EEENSE_IJSB_SB_EEENS0_18inequality_wrapperIN6hipcub16HIPCUB_304000_NS8EqualityEEESF_JS6_EEE10hipError_tPvRmT3_T4_T5_T6_T7_T9_mT8_P12ihipStream_tbDpT10_ENKUlT_T0_E_clISt17integral_constantIbLb1EES15_IbLb0EEEEDaS11_S12_EUlS11_E_NS1_11comp_targetILNS1_3genE10ELNS1_11target_archE1200ELNS1_3gpuE4ELNS1_3repE0EEENS1_30default_config_static_selectorELNS0_4arch9wavefront6targetE1EEEvT1_
	.p2align	8
	.type	_ZN7rocprim17ROCPRIM_400000_NS6detail17trampoline_kernelINS0_14default_configENS1_25partition_config_selectorILNS1_17partition_subalgoE8ElNS0_10empty_typeEbEEZZNS1_14partition_implILS5_8ELb0ES3_jPKlPS6_PKS6_NS0_5tupleIJPlS6_EEENSE_IJSB_SB_EEENS0_18inequality_wrapperIN6hipcub16HIPCUB_304000_NS8EqualityEEESF_JS6_EEE10hipError_tPvRmT3_T4_T5_T6_T7_T9_mT8_P12ihipStream_tbDpT10_ENKUlT_T0_E_clISt17integral_constantIbLb1EES15_IbLb0EEEEDaS11_S12_EUlS11_E_NS1_11comp_targetILNS1_3genE10ELNS1_11target_archE1200ELNS1_3gpuE4ELNS1_3repE0EEENS1_30default_config_static_selectorELNS0_4arch9wavefront6targetE1EEEvT1_,@function
_ZN7rocprim17ROCPRIM_400000_NS6detail17trampoline_kernelINS0_14default_configENS1_25partition_config_selectorILNS1_17partition_subalgoE8ElNS0_10empty_typeEbEEZZNS1_14partition_implILS5_8ELb0ES3_jPKlPS6_PKS6_NS0_5tupleIJPlS6_EEENSE_IJSB_SB_EEENS0_18inequality_wrapperIN6hipcub16HIPCUB_304000_NS8EqualityEEESF_JS6_EEE10hipError_tPvRmT3_T4_T5_T6_T7_T9_mT8_P12ihipStream_tbDpT10_ENKUlT_T0_E_clISt17integral_constantIbLb1EES15_IbLb0EEEEDaS11_S12_EUlS11_E_NS1_11comp_targetILNS1_3genE10ELNS1_11target_archE1200ELNS1_3gpuE4ELNS1_3repE0EEENS1_30default_config_static_selectorELNS0_4arch9wavefront6targetE1EEEvT1_: ; @_ZN7rocprim17ROCPRIM_400000_NS6detail17trampoline_kernelINS0_14default_configENS1_25partition_config_selectorILNS1_17partition_subalgoE8ElNS0_10empty_typeEbEEZZNS1_14partition_implILS5_8ELb0ES3_jPKlPS6_PKS6_NS0_5tupleIJPlS6_EEENSE_IJSB_SB_EEENS0_18inequality_wrapperIN6hipcub16HIPCUB_304000_NS8EqualityEEESF_JS6_EEE10hipError_tPvRmT3_T4_T5_T6_T7_T9_mT8_P12ihipStream_tbDpT10_ENKUlT_T0_E_clISt17integral_constantIbLb1EES15_IbLb0EEEEDaS11_S12_EUlS11_E_NS1_11comp_targetILNS1_3genE10ELNS1_11target_archE1200ELNS1_3gpuE4ELNS1_3repE0EEENS1_30default_config_static_selectorELNS0_4arch9wavefront6targetE1EEEvT1_
; %bb.0:
	.section	.rodata,"a",@progbits
	.p2align	6, 0x0
	.amdhsa_kernel _ZN7rocprim17ROCPRIM_400000_NS6detail17trampoline_kernelINS0_14default_configENS1_25partition_config_selectorILNS1_17partition_subalgoE8ElNS0_10empty_typeEbEEZZNS1_14partition_implILS5_8ELb0ES3_jPKlPS6_PKS6_NS0_5tupleIJPlS6_EEENSE_IJSB_SB_EEENS0_18inequality_wrapperIN6hipcub16HIPCUB_304000_NS8EqualityEEESF_JS6_EEE10hipError_tPvRmT3_T4_T5_T6_T7_T9_mT8_P12ihipStream_tbDpT10_ENKUlT_T0_E_clISt17integral_constantIbLb1EES15_IbLb0EEEEDaS11_S12_EUlS11_E_NS1_11comp_targetILNS1_3genE10ELNS1_11target_archE1200ELNS1_3gpuE4ELNS1_3repE0EEENS1_30default_config_static_selectorELNS0_4arch9wavefront6targetE1EEEvT1_
		.amdhsa_group_segment_fixed_size 0
		.amdhsa_private_segment_fixed_size 0
		.amdhsa_kernarg_size 112
		.amdhsa_user_sgpr_count 2
		.amdhsa_user_sgpr_dispatch_ptr 0
		.amdhsa_user_sgpr_queue_ptr 0
		.amdhsa_user_sgpr_kernarg_segment_ptr 1
		.amdhsa_user_sgpr_dispatch_id 0
		.amdhsa_user_sgpr_kernarg_preload_length 0
		.amdhsa_user_sgpr_kernarg_preload_offset 0
		.amdhsa_user_sgpr_private_segment_size 0
		.amdhsa_uses_dynamic_stack 0
		.amdhsa_enable_private_segment 0
		.amdhsa_system_sgpr_workgroup_id_x 1
		.amdhsa_system_sgpr_workgroup_id_y 0
		.amdhsa_system_sgpr_workgroup_id_z 0
		.amdhsa_system_sgpr_workgroup_info 0
		.amdhsa_system_vgpr_workitem_id 0
		.amdhsa_next_free_vgpr 1
		.amdhsa_next_free_sgpr 0
		.amdhsa_accum_offset 4
		.amdhsa_reserve_vcc 0
		.amdhsa_float_round_mode_32 0
		.amdhsa_float_round_mode_16_64 0
		.amdhsa_float_denorm_mode_32 3
		.amdhsa_float_denorm_mode_16_64 3
		.amdhsa_dx10_clamp 1
		.amdhsa_ieee_mode 1
		.amdhsa_fp16_overflow 0
		.amdhsa_tg_split 0
		.amdhsa_exception_fp_ieee_invalid_op 0
		.amdhsa_exception_fp_denorm_src 0
		.amdhsa_exception_fp_ieee_div_zero 0
		.amdhsa_exception_fp_ieee_overflow 0
		.amdhsa_exception_fp_ieee_underflow 0
		.amdhsa_exception_fp_ieee_inexact 0
		.amdhsa_exception_int_div_zero 0
	.end_amdhsa_kernel
	.section	.text._ZN7rocprim17ROCPRIM_400000_NS6detail17trampoline_kernelINS0_14default_configENS1_25partition_config_selectorILNS1_17partition_subalgoE8ElNS0_10empty_typeEbEEZZNS1_14partition_implILS5_8ELb0ES3_jPKlPS6_PKS6_NS0_5tupleIJPlS6_EEENSE_IJSB_SB_EEENS0_18inequality_wrapperIN6hipcub16HIPCUB_304000_NS8EqualityEEESF_JS6_EEE10hipError_tPvRmT3_T4_T5_T6_T7_T9_mT8_P12ihipStream_tbDpT10_ENKUlT_T0_E_clISt17integral_constantIbLb1EES15_IbLb0EEEEDaS11_S12_EUlS11_E_NS1_11comp_targetILNS1_3genE10ELNS1_11target_archE1200ELNS1_3gpuE4ELNS1_3repE0EEENS1_30default_config_static_selectorELNS0_4arch9wavefront6targetE1EEEvT1_,"axG",@progbits,_ZN7rocprim17ROCPRIM_400000_NS6detail17trampoline_kernelINS0_14default_configENS1_25partition_config_selectorILNS1_17partition_subalgoE8ElNS0_10empty_typeEbEEZZNS1_14partition_implILS5_8ELb0ES3_jPKlPS6_PKS6_NS0_5tupleIJPlS6_EEENSE_IJSB_SB_EEENS0_18inequality_wrapperIN6hipcub16HIPCUB_304000_NS8EqualityEEESF_JS6_EEE10hipError_tPvRmT3_T4_T5_T6_T7_T9_mT8_P12ihipStream_tbDpT10_ENKUlT_T0_E_clISt17integral_constantIbLb1EES15_IbLb0EEEEDaS11_S12_EUlS11_E_NS1_11comp_targetILNS1_3genE10ELNS1_11target_archE1200ELNS1_3gpuE4ELNS1_3repE0EEENS1_30default_config_static_selectorELNS0_4arch9wavefront6targetE1EEEvT1_,comdat
.Lfunc_end500:
	.size	_ZN7rocprim17ROCPRIM_400000_NS6detail17trampoline_kernelINS0_14default_configENS1_25partition_config_selectorILNS1_17partition_subalgoE8ElNS0_10empty_typeEbEEZZNS1_14partition_implILS5_8ELb0ES3_jPKlPS6_PKS6_NS0_5tupleIJPlS6_EEENSE_IJSB_SB_EEENS0_18inequality_wrapperIN6hipcub16HIPCUB_304000_NS8EqualityEEESF_JS6_EEE10hipError_tPvRmT3_T4_T5_T6_T7_T9_mT8_P12ihipStream_tbDpT10_ENKUlT_T0_E_clISt17integral_constantIbLb1EES15_IbLb0EEEEDaS11_S12_EUlS11_E_NS1_11comp_targetILNS1_3genE10ELNS1_11target_archE1200ELNS1_3gpuE4ELNS1_3repE0EEENS1_30default_config_static_selectorELNS0_4arch9wavefront6targetE1EEEvT1_, .Lfunc_end500-_ZN7rocprim17ROCPRIM_400000_NS6detail17trampoline_kernelINS0_14default_configENS1_25partition_config_selectorILNS1_17partition_subalgoE8ElNS0_10empty_typeEbEEZZNS1_14partition_implILS5_8ELb0ES3_jPKlPS6_PKS6_NS0_5tupleIJPlS6_EEENSE_IJSB_SB_EEENS0_18inequality_wrapperIN6hipcub16HIPCUB_304000_NS8EqualityEEESF_JS6_EEE10hipError_tPvRmT3_T4_T5_T6_T7_T9_mT8_P12ihipStream_tbDpT10_ENKUlT_T0_E_clISt17integral_constantIbLb1EES15_IbLb0EEEEDaS11_S12_EUlS11_E_NS1_11comp_targetILNS1_3genE10ELNS1_11target_archE1200ELNS1_3gpuE4ELNS1_3repE0EEENS1_30default_config_static_selectorELNS0_4arch9wavefront6targetE1EEEvT1_
                                        ; -- End function
	.section	.AMDGPU.csdata,"",@progbits
; Kernel info:
; codeLenInByte = 0
; NumSgprs: 6
; NumVgprs: 0
; NumAgprs: 0
; TotalNumVgprs: 0
; ScratchSize: 0
; MemoryBound: 0
; FloatMode: 240
; IeeeMode: 1
; LDSByteSize: 0 bytes/workgroup (compile time only)
; SGPRBlocks: 0
; VGPRBlocks: 0
; NumSGPRsForWavesPerEU: 6
; NumVGPRsForWavesPerEU: 1
; AccumOffset: 4
; Occupancy: 8
; WaveLimiterHint : 0
; COMPUTE_PGM_RSRC2:SCRATCH_EN: 0
; COMPUTE_PGM_RSRC2:USER_SGPR: 2
; COMPUTE_PGM_RSRC2:TRAP_HANDLER: 0
; COMPUTE_PGM_RSRC2:TGID_X_EN: 1
; COMPUTE_PGM_RSRC2:TGID_Y_EN: 0
; COMPUTE_PGM_RSRC2:TGID_Z_EN: 0
; COMPUTE_PGM_RSRC2:TIDIG_COMP_CNT: 0
; COMPUTE_PGM_RSRC3_GFX90A:ACCUM_OFFSET: 0
; COMPUTE_PGM_RSRC3_GFX90A:TG_SPLIT: 0
	.section	.text._ZN7rocprim17ROCPRIM_400000_NS6detail17trampoline_kernelINS0_14default_configENS1_25partition_config_selectorILNS1_17partition_subalgoE8ElNS0_10empty_typeEbEEZZNS1_14partition_implILS5_8ELb0ES3_jPKlPS6_PKS6_NS0_5tupleIJPlS6_EEENSE_IJSB_SB_EEENS0_18inequality_wrapperIN6hipcub16HIPCUB_304000_NS8EqualityEEESF_JS6_EEE10hipError_tPvRmT3_T4_T5_T6_T7_T9_mT8_P12ihipStream_tbDpT10_ENKUlT_T0_E_clISt17integral_constantIbLb1EES15_IbLb0EEEEDaS11_S12_EUlS11_E_NS1_11comp_targetILNS1_3genE9ELNS1_11target_archE1100ELNS1_3gpuE3ELNS1_3repE0EEENS1_30default_config_static_selectorELNS0_4arch9wavefront6targetE1EEEvT1_,"axG",@progbits,_ZN7rocprim17ROCPRIM_400000_NS6detail17trampoline_kernelINS0_14default_configENS1_25partition_config_selectorILNS1_17partition_subalgoE8ElNS0_10empty_typeEbEEZZNS1_14partition_implILS5_8ELb0ES3_jPKlPS6_PKS6_NS0_5tupleIJPlS6_EEENSE_IJSB_SB_EEENS0_18inequality_wrapperIN6hipcub16HIPCUB_304000_NS8EqualityEEESF_JS6_EEE10hipError_tPvRmT3_T4_T5_T6_T7_T9_mT8_P12ihipStream_tbDpT10_ENKUlT_T0_E_clISt17integral_constantIbLb1EES15_IbLb0EEEEDaS11_S12_EUlS11_E_NS1_11comp_targetILNS1_3genE9ELNS1_11target_archE1100ELNS1_3gpuE3ELNS1_3repE0EEENS1_30default_config_static_selectorELNS0_4arch9wavefront6targetE1EEEvT1_,comdat
	.protected	_ZN7rocprim17ROCPRIM_400000_NS6detail17trampoline_kernelINS0_14default_configENS1_25partition_config_selectorILNS1_17partition_subalgoE8ElNS0_10empty_typeEbEEZZNS1_14partition_implILS5_8ELb0ES3_jPKlPS6_PKS6_NS0_5tupleIJPlS6_EEENSE_IJSB_SB_EEENS0_18inequality_wrapperIN6hipcub16HIPCUB_304000_NS8EqualityEEESF_JS6_EEE10hipError_tPvRmT3_T4_T5_T6_T7_T9_mT8_P12ihipStream_tbDpT10_ENKUlT_T0_E_clISt17integral_constantIbLb1EES15_IbLb0EEEEDaS11_S12_EUlS11_E_NS1_11comp_targetILNS1_3genE9ELNS1_11target_archE1100ELNS1_3gpuE3ELNS1_3repE0EEENS1_30default_config_static_selectorELNS0_4arch9wavefront6targetE1EEEvT1_ ; -- Begin function _ZN7rocprim17ROCPRIM_400000_NS6detail17trampoline_kernelINS0_14default_configENS1_25partition_config_selectorILNS1_17partition_subalgoE8ElNS0_10empty_typeEbEEZZNS1_14partition_implILS5_8ELb0ES3_jPKlPS6_PKS6_NS0_5tupleIJPlS6_EEENSE_IJSB_SB_EEENS0_18inequality_wrapperIN6hipcub16HIPCUB_304000_NS8EqualityEEESF_JS6_EEE10hipError_tPvRmT3_T4_T5_T6_T7_T9_mT8_P12ihipStream_tbDpT10_ENKUlT_T0_E_clISt17integral_constantIbLb1EES15_IbLb0EEEEDaS11_S12_EUlS11_E_NS1_11comp_targetILNS1_3genE9ELNS1_11target_archE1100ELNS1_3gpuE3ELNS1_3repE0EEENS1_30default_config_static_selectorELNS0_4arch9wavefront6targetE1EEEvT1_
	.globl	_ZN7rocprim17ROCPRIM_400000_NS6detail17trampoline_kernelINS0_14default_configENS1_25partition_config_selectorILNS1_17partition_subalgoE8ElNS0_10empty_typeEbEEZZNS1_14partition_implILS5_8ELb0ES3_jPKlPS6_PKS6_NS0_5tupleIJPlS6_EEENSE_IJSB_SB_EEENS0_18inequality_wrapperIN6hipcub16HIPCUB_304000_NS8EqualityEEESF_JS6_EEE10hipError_tPvRmT3_T4_T5_T6_T7_T9_mT8_P12ihipStream_tbDpT10_ENKUlT_T0_E_clISt17integral_constantIbLb1EES15_IbLb0EEEEDaS11_S12_EUlS11_E_NS1_11comp_targetILNS1_3genE9ELNS1_11target_archE1100ELNS1_3gpuE3ELNS1_3repE0EEENS1_30default_config_static_selectorELNS0_4arch9wavefront6targetE1EEEvT1_
	.p2align	8
	.type	_ZN7rocprim17ROCPRIM_400000_NS6detail17trampoline_kernelINS0_14default_configENS1_25partition_config_selectorILNS1_17partition_subalgoE8ElNS0_10empty_typeEbEEZZNS1_14partition_implILS5_8ELb0ES3_jPKlPS6_PKS6_NS0_5tupleIJPlS6_EEENSE_IJSB_SB_EEENS0_18inequality_wrapperIN6hipcub16HIPCUB_304000_NS8EqualityEEESF_JS6_EEE10hipError_tPvRmT3_T4_T5_T6_T7_T9_mT8_P12ihipStream_tbDpT10_ENKUlT_T0_E_clISt17integral_constantIbLb1EES15_IbLb0EEEEDaS11_S12_EUlS11_E_NS1_11comp_targetILNS1_3genE9ELNS1_11target_archE1100ELNS1_3gpuE3ELNS1_3repE0EEENS1_30default_config_static_selectorELNS0_4arch9wavefront6targetE1EEEvT1_,@function
_ZN7rocprim17ROCPRIM_400000_NS6detail17trampoline_kernelINS0_14default_configENS1_25partition_config_selectorILNS1_17partition_subalgoE8ElNS0_10empty_typeEbEEZZNS1_14partition_implILS5_8ELb0ES3_jPKlPS6_PKS6_NS0_5tupleIJPlS6_EEENSE_IJSB_SB_EEENS0_18inequality_wrapperIN6hipcub16HIPCUB_304000_NS8EqualityEEESF_JS6_EEE10hipError_tPvRmT3_T4_T5_T6_T7_T9_mT8_P12ihipStream_tbDpT10_ENKUlT_T0_E_clISt17integral_constantIbLb1EES15_IbLb0EEEEDaS11_S12_EUlS11_E_NS1_11comp_targetILNS1_3genE9ELNS1_11target_archE1100ELNS1_3gpuE3ELNS1_3repE0EEENS1_30default_config_static_selectorELNS0_4arch9wavefront6targetE1EEEvT1_: ; @_ZN7rocprim17ROCPRIM_400000_NS6detail17trampoline_kernelINS0_14default_configENS1_25partition_config_selectorILNS1_17partition_subalgoE8ElNS0_10empty_typeEbEEZZNS1_14partition_implILS5_8ELb0ES3_jPKlPS6_PKS6_NS0_5tupleIJPlS6_EEENSE_IJSB_SB_EEENS0_18inequality_wrapperIN6hipcub16HIPCUB_304000_NS8EqualityEEESF_JS6_EEE10hipError_tPvRmT3_T4_T5_T6_T7_T9_mT8_P12ihipStream_tbDpT10_ENKUlT_T0_E_clISt17integral_constantIbLb1EES15_IbLb0EEEEDaS11_S12_EUlS11_E_NS1_11comp_targetILNS1_3genE9ELNS1_11target_archE1100ELNS1_3gpuE3ELNS1_3repE0EEENS1_30default_config_static_selectorELNS0_4arch9wavefront6targetE1EEEvT1_
; %bb.0:
	.section	.rodata,"a",@progbits
	.p2align	6, 0x0
	.amdhsa_kernel _ZN7rocprim17ROCPRIM_400000_NS6detail17trampoline_kernelINS0_14default_configENS1_25partition_config_selectorILNS1_17partition_subalgoE8ElNS0_10empty_typeEbEEZZNS1_14partition_implILS5_8ELb0ES3_jPKlPS6_PKS6_NS0_5tupleIJPlS6_EEENSE_IJSB_SB_EEENS0_18inequality_wrapperIN6hipcub16HIPCUB_304000_NS8EqualityEEESF_JS6_EEE10hipError_tPvRmT3_T4_T5_T6_T7_T9_mT8_P12ihipStream_tbDpT10_ENKUlT_T0_E_clISt17integral_constantIbLb1EES15_IbLb0EEEEDaS11_S12_EUlS11_E_NS1_11comp_targetILNS1_3genE9ELNS1_11target_archE1100ELNS1_3gpuE3ELNS1_3repE0EEENS1_30default_config_static_selectorELNS0_4arch9wavefront6targetE1EEEvT1_
		.amdhsa_group_segment_fixed_size 0
		.amdhsa_private_segment_fixed_size 0
		.amdhsa_kernarg_size 112
		.amdhsa_user_sgpr_count 2
		.amdhsa_user_sgpr_dispatch_ptr 0
		.amdhsa_user_sgpr_queue_ptr 0
		.amdhsa_user_sgpr_kernarg_segment_ptr 1
		.amdhsa_user_sgpr_dispatch_id 0
		.amdhsa_user_sgpr_kernarg_preload_length 0
		.amdhsa_user_sgpr_kernarg_preload_offset 0
		.amdhsa_user_sgpr_private_segment_size 0
		.amdhsa_uses_dynamic_stack 0
		.amdhsa_enable_private_segment 0
		.amdhsa_system_sgpr_workgroup_id_x 1
		.amdhsa_system_sgpr_workgroup_id_y 0
		.amdhsa_system_sgpr_workgroup_id_z 0
		.amdhsa_system_sgpr_workgroup_info 0
		.amdhsa_system_vgpr_workitem_id 0
		.amdhsa_next_free_vgpr 1
		.amdhsa_next_free_sgpr 0
		.amdhsa_accum_offset 4
		.amdhsa_reserve_vcc 0
		.amdhsa_float_round_mode_32 0
		.amdhsa_float_round_mode_16_64 0
		.amdhsa_float_denorm_mode_32 3
		.amdhsa_float_denorm_mode_16_64 3
		.amdhsa_dx10_clamp 1
		.amdhsa_ieee_mode 1
		.amdhsa_fp16_overflow 0
		.amdhsa_tg_split 0
		.amdhsa_exception_fp_ieee_invalid_op 0
		.amdhsa_exception_fp_denorm_src 0
		.amdhsa_exception_fp_ieee_div_zero 0
		.amdhsa_exception_fp_ieee_overflow 0
		.amdhsa_exception_fp_ieee_underflow 0
		.amdhsa_exception_fp_ieee_inexact 0
		.amdhsa_exception_int_div_zero 0
	.end_amdhsa_kernel
	.section	.text._ZN7rocprim17ROCPRIM_400000_NS6detail17trampoline_kernelINS0_14default_configENS1_25partition_config_selectorILNS1_17partition_subalgoE8ElNS0_10empty_typeEbEEZZNS1_14partition_implILS5_8ELb0ES3_jPKlPS6_PKS6_NS0_5tupleIJPlS6_EEENSE_IJSB_SB_EEENS0_18inequality_wrapperIN6hipcub16HIPCUB_304000_NS8EqualityEEESF_JS6_EEE10hipError_tPvRmT3_T4_T5_T6_T7_T9_mT8_P12ihipStream_tbDpT10_ENKUlT_T0_E_clISt17integral_constantIbLb1EES15_IbLb0EEEEDaS11_S12_EUlS11_E_NS1_11comp_targetILNS1_3genE9ELNS1_11target_archE1100ELNS1_3gpuE3ELNS1_3repE0EEENS1_30default_config_static_selectorELNS0_4arch9wavefront6targetE1EEEvT1_,"axG",@progbits,_ZN7rocprim17ROCPRIM_400000_NS6detail17trampoline_kernelINS0_14default_configENS1_25partition_config_selectorILNS1_17partition_subalgoE8ElNS0_10empty_typeEbEEZZNS1_14partition_implILS5_8ELb0ES3_jPKlPS6_PKS6_NS0_5tupleIJPlS6_EEENSE_IJSB_SB_EEENS0_18inequality_wrapperIN6hipcub16HIPCUB_304000_NS8EqualityEEESF_JS6_EEE10hipError_tPvRmT3_T4_T5_T6_T7_T9_mT8_P12ihipStream_tbDpT10_ENKUlT_T0_E_clISt17integral_constantIbLb1EES15_IbLb0EEEEDaS11_S12_EUlS11_E_NS1_11comp_targetILNS1_3genE9ELNS1_11target_archE1100ELNS1_3gpuE3ELNS1_3repE0EEENS1_30default_config_static_selectorELNS0_4arch9wavefront6targetE1EEEvT1_,comdat
.Lfunc_end501:
	.size	_ZN7rocprim17ROCPRIM_400000_NS6detail17trampoline_kernelINS0_14default_configENS1_25partition_config_selectorILNS1_17partition_subalgoE8ElNS0_10empty_typeEbEEZZNS1_14partition_implILS5_8ELb0ES3_jPKlPS6_PKS6_NS0_5tupleIJPlS6_EEENSE_IJSB_SB_EEENS0_18inequality_wrapperIN6hipcub16HIPCUB_304000_NS8EqualityEEESF_JS6_EEE10hipError_tPvRmT3_T4_T5_T6_T7_T9_mT8_P12ihipStream_tbDpT10_ENKUlT_T0_E_clISt17integral_constantIbLb1EES15_IbLb0EEEEDaS11_S12_EUlS11_E_NS1_11comp_targetILNS1_3genE9ELNS1_11target_archE1100ELNS1_3gpuE3ELNS1_3repE0EEENS1_30default_config_static_selectorELNS0_4arch9wavefront6targetE1EEEvT1_, .Lfunc_end501-_ZN7rocprim17ROCPRIM_400000_NS6detail17trampoline_kernelINS0_14default_configENS1_25partition_config_selectorILNS1_17partition_subalgoE8ElNS0_10empty_typeEbEEZZNS1_14partition_implILS5_8ELb0ES3_jPKlPS6_PKS6_NS0_5tupleIJPlS6_EEENSE_IJSB_SB_EEENS0_18inequality_wrapperIN6hipcub16HIPCUB_304000_NS8EqualityEEESF_JS6_EEE10hipError_tPvRmT3_T4_T5_T6_T7_T9_mT8_P12ihipStream_tbDpT10_ENKUlT_T0_E_clISt17integral_constantIbLb1EES15_IbLb0EEEEDaS11_S12_EUlS11_E_NS1_11comp_targetILNS1_3genE9ELNS1_11target_archE1100ELNS1_3gpuE3ELNS1_3repE0EEENS1_30default_config_static_selectorELNS0_4arch9wavefront6targetE1EEEvT1_
                                        ; -- End function
	.section	.AMDGPU.csdata,"",@progbits
; Kernel info:
; codeLenInByte = 0
; NumSgprs: 6
; NumVgprs: 0
; NumAgprs: 0
; TotalNumVgprs: 0
; ScratchSize: 0
; MemoryBound: 0
; FloatMode: 240
; IeeeMode: 1
; LDSByteSize: 0 bytes/workgroup (compile time only)
; SGPRBlocks: 0
; VGPRBlocks: 0
; NumSGPRsForWavesPerEU: 6
; NumVGPRsForWavesPerEU: 1
; AccumOffset: 4
; Occupancy: 8
; WaveLimiterHint : 0
; COMPUTE_PGM_RSRC2:SCRATCH_EN: 0
; COMPUTE_PGM_RSRC2:USER_SGPR: 2
; COMPUTE_PGM_RSRC2:TRAP_HANDLER: 0
; COMPUTE_PGM_RSRC2:TGID_X_EN: 1
; COMPUTE_PGM_RSRC2:TGID_Y_EN: 0
; COMPUTE_PGM_RSRC2:TGID_Z_EN: 0
; COMPUTE_PGM_RSRC2:TIDIG_COMP_CNT: 0
; COMPUTE_PGM_RSRC3_GFX90A:ACCUM_OFFSET: 0
; COMPUTE_PGM_RSRC3_GFX90A:TG_SPLIT: 0
	.section	.text._ZN7rocprim17ROCPRIM_400000_NS6detail17trampoline_kernelINS0_14default_configENS1_25partition_config_selectorILNS1_17partition_subalgoE8ElNS0_10empty_typeEbEEZZNS1_14partition_implILS5_8ELb0ES3_jPKlPS6_PKS6_NS0_5tupleIJPlS6_EEENSE_IJSB_SB_EEENS0_18inequality_wrapperIN6hipcub16HIPCUB_304000_NS8EqualityEEESF_JS6_EEE10hipError_tPvRmT3_T4_T5_T6_T7_T9_mT8_P12ihipStream_tbDpT10_ENKUlT_T0_E_clISt17integral_constantIbLb1EES15_IbLb0EEEEDaS11_S12_EUlS11_E_NS1_11comp_targetILNS1_3genE8ELNS1_11target_archE1030ELNS1_3gpuE2ELNS1_3repE0EEENS1_30default_config_static_selectorELNS0_4arch9wavefront6targetE1EEEvT1_,"axG",@progbits,_ZN7rocprim17ROCPRIM_400000_NS6detail17trampoline_kernelINS0_14default_configENS1_25partition_config_selectorILNS1_17partition_subalgoE8ElNS0_10empty_typeEbEEZZNS1_14partition_implILS5_8ELb0ES3_jPKlPS6_PKS6_NS0_5tupleIJPlS6_EEENSE_IJSB_SB_EEENS0_18inequality_wrapperIN6hipcub16HIPCUB_304000_NS8EqualityEEESF_JS6_EEE10hipError_tPvRmT3_T4_T5_T6_T7_T9_mT8_P12ihipStream_tbDpT10_ENKUlT_T0_E_clISt17integral_constantIbLb1EES15_IbLb0EEEEDaS11_S12_EUlS11_E_NS1_11comp_targetILNS1_3genE8ELNS1_11target_archE1030ELNS1_3gpuE2ELNS1_3repE0EEENS1_30default_config_static_selectorELNS0_4arch9wavefront6targetE1EEEvT1_,comdat
	.protected	_ZN7rocprim17ROCPRIM_400000_NS6detail17trampoline_kernelINS0_14default_configENS1_25partition_config_selectorILNS1_17partition_subalgoE8ElNS0_10empty_typeEbEEZZNS1_14partition_implILS5_8ELb0ES3_jPKlPS6_PKS6_NS0_5tupleIJPlS6_EEENSE_IJSB_SB_EEENS0_18inequality_wrapperIN6hipcub16HIPCUB_304000_NS8EqualityEEESF_JS6_EEE10hipError_tPvRmT3_T4_T5_T6_T7_T9_mT8_P12ihipStream_tbDpT10_ENKUlT_T0_E_clISt17integral_constantIbLb1EES15_IbLb0EEEEDaS11_S12_EUlS11_E_NS1_11comp_targetILNS1_3genE8ELNS1_11target_archE1030ELNS1_3gpuE2ELNS1_3repE0EEENS1_30default_config_static_selectorELNS0_4arch9wavefront6targetE1EEEvT1_ ; -- Begin function _ZN7rocprim17ROCPRIM_400000_NS6detail17trampoline_kernelINS0_14default_configENS1_25partition_config_selectorILNS1_17partition_subalgoE8ElNS0_10empty_typeEbEEZZNS1_14partition_implILS5_8ELb0ES3_jPKlPS6_PKS6_NS0_5tupleIJPlS6_EEENSE_IJSB_SB_EEENS0_18inequality_wrapperIN6hipcub16HIPCUB_304000_NS8EqualityEEESF_JS6_EEE10hipError_tPvRmT3_T4_T5_T6_T7_T9_mT8_P12ihipStream_tbDpT10_ENKUlT_T0_E_clISt17integral_constantIbLb1EES15_IbLb0EEEEDaS11_S12_EUlS11_E_NS1_11comp_targetILNS1_3genE8ELNS1_11target_archE1030ELNS1_3gpuE2ELNS1_3repE0EEENS1_30default_config_static_selectorELNS0_4arch9wavefront6targetE1EEEvT1_
	.globl	_ZN7rocprim17ROCPRIM_400000_NS6detail17trampoline_kernelINS0_14default_configENS1_25partition_config_selectorILNS1_17partition_subalgoE8ElNS0_10empty_typeEbEEZZNS1_14partition_implILS5_8ELb0ES3_jPKlPS6_PKS6_NS0_5tupleIJPlS6_EEENSE_IJSB_SB_EEENS0_18inequality_wrapperIN6hipcub16HIPCUB_304000_NS8EqualityEEESF_JS6_EEE10hipError_tPvRmT3_T4_T5_T6_T7_T9_mT8_P12ihipStream_tbDpT10_ENKUlT_T0_E_clISt17integral_constantIbLb1EES15_IbLb0EEEEDaS11_S12_EUlS11_E_NS1_11comp_targetILNS1_3genE8ELNS1_11target_archE1030ELNS1_3gpuE2ELNS1_3repE0EEENS1_30default_config_static_selectorELNS0_4arch9wavefront6targetE1EEEvT1_
	.p2align	8
	.type	_ZN7rocprim17ROCPRIM_400000_NS6detail17trampoline_kernelINS0_14default_configENS1_25partition_config_selectorILNS1_17partition_subalgoE8ElNS0_10empty_typeEbEEZZNS1_14partition_implILS5_8ELb0ES3_jPKlPS6_PKS6_NS0_5tupleIJPlS6_EEENSE_IJSB_SB_EEENS0_18inequality_wrapperIN6hipcub16HIPCUB_304000_NS8EqualityEEESF_JS6_EEE10hipError_tPvRmT3_T4_T5_T6_T7_T9_mT8_P12ihipStream_tbDpT10_ENKUlT_T0_E_clISt17integral_constantIbLb1EES15_IbLb0EEEEDaS11_S12_EUlS11_E_NS1_11comp_targetILNS1_3genE8ELNS1_11target_archE1030ELNS1_3gpuE2ELNS1_3repE0EEENS1_30default_config_static_selectorELNS0_4arch9wavefront6targetE1EEEvT1_,@function
_ZN7rocprim17ROCPRIM_400000_NS6detail17trampoline_kernelINS0_14default_configENS1_25partition_config_selectorILNS1_17partition_subalgoE8ElNS0_10empty_typeEbEEZZNS1_14partition_implILS5_8ELb0ES3_jPKlPS6_PKS6_NS0_5tupleIJPlS6_EEENSE_IJSB_SB_EEENS0_18inequality_wrapperIN6hipcub16HIPCUB_304000_NS8EqualityEEESF_JS6_EEE10hipError_tPvRmT3_T4_T5_T6_T7_T9_mT8_P12ihipStream_tbDpT10_ENKUlT_T0_E_clISt17integral_constantIbLb1EES15_IbLb0EEEEDaS11_S12_EUlS11_E_NS1_11comp_targetILNS1_3genE8ELNS1_11target_archE1030ELNS1_3gpuE2ELNS1_3repE0EEENS1_30default_config_static_selectorELNS0_4arch9wavefront6targetE1EEEvT1_: ; @_ZN7rocprim17ROCPRIM_400000_NS6detail17trampoline_kernelINS0_14default_configENS1_25partition_config_selectorILNS1_17partition_subalgoE8ElNS0_10empty_typeEbEEZZNS1_14partition_implILS5_8ELb0ES3_jPKlPS6_PKS6_NS0_5tupleIJPlS6_EEENSE_IJSB_SB_EEENS0_18inequality_wrapperIN6hipcub16HIPCUB_304000_NS8EqualityEEESF_JS6_EEE10hipError_tPvRmT3_T4_T5_T6_T7_T9_mT8_P12ihipStream_tbDpT10_ENKUlT_T0_E_clISt17integral_constantIbLb1EES15_IbLb0EEEEDaS11_S12_EUlS11_E_NS1_11comp_targetILNS1_3genE8ELNS1_11target_archE1030ELNS1_3gpuE2ELNS1_3repE0EEENS1_30default_config_static_selectorELNS0_4arch9wavefront6targetE1EEEvT1_
; %bb.0:
	.section	.rodata,"a",@progbits
	.p2align	6, 0x0
	.amdhsa_kernel _ZN7rocprim17ROCPRIM_400000_NS6detail17trampoline_kernelINS0_14default_configENS1_25partition_config_selectorILNS1_17partition_subalgoE8ElNS0_10empty_typeEbEEZZNS1_14partition_implILS5_8ELb0ES3_jPKlPS6_PKS6_NS0_5tupleIJPlS6_EEENSE_IJSB_SB_EEENS0_18inequality_wrapperIN6hipcub16HIPCUB_304000_NS8EqualityEEESF_JS6_EEE10hipError_tPvRmT3_T4_T5_T6_T7_T9_mT8_P12ihipStream_tbDpT10_ENKUlT_T0_E_clISt17integral_constantIbLb1EES15_IbLb0EEEEDaS11_S12_EUlS11_E_NS1_11comp_targetILNS1_3genE8ELNS1_11target_archE1030ELNS1_3gpuE2ELNS1_3repE0EEENS1_30default_config_static_selectorELNS0_4arch9wavefront6targetE1EEEvT1_
		.amdhsa_group_segment_fixed_size 0
		.amdhsa_private_segment_fixed_size 0
		.amdhsa_kernarg_size 112
		.amdhsa_user_sgpr_count 2
		.amdhsa_user_sgpr_dispatch_ptr 0
		.amdhsa_user_sgpr_queue_ptr 0
		.amdhsa_user_sgpr_kernarg_segment_ptr 1
		.amdhsa_user_sgpr_dispatch_id 0
		.amdhsa_user_sgpr_kernarg_preload_length 0
		.amdhsa_user_sgpr_kernarg_preload_offset 0
		.amdhsa_user_sgpr_private_segment_size 0
		.amdhsa_uses_dynamic_stack 0
		.amdhsa_enable_private_segment 0
		.amdhsa_system_sgpr_workgroup_id_x 1
		.amdhsa_system_sgpr_workgroup_id_y 0
		.amdhsa_system_sgpr_workgroup_id_z 0
		.amdhsa_system_sgpr_workgroup_info 0
		.amdhsa_system_vgpr_workitem_id 0
		.amdhsa_next_free_vgpr 1
		.amdhsa_next_free_sgpr 0
		.amdhsa_accum_offset 4
		.amdhsa_reserve_vcc 0
		.amdhsa_float_round_mode_32 0
		.amdhsa_float_round_mode_16_64 0
		.amdhsa_float_denorm_mode_32 3
		.amdhsa_float_denorm_mode_16_64 3
		.amdhsa_dx10_clamp 1
		.amdhsa_ieee_mode 1
		.amdhsa_fp16_overflow 0
		.amdhsa_tg_split 0
		.amdhsa_exception_fp_ieee_invalid_op 0
		.amdhsa_exception_fp_denorm_src 0
		.amdhsa_exception_fp_ieee_div_zero 0
		.amdhsa_exception_fp_ieee_overflow 0
		.amdhsa_exception_fp_ieee_underflow 0
		.amdhsa_exception_fp_ieee_inexact 0
		.amdhsa_exception_int_div_zero 0
	.end_amdhsa_kernel
	.section	.text._ZN7rocprim17ROCPRIM_400000_NS6detail17trampoline_kernelINS0_14default_configENS1_25partition_config_selectorILNS1_17partition_subalgoE8ElNS0_10empty_typeEbEEZZNS1_14partition_implILS5_8ELb0ES3_jPKlPS6_PKS6_NS0_5tupleIJPlS6_EEENSE_IJSB_SB_EEENS0_18inequality_wrapperIN6hipcub16HIPCUB_304000_NS8EqualityEEESF_JS6_EEE10hipError_tPvRmT3_T4_T5_T6_T7_T9_mT8_P12ihipStream_tbDpT10_ENKUlT_T0_E_clISt17integral_constantIbLb1EES15_IbLb0EEEEDaS11_S12_EUlS11_E_NS1_11comp_targetILNS1_3genE8ELNS1_11target_archE1030ELNS1_3gpuE2ELNS1_3repE0EEENS1_30default_config_static_selectorELNS0_4arch9wavefront6targetE1EEEvT1_,"axG",@progbits,_ZN7rocprim17ROCPRIM_400000_NS6detail17trampoline_kernelINS0_14default_configENS1_25partition_config_selectorILNS1_17partition_subalgoE8ElNS0_10empty_typeEbEEZZNS1_14partition_implILS5_8ELb0ES3_jPKlPS6_PKS6_NS0_5tupleIJPlS6_EEENSE_IJSB_SB_EEENS0_18inequality_wrapperIN6hipcub16HIPCUB_304000_NS8EqualityEEESF_JS6_EEE10hipError_tPvRmT3_T4_T5_T6_T7_T9_mT8_P12ihipStream_tbDpT10_ENKUlT_T0_E_clISt17integral_constantIbLb1EES15_IbLb0EEEEDaS11_S12_EUlS11_E_NS1_11comp_targetILNS1_3genE8ELNS1_11target_archE1030ELNS1_3gpuE2ELNS1_3repE0EEENS1_30default_config_static_selectorELNS0_4arch9wavefront6targetE1EEEvT1_,comdat
.Lfunc_end502:
	.size	_ZN7rocprim17ROCPRIM_400000_NS6detail17trampoline_kernelINS0_14default_configENS1_25partition_config_selectorILNS1_17partition_subalgoE8ElNS0_10empty_typeEbEEZZNS1_14partition_implILS5_8ELb0ES3_jPKlPS6_PKS6_NS0_5tupleIJPlS6_EEENSE_IJSB_SB_EEENS0_18inequality_wrapperIN6hipcub16HIPCUB_304000_NS8EqualityEEESF_JS6_EEE10hipError_tPvRmT3_T4_T5_T6_T7_T9_mT8_P12ihipStream_tbDpT10_ENKUlT_T0_E_clISt17integral_constantIbLb1EES15_IbLb0EEEEDaS11_S12_EUlS11_E_NS1_11comp_targetILNS1_3genE8ELNS1_11target_archE1030ELNS1_3gpuE2ELNS1_3repE0EEENS1_30default_config_static_selectorELNS0_4arch9wavefront6targetE1EEEvT1_, .Lfunc_end502-_ZN7rocprim17ROCPRIM_400000_NS6detail17trampoline_kernelINS0_14default_configENS1_25partition_config_selectorILNS1_17partition_subalgoE8ElNS0_10empty_typeEbEEZZNS1_14partition_implILS5_8ELb0ES3_jPKlPS6_PKS6_NS0_5tupleIJPlS6_EEENSE_IJSB_SB_EEENS0_18inequality_wrapperIN6hipcub16HIPCUB_304000_NS8EqualityEEESF_JS6_EEE10hipError_tPvRmT3_T4_T5_T6_T7_T9_mT8_P12ihipStream_tbDpT10_ENKUlT_T0_E_clISt17integral_constantIbLb1EES15_IbLb0EEEEDaS11_S12_EUlS11_E_NS1_11comp_targetILNS1_3genE8ELNS1_11target_archE1030ELNS1_3gpuE2ELNS1_3repE0EEENS1_30default_config_static_selectorELNS0_4arch9wavefront6targetE1EEEvT1_
                                        ; -- End function
	.section	.AMDGPU.csdata,"",@progbits
; Kernel info:
; codeLenInByte = 0
; NumSgprs: 6
; NumVgprs: 0
; NumAgprs: 0
; TotalNumVgprs: 0
; ScratchSize: 0
; MemoryBound: 0
; FloatMode: 240
; IeeeMode: 1
; LDSByteSize: 0 bytes/workgroup (compile time only)
; SGPRBlocks: 0
; VGPRBlocks: 0
; NumSGPRsForWavesPerEU: 6
; NumVGPRsForWavesPerEU: 1
; AccumOffset: 4
; Occupancy: 8
; WaveLimiterHint : 0
; COMPUTE_PGM_RSRC2:SCRATCH_EN: 0
; COMPUTE_PGM_RSRC2:USER_SGPR: 2
; COMPUTE_PGM_RSRC2:TRAP_HANDLER: 0
; COMPUTE_PGM_RSRC2:TGID_X_EN: 1
; COMPUTE_PGM_RSRC2:TGID_Y_EN: 0
; COMPUTE_PGM_RSRC2:TGID_Z_EN: 0
; COMPUTE_PGM_RSRC2:TIDIG_COMP_CNT: 0
; COMPUTE_PGM_RSRC3_GFX90A:ACCUM_OFFSET: 0
; COMPUTE_PGM_RSRC3_GFX90A:TG_SPLIT: 0
	.section	.text._ZN7rocprim17ROCPRIM_400000_NS6detail17trampoline_kernelINS0_14default_configENS1_25partition_config_selectorILNS1_17partition_subalgoE8ElNS0_10empty_typeEbEEZZNS1_14partition_implILS5_8ELb0ES3_jPKlPS6_PKS6_NS0_5tupleIJPlS6_EEENSE_IJSB_SB_EEENS0_18inequality_wrapperIN6hipcub16HIPCUB_304000_NS8EqualityEEESF_JS6_EEE10hipError_tPvRmT3_T4_T5_T6_T7_T9_mT8_P12ihipStream_tbDpT10_ENKUlT_T0_E_clISt17integral_constantIbLb0EES15_IbLb1EEEEDaS11_S12_EUlS11_E_NS1_11comp_targetILNS1_3genE0ELNS1_11target_archE4294967295ELNS1_3gpuE0ELNS1_3repE0EEENS1_30default_config_static_selectorELNS0_4arch9wavefront6targetE1EEEvT1_,"axG",@progbits,_ZN7rocprim17ROCPRIM_400000_NS6detail17trampoline_kernelINS0_14default_configENS1_25partition_config_selectorILNS1_17partition_subalgoE8ElNS0_10empty_typeEbEEZZNS1_14partition_implILS5_8ELb0ES3_jPKlPS6_PKS6_NS0_5tupleIJPlS6_EEENSE_IJSB_SB_EEENS0_18inequality_wrapperIN6hipcub16HIPCUB_304000_NS8EqualityEEESF_JS6_EEE10hipError_tPvRmT3_T4_T5_T6_T7_T9_mT8_P12ihipStream_tbDpT10_ENKUlT_T0_E_clISt17integral_constantIbLb0EES15_IbLb1EEEEDaS11_S12_EUlS11_E_NS1_11comp_targetILNS1_3genE0ELNS1_11target_archE4294967295ELNS1_3gpuE0ELNS1_3repE0EEENS1_30default_config_static_selectorELNS0_4arch9wavefront6targetE1EEEvT1_,comdat
	.protected	_ZN7rocprim17ROCPRIM_400000_NS6detail17trampoline_kernelINS0_14default_configENS1_25partition_config_selectorILNS1_17partition_subalgoE8ElNS0_10empty_typeEbEEZZNS1_14partition_implILS5_8ELb0ES3_jPKlPS6_PKS6_NS0_5tupleIJPlS6_EEENSE_IJSB_SB_EEENS0_18inequality_wrapperIN6hipcub16HIPCUB_304000_NS8EqualityEEESF_JS6_EEE10hipError_tPvRmT3_T4_T5_T6_T7_T9_mT8_P12ihipStream_tbDpT10_ENKUlT_T0_E_clISt17integral_constantIbLb0EES15_IbLb1EEEEDaS11_S12_EUlS11_E_NS1_11comp_targetILNS1_3genE0ELNS1_11target_archE4294967295ELNS1_3gpuE0ELNS1_3repE0EEENS1_30default_config_static_selectorELNS0_4arch9wavefront6targetE1EEEvT1_ ; -- Begin function _ZN7rocprim17ROCPRIM_400000_NS6detail17trampoline_kernelINS0_14default_configENS1_25partition_config_selectorILNS1_17partition_subalgoE8ElNS0_10empty_typeEbEEZZNS1_14partition_implILS5_8ELb0ES3_jPKlPS6_PKS6_NS0_5tupleIJPlS6_EEENSE_IJSB_SB_EEENS0_18inequality_wrapperIN6hipcub16HIPCUB_304000_NS8EqualityEEESF_JS6_EEE10hipError_tPvRmT3_T4_T5_T6_T7_T9_mT8_P12ihipStream_tbDpT10_ENKUlT_T0_E_clISt17integral_constantIbLb0EES15_IbLb1EEEEDaS11_S12_EUlS11_E_NS1_11comp_targetILNS1_3genE0ELNS1_11target_archE4294967295ELNS1_3gpuE0ELNS1_3repE0EEENS1_30default_config_static_selectorELNS0_4arch9wavefront6targetE1EEEvT1_
	.globl	_ZN7rocprim17ROCPRIM_400000_NS6detail17trampoline_kernelINS0_14default_configENS1_25partition_config_selectorILNS1_17partition_subalgoE8ElNS0_10empty_typeEbEEZZNS1_14partition_implILS5_8ELb0ES3_jPKlPS6_PKS6_NS0_5tupleIJPlS6_EEENSE_IJSB_SB_EEENS0_18inequality_wrapperIN6hipcub16HIPCUB_304000_NS8EqualityEEESF_JS6_EEE10hipError_tPvRmT3_T4_T5_T6_T7_T9_mT8_P12ihipStream_tbDpT10_ENKUlT_T0_E_clISt17integral_constantIbLb0EES15_IbLb1EEEEDaS11_S12_EUlS11_E_NS1_11comp_targetILNS1_3genE0ELNS1_11target_archE4294967295ELNS1_3gpuE0ELNS1_3repE0EEENS1_30default_config_static_selectorELNS0_4arch9wavefront6targetE1EEEvT1_
	.p2align	8
	.type	_ZN7rocprim17ROCPRIM_400000_NS6detail17trampoline_kernelINS0_14default_configENS1_25partition_config_selectorILNS1_17partition_subalgoE8ElNS0_10empty_typeEbEEZZNS1_14partition_implILS5_8ELb0ES3_jPKlPS6_PKS6_NS0_5tupleIJPlS6_EEENSE_IJSB_SB_EEENS0_18inequality_wrapperIN6hipcub16HIPCUB_304000_NS8EqualityEEESF_JS6_EEE10hipError_tPvRmT3_T4_T5_T6_T7_T9_mT8_P12ihipStream_tbDpT10_ENKUlT_T0_E_clISt17integral_constantIbLb0EES15_IbLb1EEEEDaS11_S12_EUlS11_E_NS1_11comp_targetILNS1_3genE0ELNS1_11target_archE4294967295ELNS1_3gpuE0ELNS1_3repE0EEENS1_30default_config_static_selectorELNS0_4arch9wavefront6targetE1EEEvT1_,@function
_ZN7rocprim17ROCPRIM_400000_NS6detail17trampoline_kernelINS0_14default_configENS1_25partition_config_selectorILNS1_17partition_subalgoE8ElNS0_10empty_typeEbEEZZNS1_14partition_implILS5_8ELb0ES3_jPKlPS6_PKS6_NS0_5tupleIJPlS6_EEENSE_IJSB_SB_EEENS0_18inequality_wrapperIN6hipcub16HIPCUB_304000_NS8EqualityEEESF_JS6_EEE10hipError_tPvRmT3_T4_T5_T6_T7_T9_mT8_P12ihipStream_tbDpT10_ENKUlT_T0_E_clISt17integral_constantIbLb0EES15_IbLb1EEEEDaS11_S12_EUlS11_E_NS1_11comp_targetILNS1_3genE0ELNS1_11target_archE4294967295ELNS1_3gpuE0ELNS1_3repE0EEENS1_30default_config_static_selectorELNS0_4arch9wavefront6targetE1EEEvT1_: ; @_ZN7rocprim17ROCPRIM_400000_NS6detail17trampoline_kernelINS0_14default_configENS1_25partition_config_selectorILNS1_17partition_subalgoE8ElNS0_10empty_typeEbEEZZNS1_14partition_implILS5_8ELb0ES3_jPKlPS6_PKS6_NS0_5tupleIJPlS6_EEENSE_IJSB_SB_EEENS0_18inequality_wrapperIN6hipcub16HIPCUB_304000_NS8EqualityEEESF_JS6_EEE10hipError_tPvRmT3_T4_T5_T6_T7_T9_mT8_P12ihipStream_tbDpT10_ENKUlT_T0_E_clISt17integral_constantIbLb0EES15_IbLb1EEEEDaS11_S12_EUlS11_E_NS1_11comp_targetILNS1_3genE0ELNS1_11target_archE4294967295ELNS1_3gpuE0ELNS1_3repE0EEENS1_30default_config_static_selectorELNS0_4arch9wavefront6targetE1EEEvT1_
; %bb.0:
	.section	.rodata,"a",@progbits
	.p2align	6, 0x0
	.amdhsa_kernel _ZN7rocprim17ROCPRIM_400000_NS6detail17trampoline_kernelINS0_14default_configENS1_25partition_config_selectorILNS1_17partition_subalgoE8ElNS0_10empty_typeEbEEZZNS1_14partition_implILS5_8ELb0ES3_jPKlPS6_PKS6_NS0_5tupleIJPlS6_EEENSE_IJSB_SB_EEENS0_18inequality_wrapperIN6hipcub16HIPCUB_304000_NS8EqualityEEESF_JS6_EEE10hipError_tPvRmT3_T4_T5_T6_T7_T9_mT8_P12ihipStream_tbDpT10_ENKUlT_T0_E_clISt17integral_constantIbLb0EES15_IbLb1EEEEDaS11_S12_EUlS11_E_NS1_11comp_targetILNS1_3genE0ELNS1_11target_archE4294967295ELNS1_3gpuE0ELNS1_3repE0EEENS1_30default_config_static_selectorELNS0_4arch9wavefront6targetE1EEEvT1_
		.amdhsa_group_segment_fixed_size 0
		.amdhsa_private_segment_fixed_size 0
		.amdhsa_kernarg_size 128
		.amdhsa_user_sgpr_count 2
		.amdhsa_user_sgpr_dispatch_ptr 0
		.amdhsa_user_sgpr_queue_ptr 0
		.amdhsa_user_sgpr_kernarg_segment_ptr 1
		.amdhsa_user_sgpr_dispatch_id 0
		.amdhsa_user_sgpr_kernarg_preload_length 0
		.amdhsa_user_sgpr_kernarg_preload_offset 0
		.amdhsa_user_sgpr_private_segment_size 0
		.amdhsa_uses_dynamic_stack 0
		.amdhsa_enable_private_segment 0
		.amdhsa_system_sgpr_workgroup_id_x 1
		.amdhsa_system_sgpr_workgroup_id_y 0
		.amdhsa_system_sgpr_workgroup_id_z 0
		.amdhsa_system_sgpr_workgroup_info 0
		.amdhsa_system_vgpr_workitem_id 0
		.amdhsa_next_free_vgpr 1
		.amdhsa_next_free_sgpr 0
		.amdhsa_accum_offset 4
		.amdhsa_reserve_vcc 0
		.amdhsa_float_round_mode_32 0
		.amdhsa_float_round_mode_16_64 0
		.amdhsa_float_denorm_mode_32 3
		.amdhsa_float_denorm_mode_16_64 3
		.amdhsa_dx10_clamp 1
		.amdhsa_ieee_mode 1
		.amdhsa_fp16_overflow 0
		.amdhsa_tg_split 0
		.amdhsa_exception_fp_ieee_invalid_op 0
		.amdhsa_exception_fp_denorm_src 0
		.amdhsa_exception_fp_ieee_div_zero 0
		.amdhsa_exception_fp_ieee_overflow 0
		.amdhsa_exception_fp_ieee_underflow 0
		.amdhsa_exception_fp_ieee_inexact 0
		.amdhsa_exception_int_div_zero 0
	.end_amdhsa_kernel
	.section	.text._ZN7rocprim17ROCPRIM_400000_NS6detail17trampoline_kernelINS0_14default_configENS1_25partition_config_selectorILNS1_17partition_subalgoE8ElNS0_10empty_typeEbEEZZNS1_14partition_implILS5_8ELb0ES3_jPKlPS6_PKS6_NS0_5tupleIJPlS6_EEENSE_IJSB_SB_EEENS0_18inequality_wrapperIN6hipcub16HIPCUB_304000_NS8EqualityEEESF_JS6_EEE10hipError_tPvRmT3_T4_T5_T6_T7_T9_mT8_P12ihipStream_tbDpT10_ENKUlT_T0_E_clISt17integral_constantIbLb0EES15_IbLb1EEEEDaS11_S12_EUlS11_E_NS1_11comp_targetILNS1_3genE0ELNS1_11target_archE4294967295ELNS1_3gpuE0ELNS1_3repE0EEENS1_30default_config_static_selectorELNS0_4arch9wavefront6targetE1EEEvT1_,"axG",@progbits,_ZN7rocprim17ROCPRIM_400000_NS6detail17trampoline_kernelINS0_14default_configENS1_25partition_config_selectorILNS1_17partition_subalgoE8ElNS0_10empty_typeEbEEZZNS1_14partition_implILS5_8ELb0ES3_jPKlPS6_PKS6_NS0_5tupleIJPlS6_EEENSE_IJSB_SB_EEENS0_18inequality_wrapperIN6hipcub16HIPCUB_304000_NS8EqualityEEESF_JS6_EEE10hipError_tPvRmT3_T4_T5_T6_T7_T9_mT8_P12ihipStream_tbDpT10_ENKUlT_T0_E_clISt17integral_constantIbLb0EES15_IbLb1EEEEDaS11_S12_EUlS11_E_NS1_11comp_targetILNS1_3genE0ELNS1_11target_archE4294967295ELNS1_3gpuE0ELNS1_3repE0EEENS1_30default_config_static_selectorELNS0_4arch9wavefront6targetE1EEEvT1_,comdat
.Lfunc_end503:
	.size	_ZN7rocprim17ROCPRIM_400000_NS6detail17trampoline_kernelINS0_14default_configENS1_25partition_config_selectorILNS1_17partition_subalgoE8ElNS0_10empty_typeEbEEZZNS1_14partition_implILS5_8ELb0ES3_jPKlPS6_PKS6_NS0_5tupleIJPlS6_EEENSE_IJSB_SB_EEENS0_18inequality_wrapperIN6hipcub16HIPCUB_304000_NS8EqualityEEESF_JS6_EEE10hipError_tPvRmT3_T4_T5_T6_T7_T9_mT8_P12ihipStream_tbDpT10_ENKUlT_T0_E_clISt17integral_constantIbLb0EES15_IbLb1EEEEDaS11_S12_EUlS11_E_NS1_11comp_targetILNS1_3genE0ELNS1_11target_archE4294967295ELNS1_3gpuE0ELNS1_3repE0EEENS1_30default_config_static_selectorELNS0_4arch9wavefront6targetE1EEEvT1_, .Lfunc_end503-_ZN7rocprim17ROCPRIM_400000_NS6detail17trampoline_kernelINS0_14default_configENS1_25partition_config_selectorILNS1_17partition_subalgoE8ElNS0_10empty_typeEbEEZZNS1_14partition_implILS5_8ELb0ES3_jPKlPS6_PKS6_NS0_5tupleIJPlS6_EEENSE_IJSB_SB_EEENS0_18inequality_wrapperIN6hipcub16HIPCUB_304000_NS8EqualityEEESF_JS6_EEE10hipError_tPvRmT3_T4_T5_T6_T7_T9_mT8_P12ihipStream_tbDpT10_ENKUlT_T0_E_clISt17integral_constantIbLb0EES15_IbLb1EEEEDaS11_S12_EUlS11_E_NS1_11comp_targetILNS1_3genE0ELNS1_11target_archE4294967295ELNS1_3gpuE0ELNS1_3repE0EEENS1_30default_config_static_selectorELNS0_4arch9wavefront6targetE1EEEvT1_
                                        ; -- End function
	.section	.AMDGPU.csdata,"",@progbits
; Kernel info:
; codeLenInByte = 0
; NumSgprs: 6
; NumVgprs: 0
; NumAgprs: 0
; TotalNumVgprs: 0
; ScratchSize: 0
; MemoryBound: 0
; FloatMode: 240
; IeeeMode: 1
; LDSByteSize: 0 bytes/workgroup (compile time only)
; SGPRBlocks: 0
; VGPRBlocks: 0
; NumSGPRsForWavesPerEU: 6
; NumVGPRsForWavesPerEU: 1
; AccumOffset: 4
; Occupancy: 8
; WaveLimiterHint : 0
; COMPUTE_PGM_RSRC2:SCRATCH_EN: 0
; COMPUTE_PGM_RSRC2:USER_SGPR: 2
; COMPUTE_PGM_RSRC2:TRAP_HANDLER: 0
; COMPUTE_PGM_RSRC2:TGID_X_EN: 1
; COMPUTE_PGM_RSRC2:TGID_Y_EN: 0
; COMPUTE_PGM_RSRC2:TGID_Z_EN: 0
; COMPUTE_PGM_RSRC2:TIDIG_COMP_CNT: 0
; COMPUTE_PGM_RSRC3_GFX90A:ACCUM_OFFSET: 0
; COMPUTE_PGM_RSRC3_GFX90A:TG_SPLIT: 0
	.section	.text._ZN7rocprim17ROCPRIM_400000_NS6detail17trampoline_kernelINS0_14default_configENS1_25partition_config_selectorILNS1_17partition_subalgoE8ElNS0_10empty_typeEbEEZZNS1_14partition_implILS5_8ELb0ES3_jPKlPS6_PKS6_NS0_5tupleIJPlS6_EEENSE_IJSB_SB_EEENS0_18inequality_wrapperIN6hipcub16HIPCUB_304000_NS8EqualityEEESF_JS6_EEE10hipError_tPvRmT3_T4_T5_T6_T7_T9_mT8_P12ihipStream_tbDpT10_ENKUlT_T0_E_clISt17integral_constantIbLb0EES15_IbLb1EEEEDaS11_S12_EUlS11_E_NS1_11comp_targetILNS1_3genE5ELNS1_11target_archE942ELNS1_3gpuE9ELNS1_3repE0EEENS1_30default_config_static_selectorELNS0_4arch9wavefront6targetE1EEEvT1_,"axG",@progbits,_ZN7rocprim17ROCPRIM_400000_NS6detail17trampoline_kernelINS0_14default_configENS1_25partition_config_selectorILNS1_17partition_subalgoE8ElNS0_10empty_typeEbEEZZNS1_14partition_implILS5_8ELb0ES3_jPKlPS6_PKS6_NS0_5tupleIJPlS6_EEENSE_IJSB_SB_EEENS0_18inequality_wrapperIN6hipcub16HIPCUB_304000_NS8EqualityEEESF_JS6_EEE10hipError_tPvRmT3_T4_T5_T6_T7_T9_mT8_P12ihipStream_tbDpT10_ENKUlT_T0_E_clISt17integral_constantIbLb0EES15_IbLb1EEEEDaS11_S12_EUlS11_E_NS1_11comp_targetILNS1_3genE5ELNS1_11target_archE942ELNS1_3gpuE9ELNS1_3repE0EEENS1_30default_config_static_selectorELNS0_4arch9wavefront6targetE1EEEvT1_,comdat
	.protected	_ZN7rocprim17ROCPRIM_400000_NS6detail17trampoline_kernelINS0_14default_configENS1_25partition_config_selectorILNS1_17partition_subalgoE8ElNS0_10empty_typeEbEEZZNS1_14partition_implILS5_8ELb0ES3_jPKlPS6_PKS6_NS0_5tupleIJPlS6_EEENSE_IJSB_SB_EEENS0_18inequality_wrapperIN6hipcub16HIPCUB_304000_NS8EqualityEEESF_JS6_EEE10hipError_tPvRmT3_T4_T5_T6_T7_T9_mT8_P12ihipStream_tbDpT10_ENKUlT_T0_E_clISt17integral_constantIbLb0EES15_IbLb1EEEEDaS11_S12_EUlS11_E_NS1_11comp_targetILNS1_3genE5ELNS1_11target_archE942ELNS1_3gpuE9ELNS1_3repE0EEENS1_30default_config_static_selectorELNS0_4arch9wavefront6targetE1EEEvT1_ ; -- Begin function _ZN7rocprim17ROCPRIM_400000_NS6detail17trampoline_kernelINS0_14default_configENS1_25partition_config_selectorILNS1_17partition_subalgoE8ElNS0_10empty_typeEbEEZZNS1_14partition_implILS5_8ELb0ES3_jPKlPS6_PKS6_NS0_5tupleIJPlS6_EEENSE_IJSB_SB_EEENS0_18inequality_wrapperIN6hipcub16HIPCUB_304000_NS8EqualityEEESF_JS6_EEE10hipError_tPvRmT3_T4_T5_T6_T7_T9_mT8_P12ihipStream_tbDpT10_ENKUlT_T0_E_clISt17integral_constantIbLb0EES15_IbLb1EEEEDaS11_S12_EUlS11_E_NS1_11comp_targetILNS1_3genE5ELNS1_11target_archE942ELNS1_3gpuE9ELNS1_3repE0EEENS1_30default_config_static_selectorELNS0_4arch9wavefront6targetE1EEEvT1_
	.globl	_ZN7rocprim17ROCPRIM_400000_NS6detail17trampoline_kernelINS0_14default_configENS1_25partition_config_selectorILNS1_17partition_subalgoE8ElNS0_10empty_typeEbEEZZNS1_14partition_implILS5_8ELb0ES3_jPKlPS6_PKS6_NS0_5tupleIJPlS6_EEENSE_IJSB_SB_EEENS0_18inequality_wrapperIN6hipcub16HIPCUB_304000_NS8EqualityEEESF_JS6_EEE10hipError_tPvRmT3_T4_T5_T6_T7_T9_mT8_P12ihipStream_tbDpT10_ENKUlT_T0_E_clISt17integral_constantIbLb0EES15_IbLb1EEEEDaS11_S12_EUlS11_E_NS1_11comp_targetILNS1_3genE5ELNS1_11target_archE942ELNS1_3gpuE9ELNS1_3repE0EEENS1_30default_config_static_selectorELNS0_4arch9wavefront6targetE1EEEvT1_
	.p2align	8
	.type	_ZN7rocprim17ROCPRIM_400000_NS6detail17trampoline_kernelINS0_14default_configENS1_25partition_config_selectorILNS1_17partition_subalgoE8ElNS0_10empty_typeEbEEZZNS1_14partition_implILS5_8ELb0ES3_jPKlPS6_PKS6_NS0_5tupleIJPlS6_EEENSE_IJSB_SB_EEENS0_18inequality_wrapperIN6hipcub16HIPCUB_304000_NS8EqualityEEESF_JS6_EEE10hipError_tPvRmT3_T4_T5_T6_T7_T9_mT8_P12ihipStream_tbDpT10_ENKUlT_T0_E_clISt17integral_constantIbLb0EES15_IbLb1EEEEDaS11_S12_EUlS11_E_NS1_11comp_targetILNS1_3genE5ELNS1_11target_archE942ELNS1_3gpuE9ELNS1_3repE0EEENS1_30default_config_static_selectorELNS0_4arch9wavefront6targetE1EEEvT1_,@function
_ZN7rocprim17ROCPRIM_400000_NS6detail17trampoline_kernelINS0_14default_configENS1_25partition_config_selectorILNS1_17partition_subalgoE8ElNS0_10empty_typeEbEEZZNS1_14partition_implILS5_8ELb0ES3_jPKlPS6_PKS6_NS0_5tupleIJPlS6_EEENSE_IJSB_SB_EEENS0_18inequality_wrapperIN6hipcub16HIPCUB_304000_NS8EqualityEEESF_JS6_EEE10hipError_tPvRmT3_T4_T5_T6_T7_T9_mT8_P12ihipStream_tbDpT10_ENKUlT_T0_E_clISt17integral_constantIbLb0EES15_IbLb1EEEEDaS11_S12_EUlS11_E_NS1_11comp_targetILNS1_3genE5ELNS1_11target_archE942ELNS1_3gpuE9ELNS1_3repE0EEENS1_30default_config_static_selectorELNS0_4arch9wavefront6targetE1EEEvT1_: ; @_ZN7rocprim17ROCPRIM_400000_NS6detail17trampoline_kernelINS0_14default_configENS1_25partition_config_selectorILNS1_17partition_subalgoE8ElNS0_10empty_typeEbEEZZNS1_14partition_implILS5_8ELb0ES3_jPKlPS6_PKS6_NS0_5tupleIJPlS6_EEENSE_IJSB_SB_EEENS0_18inequality_wrapperIN6hipcub16HIPCUB_304000_NS8EqualityEEESF_JS6_EEE10hipError_tPvRmT3_T4_T5_T6_T7_T9_mT8_P12ihipStream_tbDpT10_ENKUlT_T0_E_clISt17integral_constantIbLb0EES15_IbLb1EEEEDaS11_S12_EUlS11_E_NS1_11comp_targetILNS1_3genE5ELNS1_11target_archE942ELNS1_3gpuE9ELNS1_3repE0EEENS1_30default_config_static_selectorELNS0_4arch9wavefront6targetE1EEEvT1_
; %bb.0:
	s_load_dwordx2 s[24:25], s[0:1], 0x28
	s_load_dwordx4 s[20:23], s[0:1], 0x40
	s_load_dwordx2 s[8:9], s[0:1], 0x50
	s_load_dwordx2 s[30:31], s[0:1], 0x60
	v_cmp_ne_u32_e64 s[2:3], 0, v0
	v_cmp_eq_u32_e64 s[18:19], 0, v0
	s_and_saveexec_b64 s[4:5], s[18:19]
	s_cbranch_execz .LBB504_4
; %bb.1:
	s_mov_b64 s[10:11], exec
	v_mbcnt_lo_u32_b32 v1, s10, 0
	v_mbcnt_hi_u32_b32 v1, s11, v1
	v_cmp_eq_u32_e32 vcc, 0, v1
                                        ; implicit-def: $vgpr2
	s_and_saveexec_b64 s[6:7], vcc
	s_cbranch_execz .LBB504_3
; %bb.2:
	s_load_dwordx2 s[12:13], s[0:1], 0x70
	s_bcnt1_i32_b64 s10, s[10:11]
	v_mov_b32_e32 v2, 0
	v_mov_b32_e32 v3, s10
	s_waitcnt lgkmcnt(0)
	global_atomic_add v2, v2, v3, s[12:13] sc0
.LBB504_3:
	s_or_b64 exec, exec, s[6:7]
	s_waitcnt vmcnt(0)
	v_readfirstlane_b32 s6, v2
	v_mov_b32_e32 v2, 0
	s_nop 0
	v_add_u32_e32 v1, s6, v1
	ds_write_b32 v2, v1
.LBB504_4:
	s_or_b64 exec, exec, s[4:5]
	v_mov_b32_e32 v3, 0
	s_load_dwordx4 s[4:7], s[0:1], 0x8
	s_load_dword s10, s[0:1], 0x68
	s_waitcnt lgkmcnt(0)
	s_barrier
	ds_read_b32 v1, v3
	s_waitcnt lgkmcnt(0)
	s_barrier
	global_load_dwordx2 v[4:5], v3, s[22:23]
	s_lshl_b64 s[12:13], s[6:7], 3
	v_mov_b32_e32 v7, s9
	s_mul_i32 s9, s10, 0xe00
	s_add_u32 s4, s4, s12
	s_addc_u32 s5, s5, s13
	s_add_i32 s12, s9, s6
	s_add_i32 s10, s10, -1
	s_sub_i32 s36, s8, s12
	v_mov_b32_e32 v6, s8
	s_add_u32 s8, s6, s9
	s_addc_u32 s9, s7, 0
	v_readfirstlane_b32 s33, v1
	s_cmp_eq_u32 s33, s10
	s_movk_i32 s11, 0xe00
	v_cmp_ge_u64_e32 vcc, s[8:9], v[6:7]
	s_cselect_b64 s[26:27], -1, 0
	v_mul_lo_u32 v2, v1, s11
	s_and_b64 s[14:15], vcc, s[26:27]
	v_lshlrev_b64 v[6:7], 3, v[2:3]
	s_xor_b64 s[28:29], s[14:15], -1
	s_mov_b64 s[0:1], -1
	v_lshl_add_u64 v[18:19], s[4:5], 0, v[6:7]
	s_and_b64 vcc, exec, s[28:29]
	s_waitcnt vmcnt(0)
	v_readfirstlane_b32 s22, v4
	v_readfirstlane_b32 s23, v5
	s_cbranch_vccz .LBB504_6
; %bb.5:
	v_lshlrev_b32_e32 v2, 3, v0
	v_lshl_add_u64 v[4:5], v[18:19], 0, v[2:3]
	v_add_co_u32_e32 v8, vcc, 0x1000, v4
	v_readfirstlane_b32 s0, v18
	s_nop 0
	v_addc_co_u32_e32 v9, vcc, 0, v5, vcc
	v_add_co_u32_e32 v10, vcc, 0x2000, v4
	v_readfirstlane_b32 s1, v19
	s_nop 0
	v_addc_co_u32_e32 v11, vcc, 0, v5, vcc
	v_add_co_u32_e32 v12, vcc, 0x3000, v4
	s_nop 1
	v_addc_co_u32_e32 v13, vcc, 0, v5, vcc
	v_add_co_u32_e32 v14, vcc, 0x4000, v4
	global_load_dwordx2 v[6:7], v2, s[0:1]
	s_nop 0
	v_addc_co_u32_e32 v15, vcc, 0, v5, vcc
	global_load_dwordx2 v[16:17], v[8:9], off
	global_load_dwordx2 v[20:21], v[10:11], off
	;; [unrolled: 1-line block ×4, first 2 shown]
	v_add_co_u32_e32 v8, vcc, 0x5000, v4
	s_mov_b64 s[0:1], 0
	s_nop 0
	v_addc_co_u32_e32 v9, vcc, 0, v5, vcc
	v_add_co_u32_e32 v4, vcc, 0x6000, v4
	global_load_dwordx2 v[8:9], v[8:9], off
	s_nop 0
	v_addc_co_u32_e32 v5, vcc, 0, v5, vcc
	global_load_dwordx2 v[4:5], v[4:5], off
	s_waitcnt vmcnt(5)
	ds_write2st64_b64 v2, v[6:7], v[16:17] offset1:8
	s_waitcnt vmcnt(3)
	ds_write2st64_b64 v2, v[20:21], v[22:23] offset0:16 offset1:24
	s_waitcnt vmcnt(1)
	ds_write2st64_b64 v2, v[24:25], v[8:9] offset0:32 offset1:40
	s_waitcnt vmcnt(0)
	ds_write_b64 v2, v[4:5] offset:24576
	s_waitcnt lgkmcnt(0)
	s_barrier
.LBB504_6:
	s_andn2_b64 vcc, exec, s[0:1]
	s_addk_i32 s36, 0xe00
	s_cbranch_vccnz .LBB504_22
; %bb.7:
	v_cmp_gt_u32_e32 vcc, s36, v0
                                        ; implicit-def: $vgpr2_vgpr3_vgpr4_vgpr5_vgpr6_vgpr7_vgpr8_vgpr9_vgpr10_vgpr11_vgpr12_vgpr13_vgpr14_vgpr15_vgpr16_vgpr17
	s_and_saveexec_b64 s[0:1], vcc
	s_cbranch_execz .LBB504_9
; %bb.8:
	v_lshlrev_b32_e32 v1, 3, v0
	v_readfirstlane_b32 s4, v18
	v_readfirstlane_b32 s5, v19
	s_nop 4
	global_load_dwordx2 v[2:3], v1, s[4:5]
.LBB504_9:
	s_or_b64 exec, exec, s[0:1]
	v_or_b32_e32 v1, 0x200, v0
	v_cmp_gt_u32_e32 vcc, s36, v1
	s_and_saveexec_b64 s[0:1], vcc
	s_cbranch_execz .LBB504_11
; %bb.10:
	v_lshlrev_b32_e32 v1, 3, v1
	v_readfirstlane_b32 s4, v18
	v_readfirstlane_b32 s5, v19
	s_nop 4
	global_load_dwordx2 v[4:5], v1, s[4:5]
.LBB504_11:
	s_or_b64 exec, exec, s[0:1]
	v_or_b32_e32 v1, 0x400, v0
	v_cmp_gt_u32_e32 vcc, s36, v1
	s_and_saveexec_b64 s[0:1], vcc
	s_cbranch_execz .LBB504_13
; %bb.12:
	v_lshlrev_b32_e32 v1, 3, v1
	v_readfirstlane_b32 s4, v18
	v_readfirstlane_b32 s5, v19
	s_nop 4
	global_load_dwordx2 v[6:7], v1, s[4:5]
.LBB504_13:
	s_or_b64 exec, exec, s[0:1]
	v_or_b32_e32 v1, 0x600, v0
	v_cmp_gt_u32_e32 vcc, s36, v1
	s_and_saveexec_b64 s[0:1], vcc
	s_cbranch_execz .LBB504_15
; %bb.14:
	v_lshlrev_b32_e32 v1, 3, v1
	v_readfirstlane_b32 s4, v18
	v_readfirstlane_b32 s5, v19
	s_nop 4
	global_load_dwordx2 v[8:9], v1, s[4:5]
.LBB504_15:
	s_or_b64 exec, exec, s[0:1]
	v_or_b32_e32 v1, 0x800, v0
	v_cmp_gt_u32_e32 vcc, s36, v1
	s_and_saveexec_b64 s[0:1], vcc
	s_cbranch_execz .LBB504_17
; %bb.16:
	v_lshlrev_b32_e32 v1, 3, v1
	v_readfirstlane_b32 s4, v18
	v_readfirstlane_b32 s5, v19
	s_nop 4
	global_load_dwordx2 v[10:11], v1, s[4:5]
.LBB504_17:
	s_or_b64 exec, exec, s[0:1]
	v_or_b32_e32 v1, 0xa00, v0
	v_cmp_gt_u32_e32 vcc, s36, v1
	s_and_saveexec_b64 s[0:1], vcc
	s_cbranch_execz .LBB504_19
; %bb.18:
	v_lshlrev_b32_e32 v1, 3, v1
	v_readfirstlane_b32 s4, v18
	v_readfirstlane_b32 s5, v19
	s_nop 4
	global_load_dwordx2 v[12:13], v1, s[4:5]
.LBB504_19:
	s_or_b64 exec, exec, s[0:1]
	v_or_b32_e32 v1, 0xc00, v0
	v_cmp_gt_u32_e32 vcc, s36, v1
	s_and_saveexec_b64 s[0:1], vcc
	s_cbranch_execz .LBB504_21
; %bb.20:
	v_lshlrev_b32_e32 v1, 3, v1
	v_readfirstlane_b32 s4, v18
	v_readfirstlane_b32 s5, v19
	s_nop 4
	global_load_dwordx2 v[14:15], v1, s[4:5]
.LBB504_21:
	s_or_b64 exec, exec, s[0:1]
	v_lshlrev_b32_e32 v1, 3, v0
	s_waitcnt vmcnt(0)
	ds_write2st64_b64 v1, v[2:3], v[4:5] offset1:8
	ds_write2st64_b64 v1, v[6:7], v[8:9] offset0:16 offset1:24
	ds_write2st64_b64 v1, v[10:11], v[12:13] offset0:32 offset1:40
	ds_write_b64 v1, v[14:15] offset:24576
	s_waitcnt lgkmcnt(0)
	s_barrier
.LBB504_22:
	v_mul_u32_u24_e32 v20, 7, v0
	v_lshlrev_b32_e32 v1, 3, v20
	ds_read2_b64 v[10:13], v1 offset1:1
	ds_read2_b64 v[6:9], v1 offset0:2 offset1:3
	ds_read2_b64 v[2:5], v1 offset0:4 offset1:5
	ds_read_b64 v[14:15], v1 offset:48
	s_cmp_lg_u32 s33, 0
	s_cselect_b64 s[16:17], -1, 0
	s_cmp_lg_u64 s[6:7], 0
	s_cselect_b64 s[0:1], -1, 0
	s_or_b64 s[0:1], s[0:1], s[16:17]
	v_mad_u32_u24 v22, v0, 7, 1
	v_mad_u32_u24 v21, v0, 7, 2
	;; [unrolled: 1-line block ×6, first 2 shown]
	s_mov_b64 s[34:35], 0
	s_and_b64 vcc, exec, s[0:1]
	s_waitcnt lgkmcnt(0)
	s_barrier
	s_cbranch_vccz .LBB504_27
; %bb.23:
	global_load_dwordx2 v[16:17], v[18:19], off offset:-8
	v_lshlrev_b32_e32 v30, 3, v0
	s_and_b64 vcc, exec, s[28:29]
	ds_write_b64 v30, v[14:15]
	s_cbranch_vccz .LBB504_29
; %bb.24:
	s_waitcnt vmcnt(0)
	v_mov_b64_e32 v[18:19], v[16:17]
	s_waitcnt lgkmcnt(0)
	s_barrier
	s_and_saveexec_b64 s[0:1], s[2:3]
	s_cbranch_execz .LBB504_26
; %bb.25:
	v_add_u32_e32 v18, -8, v30
	ds_read_b64 v[18:19], v18
.LBB504_26:
	s_or_b64 exec, exec, s[0:1]
	v_cmp_ne_u64_e32 vcc, v[4:5], v[14:15]
	s_waitcnt lgkmcnt(0)
	v_cmp_ne_u64_e64 s[0:1], v[18:19], v[10:11]
	v_cndmask_b32_e64 v29, 0, 1, vcc
	v_cmp_ne_u64_e32 vcc, v[2:3], v[4:5]
	s_nop 1
	v_cndmask_b32_e64 v27, 0, 1, vcc
	v_cmp_ne_u64_e32 vcc, v[8:9], v[2:3]
	s_nop 1
	;; [unrolled: 3-line block ×3, first 2 shown]
	v_cndmask_b32_e64 v31, 0, 1, vcc
	v_cmp_ne_u64_e32 vcc, v[12:13], v[6:7]
	v_lshlrev_b16_e32 v18, 8, v31
	s_nop 0
	v_cndmask_b32_e64 v32, 0, 1, vcc
	v_cmp_ne_u64_e32 vcc, v[10:11], v[12:13]
	v_or_b32_sdwa v18, v32, v18 dst_sel:WORD_1 dst_unused:UNUSED_PAD src0_sel:DWORD src1_sel:DWORD
	s_nop 0
	v_cndmask_b32_e64 v33, 0, 1, vcc
	v_lshlrev_b16_e32 v19, 8, v33
	v_or_b32_e32 v18, v19, v18
	s_branch .LBB504_33
.LBB504_27:
                                        ; implicit-def: $sgpr0_sgpr1
                                        ; implicit-def: $vgpr29
                                        ; implicit-def: $vgpr27
                                        ; implicit-def: $vgpr28
                                        ; implicit-def: $vgpr18
	s_branch .LBB504_34
.LBB504_28:
                                        ; implicit-def: $vgpr16_vgpr17
	s_and_saveexec_b64 s[2:3], s[34:35]
	s_cbranch_execnz .LBB504_42
	s_branch .LBB504_43
.LBB504_29:
                                        ; implicit-def: $sgpr0_sgpr1
                                        ; implicit-def: $vgpr29
                                        ; implicit-def: $vgpr27
                                        ; implicit-def: $vgpr28
                                        ; implicit-def: $vgpr18
	s_cbranch_execz .LBB504_33
; %bb.30:
	s_waitcnt lgkmcnt(0)
	s_barrier
	s_and_saveexec_b64 s[0:1], s[2:3]
	s_cbranch_execz .LBB504_32
; %bb.31:
	s_waitcnt vmcnt(0)
	v_add_u32_e32 v16, -8, v30
	ds_read_b64 v[16:17], v16
.LBB504_32:
	s_or_b64 exec, exec, s[0:1]
	v_cmp_gt_u32_e32 vcc, s36, v24
	v_cmp_ne_u64_e64 s[0:1], v[4:5], v[14:15]
	s_and_b64 s[0:1], vcc, s[0:1]
	v_cmp_gt_u32_e32 vcc, s36, v26
	v_cndmask_b32_e64 v29, 0, 1, s[0:1]
	v_cmp_ne_u64_e64 s[0:1], v[2:3], v[4:5]
	s_and_b64 s[0:1], vcc, s[0:1]
	v_cmp_gt_u32_e32 vcc, s36, v23
	v_cndmask_b32_e64 v27, 0, 1, s[0:1]
	;; [unrolled: 4-line block ×6, first 2 shown]
	s_waitcnt vmcnt(0) lgkmcnt(0)
	v_cmp_ne_u64_e64 s[0:1], v[16:17], v[10:11]
	v_lshlrev_b16_e32 v16, 8, v18
	v_or_b32_sdwa v16, v19, v16 dst_sel:WORD_1 dst_unused:UNUSED_PAD src0_sel:DWORD src1_sel:DWORD
	v_lshlrev_b16_e32 v17, 8, v30
	s_and_b64 s[0:1], vcc, s[0:1]
	v_or_b32_e32 v18, v17, v16
.LBB504_33:
	s_mov_b64 s[34:35], -1
	s_cbranch_execnz .LBB504_28
.LBB504_34:
	s_movk_i32 s0, 0xffd0
	v_mad_i32_i24 v19, v0, s0, v1
	s_and_b64 vcc, exec, s[28:29]
	v_cmp_ne_u64_e64 s[0:1], v[4:5], v[14:15]
	v_cmp_ne_u64_e64 s[4:5], v[2:3], v[4:5]
	;; [unrolled: 1-line block ×6, first 2 shown]
	ds_write_b64 v19, v[14:15]
	s_cbranch_vccz .LBB504_38
; %bb.35:
	v_cndmask_b32_e64 v27, 0, 1, s[4:5]
	s_waitcnt vmcnt(0)
	v_cndmask_b32_e64 v16, 0, 1, s[8:9]
	v_cndmask_b32_e64 v28, 0, 1, s[6:7]
	;; [unrolled: 1-line block ×4, first 2 shown]
	v_lshlrev_b16_e32 v17, 8, v27
	v_lshlrev_b16_e32 v16, 8, v16
	v_or_b32_e32 v17, v28, v17
	v_or_b32_sdwa v16, v18, v16 dst_sel:WORD_1 dst_unused:UNUSED_PAD src0_sel:DWORD src1_sel:DWORD
	v_lshlrev_b16_e32 v18, 8, v30
	v_and_b32_e32 v17, 0xffff, v17
	v_cndmask_b32_e64 v29, 0, 1, s[0:1]
	v_or_b32_e32 v18, 1, v18
	v_lshl_or_b32 v17, v29, 16, v17
	v_or_b32_sdwa v16, v18, v16 dst_sel:DWORD dst_unused:UNUSED_PAD src0_sel:WORD_0 src1_sel:DWORD
	s_waitcnt lgkmcnt(0)
	s_barrier
	s_waitcnt lgkmcnt(0)
                                        ; implicit-def: $sgpr0_sgpr1
                                        ; implicit-def: $vgpr18
	s_and_saveexec_b64 s[4:5], s[2:3]
	s_xor_b64 s[4:5], exec, s[4:5]
	s_cbranch_execz .LBB504_37
; %bb.36:
	v_add_u32_e32 v17, -8, v19
	ds_read_b64 v[30:31], v17
	s_mov_b32 s0, 0x3020104
	v_perm_b32 v18, v16, v16, s0
	s_or_b64 s[34:35], s[34:35], exec
                                        ; implicit-def: $vgpr16_vgpr17
	s_waitcnt lgkmcnt(0)
	v_cmp_ne_u64_e32 vcc, v[30:31], v[10:11]
	s_and_b64 s[0:1], vcc, exec
.LBB504_37:
	s_or_b64 exec, exec, s[4:5]
	s_branch .LBB504_41
.LBB504_38:
                                        ; implicit-def: $sgpr0_sgpr1
                                        ; implicit-def: $vgpr29
                                        ; implicit-def: $vgpr27
                                        ; implicit-def: $vgpr28
                                        ; implicit-def: $vgpr18
                                        ; implicit-def: $vgpr16_vgpr17
	s_cbranch_execz .LBB504_41
; %bb.39:
	v_cmp_gt_u32_e64 s[4:5], s36, v26
	v_cmp_ne_u64_e64 s[6:7], v[2:3], v[4:5]
	s_and_b64 s[4:5], s[4:5], s[6:7]
	v_cndmask_b32_e64 v27, 0, 1, s[4:5]
	v_cmp_gt_u32_e64 s[4:5], s36, v23
	v_cmp_ne_u64_e64 s[6:7], v[8:9], v[2:3]
	s_and_b64 s[4:5], s[4:5], s[6:7]
	v_cndmask_b32_e64 v28, 0, 1, s[4:5]
	v_cmp_gt_u32_e64 s[4:5], s36, v25
	v_cmp_ne_u64_e64 s[6:7], v[6:7], v[8:9]
	s_and_b64 s[4:5], s[4:5], s[6:7]
	s_waitcnt vmcnt(0)
	v_cndmask_b32_e64 v16, 0, 1, s[4:5]
	v_cmp_gt_u32_e64 s[4:5], s36, v21
	v_cmp_ne_u64_e64 s[6:7], v[12:13], v[6:7]
	s_and_b64 s[4:5], s[4:5], s[6:7]
	v_cndmask_b32_e64 v18, 0, 1, s[4:5]
	v_cmp_gt_u32_e64 s[4:5], s36, v22
	v_cmp_ne_u64_e64 s[6:7], v[10:11], v[12:13]
	s_and_b64 s[4:5], s[4:5], s[6:7]
	v_cmp_gt_u32_e32 vcc, s36, v24
	v_cmp_ne_u64_e64 s[0:1], v[4:5], v[14:15]
	v_cndmask_b32_e64 v30, 0, 1, s[4:5]
	v_lshlrev_b16_e32 v17, 8, v27
	v_lshlrev_b16_e32 v16, 8, v16
	v_or_b32_e32 v17, v28, v17
	s_and_b64 s[0:1], vcc, s[0:1]
	v_or_b32_sdwa v16, v18, v16 dst_sel:WORD_1 dst_unused:UNUSED_PAD src0_sel:DWORD src1_sel:DWORD
	v_lshlrev_b16_e32 v18, 8, v30
	v_and_b32_e32 v17, 0xffff, v17
	v_cndmask_b32_e64 v29, 0, 1, s[0:1]
	v_or_b32_e32 v18, 1, v18
	v_lshl_or_b32 v17, v29, 16, v17
	v_or_b32_sdwa v16, v18, v16 dst_sel:DWORD dst_unused:UNUSED_PAD src0_sel:WORD_0 src1_sel:DWORD
	s_waitcnt lgkmcnt(0)
	s_barrier
	s_waitcnt lgkmcnt(0)
                                        ; implicit-def: $sgpr0_sgpr1
                                        ; implicit-def: $vgpr18
	s_and_saveexec_b64 s[4:5], s[2:3]
	s_cbranch_execz .LBB504_127
; %bb.40:
	v_add_u32_e32 v17, -8, v19
	ds_read_b64 v[30:31], v17
	s_mov_b32 s0, 0x3020104
	v_cmp_gt_u32_e32 vcc, s36, v20
	v_perm_b32 v18, v16, v16, s0
	s_or_b64 s[34:35], s[34:35], exec
	s_waitcnt lgkmcnt(0)
	v_cmp_ne_u64_e64 s[0:1], v[30:31], v[10:11]
	s_and_b64 s[0:1], vcc, s[0:1]
	s_and_b64 s[0:1], s[0:1], exec
                                        ; implicit-def: $vgpr16_vgpr17
	s_or_b64 exec, exec, s[4:5]
.LBB504_41:
	s_and_saveexec_b64 s[2:3], s[34:35]
	s_cbranch_execz .LBB504_43
.LBB504_42:
	s_waitcnt vmcnt(0)
	v_lshlrev_b16_e32 v17, 8, v27
	v_and_b32_e32 v19, 0xff, v29
	v_or_b32_sdwa v17, v28, v17 dst_sel:DWORD dst_unused:UNUSED_PAD src0_sel:BYTE_0 src1_sel:DWORD
	v_lshlrev_b32_e32 v19, 16, v19
	v_cndmask_b32_e64 v16, 0, 1, s[0:1]
	s_movk_i32 s0, 0xff
	v_or_b32_sdwa v17, v17, v19 dst_sel:DWORD dst_unused:UNUSED_PAD src0_sel:WORD_0 src1_sel:DWORD
	v_lshrrev_b32_e32 v19, 24, v18
	v_lshlrev_b16_e32 v19, 8, v19
	v_and_b32_sdwa v27, v18, s0 dst_sel:DWORD dst_unused:UNUSED_PAD src0_sel:WORD_1 src1_sel:DWORD
	v_or_b32_sdwa v19, v27, v19 dst_sel:WORD_1 dst_unused:UNUSED_PAD src0_sel:DWORD src1_sel:DWORD
	v_mov_b32_e32 v27, 8
	v_lshrrev_b32_sdwa v18, v27, v18 dst_sel:BYTE_1 dst_unused:UNUSED_PAD src0_sel:DWORD src1_sel:DWORD
	s_nop 0
	v_or_b32_e32 v16, v16, v18
	v_or_b32_sdwa v16, v16, v19 dst_sel:DWORD dst_unused:UNUSED_PAD src0_sel:WORD_0 src1_sel:DWORD
.LBB504_43:
	s_or_b64 exec, exec, s[2:3]
	s_andn2_b64 vcc, exec, s[14:15]
	s_cbranch_vccnz .LBB504_45
; %bb.44:
	s_waitcnt vmcnt(0)
	v_and_b32_e32 v18, 0xffff0000, v16
	v_cmp_gt_u32_e32 vcc, s36, v20
	s_mov_b32 s0, 0x40c0100
	s_nop 0
	v_cndmask_b32_e32 v18, v18, v16, vcc
	v_and_b32_e32 v18, 0xffff00ff, v18
	v_cmp_gt_u32_e32 vcc, s36, v22
	s_nop 1
	v_cndmask_b32_e32 v18, v18, v16, vcc
	v_lshrrev_b32_e32 v19, 24, v18
	v_perm_b32 v18, v19, v18, s0
	v_cmp_gt_u32_e32 vcc, s36, v21
	v_and_b32_e32 v19, 0xffffff00, v17
	s_nop 0
	v_cndmask_b32_e32 v18, v18, v16, vcc
	v_and_b32_e32 v18, 0xffffff, v18
	v_cmp_gt_u32_e32 vcc, s36, v25
	s_nop 1
	v_cndmask_b32_e32 v18, v18, v16, vcc
	v_cmp_gt_u32_e32 vcc, s36, v23
	s_nop 1
	v_cndmask_b32_e32 v19, v19, v17, vcc
	v_and_b32_e32 v19, 0xffff00ff, v19
	v_cndmask_b32_e32 v18, v18, v16, vcc
	v_cmp_gt_u32_e32 vcc, s36, v26
	s_nop 1
	v_cndmask_b32_e32 v19, v19, v17, vcc
	v_lshrrev_b32_e32 v20, 24, v19
	v_cndmask_b32_e32 v18, v18, v16, vcc
	v_perm_b32 v19, v20, v19, s0
	v_cmp_gt_u32_e32 vcc, s36, v24
	s_mov_b32 s0, 0x3020104
	s_nop 0
	v_cndmask_b32_e32 v16, v18, v16, vcc
	v_cndmask_b32_e32 v17, v19, v17, vcc
	v_mov_b32_e32 v18, 8
	v_lshrrev_b32_sdwa v18, v18, v17 dst_sel:BYTE_1 dst_unused:UNUSED_PAD src0_sel:DWORD src1_sel:DWORD
	v_perm_b32 v16, v16, v16, s0
	v_or_b32_sdwa v18, v17, v18 dst_sel:DWORD dst_unused:UNUSED_PAD src0_sel:BYTE_0 src1_sel:DWORD
	v_and_b32_e32 v18, 0xffff, v18
	v_bfe_u32 v17, v17, 16, 8
	v_lshl_or_b32 v17, v17, 16, v18
.LBB504_45:
	s_waitcnt vmcnt(0)
	v_and_b32_e32 v29, 0xff, v16
	v_bfe_u32 v31, v16, 8, 8
	v_bfe_u32 v33, v16, 16, 8
	v_alignbit_b32 v18, v17, v16, 24
	v_and_b32_e32 v35, 0xff, v18
	v_and_b32_e32 v36, 0xff, v17
	v_add3_u32 v19, v31, v29, v33
	v_bfe_u32 v37, v17, 8, 8
	v_bfe_u32 v18, v17, 16, 8
	v_add3_u32 v19, v19, v35, v36
	v_add3_u32 v40, v19, v37, v18
	v_mbcnt_lo_u32_b32 v18, -1, 0
	v_mbcnt_hi_u32_b32 v38, -1, v18
	v_and_b32_e32 v18, 15, v38
	v_cmp_eq_u32_e64 s[14:15], 0, v18
	v_cmp_lt_u32_e64 s[12:13], 1, v18
	v_cmp_lt_u32_e64 s[10:11], 3, v18
	;; [unrolled: 1-line block ×3, first 2 shown]
	v_and_b32_e32 v18, 16, v38
	v_cmp_eq_u32_e64 s[6:7], 0, v18
	v_or_b32_e32 v18, 63, v0
	v_cmp_lt_u32_e64 s[2:3], 31, v38
	v_lshrrev_b32_e32 v39, 6, v0
	v_cmp_eq_u32_e64 s[4:5], v18, v0
	s_and_b64 vcc, exec, s[16:17]
	s_waitcnt lgkmcnt(0)
	s_barrier
	s_cbranch_vccz .LBB504_72
; %bb.46:
	v_mov_b32_dpp v18, v40 row_shr:1 row_mask:0xf bank_mask:0xf
	v_cndmask_b32_e64 v18, v18, 0, s[14:15]
	v_add_u32_e32 v18, v18, v40
	s_nop 1
	v_mov_b32_dpp v19, v18 row_shr:2 row_mask:0xf bank_mask:0xf
	v_cndmask_b32_e64 v19, 0, v19, s[12:13]
	v_add_u32_e32 v18, v18, v19
	s_nop 1
	;; [unrolled: 4-line block ×4, first 2 shown]
	v_mov_b32_dpp v19, v18 row_bcast:15 row_mask:0xf bank_mask:0xf
	v_cndmask_b32_e64 v19, v19, 0, s[6:7]
	v_add_u32_e32 v18, v18, v19
	s_nop 1
	v_mov_b32_dpp v19, v18 row_bcast:31 row_mask:0xf bank_mask:0xf
	v_cndmask_b32_e64 v19, 0, v19, s[2:3]
	v_add_u32_e32 v18, v18, v19
	s_and_saveexec_b64 s[0:1], s[4:5]
	s_cbranch_execz .LBB504_48
; %bb.47:
	v_lshlrev_b32_e32 v19, 2, v39
	ds_write_b32 v19, v18
.LBB504_48:
	s_or_b64 exec, exec, s[0:1]
	v_cmp_gt_u32_e32 vcc, 8, v0
	s_waitcnt lgkmcnt(0)
	s_barrier
	s_and_saveexec_b64 s[0:1], vcc
	s_cbranch_execz .LBB504_50
; %bb.49:
	v_lshlrev_b32_e32 v19, 2, v0
	ds_read_b32 v20, v19
	v_and_b32_e32 v21, 7, v38
	v_cmp_ne_u32_e32 vcc, 0, v21
	s_waitcnt lgkmcnt(0)
	v_mov_b32_dpp v22, v20 row_shr:1 row_mask:0xf bank_mask:0xf
	v_cndmask_b32_e32 v22, 0, v22, vcc
	v_add_u32_e32 v20, v22, v20
	v_cmp_lt_u32_e32 vcc, 1, v21
	s_nop 0
	v_mov_b32_dpp v22, v20 row_shr:2 row_mask:0xf bank_mask:0xf
	v_cndmask_b32_e32 v22, 0, v22, vcc
	v_add_u32_e32 v20, v20, v22
	v_cmp_lt_u32_e32 vcc, 3, v21
	s_nop 0
	v_mov_b32_dpp v22, v20 row_shr:4 row_mask:0xf bank_mask:0xf
	v_cndmask_b32_e32 v21, 0, v22, vcc
	v_add_u32_e32 v20, v20, v21
	ds_write_b32 v19, v20
.LBB504_50:
	s_or_b64 exec, exec, s[0:1]
	v_cmp_gt_u32_e32 vcc, 64, v0
	v_cmp_lt_u32_e64 s[0:1], 63, v0
	s_waitcnt lgkmcnt(0)
	s_barrier
	s_waitcnt lgkmcnt(0)
                                        ; implicit-def: $vgpr28
	s_and_saveexec_b64 s[16:17], s[0:1]
	s_cbranch_execz .LBB504_52
; %bb.51:
	v_lshl_add_u32 v19, v39, 2, -4
	ds_read_b32 v28, v19
	s_waitcnt lgkmcnt(0)
	v_add_u32_e32 v18, v28, v18
.LBB504_52:
	s_or_b64 exec, exec, s[16:17]
	v_add_u32_e32 v19, -1, v38
	v_and_b32_e32 v20, 64, v38
	v_cmp_lt_i32_e64 s[0:1], v19, v20
	v_cmp_eq_u32_e64 s[16:17], 0, v38
	s_nop 0
	v_cndmask_b32_e64 v19, v19, v38, s[0:1]
	v_lshlrev_b32_e32 v19, 2, v19
	ds_bpermute_b32 v30, v19, v18
	s_and_saveexec_b64 s[0:1], vcc
	s_cbranch_execz .LBB504_71
; %bb.53:
	v_mov_b32_e32 v25, 0
	ds_read_b32 v18, v25 offset:28
	s_and_saveexec_b64 s[34:35], s[16:17]
	s_cbranch_execz .LBB504_55
; %bb.54:
	s_add_i32 s36, s33, 64
	s_mov_b32 s37, 0
	s_lshl_b64 s[36:37], s[36:37], 3
	s_add_u32 s36, s30, s36
	v_mov_b32_e32 v19, 1
	s_addc_u32 s37, s31, s37
	s_waitcnt lgkmcnt(0)
	global_store_dwordx2 v25, v[18:19], s[36:37] sc1
.LBB504_55:
	s_or_b64 exec, exec, s[34:35]
	v_xad_u32 v20, v38, -1, s33
	v_add_u32_e32 v24, 64, v20
	v_lshl_add_u64 v[26:27], v[24:25], 3, s[30:31]
	global_load_dwordx2 v[22:23], v[26:27], off sc1
	s_waitcnt vmcnt(0)
	v_cmp_eq_u16_sdwa s[36:37], v23, v25 src0_sel:BYTE_0 src1_sel:DWORD
	s_and_saveexec_b64 s[34:35], s[36:37]
	s_cbranch_execz .LBB504_59
; %bb.56:
	s_mov_b64 s[36:37], 0
	v_mov_b32_e32 v19, 0
.LBB504_57:                             ; =>This Inner Loop Header: Depth=1
	global_load_dwordx2 v[22:23], v[26:27], off sc1
	s_waitcnt vmcnt(0)
	v_cmp_ne_u16_sdwa s[38:39], v23, v19 src0_sel:BYTE_0 src1_sel:DWORD
	s_or_b64 s[36:37], s[38:39], s[36:37]
	s_andn2_b64 exec, exec, s[36:37]
	s_cbranch_execnz .LBB504_57
; %bb.58:
	s_or_b64 exec, exec, s[36:37]
.LBB504_59:
	s_or_b64 exec, exec, s[34:35]
	v_and_b32_e32 v34, 63, v38
	v_mov_b32_e32 v32, 2
	v_cmp_ne_u32_e32 vcc, 63, v34
	v_cmp_eq_u16_sdwa s[34:35], v23, v32 src0_sel:BYTE_0 src1_sel:DWORD
	v_lshlrev_b64 v[24:25], v38, -1
	v_addc_co_u32_e32 v26, vcc, 0, v38, vcc
	v_and_b32_e32 v19, s35, v25
	v_lshlrev_b32_e32 v41, 2, v26
	v_or_b32_e32 v19, 0x80000000, v19
	ds_bpermute_b32 v26, v41, v22
	v_and_b32_e32 v21, s34, v24
	v_ffbl_b32_e32 v19, v19
	v_add_u32_e32 v19, 32, v19
	v_ffbl_b32_e32 v21, v21
	v_min_u32_e32 v19, v21, v19
	v_cmp_lt_u32_e32 vcc, v34, v19
	v_add_u32_e32 v43, 2, v34
	v_add_u32_e32 v45, 4, v34
	s_waitcnt lgkmcnt(0)
	v_cndmask_b32_e32 v21, 0, v26, vcc
	v_cmp_gt_u32_e32 vcc, 62, v34
	v_add_u32_e32 v21, v21, v22
	v_add_u32_e32 v47, 8, v34
	v_cndmask_b32_e64 v22, 0, 1, vcc
	v_lshlrev_b32_e32 v22, 1, v22
	v_add_lshl_u32 v42, v22, v38, 2
	ds_bpermute_b32 v22, v42, v21
	v_cmp_le_u32_e32 vcc, v43, v19
	v_add_u32_e32 v49, 16, v34
	v_add_u32_e32 v51, 32, v34
	s_waitcnt lgkmcnt(0)
	v_cndmask_b32_e32 v22, 0, v22, vcc
	v_cmp_gt_u32_e32 vcc, 60, v34
	v_add_u32_e32 v21, v21, v22
	s_nop 0
	v_cndmask_b32_e64 v22, 0, 1, vcc
	v_lshlrev_b32_e32 v22, 2, v22
	v_add_lshl_u32 v44, v22, v38, 2
	ds_bpermute_b32 v22, v44, v21
	v_cmp_le_u32_e32 vcc, v45, v19
	s_waitcnt lgkmcnt(0)
	s_nop 0
	v_cndmask_b32_e32 v22, 0, v22, vcc
	v_cmp_gt_u32_e32 vcc, 56, v34
	v_add_u32_e32 v21, v21, v22
	s_nop 0
	v_cndmask_b32_e64 v22, 0, 1, vcc
	v_lshlrev_b32_e32 v22, 3, v22
	v_add_lshl_u32 v46, v22, v38, 2
	ds_bpermute_b32 v22, v46, v21
	v_cmp_le_u32_e32 vcc, v47, v19
	s_waitcnt lgkmcnt(0)
	s_nop 0
	;; [unrolled: 11-line block ×4, first 2 shown]
	v_cndmask_b32_e32 v19, 0, v22, vcc
	v_add_u32_e32 v22, v21, v19
	v_mov_b32_e32 v21, 0
	s_branch .LBB504_61
.LBB504_60:                             ;   in Loop: Header=BB504_61 Depth=1
	s_or_b64 exec, exec, s[34:35]
	v_cmp_eq_u16_sdwa s[34:35], v23, v32 src0_sel:BYTE_0 src1_sel:DWORD
	ds_bpermute_b32 v52, v41, v22
	v_subrev_u32_e32 v20, 64, v20
	v_and_b32_e32 v26, s35, v25
	v_or_b32_e32 v26, 0x80000000, v26
	v_and_b32_e32 v27, s34, v24
	v_ffbl_b32_e32 v26, v26
	v_add_u32_e32 v26, 32, v26
	v_ffbl_b32_e32 v27, v27
	v_min_u32_e32 v26, v27, v26
	v_cmp_lt_u32_e32 vcc, v34, v26
	s_waitcnt lgkmcnt(0)
	s_nop 0
	v_cndmask_b32_e32 v27, 0, v52, vcc
	v_add_u32_e32 v22, v27, v22
	ds_bpermute_b32 v27, v42, v22
	v_cmp_le_u32_e32 vcc, v43, v26
	s_waitcnt lgkmcnt(0)
	s_nop 0
	v_cndmask_b32_e32 v27, 0, v27, vcc
	v_add_u32_e32 v22, v22, v27
	ds_bpermute_b32 v27, v44, v22
	v_cmp_le_u32_e32 vcc, v45, v26
	;; [unrolled: 6-line block ×5, first 2 shown]
	s_waitcnt lgkmcnt(0)
	s_nop 0
	v_cndmask_b32_e32 v26, 0, v27, vcc
	v_add3_u32 v22, v26, v19, v22
.LBB504_61:                             ; =>This Loop Header: Depth=1
                                        ;     Child Loop BB504_64 Depth 2
	v_cmp_ne_u16_sdwa s[34:35], v23, v32 src0_sel:BYTE_0 src1_sel:DWORD
	s_nop 1
	v_cndmask_b32_e64 v19, 0, 1, s[34:35]
	;;#ASMSTART
	;;#ASMEND
	s_nop 0
	v_cmp_ne_u32_e32 vcc, 0, v19
	s_cmp_lg_u64 vcc, exec
	v_mov_b32_e32 v19, v22
	s_cbranch_scc1 .LBB504_66
; %bb.62:                               ;   in Loop: Header=BB504_61 Depth=1
	v_lshl_add_u64 v[26:27], v[20:21], 3, s[30:31]
	global_load_dwordx2 v[22:23], v[26:27], off sc1
	s_waitcnt vmcnt(0)
	v_cmp_eq_u16_sdwa s[36:37], v23, v21 src0_sel:BYTE_0 src1_sel:DWORD
	s_and_saveexec_b64 s[34:35], s[36:37]
	s_cbranch_execz .LBB504_60
; %bb.63:                               ;   in Loop: Header=BB504_61 Depth=1
	s_mov_b64 s[36:37], 0
.LBB504_64:                             ;   Parent Loop BB504_61 Depth=1
                                        ; =>  This Inner Loop Header: Depth=2
	global_load_dwordx2 v[22:23], v[26:27], off sc1
	s_waitcnt vmcnt(0)
	v_cmp_ne_u16_sdwa s[38:39], v23, v21 src0_sel:BYTE_0 src1_sel:DWORD
	s_or_b64 s[36:37], s[38:39], s[36:37]
	s_andn2_b64 exec, exec, s[36:37]
	s_cbranch_execnz .LBB504_64
; %bb.65:                               ;   in Loop: Header=BB504_61 Depth=1
	s_or_b64 exec, exec, s[36:37]
	s_branch .LBB504_60
.LBB504_66:                             ;   in Loop: Header=BB504_61 Depth=1
                                        ; implicit-def: $vgpr22
                                        ; implicit-def: $vgpr23
	s_cbranch_execz .LBB504_61
; %bb.67:
	s_and_saveexec_b64 s[34:35], s[16:17]
	s_cbranch_execz .LBB504_69
; %bb.68:
	s_add_i32 s36, s33, 64
	s_mov_b32 s37, 0
	s_lshl_b64 s[36:37], s[36:37], 3
	s_add_u32 s36, s30, s36
	v_add_u32_e32 v20, v19, v18
	v_mov_b32_e32 v21, 2
	s_addc_u32 s37, s31, s37
	v_mov_b32_e32 v22, 0
	global_store_dwordx2 v22, v[20:21], s[36:37] sc1
	ds_write_b64 v22, v[18:19] offset:28672
.LBB504_69:
	s_or_b64 exec, exec, s[34:35]
	s_and_b64 exec, exec, s[18:19]
	s_cbranch_execz .LBB504_71
; %bb.70:
	v_mov_b32_e32 v18, 0
	ds_write_b32 v18, v19 offset:28
.LBB504_71:
	s_or_b64 exec, exec, s[0:1]
	v_mov_b32_e32 v18, 0
	s_waitcnt lgkmcnt(0)
	s_barrier
	ds_read_b32 v19, v18 offset:28
	v_cndmask_b32_e64 v20, v30, v28, s[16:17]
	v_cndmask_b32_e64 v20, v20, 0, s[18:19]
	s_waitcnt lgkmcnt(0)
	s_barrier
	v_add_u32_e32 v34, v19, v20
	v_add_u32_e32 v32, v34, v29
	;; [unrolled: 1-line block ×3, first 2 shown]
	ds_read_b64 v[18:19], v18 offset:28672
	v_add_u32_e32 v28, v30, v33
	v_add_u32_e32 v26, v28, v35
	;; [unrolled: 1-line block ×4, first 2 shown]
	v_lshrrev_b64 v[20:21], 24, v[16:17]
	s_branch .LBB504_82
.LBB504_72:
                                        ; implicit-def: $vgpr19
                                        ; implicit-def: $vgpr22
                                        ; implicit-def: $vgpr24
                                        ; implicit-def: $vgpr26
                                        ; implicit-def: $vgpr28
                                        ; implicit-def: $vgpr30
                                        ; implicit-def: $vgpr32
                                        ; implicit-def: $vgpr34
	v_lshrrev_b64 v[20:21], 24, v[16:17]
	s_cbranch_execz .LBB504_82
; %bb.73:
	s_waitcnt lgkmcnt(0)
	v_mov_b32_dpp v18, v40 row_shr:1 row_mask:0xf bank_mask:0xf
	v_cndmask_b32_e64 v18, v18, 0, s[14:15]
	v_add_u32_e32 v18, v18, v40
	s_nop 1
	v_mov_b32_dpp v19, v18 row_shr:2 row_mask:0xf bank_mask:0xf
	v_cndmask_b32_e64 v19, 0, v19, s[12:13]
	v_add_u32_e32 v18, v18, v19
	s_nop 1
	;; [unrolled: 4-line block ×4, first 2 shown]
	v_mov_b32_dpp v19, v18 row_bcast:15 row_mask:0xf bank_mask:0xf
	v_cndmask_b32_e64 v19, v19, 0, s[6:7]
	v_add_u32_e32 v18, v18, v19
	s_nop 1
	v_mov_b32_dpp v19, v18 row_bcast:31 row_mask:0xf bank_mask:0xf
	v_cndmask_b32_e64 v19, 0, v19, s[2:3]
	v_add_u32_e32 v18, v18, v19
	s_and_saveexec_b64 s[0:1], s[4:5]
	s_cbranch_execz .LBB504_75
; %bb.74:
	v_lshlrev_b32_e32 v19, 2, v39
	ds_write_b32 v19, v18
.LBB504_75:
	s_or_b64 exec, exec, s[0:1]
	v_cmp_gt_u32_e32 vcc, 8, v0
	s_waitcnt lgkmcnt(0)
	s_barrier
	s_and_saveexec_b64 s[0:1], vcc
	s_cbranch_execz .LBB504_77
; %bb.76:
	s_movk_i32 s2, 0xffcc
	v_mad_i32_i24 v1, v0, s2, v1
	ds_read_b32 v19, v1
	v_and_b32_e32 v21, 7, v38
	v_cmp_ne_u32_e32 vcc, 0, v21
	s_waitcnt lgkmcnt(0)
	v_mov_b32_dpp v22, v19 row_shr:1 row_mask:0xf bank_mask:0xf
	v_cndmask_b32_e32 v22, 0, v22, vcc
	v_add_u32_e32 v19, v22, v19
	v_cmp_lt_u32_e32 vcc, 1, v21
	s_nop 0
	v_mov_b32_dpp v22, v19 row_shr:2 row_mask:0xf bank_mask:0xf
	v_cndmask_b32_e32 v22, 0, v22, vcc
	v_add_u32_e32 v19, v19, v22
	v_cmp_lt_u32_e32 vcc, 3, v21
	s_nop 0
	v_mov_b32_dpp v22, v19 row_shr:4 row_mask:0xf bank_mask:0xf
	v_cndmask_b32_e32 v21, 0, v22, vcc
	v_add_u32_e32 v19, v19, v21
	ds_write_b32 v1, v19
.LBB504_77:
	s_or_b64 exec, exec, s[0:1]
	v_cmp_lt_u32_e32 vcc, 63, v0
	v_mov_b32_e32 v19, 0
	v_mov_b32_e32 v1, 0
	s_waitcnt lgkmcnt(0)
	s_barrier
	s_and_saveexec_b64 s[0:1], vcc
	s_cbranch_execz .LBB504_79
; %bb.78:
	v_lshl_add_u32 v1, v39, 2, -4
	ds_read_b32 v1, v1
.LBB504_79:
	s_or_b64 exec, exec, s[0:1]
	v_add_u32_e32 v21, -1, v38
	v_and_b32_e32 v22, 64, v38
	v_cmp_lt_i32_e32 vcc, v21, v22
	s_waitcnt lgkmcnt(0)
	v_add_u32_e32 v18, v1, v18
	v_cndmask_b32_e32 v21, v21, v38, vcc
	v_lshlrev_b32_e32 v21, 2, v21
	ds_bpermute_b32 v21, v21, v18
	ds_read_b32 v18, v19 offset:28
	s_and_saveexec_b64 s[0:1], s[18:19]
	s_cbranch_execz .LBB504_81
; %bb.80:
	v_mov_b32_e32 v22, 0
	v_mov_b32_e32 v19, 2
	s_waitcnt lgkmcnt(0)
	global_store_dwordx2 v22, v[18:19], s[30:31] offset:512 sc1
.LBB504_81:
	s_or_b64 exec, exec, s[0:1]
	v_cmp_eq_u32_e32 vcc, 0, v38
	v_mov_b32_e32 v19, 0
	s_waitcnt lgkmcnt(0)
	v_cndmask_b32_e32 v1, v21, v1, vcc
	v_cndmask_b32_e64 v34, v1, 0, s[18:19]
	v_add_u32_e32 v32, v34, v29
	v_add_u32_e32 v30, v32, v31
	v_add_u32_e32 v28, v30, v33
	v_add_u32_e32 v26, v28, v35
	v_add_u32_e32 v24, v26, v36
	v_add_u32_e32 v22, v24, v37
	s_barrier
.LBB504_82:
	s_movk_i32 s0, 0x201
	s_waitcnt lgkmcnt(0)
	v_cmp_gt_u32_e32 vcc, s0, v18
	v_lshrrev_b32_e32 v21, 8, v16
	v_lshrrev_b32_e32 v1, 8, v17
	s_mov_b64 s[0:1], -1
	s_cbranch_vccnz .LBB504_86
; %bb.83:
	s_and_b64 vcc, exec, s[0:1]
	s_cbranch_vccnz .LBB504_108
.LBB504_84:
	s_and_b64 s[0:1], s[18:19], s[26:27]
	s_and_saveexec_b64 s[2:3], s[0:1]
	s_cbranch_execnz .LBB504_126
.LBB504_85:
	s_endpgm
.LBB504_86:
	v_add_u32_e32 v23, v19, v18
	v_cmp_lt_u32_e32 vcc, v34, v23
	s_or_b64 s[2:3], s[28:29], vcc
	s_and_saveexec_b64 s[0:1], s[2:3]
	s_cbranch_execz .LBB504_89
; %bb.87:
	v_and_b32_e32 v25, 1, v16
	v_cmp_eq_u32_e32 vcc, 1, v25
	s_and_b64 exec, exec, vcc
	s_cbranch_execz .LBB504_89
; %bb.88:
	s_lshl_b64 s[2:3], s[22:23], 3
	s_add_u32 s2, s24, s2
	s_addc_u32 s3, s25, s3
	v_mov_b32_e32 v35, 0
	v_lshl_add_u64 v[36:37], v[34:35], 3, s[2:3]
	global_store_dwordx2 v[36:37], v[10:11], off
.LBB504_89:
	s_or_b64 exec, exec, s[0:1]
	v_cmp_lt_u32_e32 vcc, v32, v23
	s_or_b64 s[2:3], s[28:29], vcc
	s_and_saveexec_b64 s[0:1], s[2:3]
	s_cbranch_execz .LBB504_92
; %bb.90:
	v_and_b32_e32 v25, 1, v21
	v_cmp_eq_u32_e32 vcc, 1, v25
	s_and_b64 exec, exec, vcc
	s_cbranch_execz .LBB504_92
; %bb.91:
	s_lshl_b64 s[2:3], s[22:23], 3
	s_add_u32 s2, s24, s2
	s_addc_u32 s3, s25, s3
	v_mov_b32_e32 v33, 0
	v_lshl_add_u64 v[36:37], v[32:33], 3, s[2:3]
	global_store_dwordx2 v[36:37], v[12:13], off
.LBB504_92:
	s_or_b64 exec, exec, s[0:1]
	v_cmp_lt_u32_e32 vcc, v30, v23
	s_or_b64 s[2:3], s[28:29], vcc
	s_and_saveexec_b64 s[0:1], s[2:3]
	s_cbranch_execz .LBB504_95
; %bb.93:
	v_mov_b32_e32 v25, 1
	v_and_b32_sdwa v25, v25, v16 dst_sel:DWORD dst_unused:UNUSED_PAD src0_sel:DWORD src1_sel:WORD_1
	v_cmp_eq_u32_e32 vcc, 1, v25
	s_and_b64 exec, exec, vcc
	s_cbranch_execz .LBB504_95
; %bb.94:
	s_lshl_b64 s[2:3], s[22:23], 3
	s_add_u32 s2, s24, s2
	s_addc_u32 s3, s25, s3
	v_mov_b32_e32 v31, 0
	v_lshl_add_u64 v[36:37], v[30:31], 3, s[2:3]
	global_store_dwordx2 v[36:37], v[6:7], off
.LBB504_95:
	s_or_b64 exec, exec, s[0:1]
	v_cmp_lt_u32_e32 vcc, v28, v23
	s_or_b64 s[2:3], s[28:29], vcc
	s_and_saveexec_b64 s[0:1], s[2:3]
	s_cbranch_execz .LBB504_98
; %bb.96:
	v_and_b32_e32 v25, 1, v20
	v_cmp_eq_u32_e32 vcc, 1, v25
	s_and_b64 exec, exec, vcc
	s_cbranch_execz .LBB504_98
; %bb.97:
	s_lshl_b64 s[2:3], s[22:23], 3
	s_add_u32 s2, s24, s2
	s_addc_u32 s3, s25, s3
	v_mov_b32_e32 v29, 0
	v_lshl_add_u64 v[36:37], v[28:29], 3, s[2:3]
	global_store_dwordx2 v[36:37], v[8:9], off
.LBB504_98:
	s_or_b64 exec, exec, s[0:1]
	v_cmp_lt_u32_e32 vcc, v26, v23
	s_or_b64 s[2:3], s[28:29], vcc
	s_and_saveexec_b64 s[0:1], s[2:3]
	s_cbranch_execz .LBB504_101
; %bb.99:
	v_and_b32_e32 v25, 1, v17
	v_cmp_eq_u32_e32 vcc, 1, v25
	s_and_b64 exec, exec, vcc
	s_cbranch_execz .LBB504_101
; %bb.100:
	s_lshl_b64 s[2:3], s[22:23], 3
	s_add_u32 s2, s24, s2
	s_addc_u32 s3, s25, s3
	v_mov_b32_e32 v27, 0
	v_lshl_add_u64 v[36:37], v[26:27], 3, s[2:3]
	global_store_dwordx2 v[36:37], v[2:3], off
.LBB504_101:
	s_or_b64 exec, exec, s[0:1]
	v_cmp_lt_u32_e32 vcc, v24, v23
	s_or_b64 s[2:3], s[28:29], vcc
	s_and_saveexec_b64 s[0:1], s[2:3]
	s_cbranch_execz .LBB504_104
; %bb.102:
	v_and_b32_e32 v25, 1, v1
	v_cmp_eq_u32_e32 vcc, 1, v25
	s_and_b64 exec, exec, vcc
	s_cbranch_execz .LBB504_104
; %bb.103:
	s_lshl_b64 s[2:3], s[22:23], 3
	s_add_u32 s2, s24, s2
	s_addc_u32 s3, s25, s3
	v_mov_b32_e32 v25, 0
	v_lshl_add_u64 v[36:37], v[24:25], 3, s[2:3]
	global_store_dwordx2 v[36:37], v[4:5], off
.LBB504_104:
	s_or_b64 exec, exec, s[0:1]
	v_cmp_lt_u32_e32 vcc, v22, v23
	s_or_b64 s[2:3], s[28:29], vcc
	s_and_saveexec_b64 s[0:1], s[2:3]
	s_cbranch_execz .LBB504_107
; %bb.105:
	v_mov_b32_e32 v23, 1
	v_and_b32_sdwa v23, v23, v17 dst_sel:DWORD dst_unused:UNUSED_PAD src0_sel:DWORD src1_sel:WORD_1
	v_cmp_eq_u32_e32 vcc, 1, v23
	s_and_b64 exec, exec, vcc
	s_cbranch_execz .LBB504_107
; %bb.106:
	s_lshl_b64 s[2:3], s[22:23], 3
	s_add_u32 s2, s24, s2
	s_addc_u32 s3, s25, s3
	v_mov_b32_e32 v23, 0
	v_lshl_add_u64 v[36:37], v[22:23], 3, s[2:3]
	global_store_dwordx2 v[36:37], v[14:15], off
.LBB504_107:
	s_or_b64 exec, exec, s[0:1]
	s_branch .LBB504_84
.LBB504_108:
	v_and_b32_e32 v23, 1, v16
	v_cmp_eq_u32_e32 vcc, 1, v23
	s_and_saveexec_b64 s[0:1], vcc
	s_cbranch_execz .LBB504_110
; %bb.109:
	v_sub_u32_e32 v23, v34, v19
	v_lshlrev_b32_e32 v23, 3, v23
	ds_write_b64 v23, v[10:11]
.LBB504_110:
	s_or_b64 exec, exec, s[0:1]
	v_and_b32_e32 v10, 1, v21
	v_cmp_eq_u32_e32 vcc, 1, v10
	s_and_saveexec_b64 s[0:1], vcc
	s_cbranch_execz .LBB504_112
; %bb.111:
	v_sub_u32_e32 v10, v32, v19
	v_lshlrev_b32_e32 v10, 3, v10
	ds_write_b64 v10, v[12:13]
.LBB504_112:
	s_or_b64 exec, exec, s[0:1]
	v_mov_b32_e32 v10, 1
	v_and_b32_sdwa v10, v10, v16 dst_sel:DWORD dst_unused:UNUSED_PAD src0_sel:DWORD src1_sel:WORD_1
	v_cmp_eq_u32_e32 vcc, 1, v10
	s_and_saveexec_b64 s[0:1], vcc
	s_cbranch_execz .LBB504_114
; %bb.113:
	v_sub_u32_e32 v10, v30, v19
	v_lshlrev_b32_e32 v10, 3, v10
	ds_write_b64 v10, v[6:7]
.LBB504_114:
	s_or_b64 exec, exec, s[0:1]
	v_and_b32_e32 v6, 1, v20
	v_cmp_eq_u32_e32 vcc, 1, v6
	s_and_saveexec_b64 s[0:1], vcc
	s_cbranch_execz .LBB504_116
; %bb.115:
	v_sub_u32_e32 v6, v28, v19
	v_lshlrev_b32_e32 v6, 3, v6
	ds_write_b64 v6, v[8:9]
.LBB504_116:
	s_or_b64 exec, exec, s[0:1]
	v_and_b32_e32 v6, 1, v17
	;; [unrolled: 10-line block ×3, first 2 shown]
	v_cmp_eq_u32_e32 vcc, 1, v1
	s_and_saveexec_b64 s[0:1], vcc
	s_cbranch_execz .LBB504_120
; %bb.119:
	v_sub_u32_e32 v1, v24, v19
	v_lshlrev_b32_e32 v1, 3, v1
	ds_write_b64 v1, v[4:5]
.LBB504_120:
	s_or_b64 exec, exec, s[0:1]
	v_mov_b32_e32 v1, 1
	v_and_b32_sdwa v1, v1, v17 dst_sel:DWORD dst_unused:UNUSED_PAD src0_sel:DWORD src1_sel:WORD_1
	v_cmp_eq_u32_e32 vcc, 1, v1
	s_and_saveexec_b64 s[0:1], vcc
	s_cbranch_execz .LBB504_122
; %bb.121:
	v_sub_u32_e32 v1, v22, v19
	v_lshlrev_b32_e32 v1, 3, v1
	ds_write_b64 v1, v[14:15]
.LBB504_122:
	s_or_b64 exec, exec, s[0:1]
	v_cmp_lt_u32_e32 vcc, v0, v18
	s_waitcnt lgkmcnt(0)
	s_barrier
	s_and_saveexec_b64 s[0:1], vcc
	s_cbranch_execz .LBB504_125
; %bb.123:
	v_mov_b32_e32 v5, 0
	v_mov_b32_e32 v4, v19
	s_lshl_b64 s[2:3], s[22:23], 3
	v_lshlrev_b64 v[6:7], 3, v[4:5]
	v_lshl_add_u64 v[6:7], s[2:3], 0, v[6:7]
	v_lshlrev_b32_e32 v2, 3, v0
	v_mov_b32_e32 v3, v5
	v_lshl_add_u64 v[4:5], s[24:25], 0, v[6:7]
	v_lshl_add_u64 v[4:5], v[4:5], 0, v[2:3]
	s_mov_b64 s[2:3], 0
	s_mov_b64 s[4:5], 0x1000
.LBB504_124:                            ; =>This Inner Loop Header: Depth=1
	ds_read_b64 v[6:7], v2
	v_add_u32_e32 v0, 0x200, v0
	v_cmp_ge_u32_e32 vcc, v0, v18
	v_add_u32_e32 v2, 0x1000, v2
	s_or_b64 s[2:3], vcc, s[2:3]
	s_waitcnt lgkmcnt(0)
	global_store_dwordx2 v[4:5], v[6:7], off
	v_lshl_add_u64 v[4:5], v[4:5], 0, s[4:5]
	s_andn2_b64 exec, exec, s[2:3]
	s_cbranch_execnz .LBB504_124
.LBB504_125:
	s_or_b64 exec, exec, s[0:1]
	s_and_b64 s[0:1], s[18:19], s[26:27]
	s_and_saveexec_b64 s[2:3], s[0:1]
	s_cbranch_execz .LBB504_85
.LBB504_126:
	v_mov_b32_e32 v1, 0
	v_mov_b32_e32 v0, v18
	v_lshl_add_u64 v[2:3], s[22:23], 0, v[0:1]
	v_mov_b32_e32 v0, v19
	v_lshl_add_u64 v[2:3], v[2:3], 0, v[0:1]
	global_store_dwordx2 v1, v[2:3], s[20:21]
	s_endpgm
.LBB504_127:
	s_or_b64 exec, exec, s[4:5]
	s_and_saveexec_b64 s[2:3], s[34:35]
	s_cbranch_execnz .LBB504_42
	s_branch .LBB504_43
	.section	.rodata,"a",@progbits
	.p2align	6, 0x0
	.amdhsa_kernel _ZN7rocprim17ROCPRIM_400000_NS6detail17trampoline_kernelINS0_14default_configENS1_25partition_config_selectorILNS1_17partition_subalgoE8ElNS0_10empty_typeEbEEZZNS1_14partition_implILS5_8ELb0ES3_jPKlPS6_PKS6_NS0_5tupleIJPlS6_EEENSE_IJSB_SB_EEENS0_18inequality_wrapperIN6hipcub16HIPCUB_304000_NS8EqualityEEESF_JS6_EEE10hipError_tPvRmT3_T4_T5_T6_T7_T9_mT8_P12ihipStream_tbDpT10_ENKUlT_T0_E_clISt17integral_constantIbLb0EES15_IbLb1EEEEDaS11_S12_EUlS11_E_NS1_11comp_targetILNS1_3genE5ELNS1_11target_archE942ELNS1_3gpuE9ELNS1_3repE0EEENS1_30default_config_static_selectorELNS0_4arch9wavefront6targetE1EEEvT1_
		.amdhsa_group_segment_fixed_size 28680
		.amdhsa_private_segment_fixed_size 0
		.amdhsa_kernarg_size 128
		.amdhsa_user_sgpr_count 2
		.amdhsa_user_sgpr_dispatch_ptr 0
		.amdhsa_user_sgpr_queue_ptr 0
		.amdhsa_user_sgpr_kernarg_segment_ptr 1
		.amdhsa_user_sgpr_dispatch_id 0
		.amdhsa_user_sgpr_kernarg_preload_length 0
		.amdhsa_user_sgpr_kernarg_preload_offset 0
		.amdhsa_user_sgpr_private_segment_size 0
		.amdhsa_uses_dynamic_stack 0
		.amdhsa_enable_private_segment 0
		.amdhsa_system_sgpr_workgroup_id_x 1
		.amdhsa_system_sgpr_workgroup_id_y 0
		.amdhsa_system_sgpr_workgroup_id_z 0
		.amdhsa_system_sgpr_workgroup_info 0
		.amdhsa_system_vgpr_workitem_id 0
		.amdhsa_next_free_vgpr 53
		.amdhsa_next_free_sgpr 40
		.amdhsa_accum_offset 56
		.amdhsa_reserve_vcc 1
		.amdhsa_float_round_mode_32 0
		.amdhsa_float_round_mode_16_64 0
		.amdhsa_float_denorm_mode_32 3
		.amdhsa_float_denorm_mode_16_64 3
		.amdhsa_dx10_clamp 1
		.amdhsa_ieee_mode 1
		.amdhsa_fp16_overflow 0
		.amdhsa_tg_split 0
		.amdhsa_exception_fp_ieee_invalid_op 0
		.amdhsa_exception_fp_denorm_src 0
		.amdhsa_exception_fp_ieee_div_zero 0
		.amdhsa_exception_fp_ieee_overflow 0
		.amdhsa_exception_fp_ieee_underflow 0
		.amdhsa_exception_fp_ieee_inexact 0
		.amdhsa_exception_int_div_zero 0
	.end_amdhsa_kernel
	.section	.text._ZN7rocprim17ROCPRIM_400000_NS6detail17trampoline_kernelINS0_14default_configENS1_25partition_config_selectorILNS1_17partition_subalgoE8ElNS0_10empty_typeEbEEZZNS1_14partition_implILS5_8ELb0ES3_jPKlPS6_PKS6_NS0_5tupleIJPlS6_EEENSE_IJSB_SB_EEENS0_18inequality_wrapperIN6hipcub16HIPCUB_304000_NS8EqualityEEESF_JS6_EEE10hipError_tPvRmT3_T4_T5_T6_T7_T9_mT8_P12ihipStream_tbDpT10_ENKUlT_T0_E_clISt17integral_constantIbLb0EES15_IbLb1EEEEDaS11_S12_EUlS11_E_NS1_11comp_targetILNS1_3genE5ELNS1_11target_archE942ELNS1_3gpuE9ELNS1_3repE0EEENS1_30default_config_static_selectorELNS0_4arch9wavefront6targetE1EEEvT1_,"axG",@progbits,_ZN7rocprim17ROCPRIM_400000_NS6detail17trampoline_kernelINS0_14default_configENS1_25partition_config_selectorILNS1_17partition_subalgoE8ElNS0_10empty_typeEbEEZZNS1_14partition_implILS5_8ELb0ES3_jPKlPS6_PKS6_NS0_5tupleIJPlS6_EEENSE_IJSB_SB_EEENS0_18inequality_wrapperIN6hipcub16HIPCUB_304000_NS8EqualityEEESF_JS6_EEE10hipError_tPvRmT3_T4_T5_T6_T7_T9_mT8_P12ihipStream_tbDpT10_ENKUlT_T0_E_clISt17integral_constantIbLb0EES15_IbLb1EEEEDaS11_S12_EUlS11_E_NS1_11comp_targetILNS1_3genE5ELNS1_11target_archE942ELNS1_3gpuE9ELNS1_3repE0EEENS1_30default_config_static_selectorELNS0_4arch9wavefront6targetE1EEEvT1_,comdat
.Lfunc_end504:
	.size	_ZN7rocprim17ROCPRIM_400000_NS6detail17trampoline_kernelINS0_14default_configENS1_25partition_config_selectorILNS1_17partition_subalgoE8ElNS0_10empty_typeEbEEZZNS1_14partition_implILS5_8ELb0ES3_jPKlPS6_PKS6_NS0_5tupleIJPlS6_EEENSE_IJSB_SB_EEENS0_18inequality_wrapperIN6hipcub16HIPCUB_304000_NS8EqualityEEESF_JS6_EEE10hipError_tPvRmT3_T4_T5_T6_T7_T9_mT8_P12ihipStream_tbDpT10_ENKUlT_T0_E_clISt17integral_constantIbLb0EES15_IbLb1EEEEDaS11_S12_EUlS11_E_NS1_11comp_targetILNS1_3genE5ELNS1_11target_archE942ELNS1_3gpuE9ELNS1_3repE0EEENS1_30default_config_static_selectorELNS0_4arch9wavefront6targetE1EEEvT1_, .Lfunc_end504-_ZN7rocprim17ROCPRIM_400000_NS6detail17trampoline_kernelINS0_14default_configENS1_25partition_config_selectorILNS1_17partition_subalgoE8ElNS0_10empty_typeEbEEZZNS1_14partition_implILS5_8ELb0ES3_jPKlPS6_PKS6_NS0_5tupleIJPlS6_EEENSE_IJSB_SB_EEENS0_18inequality_wrapperIN6hipcub16HIPCUB_304000_NS8EqualityEEESF_JS6_EEE10hipError_tPvRmT3_T4_T5_T6_T7_T9_mT8_P12ihipStream_tbDpT10_ENKUlT_T0_E_clISt17integral_constantIbLb0EES15_IbLb1EEEEDaS11_S12_EUlS11_E_NS1_11comp_targetILNS1_3genE5ELNS1_11target_archE942ELNS1_3gpuE9ELNS1_3repE0EEENS1_30default_config_static_selectorELNS0_4arch9wavefront6targetE1EEEvT1_
                                        ; -- End function
	.section	.AMDGPU.csdata,"",@progbits
; Kernel info:
; codeLenInByte = 5620
; NumSgprs: 46
; NumVgprs: 53
; NumAgprs: 0
; TotalNumVgprs: 53
; ScratchSize: 0
; MemoryBound: 0
; FloatMode: 240
; IeeeMode: 1
; LDSByteSize: 28680 bytes/workgroup (compile time only)
; SGPRBlocks: 5
; VGPRBlocks: 6
; NumSGPRsForWavesPerEU: 46
; NumVGPRsForWavesPerEU: 53
; AccumOffset: 56
; Occupancy: 4
; WaveLimiterHint : 1
; COMPUTE_PGM_RSRC2:SCRATCH_EN: 0
; COMPUTE_PGM_RSRC2:USER_SGPR: 2
; COMPUTE_PGM_RSRC2:TRAP_HANDLER: 0
; COMPUTE_PGM_RSRC2:TGID_X_EN: 1
; COMPUTE_PGM_RSRC2:TGID_Y_EN: 0
; COMPUTE_PGM_RSRC2:TGID_Z_EN: 0
; COMPUTE_PGM_RSRC2:TIDIG_COMP_CNT: 0
; COMPUTE_PGM_RSRC3_GFX90A:ACCUM_OFFSET: 13
; COMPUTE_PGM_RSRC3_GFX90A:TG_SPLIT: 0
	.section	.text._ZN7rocprim17ROCPRIM_400000_NS6detail17trampoline_kernelINS0_14default_configENS1_25partition_config_selectorILNS1_17partition_subalgoE8ElNS0_10empty_typeEbEEZZNS1_14partition_implILS5_8ELb0ES3_jPKlPS6_PKS6_NS0_5tupleIJPlS6_EEENSE_IJSB_SB_EEENS0_18inequality_wrapperIN6hipcub16HIPCUB_304000_NS8EqualityEEESF_JS6_EEE10hipError_tPvRmT3_T4_T5_T6_T7_T9_mT8_P12ihipStream_tbDpT10_ENKUlT_T0_E_clISt17integral_constantIbLb0EES15_IbLb1EEEEDaS11_S12_EUlS11_E_NS1_11comp_targetILNS1_3genE4ELNS1_11target_archE910ELNS1_3gpuE8ELNS1_3repE0EEENS1_30default_config_static_selectorELNS0_4arch9wavefront6targetE1EEEvT1_,"axG",@progbits,_ZN7rocprim17ROCPRIM_400000_NS6detail17trampoline_kernelINS0_14default_configENS1_25partition_config_selectorILNS1_17partition_subalgoE8ElNS0_10empty_typeEbEEZZNS1_14partition_implILS5_8ELb0ES3_jPKlPS6_PKS6_NS0_5tupleIJPlS6_EEENSE_IJSB_SB_EEENS0_18inequality_wrapperIN6hipcub16HIPCUB_304000_NS8EqualityEEESF_JS6_EEE10hipError_tPvRmT3_T4_T5_T6_T7_T9_mT8_P12ihipStream_tbDpT10_ENKUlT_T0_E_clISt17integral_constantIbLb0EES15_IbLb1EEEEDaS11_S12_EUlS11_E_NS1_11comp_targetILNS1_3genE4ELNS1_11target_archE910ELNS1_3gpuE8ELNS1_3repE0EEENS1_30default_config_static_selectorELNS0_4arch9wavefront6targetE1EEEvT1_,comdat
	.protected	_ZN7rocprim17ROCPRIM_400000_NS6detail17trampoline_kernelINS0_14default_configENS1_25partition_config_selectorILNS1_17partition_subalgoE8ElNS0_10empty_typeEbEEZZNS1_14partition_implILS5_8ELb0ES3_jPKlPS6_PKS6_NS0_5tupleIJPlS6_EEENSE_IJSB_SB_EEENS0_18inequality_wrapperIN6hipcub16HIPCUB_304000_NS8EqualityEEESF_JS6_EEE10hipError_tPvRmT3_T4_T5_T6_T7_T9_mT8_P12ihipStream_tbDpT10_ENKUlT_T0_E_clISt17integral_constantIbLb0EES15_IbLb1EEEEDaS11_S12_EUlS11_E_NS1_11comp_targetILNS1_3genE4ELNS1_11target_archE910ELNS1_3gpuE8ELNS1_3repE0EEENS1_30default_config_static_selectorELNS0_4arch9wavefront6targetE1EEEvT1_ ; -- Begin function _ZN7rocprim17ROCPRIM_400000_NS6detail17trampoline_kernelINS0_14default_configENS1_25partition_config_selectorILNS1_17partition_subalgoE8ElNS0_10empty_typeEbEEZZNS1_14partition_implILS5_8ELb0ES3_jPKlPS6_PKS6_NS0_5tupleIJPlS6_EEENSE_IJSB_SB_EEENS0_18inequality_wrapperIN6hipcub16HIPCUB_304000_NS8EqualityEEESF_JS6_EEE10hipError_tPvRmT3_T4_T5_T6_T7_T9_mT8_P12ihipStream_tbDpT10_ENKUlT_T0_E_clISt17integral_constantIbLb0EES15_IbLb1EEEEDaS11_S12_EUlS11_E_NS1_11comp_targetILNS1_3genE4ELNS1_11target_archE910ELNS1_3gpuE8ELNS1_3repE0EEENS1_30default_config_static_selectorELNS0_4arch9wavefront6targetE1EEEvT1_
	.globl	_ZN7rocprim17ROCPRIM_400000_NS6detail17trampoline_kernelINS0_14default_configENS1_25partition_config_selectorILNS1_17partition_subalgoE8ElNS0_10empty_typeEbEEZZNS1_14partition_implILS5_8ELb0ES3_jPKlPS6_PKS6_NS0_5tupleIJPlS6_EEENSE_IJSB_SB_EEENS0_18inequality_wrapperIN6hipcub16HIPCUB_304000_NS8EqualityEEESF_JS6_EEE10hipError_tPvRmT3_T4_T5_T6_T7_T9_mT8_P12ihipStream_tbDpT10_ENKUlT_T0_E_clISt17integral_constantIbLb0EES15_IbLb1EEEEDaS11_S12_EUlS11_E_NS1_11comp_targetILNS1_3genE4ELNS1_11target_archE910ELNS1_3gpuE8ELNS1_3repE0EEENS1_30default_config_static_selectorELNS0_4arch9wavefront6targetE1EEEvT1_
	.p2align	8
	.type	_ZN7rocprim17ROCPRIM_400000_NS6detail17trampoline_kernelINS0_14default_configENS1_25partition_config_selectorILNS1_17partition_subalgoE8ElNS0_10empty_typeEbEEZZNS1_14partition_implILS5_8ELb0ES3_jPKlPS6_PKS6_NS0_5tupleIJPlS6_EEENSE_IJSB_SB_EEENS0_18inequality_wrapperIN6hipcub16HIPCUB_304000_NS8EqualityEEESF_JS6_EEE10hipError_tPvRmT3_T4_T5_T6_T7_T9_mT8_P12ihipStream_tbDpT10_ENKUlT_T0_E_clISt17integral_constantIbLb0EES15_IbLb1EEEEDaS11_S12_EUlS11_E_NS1_11comp_targetILNS1_3genE4ELNS1_11target_archE910ELNS1_3gpuE8ELNS1_3repE0EEENS1_30default_config_static_selectorELNS0_4arch9wavefront6targetE1EEEvT1_,@function
_ZN7rocprim17ROCPRIM_400000_NS6detail17trampoline_kernelINS0_14default_configENS1_25partition_config_selectorILNS1_17partition_subalgoE8ElNS0_10empty_typeEbEEZZNS1_14partition_implILS5_8ELb0ES3_jPKlPS6_PKS6_NS0_5tupleIJPlS6_EEENSE_IJSB_SB_EEENS0_18inequality_wrapperIN6hipcub16HIPCUB_304000_NS8EqualityEEESF_JS6_EEE10hipError_tPvRmT3_T4_T5_T6_T7_T9_mT8_P12ihipStream_tbDpT10_ENKUlT_T0_E_clISt17integral_constantIbLb0EES15_IbLb1EEEEDaS11_S12_EUlS11_E_NS1_11comp_targetILNS1_3genE4ELNS1_11target_archE910ELNS1_3gpuE8ELNS1_3repE0EEENS1_30default_config_static_selectorELNS0_4arch9wavefront6targetE1EEEvT1_: ; @_ZN7rocprim17ROCPRIM_400000_NS6detail17trampoline_kernelINS0_14default_configENS1_25partition_config_selectorILNS1_17partition_subalgoE8ElNS0_10empty_typeEbEEZZNS1_14partition_implILS5_8ELb0ES3_jPKlPS6_PKS6_NS0_5tupleIJPlS6_EEENSE_IJSB_SB_EEENS0_18inequality_wrapperIN6hipcub16HIPCUB_304000_NS8EqualityEEESF_JS6_EEE10hipError_tPvRmT3_T4_T5_T6_T7_T9_mT8_P12ihipStream_tbDpT10_ENKUlT_T0_E_clISt17integral_constantIbLb0EES15_IbLb1EEEEDaS11_S12_EUlS11_E_NS1_11comp_targetILNS1_3genE4ELNS1_11target_archE910ELNS1_3gpuE8ELNS1_3repE0EEENS1_30default_config_static_selectorELNS0_4arch9wavefront6targetE1EEEvT1_
; %bb.0:
	.section	.rodata,"a",@progbits
	.p2align	6, 0x0
	.amdhsa_kernel _ZN7rocprim17ROCPRIM_400000_NS6detail17trampoline_kernelINS0_14default_configENS1_25partition_config_selectorILNS1_17partition_subalgoE8ElNS0_10empty_typeEbEEZZNS1_14partition_implILS5_8ELb0ES3_jPKlPS6_PKS6_NS0_5tupleIJPlS6_EEENSE_IJSB_SB_EEENS0_18inequality_wrapperIN6hipcub16HIPCUB_304000_NS8EqualityEEESF_JS6_EEE10hipError_tPvRmT3_T4_T5_T6_T7_T9_mT8_P12ihipStream_tbDpT10_ENKUlT_T0_E_clISt17integral_constantIbLb0EES15_IbLb1EEEEDaS11_S12_EUlS11_E_NS1_11comp_targetILNS1_3genE4ELNS1_11target_archE910ELNS1_3gpuE8ELNS1_3repE0EEENS1_30default_config_static_selectorELNS0_4arch9wavefront6targetE1EEEvT1_
		.amdhsa_group_segment_fixed_size 0
		.amdhsa_private_segment_fixed_size 0
		.amdhsa_kernarg_size 128
		.amdhsa_user_sgpr_count 2
		.amdhsa_user_sgpr_dispatch_ptr 0
		.amdhsa_user_sgpr_queue_ptr 0
		.amdhsa_user_sgpr_kernarg_segment_ptr 1
		.amdhsa_user_sgpr_dispatch_id 0
		.amdhsa_user_sgpr_kernarg_preload_length 0
		.amdhsa_user_sgpr_kernarg_preload_offset 0
		.amdhsa_user_sgpr_private_segment_size 0
		.amdhsa_uses_dynamic_stack 0
		.amdhsa_enable_private_segment 0
		.amdhsa_system_sgpr_workgroup_id_x 1
		.amdhsa_system_sgpr_workgroup_id_y 0
		.amdhsa_system_sgpr_workgroup_id_z 0
		.amdhsa_system_sgpr_workgroup_info 0
		.amdhsa_system_vgpr_workitem_id 0
		.amdhsa_next_free_vgpr 1
		.amdhsa_next_free_sgpr 0
		.amdhsa_accum_offset 4
		.amdhsa_reserve_vcc 0
		.amdhsa_float_round_mode_32 0
		.amdhsa_float_round_mode_16_64 0
		.amdhsa_float_denorm_mode_32 3
		.amdhsa_float_denorm_mode_16_64 3
		.amdhsa_dx10_clamp 1
		.amdhsa_ieee_mode 1
		.amdhsa_fp16_overflow 0
		.amdhsa_tg_split 0
		.amdhsa_exception_fp_ieee_invalid_op 0
		.amdhsa_exception_fp_denorm_src 0
		.amdhsa_exception_fp_ieee_div_zero 0
		.amdhsa_exception_fp_ieee_overflow 0
		.amdhsa_exception_fp_ieee_underflow 0
		.amdhsa_exception_fp_ieee_inexact 0
		.amdhsa_exception_int_div_zero 0
	.end_amdhsa_kernel
	.section	.text._ZN7rocprim17ROCPRIM_400000_NS6detail17trampoline_kernelINS0_14default_configENS1_25partition_config_selectorILNS1_17partition_subalgoE8ElNS0_10empty_typeEbEEZZNS1_14partition_implILS5_8ELb0ES3_jPKlPS6_PKS6_NS0_5tupleIJPlS6_EEENSE_IJSB_SB_EEENS0_18inequality_wrapperIN6hipcub16HIPCUB_304000_NS8EqualityEEESF_JS6_EEE10hipError_tPvRmT3_T4_T5_T6_T7_T9_mT8_P12ihipStream_tbDpT10_ENKUlT_T0_E_clISt17integral_constantIbLb0EES15_IbLb1EEEEDaS11_S12_EUlS11_E_NS1_11comp_targetILNS1_3genE4ELNS1_11target_archE910ELNS1_3gpuE8ELNS1_3repE0EEENS1_30default_config_static_selectorELNS0_4arch9wavefront6targetE1EEEvT1_,"axG",@progbits,_ZN7rocprim17ROCPRIM_400000_NS6detail17trampoline_kernelINS0_14default_configENS1_25partition_config_selectorILNS1_17partition_subalgoE8ElNS0_10empty_typeEbEEZZNS1_14partition_implILS5_8ELb0ES3_jPKlPS6_PKS6_NS0_5tupleIJPlS6_EEENSE_IJSB_SB_EEENS0_18inequality_wrapperIN6hipcub16HIPCUB_304000_NS8EqualityEEESF_JS6_EEE10hipError_tPvRmT3_T4_T5_T6_T7_T9_mT8_P12ihipStream_tbDpT10_ENKUlT_T0_E_clISt17integral_constantIbLb0EES15_IbLb1EEEEDaS11_S12_EUlS11_E_NS1_11comp_targetILNS1_3genE4ELNS1_11target_archE910ELNS1_3gpuE8ELNS1_3repE0EEENS1_30default_config_static_selectorELNS0_4arch9wavefront6targetE1EEEvT1_,comdat
.Lfunc_end505:
	.size	_ZN7rocprim17ROCPRIM_400000_NS6detail17trampoline_kernelINS0_14default_configENS1_25partition_config_selectorILNS1_17partition_subalgoE8ElNS0_10empty_typeEbEEZZNS1_14partition_implILS5_8ELb0ES3_jPKlPS6_PKS6_NS0_5tupleIJPlS6_EEENSE_IJSB_SB_EEENS0_18inequality_wrapperIN6hipcub16HIPCUB_304000_NS8EqualityEEESF_JS6_EEE10hipError_tPvRmT3_T4_T5_T6_T7_T9_mT8_P12ihipStream_tbDpT10_ENKUlT_T0_E_clISt17integral_constantIbLb0EES15_IbLb1EEEEDaS11_S12_EUlS11_E_NS1_11comp_targetILNS1_3genE4ELNS1_11target_archE910ELNS1_3gpuE8ELNS1_3repE0EEENS1_30default_config_static_selectorELNS0_4arch9wavefront6targetE1EEEvT1_, .Lfunc_end505-_ZN7rocprim17ROCPRIM_400000_NS6detail17trampoline_kernelINS0_14default_configENS1_25partition_config_selectorILNS1_17partition_subalgoE8ElNS0_10empty_typeEbEEZZNS1_14partition_implILS5_8ELb0ES3_jPKlPS6_PKS6_NS0_5tupleIJPlS6_EEENSE_IJSB_SB_EEENS0_18inequality_wrapperIN6hipcub16HIPCUB_304000_NS8EqualityEEESF_JS6_EEE10hipError_tPvRmT3_T4_T5_T6_T7_T9_mT8_P12ihipStream_tbDpT10_ENKUlT_T0_E_clISt17integral_constantIbLb0EES15_IbLb1EEEEDaS11_S12_EUlS11_E_NS1_11comp_targetILNS1_3genE4ELNS1_11target_archE910ELNS1_3gpuE8ELNS1_3repE0EEENS1_30default_config_static_selectorELNS0_4arch9wavefront6targetE1EEEvT1_
                                        ; -- End function
	.section	.AMDGPU.csdata,"",@progbits
; Kernel info:
; codeLenInByte = 0
; NumSgprs: 6
; NumVgprs: 0
; NumAgprs: 0
; TotalNumVgprs: 0
; ScratchSize: 0
; MemoryBound: 0
; FloatMode: 240
; IeeeMode: 1
; LDSByteSize: 0 bytes/workgroup (compile time only)
; SGPRBlocks: 0
; VGPRBlocks: 0
; NumSGPRsForWavesPerEU: 6
; NumVGPRsForWavesPerEU: 1
; AccumOffset: 4
; Occupancy: 8
; WaveLimiterHint : 0
; COMPUTE_PGM_RSRC2:SCRATCH_EN: 0
; COMPUTE_PGM_RSRC2:USER_SGPR: 2
; COMPUTE_PGM_RSRC2:TRAP_HANDLER: 0
; COMPUTE_PGM_RSRC2:TGID_X_EN: 1
; COMPUTE_PGM_RSRC2:TGID_Y_EN: 0
; COMPUTE_PGM_RSRC2:TGID_Z_EN: 0
; COMPUTE_PGM_RSRC2:TIDIG_COMP_CNT: 0
; COMPUTE_PGM_RSRC3_GFX90A:ACCUM_OFFSET: 0
; COMPUTE_PGM_RSRC3_GFX90A:TG_SPLIT: 0
	.section	.text._ZN7rocprim17ROCPRIM_400000_NS6detail17trampoline_kernelINS0_14default_configENS1_25partition_config_selectorILNS1_17partition_subalgoE8ElNS0_10empty_typeEbEEZZNS1_14partition_implILS5_8ELb0ES3_jPKlPS6_PKS6_NS0_5tupleIJPlS6_EEENSE_IJSB_SB_EEENS0_18inequality_wrapperIN6hipcub16HIPCUB_304000_NS8EqualityEEESF_JS6_EEE10hipError_tPvRmT3_T4_T5_T6_T7_T9_mT8_P12ihipStream_tbDpT10_ENKUlT_T0_E_clISt17integral_constantIbLb0EES15_IbLb1EEEEDaS11_S12_EUlS11_E_NS1_11comp_targetILNS1_3genE3ELNS1_11target_archE908ELNS1_3gpuE7ELNS1_3repE0EEENS1_30default_config_static_selectorELNS0_4arch9wavefront6targetE1EEEvT1_,"axG",@progbits,_ZN7rocprim17ROCPRIM_400000_NS6detail17trampoline_kernelINS0_14default_configENS1_25partition_config_selectorILNS1_17partition_subalgoE8ElNS0_10empty_typeEbEEZZNS1_14partition_implILS5_8ELb0ES3_jPKlPS6_PKS6_NS0_5tupleIJPlS6_EEENSE_IJSB_SB_EEENS0_18inequality_wrapperIN6hipcub16HIPCUB_304000_NS8EqualityEEESF_JS6_EEE10hipError_tPvRmT3_T4_T5_T6_T7_T9_mT8_P12ihipStream_tbDpT10_ENKUlT_T0_E_clISt17integral_constantIbLb0EES15_IbLb1EEEEDaS11_S12_EUlS11_E_NS1_11comp_targetILNS1_3genE3ELNS1_11target_archE908ELNS1_3gpuE7ELNS1_3repE0EEENS1_30default_config_static_selectorELNS0_4arch9wavefront6targetE1EEEvT1_,comdat
	.protected	_ZN7rocprim17ROCPRIM_400000_NS6detail17trampoline_kernelINS0_14default_configENS1_25partition_config_selectorILNS1_17partition_subalgoE8ElNS0_10empty_typeEbEEZZNS1_14partition_implILS5_8ELb0ES3_jPKlPS6_PKS6_NS0_5tupleIJPlS6_EEENSE_IJSB_SB_EEENS0_18inequality_wrapperIN6hipcub16HIPCUB_304000_NS8EqualityEEESF_JS6_EEE10hipError_tPvRmT3_T4_T5_T6_T7_T9_mT8_P12ihipStream_tbDpT10_ENKUlT_T0_E_clISt17integral_constantIbLb0EES15_IbLb1EEEEDaS11_S12_EUlS11_E_NS1_11comp_targetILNS1_3genE3ELNS1_11target_archE908ELNS1_3gpuE7ELNS1_3repE0EEENS1_30default_config_static_selectorELNS0_4arch9wavefront6targetE1EEEvT1_ ; -- Begin function _ZN7rocprim17ROCPRIM_400000_NS6detail17trampoline_kernelINS0_14default_configENS1_25partition_config_selectorILNS1_17partition_subalgoE8ElNS0_10empty_typeEbEEZZNS1_14partition_implILS5_8ELb0ES3_jPKlPS6_PKS6_NS0_5tupleIJPlS6_EEENSE_IJSB_SB_EEENS0_18inequality_wrapperIN6hipcub16HIPCUB_304000_NS8EqualityEEESF_JS6_EEE10hipError_tPvRmT3_T4_T5_T6_T7_T9_mT8_P12ihipStream_tbDpT10_ENKUlT_T0_E_clISt17integral_constantIbLb0EES15_IbLb1EEEEDaS11_S12_EUlS11_E_NS1_11comp_targetILNS1_3genE3ELNS1_11target_archE908ELNS1_3gpuE7ELNS1_3repE0EEENS1_30default_config_static_selectorELNS0_4arch9wavefront6targetE1EEEvT1_
	.globl	_ZN7rocprim17ROCPRIM_400000_NS6detail17trampoline_kernelINS0_14default_configENS1_25partition_config_selectorILNS1_17partition_subalgoE8ElNS0_10empty_typeEbEEZZNS1_14partition_implILS5_8ELb0ES3_jPKlPS6_PKS6_NS0_5tupleIJPlS6_EEENSE_IJSB_SB_EEENS0_18inequality_wrapperIN6hipcub16HIPCUB_304000_NS8EqualityEEESF_JS6_EEE10hipError_tPvRmT3_T4_T5_T6_T7_T9_mT8_P12ihipStream_tbDpT10_ENKUlT_T0_E_clISt17integral_constantIbLb0EES15_IbLb1EEEEDaS11_S12_EUlS11_E_NS1_11comp_targetILNS1_3genE3ELNS1_11target_archE908ELNS1_3gpuE7ELNS1_3repE0EEENS1_30default_config_static_selectorELNS0_4arch9wavefront6targetE1EEEvT1_
	.p2align	8
	.type	_ZN7rocprim17ROCPRIM_400000_NS6detail17trampoline_kernelINS0_14default_configENS1_25partition_config_selectorILNS1_17partition_subalgoE8ElNS0_10empty_typeEbEEZZNS1_14partition_implILS5_8ELb0ES3_jPKlPS6_PKS6_NS0_5tupleIJPlS6_EEENSE_IJSB_SB_EEENS0_18inequality_wrapperIN6hipcub16HIPCUB_304000_NS8EqualityEEESF_JS6_EEE10hipError_tPvRmT3_T4_T5_T6_T7_T9_mT8_P12ihipStream_tbDpT10_ENKUlT_T0_E_clISt17integral_constantIbLb0EES15_IbLb1EEEEDaS11_S12_EUlS11_E_NS1_11comp_targetILNS1_3genE3ELNS1_11target_archE908ELNS1_3gpuE7ELNS1_3repE0EEENS1_30default_config_static_selectorELNS0_4arch9wavefront6targetE1EEEvT1_,@function
_ZN7rocprim17ROCPRIM_400000_NS6detail17trampoline_kernelINS0_14default_configENS1_25partition_config_selectorILNS1_17partition_subalgoE8ElNS0_10empty_typeEbEEZZNS1_14partition_implILS5_8ELb0ES3_jPKlPS6_PKS6_NS0_5tupleIJPlS6_EEENSE_IJSB_SB_EEENS0_18inequality_wrapperIN6hipcub16HIPCUB_304000_NS8EqualityEEESF_JS6_EEE10hipError_tPvRmT3_T4_T5_T6_T7_T9_mT8_P12ihipStream_tbDpT10_ENKUlT_T0_E_clISt17integral_constantIbLb0EES15_IbLb1EEEEDaS11_S12_EUlS11_E_NS1_11comp_targetILNS1_3genE3ELNS1_11target_archE908ELNS1_3gpuE7ELNS1_3repE0EEENS1_30default_config_static_selectorELNS0_4arch9wavefront6targetE1EEEvT1_: ; @_ZN7rocprim17ROCPRIM_400000_NS6detail17trampoline_kernelINS0_14default_configENS1_25partition_config_selectorILNS1_17partition_subalgoE8ElNS0_10empty_typeEbEEZZNS1_14partition_implILS5_8ELb0ES3_jPKlPS6_PKS6_NS0_5tupleIJPlS6_EEENSE_IJSB_SB_EEENS0_18inequality_wrapperIN6hipcub16HIPCUB_304000_NS8EqualityEEESF_JS6_EEE10hipError_tPvRmT3_T4_T5_T6_T7_T9_mT8_P12ihipStream_tbDpT10_ENKUlT_T0_E_clISt17integral_constantIbLb0EES15_IbLb1EEEEDaS11_S12_EUlS11_E_NS1_11comp_targetILNS1_3genE3ELNS1_11target_archE908ELNS1_3gpuE7ELNS1_3repE0EEENS1_30default_config_static_selectorELNS0_4arch9wavefront6targetE1EEEvT1_
; %bb.0:
	.section	.rodata,"a",@progbits
	.p2align	6, 0x0
	.amdhsa_kernel _ZN7rocprim17ROCPRIM_400000_NS6detail17trampoline_kernelINS0_14default_configENS1_25partition_config_selectorILNS1_17partition_subalgoE8ElNS0_10empty_typeEbEEZZNS1_14partition_implILS5_8ELb0ES3_jPKlPS6_PKS6_NS0_5tupleIJPlS6_EEENSE_IJSB_SB_EEENS0_18inequality_wrapperIN6hipcub16HIPCUB_304000_NS8EqualityEEESF_JS6_EEE10hipError_tPvRmT3_T4_T5_T6_T7_T9_mT8_P12ihipStream_tbDpT10_ENKUlT_T0_E_clISt17integral_constantIbLb0EES15_IbLb1EEEEDaS11_S12_EUlS11_E_NS1_11comp_targetILNS1_3genE3ELNS1_11target_archE908ELNS1_3gpuE7ELNS1_3repE0EEENS1_30default_config_static_selectorELNS0_4arch9wavefront6targetE1EEEvT1_
		.amdhsa_group_segment_fixed_size 0
		.amdhsa_private_segment_fixed_size 0
		.amdhsa_kernarg_size 128
		.amdhsa_user_sgpr_count 2
		.amdhsa_user_sgpr_dispatch_ptr 0
		.amdhsa_user_sgpr_queue_ptr 0
		.amdhsa_user_sgpr_kernarg_segment_ptr 1
		.amdhsa_user_sgpr_dispatch_id 0
		.amdhsa_user_sgpr_kernarg_preload_length 0
		.amdhsa_user_sgpr_kernarg_preload_offset 0
		.amdhsa_user_sgpr_private_segment_size 0
		.amdhsa_uses_dynamic_stack 0
		.amdhsa_enable_private_segment 0
		.amdhsa_system_sgpr_workgroup_id_x 1
		.amdhsa_system_sgpr_workgroup_id_y 0
		.amdhsa_system_sgpr_workgroup_id_z 0
		.amdhsa_system_sgpr_workgroup_info 0
		.amdhsa_system_vgpr_workitem_id 0
		.amdhsa_next_free_vgpr 1
		.amdhsa_next_free_sgpr 0
		.amdhsa_accum_offset 4
		.amdhsa_reserve_vcc 0
		.amdhsa_float_round_mode_32 0
		.amdhsa_float_round_mode_16_64 0
		.amdhsa_float_denorm_mode_32 3
		.amdhsa_float_denorm_mode_16_64 3
		.amdhsa_dx10_clamp 1
		.amdhsa_ieee_mode 1
		.amdhsa_fp16_overflow 0
		.amdhsa_tg_split 0
		.amdhsa_exception_fp_ieee_invalid_op 0
		.amdhsa_exception_fp_denorm_src 0
		.amdhsa_exception_fp_ieee_div_zero 0
		.amdhsa_exception_fp_ieee_overflow 0
		.amdhsa_exception_fp_ieee_underflow 0
		.amdhsa_exception_fp_ieee_inexact 0
		.amdhsa_exception_int_div_zero 0
	.end_amdhsa_kernel
	.section	.text._ZN7rocprim17ROCPRIM_400000_NS6detail17trampoline_kernelINS0_14default_configENS1_25partition_config_selectorILNS1_17partition_subalgoE8ElNS0_10empty_typeEbEEZZNS1_14partition_implILS5_8ELb0ES3_jPKlPS6_PKS6_NS0_5tupleIJPlS6_EEENSE_IJSB_SB_EEENS0_18inequality_wrapperIN6hipcub16HIPCUB_304000_NS8EqualityEEESF_JS6_EEE10hipError_tPvRmT3_T4_T5_T6_T7_T9_mT8_P12ihipStream_tbDpT10_ENKUlT_T0_E_clISt17integral_constantIbLb0EES15_IbLb1EEEEDaS11_S12_EUlS11_E_NS1_11comp_targetILNS1_3genE3ELNS1_11target_archE908ELNS1_3gpuE7ELNS1_3repE0EEENS1_30default_config_static_selectorELNS0_4arch9wavefront6targetE1EEEvT1_,"axG",@progbits,_ZN7rocprim17ROCPRIM_400000_NS6detail17trampoline_kernelINS0_14default_configENS1_25partition_config_selectorILNS1_17partition_subalgoE8ElNS0_10empty_typeEbEEZZNS1_14partition_implILS5_8ELb0ES3_jPKlPS6_PKS6_NS0_5tupleIJPlS6_EEENSE_IJSB_SB_EEENS0_18inequality_wrapperIN6hipcub16HIPCUB_304000_NS8EqualityEEESF_JS6_EEE10hipError_tPvRmT3_T4_T5_T6_T7_T9_mT8_P12ihipStream_tbDpT10_ENKUlT_T0_E_clISt17integral_constantIbLb0EES15_IbLb1EEEEDaS11_S12_EUlS11_E_NS1_11comp_targetILNS1_3genE3ELNS1_11target_archE908ELNS1_3gpuE7ELNS1_3repE0EEENS1_30default_config_static_selectorELNS0_4arch9wavefront6targetE1EEEvT1_,comdat
.Lfunc_end506:
	.size	_ZN7rocprim17ROCPRIM_400000_NS6detail17trampoline_kernelINS0_14default_configENS1_25partition_config_selectorILNS1_17partition_subalgoE8ElNS0_10empty_typeEbEEZZNS1_14partition_implILS5_8ELb0ES3_jPKlPS6_PKS6_NS0_5tupleIJPlS6_EEENSE_IJSB_SB_EEENS0_18inequality_wrapperIN6hipcub16HIPCUB_304000_NS8EqualityEEESF_JS6_EEE10hipError_tPvRmT3_T4_T5_T6_T7_T9_mT8_P12ihipStream_tbDpT10_ENKUlT_T0_E_clISt17integral_constantIbLb0EES15_IbLb1EEEEDaS11_S12_EUlS11_E_NS1_11comp_targetILNS1_3genE3ELNS1_11target_archE908ELNS1_3gpuE7ELNS1_3repE0EEENS1_30default_config_static_selectorELNS0_4arch9wavefront6targetE1EEEvT1_, .Lfunc_end506-_ZN7rocprim17ROCPRIM_400000_NS6detail17trampoline_kernelINS0_14default_configENS1_25partition_config_selectorILNS1_17partition_subalgoE8ElNS0_10empty_typeEbEEZZNS1_14partition_implILS5_8ELb0ES3_jPKlPS6_PKS6_NS0_5tupleIJPlS6_EEENSE_IJSB_SB_EEENS0_18inequality_wrapperIN6hipcub16HIPCUB_304000_NS8EqualityEEESF_JS6_EEE10hipError_tPvRmT3_T4_T5_T6_T7_T9_mT8_P12ihipStream_tbDpT10_ENKUlT_T0_E_clISt17integral_constantIbLb0EES15_IbLb1EEEEDaS11_S12_EUlS11_E_NS1_11comp_targetILNS1_3genE3ELNS1_11target_archE908ELNS1_3gpuE7ELNS1_3repE0EEENS1_30default_config_static_selectorELNS0_4arch9wavefront6targetE1EEEvT1_
                                        ; -- End function
	.section	.AMDGPU.csdata,"",@progbits
; Kernel info:
; codeLenInByte = 0
; NumSgprs: 6
; NumVgprs: 0
; NumAgprs: 0
; TotalNumVgprs: 0
; ScratchSize: 0
; MemoryBound: 0
; FloatMode: 240
; IeeeMode: 1
; LDSByteSize: 0 bytes/workgroup (compile time only)
; SGPRBlocks: 0
; VGPRBlocks: 0
; NumSGPRsForWavesPerEU: 6
; NumVGPRsForWavesPerEU: 1
; AccumOffset: 4
; Occupancy: 8
; WaveLimiterHint : 0
; COMPUTE_PGM_RSRC2:SCRATCH_EN: 0
; COMPUTE_PGM_RSRC2:USER_SGPR: 2
; COMPUTE_PGM_RSRC2:TRAP_HANDLER: 0
; COMPUTE_PGM_RSRC2:TGID_X_EN: 1
; COMPUTE_PGM_RSRC2:TGID_Y_EN: 0
; COMPUTE_PGM_RSRC2:TGID_Z_EN: 0
; COMPUTE_PGM_RSRC2:TIDIG_COMP_CNT: 0
; COMPUTE_PGM_RSRC3_GFX90A:ACCUM_OFFSET: 0
; COMPUTE_PGM_RSRC3_GFX90A:TG_SPLIT: 0
	.section	.text._ZN7rocprim17ROCPRIM_400000_NS6detail17trampoline_kernelINS0_14default_configENS1_25partition_config_selectorILNS1_17partition_subalgoE8ElNS0_10empty_typeEbEEZZNS1_14partition_implILS5_8ELb0ES3_jPKlPS6_PKS6_NS0_5tupleIJPlS6_EEENSE_IJSB_SB_EEENS0_18inequality_wrapperIN6hipcub16HIPCUB_304000_NS8EqualityEEESF_JS6_EEE10hipError_tPvRmT3_T4_T5_T6_T7_T9_mT8_P12ihipStream_tbDpT10_ENKUlT_T0_E_clISt17integral_constantIbLb0EES15_IbLb1EEEEDaS11_S12_EUlS11_E_NS1_11comp_targetILNS1_3genE2ELNS1_11target_archE906ELNS1_3gpuE6ELNS1_3repE0EEENS1_30default_config_static_selectorELNS0_4arch9wavefront6targetE1EEEvT1_,"axG",@progbits,_ZN7rocprim17ROCPRIM_400000_NS6detail17trampoline_kernelINS0_14default_configENS1_25partition_config_selectorILNS1_17partition_subalgoE8ElNS0_10empty_typeEbEEZZNS1_14partition_implILS5_8ELb0ES3_jPKlPS6_PKS6_NS0_5tupleIJPlS6_EEENSE_IJSB_SB_EEENS0_18inequality_wrapperIN6hipcub16HIPCUB_304000_NS8EqualityEEESF_JS6_EEE10hipError_tPvRmT3_T4_T5_T6_T7_T9_mT8_P12ihipStream_tbDpT10_ENKUlT_T0_E_clISt17integral_constantIbLb0EES15_IbLb1EEEEDaS11_S12_EUlS11_E_NS1_11comp_targetILNS1_3genE2ELNS1_11target_archE906ELNS1_3gpuE6ELNS1_3repE0EEENS1_30default_config_static_selectorELNS0_4arch9wavefront6targetE1EEEvT1_,comdat
	.protected	_ZN7rocprim17ROCPRIM_400000_NS6detail17trampoline_kernelINS0_14default_configENS1_25partition_config_selectorILNS1_17partition_subalgoE8ElNS0_10empty_typeEbEEZZNS1_14partition_implILS5_8ELb0ES3_jPKlPS6_PKS6_NS0_5tupleIJPlS6_EEENSE_IJSB_SB_EEENS0_18inequality_wrapperIN6hipcub16HIPCUB_304000_NS8EqualityEEESF_JS6_EEE10hipError_tPvRmT3_T4_T5_T6_T7_T9_mT8_P12ihipStream_tbDpT10_ENKUlT_T0_E_clISt17integral_constantIbLb0EES15_IbLb1EEEEDaS11_S12_EUlS11_E_NS1_11comp_targetILNS1_3genE2ELNS1_11target_archE906ELNS1_3gpuE6ELNS1_3repE0EEENS1_30default_config_static_selectorELNS0_4arch9wavefront6targetE1EEEvT1_ ; -- Begin function _ZN7rocprim17ROCPRIM_400000_NS6detail17trampoline_kernelINS0_14default_configENS1_25partition_config_selectorILNS1_17partition_subalgoE8ElNS0_10empty_typeEbEEZZNS1_14partition_implILS5_8ELb0ES3_jPKlPS6_PKS6_NS0_5tupleIJPlS6_EEENSE_IJSB_SB_EEENS0_18inequality_wrapperIN6hipcub16HIPCUB_304000_NS8EqualityEEESF_JS6_EEE10hipError_tPvRmT3_T4_T5_T6_T7_T9_mT8_P12ihipStream_tbDpT10_ENKUlT_T0_E_clISt17integral_constantIbLb0EES15_IbLb1EEEEDaS11_S12_EUlS11_E_NS1_11comp_targetILNS1_3genE2ELNS1_11target_archE906ELNS1_3gpuE6ELNS1_3repE0EEENS1_30default_config_static_selectorELNS0_4arch9wavefront6targetE1EEEvT1_
	.globl	_ZN7rocprim17ROCPRIM_400000_NS6detail17trampoline_kernelINS0_14default_configENS1_25partition_config_selectorILNS1_17partition_subalgoE8ElNS0_10empty_typeEbEEZZNS1_14partition_implILS5_8ELb0ES3_jPKlPS6_PKS6_NS0_5tupleIJPlS6_EEENSE_IJSB_SB_EEENS0_18inequality_wrapperIN6hipcub16HIPCUB_304000_NS8EqualityEEESF_JS6_EEE10hipError_tPvRmT3_T4_T5_T6_T7_T9_mT8_P12ihipStream_tbDpT10_ENKUlT_T0_E_clISt17integral_constantIbLb0EES15_IbLb1EEEEDaS11_S12_EUlS11_E_NS1_11comp_targetILNS1_3genE2ELNS1_11target_archE906ELNS1_3gpuE6ELNS1_3repE0EEENS1_30default_config_static_selectorELNS0_4arch9wavefront6targetE1EEEvT1_
	.p2align	8
	.type	_ZN7rocprim17ROCPRIM_400000_NS6detail17trampoline_kernelINS0_14default_configENS1_25partition_config_selectorILNS1_17partition_subalgoE8ElNS0_10empty_typeEbEEZZNS1_14partition_implILS5_8ELb0ES3_jPKlPS6_PKS6_NS0_5tupleIJPlS6_EEENSE_IJSB_SB_EEENS0_18inequality_wrapperIN6hipcub16HIPCUB_304000_NS8EqualityEEESF_JS6_EEE10hipError_tPvRmT3_T4_T5_T6_T7_T9_mT8_P12ihipStream_tbDpT10_ENKUlT_T0_E_clISt17integral_constantIbLb0EES15_IbLb1EEEEDaS11_S12_EUlS11_E_NS1_11comp_targetILNS1_3genE2ELNS1_11target_archE906ELNS1_3gpuE6ELNS1_3repE0EEENS1_30default_config_static_selectorELNS0_4arch9wavefront6targetE1EEEvT1_,@function
_ZN7rocprim17ROCPRIM_400000_NS6detail17trampoline_kernelINS0_14default_configENS1_25partition_config_selectorILNS1_17partition_subalgoE8ElNS0_10empty_typeEbEEZZNS1_14partition_implILS5_8ELb0ES3_jPKlPS6_PKS6_NS0_5tupleIJPlS6_EEENSE_IJSB_SB_EEENS0_18inequality_wrapperIN6hipcub16HIPCUB_304000_NS8EqualityEEESF_JS6_EEE10hipError_tPvRmT3_T4_T5_T6_T7_T9_mT8_P12ihipStream_tbDpT10_ENKUlT_T0_E_clISt17integral_constantIbLb0EES15_IbLb1EEEEDaS11_S12_EUlS11_E_NS1_11comp_targetILNS1_3genE2ELNS1_11target_archE906ELNS1_3gpuE6ELNS1_3repE0EEENS1_30default_config_static_selectorELNS0_4arch9wavefront6targetE1EEEvT1_: ; @_ZN7rocprim17ROCPRIM_400000_NS6detail17trampoline_kernelINS0_14default_configENS1_25partition_config_selectorILNS1_17partition_subalgoE8ElNS0_10empty_typeEbEEZZNS1_14partition_implILS5_8ELb0ES3_jPKlPS6_PKS6_NS0_5tupleIJPlS6_EEENSE_IJSB_SB_EEENS0_18inequality_wrapperIN6hipcub16HIPCUB_304000_NS8EqualityEEESF_JS6_EEE10hipError_tPvRmT3_T4_T5_T6_T7_T9_mT8_P12ihipStream_tbDpT10_ENKUlT_T0_E_clISt17integral_constantIbLb0EES15_IbLb1EEEEDaS11_S12_EUlS11_E_NS1_11comp_targetILNS1_3genE2ELNS1_11target_archE906ELNS1_3gpuE6ELNS1_3repE0EEENS1_30default_config_static_selectorELNS0_4arch9wavefront6targetE1EEEvT1_
; %bb.0:
	.section	.rodata,"a",@progbits
	.p2align	6, 0x0
	.amdhsa_kernel _ZN7rocprim17ROCPRIM_400000_NS6detail17trampoline_kernelINS0_14default_configENS1_25partition_config_selectorILNS1_17partition_subalgoE8ElNS0_10empty_typeEbEEZZNS1_14partition_implILS5_8ELb0ES3_jPKlPS6_PKS6_NS0_5tupleIJPlS6_EEENSE_IJSB_SB_EEENS0_18inequality_wrapperIN6hipcub16HIPCUB_304000_NS8EqualityEEESF_JS6_EEE10hipError_tPvRmT3_T4_T5_T6_T7_T9_mT8_P12ihipStream_tbDpT10_ENKUlT_T0_E_clISt17integral_constantIbLb0EES15_IbLb1EEEEDaS11_S12_EUlS11_E_NS1_11comp_targetILNS1_3genE2ELNS1_11target_archE906ELNS1_3gpuE6ELNS1_3repE0EEENS1_30default_config_static_selectorELNS0_4arch9wavefront6targetE1EEEvT1_
		.amdhsa_group_segment_fixed_size 0
		.amdhsa_private_segment_fixed_size 0
		.amdhsa_kernarg_size 128
		.amdhsa_user_sgpr_count 2
		.amdhsa_user_sgpr_dispatch_ptr 0
		.amdhsa_user_sgpr_queue_ptr 0
		.amdhsa_user_sgpr_kernarg_segment_ptr 1
		.amdhsa_user_sgpr_dispatch_id 0
		.amdhsa_user_sgpr_kernarg_preload_length 0
		.amdhsa_user_sgpr_kernarg_preload_offset 0
		.amdhsa_user_sgpr_private_segment_size 0
		.amdhsa_uses_dynamic_stack 0
		.amdhsa_enable_private_segment 0
		.amdhsa_system_sgpr_workgroup_id_x 1
		.amdhsa_system_sgpr_workgroup_id_y 0
		.amdhsa_system_sgpr_workgroup_id_z 0
		.amdhsa_system_sgpr_workgroup_info 0
		.amdhsa_system_vgpr_workitem_id 0
		.amdhsa_next_free_vgpr 1
		.amdhsa_next_free_sgpr 0
		.amdhsa_accum_offset 4
		.amdhsa_reserve_vcc 0
		.amdhsa_float_round_mode_32 0
		.amdhsa_float_round_mode_16_64 0
		.amdhsa_float_denorm_mode_32 3
		.amdhsa_float_denorm_mode_16_64 3
		.amdhsa_dx10_clamp 1
		.amdhsa_ieee_mode 1
		.amdhsa_fp16_overflow 0
		.amdhsa_tg_split 0
		.amdhsa_exception_fp_ieee_invalid_op 0
		.amdhsa_exception_fp_denorm_src 0
		.amdhsa_exception_fp_ieee_div_zero 0
		.amdhsa_exception_fp_ieee_overflow 0
		.amdhsa_exception_fp_ieee_underflow 0
		.amdhsa_exception_fp_ieee_inexact 0
		.amdhsa_exception_int_div_zero 0
	.end_amdhsa_kernel
	.section	.text._ZN7rocprim17ROCPRIM_400000_NS6detail17trampoline_kernelINS0_14default_configENS1_25partition_config_selectorILNS1_17partition_subalgoE8ElNS0_10empty_typeEbEEZZNS1_14partition_implILS5_8ELb0ES3_jPKlPS6_PKS6_NS0_5tupleIJPlS6_EEENSE_IJSB_SB_EEENS0_18inequality_wrapperIN6hipcub16HIPCUB_304000_NS8EqualityEEESF_JS6_EEE10hipError_tPvRmT3_T4_T5_T6_T7_T9_mT8_P12ihipStream_tbDpT10_ENKUlT_T0_E_clISt17integral_constantIbLb0EES15_IbLb1EEEEDaS11_S12_EUlS11_E_NS1_11comp_targetILNS1_3genE2ELNS1_11target_archE906ELNS1_3gpuE6ELNS1_3repE0EEENS1_30default_config_static_selectorELNS0_4arch9wavefront6targetE1EEEvT1_,"axG",@progbits,_ZN7rocprim17ROCPRIM_400000_NS6detail17trampoline_kernelINS0_14default_configENS1_25partition_config_selectorILNS1_17partition_subalgoE8ElNS0_10empty_typeEbEEZZNS1_14partition_implILS5_8ELb0ES3_jPKlPS6_PKS6_NS0_5tupleIJPlS6_EEENSE_IJSB_SB_EEENS0_18inequality_wrapperIN6hipcub16HIPCUB_304000_NS8EqualityEEESF_JS6_EEE10hipError_tPvRmT3_T4_T5_T6_T7_T9_mT8_P12ihipStream_tbDpT10_ENKUlT_T0_E_clISt17integral_constantIbLb0EES15_IbLb1EEEEDaS11_S12_EUlS11_E_NS1_11comp_targetILNS1_3genE2ELNS1_11target_archE906ELNS1_3gpuE6ELNS1_3repE0EEENS1_30default_config_static_selectorELNS0_4arch9wavefront6targetE1EEEvT1_,comdat
.Lfunc_end507:
	.size	_ZN7rocprim17ROCPRIM_400000_NS6detail17trampoline_kernelINS0_14default_configENS1_25partition_config_selectorILNS1_17partition_subalgoE8ElNS0_10empty_typeEbEEZZNS1_14partition_implILS5_8ELb0ES3_jPKlPS6_PKS6_NS0_5tupleIJPlS6_EEENSE_IJSB_SB_EEENS0_18inequality_wrapperIN6hipcub16HIPCUB_304000_NS8EqualityEEESF_JS6_EEE10hipError_tPvRmT3_T4_T5_T6_T7_T9_mT8_P12ihipStream_tbDpT10_ENKUlT_T0_E_clISt17integral_constantIbLb0EES15_IbLb1EEEEDaS11_S12_EUlS11_E_NS1_11comp_targetILNS1_3genE2ELNS1_11target_archE906ELNS1_3gpuE6ELNS1_3repE0EEENS1_30default_config_static_selectorELNS0_4arch9wavefront6targetE1EEEvT1_, .Lfunc_end507-_ZN7rocprim17ROCPRIM_400000_NS6detail17trampoline_kernelINS0_14default_configENS1_25partition_config_selectorILNS1_17partition_subalgoE8ElNS0_10empty_typeEbEEZZNS1_14partition_implILS5_8ELb0ES3_jPKlPS6_PKS6_NS0_5tupleIJPlS6_EEENSE_IJSB_SB_EEENS0_18inequality_wrapperIN6hipcub16HIPCUB_304000_NS8EqualityEEESF_JS6_EEE10hipError_tPvRmT3_T4_T5_T6_T7_T9_mT8_P12ihipStream_tbDpT10_ENKUlT_T0_E_clISt17integral_constantIbLb0EES15_IbLb1EEEEDaS11_S12_EUlS11_E_NS1_11comp_targetILNS1_3genE2ELNS1_11target_archE906ELNS1_3gpuE6ELNS1_3repE0EEENS1_30default_config_static_selectorELNS0_4arch9wavefront6targetE1EEEvT1_
                                        ; -- End function
	.section	.AMDGPU.csdata,"",@progbits
; Kernel info:
; codeLenInByte = 0
; NumSgprs: 6
; NumVgprs: 0
; NumAgprs: 0
; TotalNumVgprs: 0
; ScratchSize: 0
; MemoryBound: 0
; FloatMode: 240
; IeeeMode: 1
; LDSByteSize: 0 bytes/workgroup (compile time only)
; SGPRBlocks: 0
; VGPRBlocks: 0
; NumSGPRsForWavesPerEU: 6
; NumVGPRsForWavesPerEU: 1
; AccumOffset: 4
; Occupancy: 8
; WaveLimiterHint : 0
; COMPUTE_PGM_RSRC2:SCRATCH_EN: 0
; COMPUTE_PGM_RSRC2:USER_SGPR: 2
; COMPUTE_PGM_RSRC2:TRAP_HANDLER: 0
; COMPUTE_PGM_RSRC2:TGID_X_EN: 1
; COMPUTE_PGM_RSRC2:TGID_Y_EN: 0
; COMPUTE_PGM_RSRC2:TGID_Z_EN: 0
; COMPUTE_PGM_RSRC2:TIDIG_COMP_CNT: 0
; COMPUTE_PGM_RSRC3_GFX90A:ACCUM_OFFSET: 0
; COMPUTE_PGM_RSRC3_GFX90A:TG_SPLIT: 0
	.section	.text._ZN7rocprim17ROCPRIM_400000_NS6detail17trampoline_kernelINS0_14default_configENS1_25partition_config_selectorILNS1_17partition_subalgoE8ElNS0_10empty_typeEbEEZZNS1_14partition_implILS5_8ELb0ES3_jPKlPS6_PKS6_NS0_5tupleIJPlS6_EEENSE_IJSB_SB_EEENS0_18inequality_wrapperIN6hipcub16HIPCUB_304000_NS8EqualityEEESF_JS6_EEE10hipError_tPvRmT3_T4_T5_T6_T7_T9_mT8_P12ihipStream_tbDpT10_ENKUlT_T0_E_clISt17integral_constantIbLb0EES15_IbLb1EEEEDaS11_S12_EUlS11_E_NS1_11comp_targetILNS1_3genE10ELNS1_11target_archE1200ELNS1_3gpuE4ELNS1_3repE0EEENS1_30default_config_static_selectorELNS0_4arch9wavefront6targetE1EEEvT1_,"axG",@progbits,_ZN7rocprim17ROCPRIM_400000_NS6detail17trampoline_kernelINS0_14default_configENS1_25partition_config_selectorILNS1_17partition_subalgoE8ElNS0_10empty_typeEbEEZZNS1_14partition_implILS5_8ELb0ES3_jPKlPS6_PKS6_NS0_5tupleIJPlS6_EEENSE_IJSB_SB_EEENS0_18inequality_wrapperIN6hipcub16HIPCUB_304000_NS8EqualityEEESF_JS6_EEE10hipError_tPvRmT3_T4_T5_T6_T7_T9_mT8_P12ihipStream_tbDpT10_ENKUlT_T0_E_clISt17integral_constantIbLb0EES15_IbLb1EEEEDaS11_S12_EUlS11_E_NS1_11comp_targetILNS1_3genE10ELNS1_11target_archE1200ELNS1_3gpuE4ELNS1_3repE0EEENS1_30default_config_static_selectorELNS0_4arch9wavefront6targetE1EEEvT1_,comdat
	.protected	_ZN7rocprim17ROCPRIM_400000_NS6detail17trampoline_kernelINS0_14default_configENS1_25partition_config_selectorILNS1_17partition_subalgoE8ElNS0_10empty_typeEbEEZZNS1_14partition_implILS5_8ELb0ES3_jPKlPS6_PKS6_NS0_5tupleIJPlS6_EEENSE_IJSB_SB_EEENS0_18inequality_wrapperIN6hipcub16HIPCUB_304000_NS8EqualityEEESF_JS6_EEE10hipError_tPvRmT3_T4_T5_T6_T7_T9_mT8_P12ihipStream_tbDpT10_ENKUlT_T0_E_clISt17integral_constantIbLb0EES15_IbLb1EEEEDaS11_S12_EUlS11_E_NS1_11comp_targetILNS1_3genE10ELNS1_11target_archE1200ELNS1_3gpuE4ELNS1_3repE0EEENS1_30default_config_static_selectorELNS0_4arch9wavefront6targetE1EEEvT1_ ; -- Begin function _ZN7rocprim17ROCPRIM_400000_NS6detail17trampoline_kernelINS0_14default_configENS1_25partition_config_selectorILNS1_17partition_subalgoE8ElNS0_10empty_typeEbEEZZNS1_14partition_implILS5_8ELb0ES3_jPKlPS6_PKS6_NS0_5tupleIJPlS6_EEENSE_IJSB_SB_EEENS0_18inequality_wrapperIN6hipcub16HIPCUB_304000_NS8EqualityEEESF_JS6_EEE10hipError_tPvRmT3_T4_T5_T6_T7_T9_mT8_P12ihipStream_tbDpT10_ENKUlT_T0_E_clISt17integral_constantIbLb0EES15_IbLb1EEEEDaS11_S12_EUlS11_E_NS1_11comp_targetILNS1_3genE10ELNS1_11target_archE1200ELNS1_3gpuE4ELNS1_3repE0EEENS1_30default_config_static_selectorELNS0_4arch9wavefront6targetE1EEEvT1_
	.globl	_ZN7rocprim17ROCPRIM_400000_NS6detail17trampoline_kernelINS0_14default_configENS1_25partition_config_selectorILNS1_17partition_subalgoE8ElNS0_10empty_typeEbEEZZNS1_14partition_implILS5_8ELb0ES3_jPKlPS6_PKS6_NS0_5tupleIJPlS6_EEENSE_IJSB_SB_EEENS0_18inequality_wrapperIN6hipcub16HIPCUB_304000_NS8EqualityEEESF_JS6_EEE10hipError_tPvRmT3_T4_T5_T6_T7_T9_mT8_P12ihipStream_tbDpT10_ENKUlT_T0_E_clISt17integral_constantIbLb0EES15_IbLb1EEEEDaS11_S12_EUlS11_E_NS1_11comp_targetILNS1_3genE10ELNS1_11target_archE1200ELNS1_3gpuE4ELNS1_3repE0EEENS1_30default_config_static_selectorELNS0_4arch9wavefront6targetE1EEEvT1_
	.p2align	8
	.type	_ZN7rocprim17ROCPRIM_400000_NS6detail17trampoline_kernelINS0_14default_configENS1_25partition_config_selectorILNS1_17partition_subalgoE8ElNS0_10empty_typeEbEEZZNS1_14partition_implILS5_8ELb0ES3_jPKlPS6_PKS6_NS0_5tupleIJPlS6_EEENSE_IJSB_SB_EEENS0_18inequality_wrapperIN6hipcub16HIPCUB_304000_NS8EqualityEEESF_JS6_EEE10hipError_tPvRmT3_T4_T5_T6_T7_T9_mT8_P12ihipStream_tbDpT10_ENKUlT_T0_E_clISt17integral_constantIbLb0EES15_IbLb1EEEEDaS11_S12_EUlS11_E_NS1_11comp_targetILNS1_3genE10ELNS1_11target_archE1200ELNS1_3gpuE4ELNS1_3repE0EEENS1_30default_config_static_selectorELNS0_4arch9wavefront6targetE1EEEvT1_,@function
_ZN7rocprim17ROCPRIM_400000_NS6detail17trampoline_kernelINS0_14default_configENS1_25partition_config_selectorILNS1_17partition_subalgoE8ElNS0_10empty_typeEbEEZZNS1_14partition_implILS5_8ELb0ES3_jPKlPS6_PKS6_NS0_5tupleIJPlS6_EEENSE_IJSB_SB_EEENS0_18inequality_wrapperIN6hipcub16HIPCUB_304000_NS8EqualityEEESF_JS6_EEE10hipError_tPvRmT3_T4_T5_T6_T7_T9_mT8_P12ihipStream_tbDpT10_ENKUlT_T0_E_clISt17integral_constantIbLb0EES15_IbLb1EEEEDaS11_S12_EUlS11_E_NS1_11comp_targetILNS1_3genE10ELNS1_11target_archE1200ELNS1_3gpuE4ELNS1_3repE0EEENS1_30default_config_static_selectorELNS0_4arch9wavefront6targetE1EEEvT1_: ; @_ZN7rocprim17ROCPRIM_400000_NS6detail17trampoline_kernelINS0_14default_configENS1_25partition_config_selectorILNS1_17partition_subalgoE8ElNS0_10empty_typeEbEEZZNS1_14partition_implILS5_8ELb0ES3_jPKlPS6_PKS6_NS0_5tupleIJPlS6_EEENSE_IJSB_SB_EEENS0_18inequality_wrapperIN6hipcub16HIPCUB_304000_NS8EqualityEEESF_JS6_EEE10hipError_tPvRmT3_T4_T5_T6_T7_T9_mT8_P12ihipStream_tbDpT10_ENKUlT_T0_E_clISt17integral_constantIbLb0EES15_IbLb1EEEEDaS11_S12_EUlS11_E_NS1_11comp_targetILNS1_3genE10ELNS1_11target_archE1200ELNS1_3gpuE4ELNS1_3repE0EEENS1_30default_config_static_selectorELNS0_4arch9wavefront6targetE1EEEvT1_
; %bb.0:
	.section	.rodata,"a",@progbits
	.p2align	6, 0x0
	.amdhsa_kernel _ZN7rocprim17ROCPRIM_400000_NS6detail17trampoline_kernelINS0_14default_configENS1_25partition_config_selectorILNS1_17partition_subalgoE8ElNS0_10empty_typeEbEEZZNS1_14partition_implILS5_8ELb0ES3_jPKlPS6_PKS6_NS0_5tupleIJPlS6_EEENSE_IJSB_SB_EEENS0_18inequality_wrapperIN6hipcub16HIPCUB_304000_NS8EqualityEEESF_JS6_EEE10hipError_tPvRmT3_T4_T5_T6_T7_T9_mT8_P12ihipStream_tbDpT10_ENKUlT_T0_E_clISt17integral_constantIbLb0EES15_IbLb1EEEEDaS11_S12_EUlS11_E_NS1_11comp_targetILNS1_3genE10ELNS1_11target_archE1200ELNS1_3gpuE4ELNS1_3repE0EEENS1_30default_config_static_selectorELNS0_4arch9wavefront6targetE1EEEvT1_
		.amdhsa_group_segment_fixed_size 0
		.amdhsa_private_segment_fixed_size 0
		.amdhsa_kernarg_size 128
		.amdhsa_user_sgpr_count 2
		.amdhsa_user_sgpr_dispatch_ptr 0
		.amdhsa_user_sgpr_queue_ptr 0
		.amdhsa_user_sgpr_kernarg_segment_ptr 1
		.amdhsa_user_sgpr_dispatch_id 0
		.amdhsa_user_sgpr_kernarg_preload_length 0
		.amdhsa_user_sgpr_kernarg_preload_offset 0
		.amdhsa_user_sgpr_private_segment_size 0
		.amdhsa_uses_dynamic_stack 0
		.amdhsa_enable_private_segment 0
		.amdhsa_system_sgpr_workgroup_id_x 1
		.amdhsa_system_sgpr_workgroup_id_y 0
		.amdhsa_system_sgpr_workgroup_id_z 0
		.amdhsa_system_sgpr_workgroup_info 0
		.amdhsa_system_vgpr_workitem_id 0
		.amdhsa_next_free_vgpr 1
		.amdhsa_next_free_sgpr 0
		.amdhsa_accum_offset 4
		.amdhsa_reserve_vcc 0
		.amdhsa_float_round_mode_32 0
		.amdhsa_float_round_mode_16_64 0
		.amdhsa_float_denorm_mode_32 3
		.amdhsa_float_denorm_mode_16_64 3
		.amdhsa_dx10_clamp 1
		.amdhsa_ieee_mode 1
		.amdhsa_fp16_overflow 0
		.amdhsa_tg_split 0
		.amdhsa_exception_fp_ieee_invalid_op 0
		.amdhsa_exception_fp_denorm_src 0
		.amdhsa_exception_fp_ieee_div_zero 0
		.amdhsa_exception_fp_ieee_overflow 0
		.amdhsa_exception_fp_ieee_underflow 0
		.amdhsa_exception_fp_ieee_inexact 0
		.amdhsa_exception_int_div_zero 0
	.end_amdhsa_kernel
	.section	.text._ZN7rocprim17ROCPRIM_400000_NS6detail17trampoline_kernelINS0_14default_configENS1_25partition_config_selectorILNS1_17partition_subalgoE8ElNS0_10empty_typeEbEEZZNS1_14partition_implILS5_8ELb0ES3_jPKlPS6_PKS6_NS0_5tupleIJPlS6_EEENSE_IJSB_SB_EEENS0_18inequality_wrapperIN6hipcub16HIPCUB_304000_NS8EqualityEEESF_JS6_EEE10hipError_tPvRmT3_T4_T5_T6_T7_T9_mT8_P12ihipStream_tbDpT10_ENKUlT_T0_E_clISt17integral_constantIbLb0EES15_IbLb1EEEEDaS11_S12_EUlS11_E_NS1_11comp_targetILNS1_3genE10ELNS1_11target_archE1200ELNS1_3gpuE4ELNS1_3repE0EEENS1_30default_config_static_selectorELNS0_4arch9wavefront6targetE1EEEvT1_,"axG",@progbits,_ZN7rocprim17ROCPRIM_400000_NS6detail17trampoline_kernelINS0_14default_configENS1_25partition_config_selectorILNS1_17partition_subalgoE8ElNS0_10empty_typeEbEEZZNS1_14partition_implILS5_8ELb0ES3_jPKlPS6_PKS6_NS0_5tupleIJPlS6_EEENSE_IJSB_SB_EEENS0_18inequality_wrapperIN6hipcub16HIPCUB_304000_NS8EqualityEEESF_JS6_EEE10hipError_tPvRmT3_T4_T5_T6_T7_T9_mT8_P12ihipStream_tbDpT10_ENKUlT_T0_E_clISt17integral_constantIbLb0EES15_IbLb1EEEEDaS11_S12_EUlS11_E_NS1_11comp_targetILNS1_3genE10ELNS1_11target_archE1200ELNS1_3gpuE4ELNS1_3repE0EEENS1_30default_config_static_selectorELNS0_4arch9wavefront6targetE1EEEvT1_,comdat
.Lfunc_end508:
	.size	_ZN7rocprim17ROCPRIM_400000_NS6detail17trampoline_kernelINS0_14default_configENS1_25partition_config_selectorILNS1_17partition_subalgoE8ElNS0_10empty_typeEbEEZZNS1_14partition_implILS5_8ELb0ES3_jPKlPS6_PKS6_NS0_5tupleIJPlS6_EEENSE_IJSB_SB_EEENS0_18inequality_wrapperIN6hipcub16HIPCUB_304000_NS8EqualityEEESF_JS6_EEE10hipError_tPvRmT3_T4_T5_T6_T7_T9_mT8_P12ihipStream_tbDpT10_ENKUlT_T0_E_clISt17integral_constantIbLb0EES15_IbLb1EEEEDaS11_S12_EUlS11_E_NS1_11comp_targetILNS1_3genE10ELNS1_11target_archE1200ELNS1_3gpuE4ELNS1_3repE0EEENS1_30default_config_static_selectorELNS0_4arch9wavefront6targetE1EEEvT1_, .Lfunc_end508-_ZN7rocprim17ROCPRIM_400000_NS6detail17trampoline_kernelINS0_14default_configENS1_25partition_config_selectorILNS1_17partition_subalgoE8ElNS0_10empty_typeEbEEZZNS1_14partition_implILS5_8ELb0ES3_jPKlPS6_PKS6_NS0_5tupleIJPlS6_EEENSE_IJSB_SB_EEENS0_18inequality_wrapperIN6hipcub16HIPCUB_304000_NS8EqualityEEESF_JS6_EEE10hipError_tPvRmT3_T4_T5_T6_T7_T9_mT8_P12ihipStream_tbDpT10_ENKUlT_T0_E_clISt17integral_constantIbLb0EES15_IbLb1EEEEDaS11_S12_EUlS11_E_NS1_11comp_targetILNS1_3genE10ELNS1_11target_archE1200ELNS1_3gpuE4ELNS1_3repE0EEENS1_30default_config_static_selectorELNS0_4arch9wavefront6targetE1EEEvT1_
                                        ; -- End function
	.section	.AMDGPU.csdata,"",@progbits
; Kernel info:
; codeLenInByte = 0
; NumSgprs: 6
; NumVgprs: 0
; NumAgprs: 0
; TotalNumVgprs: 0
; ScratchSize: 0
; MemoryBound: 0
; FloatMode: 240
; IeeeMode: 1
; LDSByteSize: 0 bytes/workgroup (compile time only)
; SGPRBlocks: 0
; VGPRBlocks: 0
; NumSGPRsForWavesPerEU: 6
; NumVGPRsForWavesPerEU: 1
; AccumOffset: 4
; Occupancy: 8
; WaveLimiterHint : 0
; COMPUTE_PGM_RSRC2:SCRATCH_EN: 0
; COMPUTE_PGM_RSRC2:USER_SGPR: 2
; COMPUTE_PGM_RSRC2:TRAP_HANDLER: 0
; COMPUTE_PGM_RSRC2:TGID_X_EN: 1
; COMPUTE_PGM_RSRC2:TGID_Y_EN: 0
; COMPUTE_PGM_RSRC2:TGID_Z_EN: 0
; COMPUTE_PGM_RSRC2:TIDIG_COMP_CNT: 0
; COMPUTE_PGM_RSRC3_GFX90A:ACCUM_OFFSET: 0
; COMPUTE_PGM_RSRC3_GFX90A:TG_SPLIT: 0
	.section	.text._ZN7rocprim17ROCPRIM_400000_NS6detail17trampoline_kernelINS0_14default_configENS1_25partition_config_selectorILNS1_17partition_subalgoE8ElNS0_10empty_typeEbEEZZNS1_14partition_implILS5_8ELb0ES3_jPKlPS6_PKS6_NS0_5tupleIJPlS6_EEENSE_IJSB_SB_EEENS0_18inequality_wrapperIN6hipcub16HIPCUB_304000_NS8EqualityEEESF_JS6_EEE10hipError_tPvRmT3_T4_T5_T6_T7_T9_mT8_P12ihipStream_tbDpT10_ENKUlT_T0_E_clISt17integral_constantIbLb0EES15_IbLb1EEEEDaS11_S12_EUlS11_E_NS1_11comp_targetILNS1_3genE9ELNS1_11target_archE1100ELNS1_3gpuE3ELNS1_3repE0EEENS1_30default_config_static_selectorELNS0_4arch9wavefront6targetE1EEEvT1_,"axG",@progbits,_ZN7rocprim17ROCPRIM_400000_NS6detail17trampoline_kernelINS0_14default_configENS1_25partition_config_selectorILNS1_17partition_subalgoE8ElNS0_10empty_typeEbEEZZNS1_14partition_implILS5_8ELb0ES3_jPKlPS6_PKS6_NS0_5tupleIJPlS6_EEENSE_IJSB_SB_EEENS0_18inequality_wrapperIN6hipcub16HIPCUB_304000_NS8EqualityEEESF_JS6_EEE10hipError_tPvRmT3_T4_T5_T6_T7_T9_mT8_P12ihipStream_tbDpT10_ENKUlT_T0_E_clISt17integral_constantIbLb0EES15_IbLb1EEEEDaS11_S12_EUlS11_E_NS1_11comp_targetILNS1_3genE9ELNS1_11target_archE1100ELNS1_3gpuE3ELNS1_3repE0EEENS1_30default_config_static_selectorELNS0_4arch9wavefront6targetE1EEEvT1_,comdat
	.protected	_ZN7rocprim17ROCPRIM_400000_NS6detail17trampoline_kernelINS0_14default_configENS1_25partition_config_selectorILNS1_17partition_subalgoE8ElNS0_10empty_typeEbEEZZNS1_14partition_implILS5_8ELb0ES3_jPKlPS6_PKS6_NS0_5tupleIJPlS6_EEENSE_IJSB_SB_EEENS0_18inequality_wrapperIN6hipcub16HIPCUB_304000_NS8EqualityEEESF_JS6_EEE10hipError_tPvRmT3_T4_T5_T6_T7_T9_mT8_P12ihipStream_tbDpT10_ENKUlT_T0_E_clISt17integral_constantIbLb0EES15_IbLb1EEEEDaS11_S12_EUlS11_E_NS1_11comp_targetILNS1_3genE9ELNS1_11target_archE1100ELNS1_3gpuE3ELNS1_3repE0EEENS1_30default_config_static_selectorELNS0_4arch9wavefront6targetE1EEEvT1_ ; -- Begin function _ZN7rocprim17ROCPRIM_400000_NS6detail17trampoline_kernelINS0_14default_configENS1_25partition_config_selectorILNS1_17partition_subalgoE8ElNS0_10empty_typeEbEEZZNS1_14partition_implILS5_8ELb0ES3_jPKlPS6_PKS6_NS0_5tupleIJPlS6_EEENSE_IJSB_SB_EEENS0_18inequality_wrapperIN6hipcub16HIPCUB_304000_NS8EqualityEEESF_JS6_EEE10hipError_tPvRmT3_T4_T5_T6_T7_T9_mT8_P12ihipStream_tbDpT10_ENKUlT_T0_E_clISt17integral_constantIbLb0EES15_IbLb1EEEEDaS11_S12_EUlS11_E_NS1_11comp_targetILNS1_3genE9ELNS1_11target_archE1100ELNS1_3gpuE3ELNS1_3repE0EEENS1_30default_config_static_selectorELNS0_4arch9wavefront6targetE1EEEvT1_
	.globl	_ZN7rocprim17ROCPRIM_400000_NS6detail17trampoline_kernelINS0_14default_configENS1_25partition_config_selectorILNS1_17partition_subalgoE8ElNS0_10empty_typeEbEEZZNS1_14partition_implILS5_8ELb0ES3_jPKlPS6_PKS6_NS0_5tupleIJPlS6_EEENSE_IJSB_SB_EEENS0_18inequality_wrapperIN6hipcub16HIPCUB_304000_NS8EqualityEEESF_JS6_EEE10hipError_tPvRmT3_T4_T5_T6_T7_T9_mT8_P12ihipStream_tbDpT10_ENKUlT_T0_E_clISt17integral_constantIbLb0EES15_IbLb1EEEEDaS11_S12_EUlS11_E_NS1_11comp_targetILNS1_3genE9ELNS1_11target_archE1100ELNS1_3gpuE3ELNS1_3repE0EEENS1_30default_config_static_selectorELNS0_4arch9wavefront6targetE1EEEvT1_
	.p2align	8
	.type	_ZN7rocprim17ROCPRIM_400000_NS6detail17trampoline_kernelINS0_14default_configENS1_25partition_config_selectorILNS1_17partition_subalgoE8ElNS0_10empty_typeEbEEZZNS1_14partition_implILS5_8ELb0ES3_jPKlPS6_PKS6_NS0_5tupleIJPlS6_EEENSE_IJSB_SB_EEENS0_18inequality_wrapperIN6hipcub16HIPCUB_304000_NS8EqualityEEESF_JS6_EEE10hipError_tPvRmT3_T4_T5_T6_T7_T9_mT8_P12ihipStream_tbDpT10_ENKUlT_T0_E_clISt17integral_constantIbLb0EES15_IbLb1EEEEDaS11_S12_EUlS11_E_NS1_11comp_targetILNS1_3genE9ELNS1_11target_archE1100ELNS1_3gpuE3ELNS1_3repE0EEENS1_30default_config_static_selectorELNS0_4arch9wavefront6targetE1EEEvT1_,@function
_ZN7rocprim17ROCPRIM_400000_NS6detail17trampoline_kernelINS0_14default_configENS1_25partition_config_selectorILNS1_17partition_subalgoE8ElNS0_10empty_typeEbEEZZNS1_14partition_implILS5_8ELb0ES3_jPKlPS6_PKS6_NS0_5tupleIJPlS6_EEENSE_IJSB_SB_EEENS0_18inequality_wrapperIN6hipcub16HIPCUB_304000_NS8EqualityEEESF_JS6_EEE10hipError_tPvRmT3_T4_T5_T6_T7_T9_mT8_P12ihipStream_tbDpT10_ENKUlT_T0_E_clISt17integral_constantIbLb0EES15_IbLb1EEEEDaS11_S12_EUlS11_E_NS1_11comp_targetILNS1_3genE9ELNS1_11target_archE1100ELNS1_3gpuE3ELNS1_3repE0EEENS1_30default_config_static_selectorELNS0_4arch9wavefront6targetE1EEEvT1_: ; @_ZN7rocprim17ROCPRIM_400000_NS6detail17trampoline_kernelINS0_14default_configENS1_25partition_config_selectorILNS1_17partition_subalgoE8ElNS0_10empty_typeEbEEZZNS1_14partition_implILS5_8ELb0ES3_jPKlPS6_PKS6_NS0_5tupleIJPlS6_EEENSE_IJSB_SB_EEENS0_18inequality_wrapperIN6hipcub16HIPCUB_304000_NS8EqualityEEESF_JS6_EEE10hipError_tPvRmT3_T4_T5_T6_T7_T9_mT8_P12ihipStream_tbDpT10_ENKUlT_T0_E_clISt17integral_constantIbLb0EES15_IbLb1EEEEDaS11_S12_EUlS11_E_NS1_11comp_targetILNS1_3genE9ELNS1_11target_archE1100ELNS1_3gpuE3ELNS1_3repE0EEENS1_30default_config_static_selectorELNS0_4arch9wavefront6targetE1EEEvT1_
; %bb.0:
	.section	.rodata,"a",@progbits
	.p2align	6, 0x0
	.amdhsa_kernel _ZN7rocprim17ROCPRIM_400000_NS6detail17trampoline_kernelINS0_14default_configENS1_25partition_config_selectorILNS1_17partition_subalgoE8ElNS0_10empty_typeEbEEZZNS1_14partition_implILS5_8ELb0ES3_jPKlPS6_PKS6_NS0_5tupleIJPlS6_EEENSE_IJSB_SB_EEENS0_18inequality_wrapperIN6hipcub16HIPCUB_304000_NS8EqualityEEESF_JS6_EEE10hipError_tPvRmT3_T4_T5_T6_T7_T9_mT8_P12ihipStream_tbDpT10_ENKUlT_T0_E_clISt17integral_constantIbLb0EES15_IbLb1EEEEDaS11_S12_EUlS11_E_NS1_11comp_targetILNS1_3genE9ELNS1_11target_archE1100ELNS1_3gpuE3ELNS1_3repE0EEENS1_30default_config_static_selectorELNS0_4arch9wavefront6targetE1EEEvT1_
		.amdhsa_group_segment_fixed_size 0
		.amdhsa_private_segment_fixed_size 0
		.amdhsa_kernarg_size 128
		.amdhsa_user_sgpr_count 2
		.amdhsa_user_sgpr_dispatch_ptr 0
		.amdhsa_user_sgpr_queue_ptr 0
		.amdhsa_user_sgpr_kernarg_segment_ptr 1
		.amdhsa_user_sgpr_dispatch_id 0
		.amdhsa_user_sgpr_kernarg_preload_length 0
		.amdhsa_user_sgpr_kernarg_preload_offset 0
		.amdhsa_user_sgpr_private_segment_size 0
		.amdhsa_uses_dynamic_stack 0
		.amdhsa_enable_private_segment 0
		.amdhsa_system_sgpr_workgroup_id_x 1
		.amdhsa_system_sgpr_workgroup_id_y 0
		.amdhsa_system_sgpr_workgroup_id_z 0
		.amdhsa_system_sgpr_workgroup_info 0
		.amdhsa_system_vgpr_workitem_id 0
		.amdhsa_next_free_vgpr 1
		.amdhsa_next_free_sgpr 0
		.amdhsa_accum_offset 4
		.amdhsa_reserve_vcc 0
		.amdhsa_float_round_mode_32 0
		.amdhsa_float_round_mode_16_64 0
		.amdhsa_float_denorm_mode_32 3
		.amdhsa_float_denorm_mode_16_64 3
		.amdhsa_dx10_clamp 1
		.amdhsa_ieee_mode 1
		.amdhsa_fp16_overflow 0
		.amdhsa_tg_split 0
		.amdhsa_exception_fp_ieee_invalid_op 0
		.amdhsa_exception_fp_denorm_src 0
		.amdhsa_exception_fp_ieee_div_zero 0
		.amdhsa_exception_fp_ieee_overflow 0
		.amdhsa_exception_fp_ieee_underflow 0
		.amdhsa_exception_fp_ieee_inexact 0
		.amdhsa_exception_int_div_zero 0
	.end_amdhsa_kernel
	.section	.text._ZN7rocprim17ROCPRIM_400000_NS6detail17trampoline_kernelINS0_14default_configENS1_25partition_config_selectorILNS1_17partition_subalgoE8ElNS0_10empty_typeEbEEZZNS1_14partition_implILS5_8ELb0ES3_jPKlPS6_PKS6_NS0_5tupleIJPlS6_EEENSE_IJSB_SB_EEENS0_18inequality_wrapperIN6hipcub16HIPCUB_304000_NS8EqualityEEESF_JS6_EEE10hipError_tPvRmT3_T4_T5_T6_T7_T9_mT8_P12ihipStream_tbDpT10_ENKUlT_T0_E_clISt17integral_constantIbLb0EES15_IbLb1EEEEDaS11_S12_EUlS11_E_NS1_11comp_targetILNS1_3genE9ELNS1_11target_archE1100ELNS1_3gpuE3ELNS1_3repE0EEENS1_30default_config_static_selectorELNS0_4arch9wavefront6targetE1EEEvT1_,"axG",@progbits,_ZN7rocprim17ROCPRIM_400000_NS6detail17trampoline_kernelINS0_14default_configENS1_25partition_config_selectorILNS1_17partition_subalgoE8ElNS0_10empty_typeEbEEZZNS1_14partition_implILS5_8ELb0ES3_jPKlPS6_PKS6_NS0_5tupleIJPlS6_EEENSE_IJSB_SB_EEENS0_18inequality_wrapperIN6hipcub16HIPCUB_304000_NS8EqualityEEESF_JS6_EEE10hipError_tPvRmT3_T4_T5_T6_T7_T9_mT8_P12ihipStream_tbDpT10_ENKUlT_T0_E_clISt17integral_constantIbLb0EES15_IbLb1EEEEDaS11_S12_EUlS11_E_NS1_11comp_targetILNS1_3genE9ELNS1_11target_archE1100ELNS1_3gpuE3ELNS1_3repE0EEENS1_30default_config_static_selectorELNS0_4arch9wavefront6targetE1EEEvT1_,comdat
.Lfunc_end509:
	.size	_ZN7rocprim17ROCPRIM_400000_NS6detail17trampoline_kernelINS0_14default_configENS1_25partition_config_selectorILNS1_17partition_subalgoE8ElNS0_10empty_typeEbEEZZNS1_14partition_implILS5_8ELb0ES3_jPKlPS6_PKS6_NS0_5tupleIJPlS6_EEENSE_IJSB_SB_EEENS0_18inequality_wrapperIN6hipcub16HIPCUB_304000_NS8EqualityEEESF_JS6_EEE10hipError_tPvRmT3_T4_T5_T6_T7_T9_mT8_P12ihipStream_tbDpT10_ENKUlT_T0_E_clISt17integral_constantIbLb0EES15_IbLb1EEEEDaS11_S12_EUlS11_E_NS1_11comp_targetILNS1_3genE9ELNS1_11target_archE1100ELNS1_3gpuE3ELNS1_3repE0EEENS1_30default_config_static_selectorELNS0_4arch9wavefront6targetE1EEEvT1_, .Lfunc_end509-_ZN7rocprim17ROCPRIM_400000_NS6detail17trampoline_kernelINS0_14default_configENS1_25partition_config_selectorILNS1_17partition_subalgoE8ElNS0_10empty_typeEbEEZZNS1_14partition_implILS5_8ELb0ES3_jPKlPS6_PKS6_NS0_5tupleIJPlS6_EEENSE_IJSB_SB_EEENS0_18inequality_wrapperIN6hipcub16HIPCUB_304000_NS8EqualityEEESF_JS6_EEE10hipError_tPvRmT3_T4_T5_T6_T7_T9_mT8_P12ihipStream_tbDpT10_ENKUlT_T0_E_clISt17integral_constantIbLb0EES15_IbLb1EEEEDaS11_S12_EUlS11_E_NS1_11comp_targetILNS1_3genE9ELNS1_11target_archE1100ELNS1_3gpuE3ELNS1_3repE0EEENS1_30default_config_static_selectorELNS0_4arch9wavefront6targetE1EEEvT1_
                                        ; -- End function
	.section	.AMDGPU.csdata,"",@progbits
; Kernel info:
; codeLenInByte = 0
; NumSgprs: 6
; NumVgprs: 0
; NumAgprs: 0
; TotalNumVgprs: 0
; ScratchSize: 0
; MemoryBound: 0
; FloatMode: 240
; IeeeMode: 1
; LDSByteSize: 0 bytes/workgroup (compile time only)
; SGPRBlocks: 0
; VGPRBlocks: 0
; NumSGPRsForWavesPerEU: 6
; NumVGPRsForWavesPerEU: 1
; AccumOffset: 4
; Occupancy: 8
; WaveLimiterHint : 0
; COMPUTE_PGM_RSRC2:SCRATCH_EN: 0
; COMPUTE_PGM_RSRC2:USER_SGPR: 2
; COMPUTE_PGM_RSRC2:TRAP_HANDLER: 0
; COMPUTE_PGM_RSRC2:TGID_X_EN: 1
; COMPUTE_PGM_RSRC2:TGID_Y_EN: 0
; COMPUTE_PGM_RSRC2:TGID_Z_EN: 0
; COMPUTE_PGM_RSRC2:TIDIG_COMP_CNT: 0
; COMPUTE_PGM_RSRC3_GFX90A:ACCUM_OFFSET: 0
; COMPUTE_PGM_RSRC3_GFX90A:TG_SPLIT: 0
	.section	.text._ZN7rocprim17ROCPRIM_400000_NS6detail17trampoline_kernelINS0_14default_configENS1_25partition_config_selectorILNS1_17partition_subalgoE8ElNS0_10empty_typeEbEEZZNS1_14partition_implILS5_8ELb0ES3_jPKlPS6_PKS6_NS0_5tupleIJPlS6_EEENSE_IJSB_SB_EEENS0_18inequality_wrapperIN6hipcub16HIPCUB_304000_NS8EqualityEEESF_JS6_EEE10hipError_tPvRmT3_T4_T5_T6_T7_T9_mT8_P12ihipStream_tbDpT10_ENKUlT_T0_E_clISt17integral_constantIbLb0EES15_IbLb1EEEEDaS11_S12_EUlS11_E_NS1_11comp_targetILNS1_3genE8ELNS1_11target_archE1030ELNS1_3gpuE2ELNS1_3repE0EEENS1_30default_config_static_selectorELNS0_4arch9wavefront6targetE1EEEvT1_,"axG",@progbits,_ZN7rocprim17ROCPRIM_400000_NS6detail17trampoline_kernelINS0_14default_configENS1_25partition_config_selectorILNS1_17partition_subalgoE8ElNS0_10empty_typeEbEEZZNS1_14partition_implILS5_8ELb0ES3_jPKlPS6_PKS6_NS0_5tupleIJPlS6_EEENSE_IJSB_SB_EEENS0_18inequality_wrapperIN6hipcub16HIPCUB_304000_NS8EqualityEEESF_JS6_EEE10hipError_tPvRmT3_T4_T5_T6_T7_T9_mT8_P12ihipStream_tbDpT10_ENKUlT_T0_E_clISt17integral_constantIbLb0EES15_IbLb1EEEEDaS11_S12_EUlS11_E_NS1_11comp_targetILNS1_3genE8ELNS1_11target_archE1030ELNS1_3gpuE2ELNS1_3repE0EEENS1_30default_config_static_selectorELNS0_4arch9wavefront6targetE1EEEvT1_,comdat
	.protected	_ZN7rocprim17ROCPRIM_400000_NS6detail17trampoline_kernelINS0_14default_configENS1_25partition_config_selectorILNS1_17partition_subalgoE8ElNS0_10empty_typeEbEEZZNS1_14partition_implILS5_8ELb0ES3_jPKlPS6_PKS6_NS0_5tupleIJPlS6_EEENSE_IJSB_SB_EEENS0_18inequality_wrapperIN6hipcub16HIPCUB_304000_NS8EqualityEEESF_JS6_EEE10hipError_tPvRmT3_T4_T5_T6_T7_T9_mT8_P12ihipStream_tbDpT10_ENKUlT_T0_E_clISt17integral_constantIbLb0EES15_IbLb1EEEEDaS11_S12_EUlS11_E_NS1_11comp_targetILNS1_3genE8ELNS1_11target_archE1030ELNS1_3gpuE2ELNS1_3repE0EEENS1_30default_config_static_selectorELNS0_4arch9wavefront6targetE1EEEvT1_ ; -- Begin function _ZN7rocprim17ROCPRIM_400000_NS6detail17trampoline_kernelINS0_14default_configENS1_25partition_config_selectorILNS1_17partition_subalgoE8ElNS0_10empty_typeEbEEZZNS1_14partition_implILS5_8ELb0ES3_jPKlPS6_PKS6_NS0_5tupleIJPlS6_EEENSE_IJSB_SB_EEENS0_18inequality_wrapperIN6hipcub16HIPCUB_304000_NS8EqualityEEESF_JS6_EEE10hipError_tPvRmT3_T4_T5_T6_T7_T9_mT8_P12ihipStream_tbDpT10_ENKUlT_T0_E_clISt17integral_constantIbLb0EES15_IbLb1EEEEDaS11_S12_EUlS11_E_NS1_11comp_targetILNS1_3genE8ELNS1_11target_archE1030ELNS1_3gpuE2ELNS1_3repE0EEENS1_30default_config_static_selectorELNS0_4arch9wavefront6targetE1EEEvT1_
	.globl	_ZN7rocprim17ROCPRIM_400000_NS6detail17trampoline_kernelINS0_14default_configENS1_25partition_config_selectorILNS1_17partition_subalgoE8ElNS0_10empty_typeEbEEZZNS1_14partition_implILS5_8ELb0ES3_jPKlPS6_PKS6_NS0_5tupleIJPlS6_EEENSE_IJSB_SB_EEENS0_18inequality_wrapperIN6hipcub16HIPCUB_304000_NS8EqualityEEESF_JS6_EEE10hipError_tPvRmT3_T4_T5_T6_T7_T9_mT8_P12ihipStream_tbDpT10_ENKUlT_T0_E_clISt17integral_constantIbLb0EES15_IbLb1EEEEDaS11_S12_EUlS11_E_NS1_11comp_targetILNS1_3genE8ELNS1_11target_archE1030ELNS1_3gpuE2ELNS1_3repE0EEENS1_30default_config_static_selectorELNS0_4arch9wavefront6targetE1EEEvT1_
	.p2align	8
	.type	_ZN7rocprim17ROCPRIM_400000_NS6detail17trampoline_kernelINS0_14default_configENS1_25partition_config_selectorILNS1_17partition_subalgoE8ElNS0_10empty_typeEbEEZZNS1_14partition_implILS5_8ELb0ES3_jPKlPS6_PKS6_NS0_5tupleIJPlS6_EEENSE_IJSB_SB_EEENS0_18inequality_wrapperIN6hipcub16HIPCUB_304000_NS8EqualityEEESF_JS6_EEE10hipError_tPvRmT3_T4_T5_T6_T7_T9_mT8_P12ihipStream_tbDpT10_ENKUlT_T0_E_clISt17integral_constantIbLb0EES15_IbLb1EEEEDaS11_S12_EUlS11_E_NS1_11comp_targetILNS1_3genE8ELNS1_11target_archE1030ELNS1_3gpuE2ELNS1_3repE0EEENS1_30default_config_static_selectorELNS0_4arch9wavefront6targetE1EEEvT1_,@function
_ZN7rocprim17ROCPRIM_400000_NS6detail17trampoline_kernelINS0_14default_configENS1_25partition_config_selectorILNS1_17partition_subalgoE8ElNS0_10empty_typeEbEEZZNS1_14partition_implILS5_8ELb0ES3_jPKlPS6_PKS6_NS0_5tupleIJPlS6_EEENSE_IJSB_SB_EEENS0_18inequality_wrapperIN6hipcub16HIPCUB_304000_NS8EqualityEEESF_JS6_EEE10hipError_tPvRmT3_T4_T5_T6_T7_T9_mT8_P12ihipStream_tbDpT10_ENKUlT_T0_E_clISt17integral_constantIbLb0EES15_IbLb1EEEEDaS11_S12_EUlS11_E_NS1_11comp_targetILNS1_3genE8ELNS1_11target_archE1030ELNS1_3gpuE2ELNS1_3repE0EEENS1_30default_config_static_selectorELNS0_4arch9wavefront6targetE1EEEvT1_: ; @_ZN7rocprim17ROCPRIM_400000_NS6detail17trampoline_kernelINS0_14default_configENS1_25partition_config_selectorILNS1_17partition_subalgoE8ElNS0_10empty_typeEbEEZZNS1_14partition_implILS5_8ELb0ES3_jPKlPS6_PKS6_NS0_5tupleIJPlS6_EEENSE_IJSB_SB_EEENS0_18inequality_wrapperIN6hipcub16HIPCUB_304000_NS8EqualityEEESF_JS6_EEE10hipError_tPvRmT3_T4_T5_T6_T7_T9_mT8_P12ihipStream_tbDpT10_ENKUlT_T0_E_clISt17integral_constantIbLb0EES15_IbLb1EEEEDaS11_S12_EUlS11_E_NS1_11comp_targetILNS1_3genE8ELNS1_11target_archE1030ELNS1_3gpuE2ELNS1_3repE0EEENS1_30default_config_static_selectorELNS0_4arch9wavefront6targetE1EEEvT1_
; %bb.0:
	.section	.rodata,"a",@progbits
	.p2align	6, 0x0
	.amdhsa_kernel _ZN7rocprim17ROCPRIM_400000_NS6detail17trampoline_kernelINS0_14default_configENS1_25partition_config_selectorILNS1_17partition_subalgoE8ElNS0_10empty_typeEbEEZZNS1_14partition_implILS5_8ELb0ES3_jPKlPS6_PKS6_NS0_5tupleIJPlS6_EEENSE_IJSB_SB_EEENS0_18inequality_wrapperIN6hipcub16HIPCUB_304000_NS8EqualityEEESF_JS6_EEE10hipError_tPvRmT3_T4_T5_T6_T7_T9_mT8_P12ihipStream_tbDpT10_ENKUlT_T0_E_clISt17integral_constantIbLb0EES15_IbLb1EEEEDaS11_S12_EUlS11_E_NS1_11comp_targetILNS1_3genE8ELNS1_11target_archE1030ELNS1_3gpuE2ELNS1_3repE0EEENS1_30default_config_static_selectorELNS0_4arch9wavefront6targetE1EEEvT1_
		.amdhsa_group_segment_fixed_size 0
		.amdhsa_private_segment_fixed_size 0
		.amdhsa_kernarg_size 128
		.amdhsa_user_sgpr_count 2
		.amdhsa_user_sgpr_dispatch_ptr 0
		.amdhsa_user_sgpr_queue_ptr 0
		.amdhsa_user_sgpr_kernarg_segment_ptr 1
		.amdhsa_user_sgpr_dispatch_id 0
		.amdhsa_user_sgpr_kernarg_preload_length 0
		.amdhsa_user_sgpr_kernarg_preload_offset 0
		.amdhsa_user_sgpr_private_segment_size 0
		.amdhsa_uses_dynamic_stack 0
		.amdhsa_enable_private_segment 0
		.amdhsa_system_sgpr_workgroup_id_x 1
		.amdhsa_system_sgpr_workgroup_id_y 0
		.amdhsa_system_sgpr_workgroup_id_z 0
		.amdhsa_system_sgpr_workgroup_info 0
		.amdhsa_system_vgpr_workitem_id 0
		.amdhsa_next_free_vgpr 1
		.amdhsa_next_free_sgpr 0
		.amdhsa_accum_offset 4
		.amdhsa_reserve_vcc 0
		.amdhsa_float_round_mode_32 0
		.amdhsa_float_round_mode_16_64 0
		.amdhsa_float_denorm_mode_32 3
		.amdhsa_float_denorm_mode_16_64 3
		.amdhsa_dx10_clamp 1
		.amdhsa_ieee_mode 1
		.amdhsa_fp16_overflow 0
		.amdhsa_tg_split 0
		.amdhsa_exception_fp_ieee_invalid_op 0
		.amdhsa_exception_fp_denorm_src 0
		.amdhsa_exception_fp_ieee_div_zero 0
		.amdhsa_exception_fp_ieee_overflow 0
		.amdhsa_exception_fp_ieee_underflow 0
		.amdhsa_exception_fp_ieee_inexact 0
		.amdhsa_exception_int_div_zero 0
	.end_amdhsa_kernel
	.section	.text._ZN7rocprim17ROCPRIM_400000_NS6detail17trampoline_kernelINS0_14default_configENS1_25partition_config_selectorILNS1_17partition_subalgoE8ElNS0_10empty_typeEbEEZZNS1_14partition_implILS5_8ELb0ES3_jPKlPS6_PKS6_NS0_5tupleIJPlS6_EEENSE_IJSB_SB_EEENS0_18inequality_wrapperIN6hipcub16HIPCUB_304000_NS8EqualityEEESF_JS6_EEE10hipError_tPvRmT3_T4_T5_T6_T7_T9_mT8_P12ihipStream_tbDpT10_ENKUlT_T0_E_clISt17integral_constantIbLb0EES15_IbLb1EEEEDaS11_S12_EUlS11_E_NS1_11comp_targetILNS1_3genE8ELNS1_11target_archE1030ELNS1_3gpuE2ELNS1_3repE0EEENS1_30default_config_static_selectorELNS0_4arch9wavefront6targetE1EEEvT1_,"axG",@progbits,_ZN7rocprim17ROCPRIM_400000_NS6detail17trampoline_kernelINS0_14default_configENS1_25partition_config_selectorILNS1_17partition_subalgoE8ElNS0_10empty_typeEbEEZZNS1_14partition_implILS5_8ELb0ES3_jPKlPS6_PKS6_NS0_5tupleIJPlS6_EEENSE_IJSB_SB_EEENS0_18inequality_wrapperIN6hipcub16HIPCUB_304000_NS8EqualityEEESF_JS6_EEE10hipError_tPvRmT3_T4_T5_T6_T7_T9_mT8_P12ihipStream_tbDpT10_ENKUlT_T0_E_clISt17integral_constantIbLb0EES15_IbLb1EEEEDaS11_S12_EUlS11_E_NS1_11comp_targetILNS1_3genE8ELNS1_11target_archE1030ELNS1_3gpuE2ELNS1_3repE0EEENS1_30default_config_static_selectorELNS0_4arch9wavefront6targetE1EEEvT1_,comdat
.Lfunc_end510:
	.size	_ZN7rocprim17ROCPRIM_400000_NS6detail17trampoline_kernelINS0_14default_configENS1_25partition_config_selectorILNS1_17partition_subalgoE8ElNS0_10empty_typeEbEEZZNS1_14partition_implILS5_8ELb0ES3_jPKlPS6_PKS6_NS0_5tupleIJPlS6_EEENSE_IJSB_SB_EEENS0_18inequality_wrapperIN6hipcub16HIPCUB_304000_NS8EqualityEEESF_JS6_EEE10hipError_tPvRmT3_T4_T5_T6_T7_T9_mT8_P12ihipStream_tbDpT10_ENKUlT_T0_E_clISt17integral_constantIbLb0EES15_IbLb1EEEEDaS11_S12_EUlS11_E_NS1_11comp_targetILNS1_3genE8ELNS1_11target_archE1030ELNS1_3gpuE2ELNS1_3repE0EEENS1_30default_config_static_selectorELNS0_4arch9wavefront6targetE1EEEvT1_, .Lfunc_end510-_ZN7rocprim17ROCPRIM_400000_NS6detail17trampoline_kernelINS0_14default_configENS1_25partition_config_selectorILNS1_17partition_subalgoE8ElNS0_10empty_typeEbEEZZNS1_14partition_implILS5_8ELb0ES3_jPKlPS6_PKS6_NS0_5tupleIJPlS6_EEENSE_IJSB_SB_EEENS0_18inequality_wrapperIN6hipcub16HIPCUB_304000_NS8EqualityEEESF_JS6_EEE10hipError_tPvRmT3_T4_T5_T6_T7_T9_mT8_P12ihipStream_tbDpT10_ENKUlT_T0_E_clISt17integral_constantIbLb0EES15_IbLb1EEEEDaS11_S12_EUlS11_E_NS1_11comp_targetILNS1_3genE8ELNS1_11target_archE1030ELNS1_3gpuE2ELNS1_3repE0EEENS1_30default_config_static_selectorELNS0_4arch9wavefront6targetE1EEEvT1_
                                        ; -- End function
	.section	.AMDGPU.csdata,"",@progbits
; Kernel info:
; codeLenInByte = 0
; NumSgprs: 6
; NumVgprs: 0
; NumAgprs: 0
; TotalNumVgprs: 0
; ScratchSize: 0
; MemoryBound: 0
; FloatMode: 240
; IeeeMode: 1
; LDSByteSize: 0 bytes/workgroup (compile time only)
; SGPRBlocks: 0
; VGPRBlocks: 0
; NumSGPRsForWavesPerEU: 6
; NumVGPRsForWavesPerEU: 1
; AccumOffset: 4
; Occupancy: 8
; WaveLimiterHint : 0
; COMPUTE_PGM_RSRC2:SCRATCH_EN: 0
; COMPUTE_PGM_RSRC2:USER_SGPR: 2
; COMPUTE_PGM_RSRC2:TRAP_HANDLER: 0
; COMPUTE_PGM_RSRC2:TGID_X_EN: 1
; COMPUTE_PGM_RSRC2:TGID_Y_EN: 0
; COMPUTE_PGM_RSRC2:TGID_Z_EN: 0
; COMPUTE_PGM_RSRC2:TIDIG_COMP_CNT: 0
; COMPUTE_PGM_RSRC3_GFX90A:ACCUM_OFFSET: 0
; COMPUTE_PGM_RSRC3_GFX90A:TG_SPLIT: 0
	.section	.text._ZN7rocprim17ROCPRIM_400000_NS6detail17trampoline_kernelINS0_14default_configENS1_33run_length_encode_config_selectorIljNS0_4plusIjEEEEZZNS1_33reduce_by_key_impl_wrapped_configILNS1_25lookback_scan_determinismE0ES3_S7_PKlNS0_17constant_iteratorIjlEEPlSE_SE_S6_NS0_8equal_toIlEEEE10hipError_tPvRmT2_T3_mT4_T5_T6_T7_T8_P12ihipStream_tbENKUlT_T0_E_clISt17integral_constantIbLb0EESY_EEDaST_SU_EUlST_E_NS1_11comp_targetILNS1_3genE0ELNS1_11target_archE4294967295ELNS1_3gpuE0ELNS1_3repE0EEENS1_30default_config_static_selectorELNS0_4arch9wavefront6targetE1EEEvT1_,"axG",@progbits,_ZN7rocprim17ROCPRIM_400000_NS6detail17trampoline_kernelINS0_14default_configENS1_33run_length_encode_config_selectorIljNS0_4plusIjEEEEZZNS1_33reduce_by_key_impl_wrapped_configILNS1_25lookback_scan_determinismE0ES3_S7_PKlNS0_17constant_iteratorIjlEEPlSE_SE_S6_NS0_8equal_toIlEEEE10hipError_tPvRmT2_T3_mT4_T5_T6_T7_T8_P12ihipStream_tbENKUlT_T0_E_clISt17integral_constantIbLb0EESY_EEDaST_SU_EUlST_E_NS1_11comp_targetILNS1_3genE0ELNS1_11target_archE4294967295ELNS1_3gpuE0ELNS1_3repE0EEENS1_30default_config_static_selectorELNS0_4arch9wavefront6targetE1EEEvT1_,comdat
	.protected	_ZN7rocprim17ROCPRIM_400000_NS6detail17trampoline_kernelINS0_14default_configENS1_33run_length_encode_config_selectorIljNS0_4plusIjEEEEZZNS1_33reduce_by_key_impl_wrapped_configILNS1_25lookback_scan_determinismE0ES3_S7_PKlNS0_17constant_iteratorIjlEEPlSE_SE_S6_NS0_8equal_toIlEEEE10hipError_tPvRmT2_T3_mT4_T5_T6_T7_T8_P12ihipStream_tbENKUlT_T0_E_clISt17integral_constantIbLb0EESY_EEDaST_SU_EUlST_E_NS1_11comp_targetILNS1_3genE0ELNS1_11target_archE4294967295ELNS1_3gpuE0ELNS1_3repE0EEENS1_30default_config_static_selectorELNS0_4arch9wavefront6targetE1EEEvT1_ ; -- Begin function _ZN7rocprim17ROCPRIM_400000_NS6detail17trampoline_kernelINS0_14default_configENS1_33run_length_encode_config_selectorIljNS0_4plusIjEEEEZZNS1_33reduce_by_key_impl_wrapped_configILNS1_25lookback_scan_determinismE0ES3_S7_PKlNS0_17constant_iteratorIjlEEPlSE_SE_S6_NS0_8equal_toIlEEEE10hipError_tPvRmT2_T3_mT4_T5_T6_T7_T8_P12ihipStream_tbENKUlT_T0_E_clISt17integral_constantIbLb0EESY_EEDaST_SU_EUlST_E_NS1_11comp_targetILNS1_3genE0ELNS1_11target_archE4294967295ELNS1_3gpuE0ELNS1_3repE0EEENS1_30default_config_static_selectorELNS0_4arch9wavefront6targetE1EEEvT1_
	.globl	_ZN7rocprim17ROCPRIM_400000_NS6detail17trampoline_kernelINS0_14default_configENS1_33run_length_encode_config_selectorIljNS0_4plusIjEEEEZZNS1_33reduce_by_key_impl_wrapped_configILNS1_25lookback_scan_determinismE0ES3_S7_PKlNS0_17constant_iteratorIjlEEPlSE_SE_S6_NS0_8equal_toIlEEEE10hipError_tPvRmT2_T3_mT4_T5_T6_T7_T8_P12ihipStream_tbENKUlT_T0_E_clISt17integral_constantIbLb0EESY_EEDaST_SU_EUlST_E_NS1_11comp_targetILNS1_3genE0ELNS1_11target_archE4294967295ELNS1_3gpuE0ELNS1_3repE0EEENS1_30default_config_static_selectorELNS0_4arch9wavefront6targetE1EEEvT1_
	.p2align	8
	.type	_ZN7rocprim17ROCPRIM_400000_NS6detail17trampoline_kernelINS0_14default_configENS1_33run_length_encode_config_selectorIljNS0_4plusIjEEEEZZNS1_33reduce_by_key_impl_wrapped_configILNS1_25lookback_scan_determinismE0ES3_S7_PKlNS0_17constant_iteratorIjlEEPlSE_SE_S6_NS0_8equal_toIlEEEE10hipError_tPvRmT2_T3_mT4_T5_T6_T7_T8_P12ihipStream_tbENKUlT_T0_E_clISt17integral_constantIbLb0EESY_EEDaST_SU_EUlST_E_NS1_11comp_targetILNS1_3genE0ELNS1_11target_archE4294967295ELNS1_3gpuE0ELNS1_3repE0EEENS1_30default_config_static_selectorELNS0_4arch9wavefront6targetE1EEEvT1_,@function
_ZN7rocprim17ROCPRIM_400000_NS6detail17trampoline_kernelINS0_14default_configENS1_33run_length_encode_config_selectorIljNS0_4plusIjEEEEZZNS1_33reduce_by_key_impl_wrapped_configILNS1_25lookback_scan_determinismE0ES3_S7_PKlNS0_17constant_iteratorIjlEEPlSE_SE_S6_NS0_8equal_toIlEEEE10hipError_tPvRmT2_T3_mT4_T5_T6_T7_T8_P12ihipStream_tbENKUlT_T0_E_clISt17integral_constantIbLb0EESY_EEDaST_SU_EUlST_E_NS1_11comp_targetILNS1_3genE0ELNS1_11target_archE4294967295ELNS1_3gpuE0ELNS1_3repE0EEENS1_30default_config_static_selectorELNS0_4arch9wavefront6targetE1EEEvT1_: ; @_ZN7rocprim17ROCPRIM_400000_NS6detail17trampoline_kernelINS0_14default_configENS1_33run_length_encode_config_selectorIljNS0_4plusIjEEEEZZNS1_33reduce_by_key_impl_wrapped_configILNS1_25lookback_scan_determinismE0ES3_S7_PKlNS0_17constant_iteratorIjlEEPlSE_SE_S6_NS0_8equal_toIlEEEE10hipError_tPvRmT2_T3_mT4_T5_T6_T7_T8_P12ihipStream_tbENKUlT_T0_E_clISt17integral_constantIbLb0EESY_EEDaST_SU_EUlST_E_NS1_11comp_targetILNS1_3genE0ELNS1_11target_archE4294967295ELNS1_3gpuE0ELNS1_3repE0EEENS1_30default_config_static_selectorELNS0_4arch9wavefront6targetE1EEEvT1_
; %bb.0:
	.section	.rodata,"a",@progbits
	.p2align	6, 0x0
	.amdhsa_kernel _ZN7rocprim17ROCPRIM_400000_NS6detail17trampoline_kernelINS0_14default_configENS1_33run_length_encode_config_selectorIljNS0_4plusIjEEEEZZNS1_33reduce_by_key_impl_wrapped_configILNS1_25lookback_scan_determinismE0ES3_S7_PKlNS0_17constant_iteratorIjlEEPlSE_SE_S6_NS0_8equal_toIlEEEE10hipError_tPvRmT2_T3_mT4_T5_T6_T7_T8_P12ihipStream_tbENKUlT_T0_E_clISt17integral_constantIbLb0EESY_EEDaST_SU_EUlST_E_NS1_11comp_targetILNS1_3genE0ELNS1_11target_archE4294967295ELNS1_3gpuE0ELNS1_3repE0EEENS1_30default_config_static_selectorELNS0_4arch9wavefront6targetE1EEEvT1_
		.amdhsa_group_segment_fixed_size 0
		.amdhsa_private_segment_fixed_size 0
		.amdhsa_kernarg_size 128
		.amdhsa_user_sgpr_count 2
		.amdhsa_user_sgpr_dispatch_ptr 0
		.amdhsa_user_sgpr_queue_ptr 0
		.amdhsa_user_sgpr_kernarg_segment_ptr 1
		.amdhsa_user_sgpr_dispatch_id 0
		.amdhsa_user_sgpr_kernarg_preload_length 0
		.amdhsa_user_sgpr_kernarg_preload_offset 0
		.amdhsa_user_sgpr_private_segment_size 0
		.amdhsa_uses_dynamic_stack 0
		.amdhsa_enable_private_segment 0
		.amdhsa_system_sgpr_workgroup_id_x 1
		.amdhsa_system_sgpr_workgroup_id_y 0
		.amdhsa_system_sgpr_workgroup_id_z 0
		.amdhsa_system_sgpr_workgroup_info 0
		.amdhsa_system_vgpr_workitem_id 0
		.amdhsa_next_free_vgpr 1
		.amdhsa_next_free_sgpr 0
		.amdhsa_accum_offset 4
		.amdhsa_reserve_vcc 0
		.amdhsa_float_round_mode_32 0
		.amdhsa_float_round_mode_16_64 0
		.amdhsa_float_denorm_mode_32 3
		.amdhsa_float_denorm_mode_16_64 3
		.amdhsa_dx10_clamp 1
		.amdhsa_ieee_mode 1
		.amdhsa_fp16_overflow 0
		.amdhsa_tg_split 0
		.amdhsa_exception_fp_ieee_invalid_op 0
		.amdhsa_exception_fp_denorm_src 0
		.amdhsa_exception_fp_ieee_div_zero 0
		.amdhsa_exception_fp_ieee_overflow 0
		.amdhsa_exception_fp_ieee_underflow 0
		.amdhsa_exception_fp_ieee_inexact 0
		.amdhsa_exception_int_div_zero 0
	.end_amdhsa_kernel
	.section	.text._ZN7rocprim17ROCPRIM_400000_NS6detail17trampoline_kernelINS0_14default_configENS1_33run_length_encode_config_selectorIljNS0_4plusIjEEEEZZNS1_33reduce_by_key_impl_wrapped_configILNS1_25lookback_scan_determinismE0ES3_S7_PKlNS0_17constant_iteratorIjlEEPlSE_SE_S6_NS0_8equal_toIlEEEE10hipError_tPvRmT2_T3_mT4_T5_T6_T7_T8_P12ihipStream_tbENKUlT_T0_E_clISt17integral_constantIbLb0EESY_EEDaST_SU_EUlST_E_NS1_11comp_targetILNS1_3genE0ELNS1_11target_archE4294967295ELNS1_3gpuE0ELNS1_3repE0EEENS1_30default_config_static_selectorELNS0_4arch9wavefront6targetE1EEEvT1_,"axG",@progbits,_ZN7rocprim17ROCPRIM_400000_NS6detail17trampoline_kernelINS0_14default_configENS1_33run_length_encode_config_selectorIljNS0_4plusIjEEEEZZNS1_33reduce_by_key_impl_wrapped_configILNS1_25lookback_scan_determinismE0ES3_S7_PKlNS0_17constant_iteratorIjlEEPlSE_SE_S6_NS0_8equal_toIlEEEE10hipError_tPvRmT2_T3_mT4_T5_T6_T7_T8_P12ihipStream_tbENKUlT_T0_E_clISt17integral_constantIbLb0EESY_EEDaST_SU_EUlST_E_NS1_11comp_targetILNS1_3genE0ELNS1_11target_archE4294967295ELNS1_3gpuE0ELNS1_3repE0EEENS1_30default_config_static_selectorELNS0_4arch9wavefront6targetE1EEEvT1_,comdat
.Lfunc_end511:
	.size	_ZN7rocprim17ROCPRIM_400000_NS6detail17trampoline_kernelINS0_14default_configENS1_33run_length_encode_config_selectorIljNS0_4plusIjEEEEZZNS1_33reduce_by_key_impl_wrapped_configILNS1_25lookback_scan_determinismE0ES3_S7_PKlNS0_17constant_iteratorIjlEEPlSE_SE_S6_NS0_8equal_toIlEEEE10hipError_tPvRmT2_T3_mT4_T5_T6_T7_T8_P12ihipStream_tbENKUlT_T0_E_clISt17integral_constantIbLb0EESY_EEDaST_SU_EUlST_E_NS1_11comp_targetILNS1_3genE0ELNS1_11target_archE4294967295ELNS1_3gpuE0ELNS1_3repE0EEENS1_30default_config_static_selectorELNS0_4arch9wavefront6targetE1EEEvT1_, .Lfunc_end511-_ZN7rocprim17ROCPRIM_400000_NS6detail17trampoline_kernelINS0_14default_configENS1_33run_length_encode_config_selectorIljNS0_4plusIjEEEEZZNS1_33reduce_by_key_impl_wrapped_configILNS1_25lookback_scan_determinismE0ES3_S7_PKlNS0_17constant_iteratorIjlEEPlSE_SE_S6_NS0_8equal_toIlEEEE10hipError_tPvRmT2_T3_mT4_T5_T6_T7_T8_P12ihipStream_tbENKUlT_T0_E_clISt17integral_constantIbLb0EESY_EEDaST_SU_EUlST_E_NS1_11comp_targetILNS1_3genE0ELNS1_11target_archE4294967295ELNS1_3gpuE0ELNS1_3repE0EEENS1_30default_config_static_selectorELNS0_4arch9wavefront6targetE1EEEvT1_
                                        ; -- End function
	.section	.AMDGPU.csdata,"",@progbits
; Kernel info:
; codeLenInByte = 0
; NumSgprs: 6
; NumVgprs: 0
; NumAgprs: 0
; TotalNumVgprs: 0
; ScratchSize: 0
; MemoryBound: 0
; FloatMode: 240
; IeeeMode: 1
; LDSByteSize: 0 bytes/workgroup (compile time only)
; SGPRBlocks: 0
; VGPRBlocks: 0
; NumSGPRsForWavesPerEU: 6
; NumVGPRsForWavesPerEU: 1
; AccumOffset: 4
; Occupancy: 8
; WaveLimiterHint : 0
; COMPUTE_PGM_RSRC2:SCRATCH_EN: 0
; COMPUTE_PGM_RSRC2:USER_SGPR: 2
; COMPUTE_PGM_RSRC2:TRAP_HANDLER: 0
; COMPUTE_PGM_RSRC2:TGID_X_EN: 1
; COMPUTE_PGM_RSRC2:TGID_Y_EN: 0
; COMPUTE_PGM_RSRC2:TGID_Z_EN: 0
; COMPUTE_PGM_RSRC2:TIDIG_COMP_CNT: 0
; COMPUTE_PGM_RSRC3_GFX90A:ACCUM_OFFSET: 0
; COMPUTE_PGM_RSRC3_GFX90A:TG_SPLIT: 0
	.section	.text._ZN7rocprim17ROCPRIM_400000_NS6detail17trampoline_kernelINS0_14default_configENS1_33run_length_encode_config_selectorIljNS0_4plusIjEEEEZZNS1_33reduce_by_key_impl_wrapped_configILNS1_25lookback_scan_determinismE0ES3_S7_PKlNS0_17constant_iteratorIjlEEPlSE_SE_S6_NS0_8equal_toIlEEEE10hipError_tPvRmT2_T3_mT4_T5_T6_T7_T8_P12ihipStream_tbENKUlT_T0_E_clISt17integral_constantIbLb0EESY_EEDaST_SU_EUlST_E_NS1_11comp_targetILNS1_3genE5ELNS1_11target_archE942ELNS1_3gpuE9ELNS1_3repE0EEENS1_30default_config_static_selectorELNS0_4arch9wavefront6targetE1EEEvT1_,"axG",@progbits,_ZN7rocprim17ROCPRIM_400000_NS6detail17trampoline_kernelINS0_14default_configENS1_33run_length_encode_config_selectorIljNS0_4plusIjEEEEZZNS1_33reduce_by_key_impl_wrapped_configILNS1_25lookback_scan_determinismE0ES3_S7_PKlNS0_17constant_iteratorIjlEEPlSE_SE_S6_NS0_8equal_toIlEEEE10hipError_tPvRmT2_T3_mT4_T5_T6_T7_T8_P12ihipStream_tbENKUlT_T0_E_clISt17integral_constantIbLb0EESY_EEDaST_SU_EUlST_E_NS1_11comp_targetILNS1_3genE5ELNS1_11target_archE942ELNS1_3gpuE9ELNS1_3repE0EEENS1_30default_config_static_selectorELNS0_4arch9wavefront6targetE1EEEvT1_,comdat
	.protected	_ZN7rocprim17ROCPRIM_400000_NS6detail17trampoline_kernelINS0_14default_configENS1_33run_length_encode_config_selectorIljNS0_4plusIjEEEEZZNS1_33reduce_by_key_impl_wrapped_configILNS1_25lookback_scan_determinismE0ES3_S7_PKlNS0_17constant_iteratorIjlEEPlSE_SE_S6_NS0_8equal_toIlEEEE10hipError_tPvRmT2_T3_mT4_T5_T6_T7_T8_P12ihipStream_tbENKUlT_T0_E_clISt17integral_constantIbLb0EESY_EEDaST_SU_EUlST_E_NS1_11comp_targetILNS1_3genE5ELNS1_11target_archE942ELNS1_3gpuE9ELNS1_3repE0EEENS1_30default_config_static_selectorELNS0_4arch9wavefront6targetE1EEEvT1_ ; -- Begin function _ZN7rocprim17ROCPRIM_400000_NS6detail17trampoline_kernelINS0_14default_configENS1_33run_length_encode_config_selectorIljNS0_4plusIjEEEEZZNS1_33reduce_by_key_impl_wrapped_configILNS1_25lookback_scan_determinismE0ES3_S7_PKlNS0_17constant_iteratorIjlEEPlSE_SE_S6_NS0_8equal_toIlEEEE10hipError_tPvRmT2_T3_mT4_T5_T6_T7_T8_P12ihipStream_tbENKUlT_T0_E_clISt17integral_constantIbLb0EESY_EEDaST_SU_EUlST_E_NS1_11comp_targetILNS1_3genE5ELNS1_11target_archE942ELNS1_3gpuE9ELNS1_3repE0EEENS1_30default_config_static_selectorELNS0_4arch9wavefront6targetE1EEEvT1_
	.globl	_ZN7rocprim17ROCPRIM_400000_NS6detail17trampoline_kernelINS0_14default_configENS1_33run_length_encode_config_selectorIljNS0_4plusIjEEEEZZNS1_33reduce_by_key_impl_wrapped_configILNS1_25lookback_scan_determinismE0ES3_S7_PKlNS0_17constant_iteratorIjlEEPlSE_SE_S6_NS0_8equal_toIlEEEE10hipError_tPvRmT2_T3_mT4_T5_T6_T7_T8_P12ihipStream_tbENKUlT_T0_E_clISt17integral_constantIbLb0EESY_EEDaST_SU_EUlST_E_NS1_11comp_targetILNS1_3genE5ELNS1_11target_archE942ELNS1_3gpuE9ELNS1_3repE0EEENS1_30default_config_static_selectorELNS0_4arch9wavefront6targetE1EEEvT1_
	.p2align	8
	.type	_ZN7rocprim17ROCPRIM_400000_NS6detail17trampoline_kernelINS0_14default_configENS1_33run_length_encode_config_selectorIljNS0_4plusIjEEEEZZNS1_33reduce_by_key_impl_wrapped_configILNS1_25lookback_scan_determinismE0ES3_S7_PKlNS0_17constant_iteratorIjlEEPlSE_SE_S6_NS0_8equal_toIlEEEE10hipError_tPvRmT2_T3_mT4_T5_T6_T7_T8_P12ihipStream_tbENKUlT_T0_E_clISt17integral_constantIbLb0EESY_EEDaST_SU_EUlST_E_NS1_11comp_targetILNS1_3genE5ELNS1_11target_archE942ELNS1_3gpuE9ELNS1_3repE0EEENS1_30default_config_static_selectorELNS0_4arch9wavefront6targetE1EEEvT1_,@function
_ZN7rocprim17ROCPRIM_400000_NS6detail17trampoline_kernelINS0_14default_configENS1_33run_length_encode_config_selectorIljNS0_4plusIjEEEEZZNS1_33reduce_by_key_impl_wrapped_configILNS1_25lookback_scan_determinismE0ES3_S7_PKlNS0_17constant_iteratorIjlEEPlSE_SE_S6_NS0_8equal_toIlEEEE10hipError_tPvRmT2_T3_mT4_T5_T6_T7_T8_P12ihipStream_tbENKUlT_T0_E_clISt17integral_constantIbLb0EESY_EEDaST_SU_EUlST_E_NS1_11comp_targetILNS1_3genE5ELNS1_11target_archE942ELNS1_3gpuE9ELNS1_3repE0EEENS1_30default_config_static_selectorELNS0_4arch9wavefront6targetE1EEEvT1_: ; @_ZN7rocprim17ROCPRIM_400000_NS6detail17trampoline_kernelINS0_14default_configENS1_33run_length_encode_config_selectorIljNS0_4plusIjEEEEZZNS1_33reduce_by_key_impl_wrapped_configILNS1_25lookback_scan_determinismE0ES3_S7_PKlNS0_17constant_iteratorIjlEEPlSE_SE_S6_NS0_8equal_toIlEEEE10hipError_tPvRmT2_T3_mT4_T5_T6_T7_T8_P12ihipStream_tbENKUlT_T0_E_clISt17integral_constantIbLb0EESY_EEDaST_SU_EUlST_E_NS1_11comp_targetILNS1_3genE5ELNS1_11target_archE942ELNS1_3gpuE9ELNS1_3repE0EEENS1_30default_config_static_selectorELNS0_4arch9wavefront6targetE1EEEvT1_
; %bb.0:
	s_load_dwordx8 s[36:43], s[0:1], 0x40
	s_load_dwordx4 s[4:7], s[0:1], 0x0
	s_load_dword s3, s[0:1], 0x10
	s_load_dwordx4 s[44:47], s[0:1], 0x60
	s_waitcnt lgkmcnt(0)
	s_mul_i32 s8, s40, s39
	s_mul_hi_u32 s9, s40, s38
	s_add_i32 s8, s9, s8
	s_mul_i32 s9, s41, s38
	s_add_i32 s8, s8, s9
	s_lshl_b64 s[6:7], s[6:7], 3
	s_add_u32 s6, s4, s6
	s_addc_u32 s7, s5, s7
	s_mul_i32 s4, s2, 0x1e00
	s_mov_b32 s5, 0
	s_lshl_b64 s[4:5], s[4:5], 3
	s_mul_i32 s9, s40, s38
	s_add_u32 s40, s6, s4
	s_addc_u32 s41, s7, s5
	s_add_u32 s34, s9, s2
	s_addc_u32 s35, s8, 0
	s_add_u32 s6, s42, -1
	s_addc_u32 s7, s43, -1
	s_cmp_eq_u64 s[34:35], s[6:7]
	s_cselect_b64 s[48:49], -1, 0
	s_cmp_lg_u64 s[34:35], s[6:7]
	s_mov_b64 s[8:9], -1
	s_cselect_b64 s[4:5], -1, 0
	s_mul_i32 s33, s6, 0xffffe200
	s_and_b64 vcc, exec, s[48:49]
	s_cbranch_vccnz .LBB512_2
; %bb.1:
	v_lshlrev_b32_e32 v2, 3, v0
	v_mov_b32_e32 v3, 0
	v_lshl_add_u64 v[4:5], s[40:41], 0, v[2:3]
	v_add_co_u32_e32 v8, vcc, 0x1000, v4
	global_load_dwordx2 v[6:7], v2, s[40:41]
	s_nop 0
	v_addc_co_u32_e32 v9, vcc, 0, v5, vcc
	v_add_co_u32_e32 v10, vcc, 0x2000, v4
	s_movk_i32 s6, 0x70
	s_nop 0
	v_addc_co_u32_e32 v11, vcc, 0, v5, vcc
	v_add_co_u32_e32 v12, vcc, 0x3000, v4
	v_mad_u32_u24 v1, v0, s6, v2
	s_nop 0
	v_addc_co_u32_e32 v13, vcc, 0, v5, vcc
	v_add_co_u32_e32 v14, vcc, 0x4000, v4
	s_nop 1
	v_addc_co_u32_e32 v15, vcc, 0, v5, vcc
	global_load_dwordx2 v[16:17], v[8:9], off
	global_load_dwordx2 v[18:19], v[10:11], off
	;; [unrolled: 1-line block ×4, first 2 shown]
	v_add_co_u32_e32 v8, vcc, 0x5000, v4
	s_mov_b64 s[6:7], -1
	s_nop 0
	v_addc_co_u32_e32 v9, vcc, 0, v5, vcc
	v_add_co_u32_e32 v10, vcc, 0x6000, v4
	s_nop 1
	v_addc_co_u32_e32 v11, vcc, 0, v5, vcc
	v_add_co_u32_e32 v12, vcc, 0x7000, v4
	;; [unrolled: 3-line block ×3, first 2 shown]
	s_nop 1
	v_addc_co_u32_e32 v15, vcc, 0, v5, vcc
	global_load_dwordx2 v[24:25], v[8:9], off
	global_load_dwordx2 v[26:27], v[10:11], off
	global_load_dwordx2 v[28:29], v[12:13], off
	global_load_dwordx2 v[30:31], v[14:15], off
	v_add_co_u32_e32 v8, vcc, 0x9000, v4
	s_nop 1
	v_addc_co_u32_e32 v9, vcc, 0, v5, vcc
	v_add_co_u32_e32 v10, vcc, 0xa000, v4
	s_nop 1
	v_addc_co_u32_e32 v11, vcc, 0, v5, vcc
	;; [unrolled: 3-line block ×4, first 2 shown]
	global_load_dwordx2 v[32:33], v[8:9], off
	global_load_dwordx2 v[34:35], v[10:11], off
	;; [unrolled: 1-line block ×4, first 2 shown]
	v_add_co_u32_e32 v8, vcc, 0xd000, v4
	s_nop 1
	v_addc_co_u32_e32 v9, vcc, 0, v5, vcc
	v_add_co_u32_e32 v4, vcc, 0xe000, v4
	global_load_dwordx2 v[8:9], v[8:9], off
	s_nop 0
	v_addc_co_u32_e32 v5, vcc, 0, v5, vcc
	global_load_dwordx2 v[4:5], v[4:5], off
	s_waitcnt vmcnt(13)
	ds_write2st64_b64 v2, v[6:7], v[16:17] offset1:8
	s_waitcnt vmcnt(11)
	ds_write2st64_b64 v2, v[18:19], v[20:21] offset0:16 offset1:24
	s_waitcnt vmcnt(9)
	ds_write2st64_b64 v2, v[22:23], v[24:25] offset0:32 offset1:40
	;; [unrolled: 2-line block ×6, first 2 shown]
	s_waitcnt vmcnt(0)
	ds_write_b64 v2, v[4:5] offset:57344
	s_waitcnt lgkmcnt(0)
	s_barrier
	ds_read2_b64 v[26:29], v1 offset1:1
	ds_read2_b64 v[22:25], v1 offset0:2 offset1:3
	ds_read2_b64 v[18:21], v1 offset0:4 offset1:5
	;; [unrolled: 1-line block ×6, first 2 shown]
	ds_read_b64 v[46:47], v1 offset:112
	s_waitcnt lgkmcnt(7)
	v_mov_b32_e32 v30, v26
	v_mov_b32_e32 v31, v27
	s_waitcnt lgkmcnt(6)
	v_mov_b32_e32 v32, v22
	v_mov_b32_e32 v33, v23
	;; [unrolled: 3-line block ×7, first 2 shown]
	s_add_i32 s33, s33, s44
	s_cbranch_execz .LBB512_3
	s_branch .LBB512_34
.LBB512_2:
	s_mov_b64 s[6:7], 0
                                        ; implicit-def: $vgpr46_vgpr47
                                        ; implicit-def: $vgpr6_vgpr7
                                        ; implicit-def: $vgpr2_vgpr3
                                        ; implicit-def: $vgpr10_vgpr11
                                        ; implicit-def: $vgpr14_vgpr15
                                        ; implicit-def: $vgpr18_vgpr19
                                        ; implicit-def: $vgpr22_vgpr23
                                        ; implicit-def: $vgpr26_vgpr27
                                        ; implicit-def: $vgpr38_vgpr39_vgpr40_vgpr41
                                        ; implicit-def: $vgpr34_vgpr35_vgpr36_vgpr37
                                        ; implicit-def: $vgpr30_vgpr31_vgpr32_vgpr33
                                        ; implicit-def: $vgpr42_vgpr43_vgpr44_vgpr45
	s_add_i32 s33, s33, s44
	s_andn2_b64 vcc, exec, s[8:9]
	s_cbranch_vccnz .LBB512_34
.LBB512_3:
	v_cmp_gt_u32_e32 vcc, s33, v0
                                        ; implicit-def: $vgpr2_vgpr3
	s_and_saveexec_b64 s[6:7], vcc
	s_cbranch_execz .LBB512_5
; %bb.4:
	v_lshlrev_b32_e32 v1, 3, v0
	global_load_dwordx2 v[2:3], v1, s[40:41]
.LBB512_5:
	s_or_b64 exec, exec, s[6:7]
	v_or_b32_e32 v1, 0x200, v0
	v_cmp_gt_u32_e32 vcc, s33, v1
                                        ; implicit-def: $vgpr4_vgpr5
	s_and_saveexec_b64 s[6:7], vcc
	s_cbranch_execz .LBB512_7
; %bb.6:
	v_lshlrev_b32_e32 v1, 3, v1
	global_load_dwordx2 v[4:5], v1, s[40:41]
.LBB512_7:
	s_or_b64 exec, exec, s[6:7]
	v_or_b32_e32 v1, 0x400, v0
	v_cmp_gt_u32_e32 vcc, s33, v1
                                        ; implicit-def: $vgpr6_vgpr7
	s_and_saveexec_b64 s[6:7], vcc
	s_cbranch_execz .LBB512_9
; %bb.8:
	v_lshlrev_b32_e32 v1, 3, v1
	global_load_dwordx2 v[6:7], v1, s[40:41]
.LBB512_9:
	s_or_b64 exec, exec, s[6:7]
	v_or_b32_e32 v1, 0x600, v0
	v_cmp_gt_u32_e32 vcc, s33, v1
                                        ; implicit-def: $vgpr8_vgpr9
	s_and_saveexec_b64 s[6:7], vcc
	s_cbranch_execz .LBB512_11
; %bb.10:
	v_lshlrev_b32_e32 v1, 3, v1
	global_load_dwordx2 v[8:9], v1, s[40:41]
.LBB512_11:
	s_or_b64 exec, exec, s[6:7]
	v_or_b32_e32 v1, 0x800, v0
	v_cmp_gt_u32_e32 vcc, s33, v1
                                        ; implicit-def: $vgpr10_vgpr11
	s_and_saveexec_b64 s[6:7], vcc
	s_cbranch_execz .LBB512_13
; %bb.12:
	v_lshlrev_b32_e32 v1, 3, v1
	global_load_dwordx2 v[10:11], v1, s[40:41]
.LBB512_13:
	s_or_b64 exec, exec, s[6:7]
	v_or_b32_e32 v1, 0xa00, v0
	v_cmp_gt_u32_e32 vcc, s33, v1
                                        ; implicit-def: $vgpr12_vgpr13
	s_and_saveexec_b64 s[6:7], vcc
	s_cbranch_execz .LBB512_15
; %bb.14:
	v_lshlrev_b32_e32 v1, 3, v1
	global_load_dwordx2 v[12:13], v1, s[40:41]
.LBB512_15:
	s_or_b64 exec, exec, s[6:7]
	v_or_b32_e32 v1, 0xc00, v0
	v_cmp_gt_u32_e32 vcc, s33, v1
                                        ; implicit-def: $vgpr14_vgpr15
	s_and_saveexec_b64 s[6:7], vcc
	s_cbranch_execz .LBB512_17
; %bb.16:
	v_lshlrev_b32_e32 v1, 3, v1
	global_load_dwordx2 v[14:15], v1, s[40:41]
.LBB512_17:
	s_or_b64 exec, exec, s[6:7]
	v_or_b32_e32 v1, 0xe00, v0
	v_cmp_gt_u32_e32 vcc, s33, v1
                                        ; implicit-def: $vgpr16_vgpr17
	s_and_saveexec_b64 s[6:7], vcc
	s_cbranch_execz .LBB512_19
; %bb.18:
	v_lshlrev_b32_e32 v1, 3, v1
	global_load_dwordx2 v[16:17], v1, s[40:41]
.LBB512_19:
	s_or_b64 exec, exec, s[6:7]
	v_or_b32_e32 v1, 0x1000, v0
	v_cmp_gt_u32_e32 vcc, s33, v1
                                        ; implicit-def: $vgpr18_vgpr19
	s_and_saveexec_b64 s[6:7], vcc
	s_cbranch_execz .LBB512_21
; %bb.20:
	v_lshlrev_b32_e32 v1, 3, v1
	global_load_dwordx2 v[18:19], v1, s[40:41]
.LBB512_21:
	s_or_b64 exec, exec, s[6:7]
	v_or_b32_e32 v1, 0x1200, v0
	v_cmp_gt_u32_e32 vcc, s33, v1
                                        ; implicit-def: $vgpr20_vgpr21
	s_and_saveexec_b64 s[6:7], vcc
	s_cbranch_execz .LBB512_23
; %bb.22:
	v_lshlrev_b32_e32 v1, 3, v1
	global_load_dwordx2 v[20:21], v1, s[40:41]
.LBB512_23:
	s_or_b64 exec, exec, s[6:7]
	v_or_b32_e32 v1, 0x1400, v0
	v_cmp_gt_u32_e32 vcc, s33, v1
                                        ; implicit-def: $vgpr22_vgpr23
	s_and_saveexec_b64 s[6:7], vcc
	s_cbranch_execz .LBB512_25
; %bb.24:
	v_lshlrev_b32_e32 v1, 3, v1
	global_load_dwordx2 v[22:23], v1, s[40:41]
.LBB512_25:
	s_or_b64 exec, exec, s[6:7]
	v_or_b32_e32 v1, 0x1600, v0
	v_cmp_gt_u32_e32 vcc, s33, v1
                                        ; implicit-def: $vgpr24_vgpr25
	s_and_saveexec_b64 s[6:7], vcc
	s_cbranch_execz .LBB512_27
; %bb.26:
	v_lshlrev_b32_e32 v1, 3, v1
	global_load_dwordx2 v[24:25], v1, s[40:41]
.LBB512_27:
	s_or_b64 exec, exec, s[6:7]
	v_or_b32_e32 v1, 0x1800, v0
	v_cmp_gt_u32_e32 vcc, s33, v1
                                        ; implicit-def: $vgpr26_vgpr27
	s_and_saveexec_b64 s[6:7], vcc
	s_cbranch_execz .LBB512_29
; %bb.28:
	v_lshlrev_b32_e32 v1, 3, v1
	global_load_dwordx2 v[26:27], v1, s[40:41]
.LBB512_29:
	s_or_b64 exec, exec, s[6:7]
	v_or_b32_e32 v1, 0x1a00, v0
	v_cmp_gt_u32_e32 vcc, s33, v1
                                        ; implicit-def: $vgpr28_vgpr29
	s_and_saveexec_b64 s[6:7], vcc
	s_cbranch_execz .LBB512_31
; %bb.30:
	v_lshlrev_b32_e32 v1, 3, v1
	global_load_dwordx2 v[28:29], v1, s[40:41]
.LBB512_31:
	s_or_b64 exec, exec, s[6:7]
	v_or_b32_e32 v1, 0x1c00, v0
	v_cmp_gt_u32_e32 vcc, s33, v1
                                        ; implicit-def: $vgpr30_vgpr31
	s_and_saveexec_b64 s[6:7], vcc
	s_cbranch_execz .LBB512_33
; %bb.32:
	v_lshlrev_b32_e32 v1, 3, v1
	global_load_dwordx2 v[30:31], v1, s[40:41]
.LBB512_33:
	s_or_b64 exec, exec, s[6:7]
	v_lshlrev_b32_e32 v1, 3, v0
	s_movk_i32 s6, 0x70
	s_waitcnt vmcnt(0)
	ds_write2st64_b64 v1, v[2:3], v[4:5] offset1:8
	ds_write2st64_b64 v1, v[6:7], v[8:9] offset0:16 offset1:24
	ds_write2st64_b64 v1, v[10:11], v[12:13] offset0:32 offset1:40
	;; [unrolled: 1-line block ×6, first 2 shown]
	ds_write_b64 v1, v[30:31] offset:57344
	v_mad_u32_u24 v1, v0, s6, v1
	s_waitcnt lgkmcnt(0)
	s_barrier
	ds_read2_b64 v[26:29], v1 offset1:1
	ds_read2_b64 v[22:25], v1 offset0:2 offset1:3
	ds_read2_b64 v[18:21], v1 offset0:4 offset1:5
	;; [unrolled: 1-line block ×6, first 2 shown]
	ds_read_b64 v[46:47], v1 offset:112
	v_mad_u32_u24 v30, v0, 15, 14
	v_cmp_gt_u32_e64 s[6:7], s33, v30
	s_waitcnt lgkmcnt(7)
	v_mov_b32_e32 v30, v26
	v_mov_b32_e32 v31, v27
	s_waitcnt lgkmcnt(6)
	v_mov_b32_e32 v32, v22
	v_mov_b32_e32 v33, v23
	s_waitcnt lgkmcnt(5)
	v_mov_b32_e32 v34, v18
	v_mov_b32_e32 v35, v19
	s_waitcnt lgkmcnt(4)
	v_mov_b32_e32 v36, v14
	v_mov_b32_e32 v37, v15
	s_waitcnt lgkmcnt(3)
	v_mov_b32_e32 v38, v10
	v_mov_b32_e32 v39, v11
	s_waitcnt lgkmcnt(2)
	v_mov_b32_e32 v40, v2
	v_mov_b32_e32 v41, v3
	s_waitcnt lgkmcnt(1)
	v_mov_b32_e32 v42, v6
	v_mov_b32_e32 v43, v7
.LBB512_34:
	v_mov_b32_e32 v68, s3
                                        ; implicit-def: $vgpr69
	s_and_saveexec_b64 s[8:9], s[6:7]
; %bb.35:
	v_mov_b32_e32 v69, s3
; %bb.36:
	s_or_b64 exec, exec, s[8:9]
	s_load_dwordx2 s[52:53], s[0:1], 0x70
	s_cmp_eq_u64 s[34:35], 0
	s_cselect_b64 s[50:51], -1, 0
	s_cmp_lg_u64 s[34:35], 0
	s_mov_b64 s[42:43], 0
	s_cselect_b64 s[54:55], -1, 0
	s_and_b64 vcc, exec, s[4:5]
	s_waitcnt lgkmcnt(0)
	s_barrier
	s_cbranch_vccz .LBB512_42
; %bb.37:
	s_and_b64 vcc, exec, s[54:55]
	s_cbranch_vccz .LBB512_43
; %bb.38:
	s_add_u32 s4, s40, -8
	s_addc_u32 s5, s41, -1
	s_load_dwordx2 s[42:43], s[4:5], 0x0
	v_lshlrev_b32_e32 v1, 3, v0
	v_cmp_ne_u64_e32 vcc, v[8:9], v[46:47]
	v_cmp_ne_u64_e64 s[28:29], v[6:7], v[8:9]
	v_cmp_ne_u64_e64 s[4:5], v[4:5], v[6:7]
	;; [unrolled: 1-line block ×13, first 2 shown]
	v_cmp_ne_u32_e64 s[30:31], 0, v0
	s_waitcnt lgkmcnt(0)
	v_mov_b64_e32 v[44:45], s[42:43]
	ds_write_b64 v1, v[46:47]
	s_waitcnt lgkmcnt(0)
	s_barrier
	s_and_saveexec_b64 s[42:43], s[30:31]
	s_cbranch_execz .LBB512_40
; %bb.39:
	v_add_u32_e32 v1, -8, v1
	ds_read_b64 v[44:45], v1
.LBB512_40:
	s_or_b64 exec, exec, s[42:43]
	v_cndmask_b32_e64 v1, 0, 1, vcc
	v_cndmask_b32_e64 v72, 0, 1, s[28:29]
	v_cndmask_b32_e64 v73, 0, 1, s[4:5]
	;; [unrolled: 1-line block ×13, first 2 shown]
	s_waitcnt lgkmcnt(0)
	v_cmp_ne_u64_e64 s[4:5], v[44:45], v[26:27]
	s_mov_b64 s[42:43], -1
.LBB512_41:
                                        ; implicit-def: $sgpr3
	s_branch .LBB512_55
.LBB512_42:
                                        ; implicit-def: $sgpr4_sgpr5
                                        ; implicit-def: $vgpr1
                                        ; implicit-def: $vgpr72
                                        ; implicit-def: $vgpr73
                                        ; implicit-def: $vgpr74
                                        ; implicit-def: $vgpr75
                                        ; implicit-def: $vgpr76
                                        ; implicit-def: $vgpr77
                                        ; implicit-def: $vgpr78
                                        ; implicit-def: $vgpr79
                                        ; implicit-def: $vgpr80
                                        ; implicit-def: $vgpr81
                                        ; implicit-def: $vgpr82
                                        ; implicit-def: $vgpr83
                                        ; implicit-def: $vgpr84
                                        ; implicit-def: $sgpr3
	s_cbranch_execnz .LBB512_47
	s_branch .LBB512_55
.LBB512_43:
                                        ; implicit-def: $sgpr4_sgpr5
                                        ; implicit-def: $vgpr1
                                        ; implicit-def: $vgpr72
                                        ; implicit-def: $vgpr73
                                        ; implicit-def: $vgpr74
                                        ; implicit-def: $vgpr75
                                        ; implicit-def: $vgpr76
                                        ; implicit-def: $vgpr77
                                        ; implicit-def: $vgpr78
                                        ; implicit-def: $vgpr79
                                        ; implicit-def: $vgpr80
                                        ; implicit-def: $vgpr81
                                        ; implicit-def: $vgpr82
                                        ; implicit-def: $vgpr83
                                        ; implicit-def: $vgpr84
	s_cbranch_execz .LBB512_41
; %bb.44:
	v_cmp_ne_u64_e32 vcc, v[28:29], v[30:31]
	v_lshlrev_b32_e32 v44, 3, v0
	ds_write_b64 v44, v[46:47]
	v_cndmask_b32_e64 v84, 0, 1, vcc
	v_cmp_ne_u64_e32 vcc, v[28:29], v[32:33]
	s_waitcnt lgkmcnt(0)
	s_barrier
	v_cndmask_b32_e64 v83, 0, 1, vcc
	v_cmp_ne_u64_e32 vcc, v[32:33], v[24:25]
	s_waitcnt lgkmcnt(0)
                                        ; implicit-def: $sgpr4_sgpr5
	s_nop 0
	v_cndmask_b32_e64 v82, 0, 1, vcc
	v_cmp_ne_u64_e32 vcc, v[34:35], v[24:25]
	s_nop 1
	v_cndmask_b32_e64 v81, 0, 1, vcc
	v_cmp_ne_u64_e32 vcc, v[20:21], v[34:35]
	;; [unrolled: 3-line block ×11, first 2 shown]
	s_nop 1
	v_cndmask_b32_e64 v1, 0, 1, vcc
	v_cmp_ne_u32_e32 vcc, 0, v0
	s_and_saveexec_b64 s[6:7], vcc
	s_xor_b64 s[6:7], exec, s[6:7]
	s_cbranch_execz .LBB512_46
; %bb.45:
	v_add_u32_e32 v30, -8, v44
	ds_read_b64 v[30:31], v30
	s_or_b64 s[42:43], s[42:43], exec
	s_waitcnt lgkmcnt(0)
	v_cmp_ne_u64_e32 vcc, v[30:31], v[26:27]
	s_and_b64 s[4:5], vcc, exec
.LBB512_46:
	s_or_b64 exec, exec, s[6:7]
	s_mov_b32 s3, 1
	s_branch .LBB512_55
.LBB512_47:
	s_mul_hi_u32 s4, s34, 0xffffe200
	s_mul_i32 s3, s35, 0xffffe200
	s_sub_i32 s4, s4, s34
	s_add_i32 s4, s4, s3
	s_mul_i32 s3, s34, 0xffffe200
	s_add_u32 s44, s3, s44
	s_addc_u32 s45, s4, s45
	s_and_b64 vcc, exec, s[54:55]
	v_cmp_ne_u64_e64 s[30:31], v[8:9], v[46:47]
	v_cmp_ne_u64_e64 s[28:29], v[6:7], v[8:9]
	;; [unrolled: 1-line block ×14, first 2 shown]
	v_mad_u32_u24 v30, v0, 15, 14
	v_mad_u32_u24 v58, v0, 15, 13
	;; [unrolled: 1-line block ×14, first 2 shown]
	v_cmp_ne_u32_e64 s[8:9], 0, v0
	s_cbranch_vccz .LBB512_52
; %bb.48:
	v_mov_b32_e32 v31, 0
	s_add_u32 s40, s40, -8
	v_cmp_gt_u64_e32 vcc, s[44:45], v[30:31]
	v_mov_b32_e32 v59, v31
	s_addc_u32 s41, s41, -1
	s_and_b64 s[30:31], vcc, s[30:31]
	v_cmp_gt_u64_e32 vcc, s[44:45], v[58:59]
	v_mov_b32_e32 v57, v31
	s_and_b64 s[28:29], vcc, s[28:29]
	v_cmp_gt_u64_e32 vcc, s[44:45], v[56:57]
	v_mov_b32_e32 v55, v31
	;; [unrolled: 3-line block ×8, first 2 shown]
	s_load_dwordx2 s[40:41], s[40:41], 0x0
	s_and_b64 s[14:15], vcc, s[14:15]
	v_cmp_gt_u64_e32 vcc, s[44:45], v[40:41]
	v_mov_b32_e32 v39, v31
	s_and_b64 s[12:13], vcc, s[12:13]
	v_cmp_gt_u64_e32 vcc, s[44:45], v[38:39]
	v_mov_b32_e32 v37, v31
	;; [unrolled: 3-line block ×4, first 2 shown]
	s_and_b64 s[4:5], vcc, s[4:5]
	v_cmp_gt_u64_e32 vcc, s[44:45], v[32:33]
	v_lshlrev_b32_e32 v1, 3, v0
	v_mul_u32_u24_e32 v60, 15, v0
	s_and_b64 s[34:35], vcc, s[34:35]
	s_waitcnt lgkmcnt(0)
	v_mov_b64_e32 v[62:63], s[40:41]
	ds_write_b64 v1, v[46:47]
	s_waitcnt lgkmcnt(0)
	s_barrier
	s_and_saveexec_b64 s[40:41], s[8:9]
	s_cbranch_execz .LBB512_50
; %bb.49:
	v_add_u32_e32 v1, -8, v1
	ds_read_b64 v[62:63], v1
.LBB512_50:
	s_or_b64 exec, exec, s[40:41]
	v_mov_b32_e32 v61, v31
	v_cndmask_b32_e64 v83, 0, 1, s[4:5]
	v_cmp_gt_u64_e32 vcc, s[44:45], v[60:61]
	s_waitcnt lgkmcnt(0)
	v_cmp_ne_u64_e64 s[4:5], v[62:63], v[26:27]
	v_cndmask_b32_e64 v1, 0, 1, s[30:31]
	v_cndmask_b32_e64 v72, 0, 1, s[28:29]
	;; [unrolled: 1-line block ×13, first 2 shown]
	s_and_b64 s[4:5], vcc, s[4:5]
	s_mov_b64 s[42:43], -1
.LBB512_51:
                                        ; implicit-def: $sgpr3
	v_mov_b32_e32 v85, s3
	s_and_saveexec_b64 s[6:7], s[42:43]
	s_cbranch_execnz .LBB512_56
	s_branch .LBB512_57
.LBB512_52:
                                        ; implicit-def: $sgpr4_sgpr5
                                        ; implicit-def: $vgpr1
                                        ; implicit-def: $vgpr72
                                        ; implicit-def: $vgpr73
                                        ; implicit-def: $vgpr74
                                        ; implicit-def: $vgpr75
                                        ; implicit-def: $vgpr76
                                        ; implicit-def: $vgpr77
                                        ; implicit-def: $vgpr78
                                        ; implicit-def: $vgpr79
                                        ; implicit-def: $vgpr80
                                        ; implicit-def: $vgpr81
                                        ; implicit-def: $vgpr82
                                        ; implicit-def: $vgpr83
                                        ; implicit-def: $vgpr84
	s_cbranch_execz .LBB512_51
; %bb.53:
	v_mov_b32_e32 v31, 0
	v_cmp_gt_u64_e32 vcc, s[44:45], v[30:31]
	v_cmp_ne_u64_e64 s[4:5], v[8:9], v[46:47]
	s_and_b64 s[4:5], vcc, s[4:5]
	v_mov_b32_e32 v59, v31
	v_cndmask_b32_e64 v1, 0, 1, s[4:5]
	v_cmp_gt_u64_e32 vcc, s[44:45], v[58:59]
	v_cmp_ne_u64_e64 s[4:5], v[6:7], v[8:9]
	s_and_b64 s[4:5], vcc, s[4:5]
	v_mov_b32_e32 v57, v31
	v_cndmask_b32_e64 v72, 0, 1, s[4:5]
	;; [unrolled: 5-line block ×13, first 2 shown]
	v_cmp_gt_u64_e32 vcc, s[44:45], v[32:33]
	v_cmp_ne_u64_e64 s[4:5], v[26:27], v[28:29]
	s_and_b64 s[4:5], vcc, s[4:5]
	v_lshlrev_b32_e32 v60, 3, v0
	s_mov_b32 s3, 1
	v_cndmask_b32_e64 v84, 0, 1, s[4:5]
	v_cmp_ne_u32_e32 vcc, 0, v0
	ds_write_b64 v60, v[46:47]
	s_waitcnt lgkmcnt(0)
	s_barrier
	s_waitcnt lgkmcnt(0)
                                        ; implicit-def: $sgpr4_sgpr5
	s_and_saveexec_b64 s[6:7], vcc
	s_cbranch_execz .LBB512_136
; %bb.54:
	v_add_u32_e32 v30, -8, v60
	ds_read_b64 v[32:33], v30
	v_mul_u32_u24_e32 v30, 15, v0
	v_cmp_gt_u64_e32 vcc, s[44:45], v[30:31]
	s_or_b64 s[42:43], s[42:43], exec
	s_waitcnt lgkmcnt(0)
	v_cmp_ne_u64_e64 s[4:5], v[32:33], v[26:27]
	s_and_b64 s[4:5], vcc, s[4:5]
	s_and_b64 s[4:5], s[4:5], exec
	s_or_b64 exec, exec, s[6:7]
.LBB512_55:
	v_mov_b32_e32 v85, s3
	s_and_saveexec_b64 s[6:7], s[42:43]
.LBB512_56:
	v_cndmask_b32_e64 v85, 0, 1, s[4:5]
.LBB512_57:
	s_or_b64 exec, exec, s[6:7]
	s_load_dwordx4 s[40:43], s[0:1], 0x20
	s_load_dwordx2 s[34:35], s[0:1], 0x30
	s_cmp_eq_u64 s[38:39], 0
	v_add3_u32 v30, v84, v85, v83
	s_cselect_b64 s[38:39], -1, 0
	s_cmp_lg_u32 s2, 0
	v_cmp_eq_u32_e64 s[24:25], 0, v84
	v_cmp_eq_u32_e64 s[22:23], 0, v83
	;; [unrolled: 1-line block ×3, first 2 shown]
	v_add3_u32 v87, v30, v82, v81
	v_cmp_eq_u32_e64 s[18:19], 0, v81
	v_cmp_eq_u32_e64 s[16:17], 0, v80
	;; [unrolled: 1-line block ×10, first 2 shown]
	v_cmp_eq_u32_e32 vcc, 0, v1
	v_mbcnt_lo_u32_b32 v86, -1, 0
	v_lshrrev_b32_e32 v70, 6, v0
	v_or_b32_e32 v71, 63, v0
	s_cbranch_scc0 .LBB512_84
; %bb.58:
	v_cndmask_b32_e64 v30, 0, v68, s[24:25]
	v_add_u32_e32 v30, v30, v68
	v_cndmask_b32_e64 v30, 0, v30, s[22:23]
	v_add_u32_e32 v30, v30, v68
	;; [unrolled: 2-line block ×11, first 2 shown]
	v_cndmask_b32_e64 v30, 0, v30, s[28:29]
	v_add3_u32 v31, v87, v80, v79
	v_add_u32_e32 v30, v30, v68
	v_add3_u32 v31, v31, v78, v77
	v_cndmask_b32_e64 v30, 0, v30, s[0:1]
	v_add3_u32 v31, v31, v76, v75
	v_add_u32_e32 v30, v30, v68
	v_add3_u32 v31, v31, v74, v73
	v_cndmask_b32_e32 v30, 0, v30, vcc
	v_add3_u32 v31, v31, v72, v1
	v_add_u32_e32 v30, v30, v69
	v_mbcnt_hi_u32_b32 v39, -1, v86
	v_and_b32_e32 v32, 15, v39
	v_mov_b32_dpp v34, v30 row_shr:1 row_mask:0xf bank_mask:0xf
	v_cmp_eq_u32_e32 vcc, 0, v31
	v_mov_b32_dpp v33, v31 row_shr:1 row_mask:0xf bank_mask:0xf
	v_cmp_lt_u32_e64 s[26:27], 1, v32
	v_cndmask_b32_e32 v34, 0, v34, vcc
	v_cmp_eq_u32_e32 vcc, 0, v32
	s_nop 1
	v_cndmask_b32_e64 v33, v33, 0, vcc
	v_add_u32_e32 v31, v33, v31
	v_cndmask_b32_e64 v33, v34, 0, vcc
	v_add_u32_e32 v30, v33, v30
	v_cmp_eq_u32_e32 vcc, 0, v31
	v_mov_b32_dpp v33, v31 row_shr:2 row_mask:0xf bank_mask:0xf
	v_mov_b32_dpp v34, v30 row_shr:2 row_mask:0xf bank_mask:0xf
	v_cndmask_b32_e64 v33, 0, v33, s[26:27]
	s_and_b64 vcc, s[26:27], vcc
	v_cndmask_b32_e32 v34, 0, v34, vcc
	v_add_u32_e32 v31, v31, v33
	v_add_u32_e32 v30, v34, v30
	v_cmp_eq_u32_e32 vcc, 0, v31
	v_mov_b32_dpp v33, v31 row_shr:4 row_mask:0xf bank_mask:0xf
	v_cmp_lt_u32_e64 s[26:27], 3, v32
	v_mov_b32_dpp v34, v30 row_shr:4 row_mask:0xf bank_mask:0xf
	s_and_b64 vcc, s[26:27], vcc
	v_cndmask_b32_e64 v33, 0, v33, s[26:27]
	v_cndmask_b32_e32 v34, 0, v34, vcc
	v_add_u32_e32 v31, v33, v31
	v_add_u32_e32 v30, v30, v34
	v_cmp_eq_u32_e32 vcc, 0, v31
	v_cmp_lt_u32_e64 s[26:27], 7, v32
	v_mov_b32_dpp v33, v31 row_shr:8 row_mask:0xf bank_mask:0xf
	v_mov_b32_dpp v34, v30 row_shr:8 row_mask:0xf bank_mask:0xf
	s_and_b64 vcc, s[26:27], vcc
	v_cndmask_b32_e64 v32, 0, v33, s[26:27]
	v_cndmask_b32_e32 v33, 0, v34, vcc
	v_add_u32_e32 v30, v33, v30
	v_add_u32_e32 v31, v32, v31
	v_bfe_i32 v34, v39, 4, 1
	v_mov_b32_dpp v33, v30 row_bcast:15 row_mask:0xf bank_mask:0xf
	v_mov_b32_dpp v32, v31 row_bcast:15 row_mask:0xf bank_mask:0xf
	v_cmp_eq_u32_e32 vcc, 0, v31
	v_and_b32_e32 v32, v34, v32
	v_add_u32_e32 v31, v32, v31
	v_cndmask_b32_e32 v33, 0, v33, vcc
	v_and_b32_e32 v32, v34, v33
	v_add_u32_e32 v32, v32, v30
	v_mov_b32_dpp v30, v31 row_bcast:31 row_mask:0xf bank_mask:0xf
	v_cmp_eq_u32_e32 vcc, 0, v31
	v_cmp_lt_u32_e64 s[26:27], 31, v39
	v_mov_b32_dpp v33, v32 row_bcast:31 row_mask:0xf bank_mask:0xf
	s_and_b64 vcc, s[26:27], vcc
	v_cndmask_b32_e64 v30, 0, v30, s[26:27]
	v_add_u32_e32 v30, v30, v31
	v_cndmask_b32_e32 v31, 0, v33, vcc
	v_add_u32_e32 v31, v31, v32
	v_cmp_eq_u32_e32 vcc, v71, v0
	v_lshlrev_b32_e32 v32, 3, v70
	s_and_saveexec_b64 s[26:27], vcc
	s_cbranch_execz .LBB512_60
; %bb.59:
	ds_write_b64 v32, v[30:31] offset:8208
.LBB512_60:
	s_or_b64 exec, exec, s[26:27]
	v_cmp_gt_u32_e32 vcc, 8, v0
	s_waitcnt lgkmcnt(0)
	s_barrier
	s_and_saveexec_b64 s[30:31], vcc
	s_cbranch_execz .LBB512_62
; %bb.61:
	v_lshlrev_b32_e32 v33, 3, v0
	ds_read_b64 v[34:35], v33 offset:8208
	v_and_b32_e32 v36, 7, v39
	v_cmp_lt_u32_e64 s[26:27], 1, v36
	s_waitcnt lgkmcnt(0)
	v_mov_b32_dpp v38, v35 row_shr:1 row_mask:0xf bank_mask:0xf
	v_cmp_eq_u32_e32 vcc, 0, v34
	v_mov_b32_dpp v37, v34 row_shr:1 row_mask:0xf bank_mask:0xf
	s_nop 0
	v_cndmask_b32_e32 v38, 0, v38, vcc
	v_cmp_eq_u32_e32 vcc, 0, v36
	s_nop 1
	v_cndmask_b32_e64 v37, v37, 0, vcc
	v_add_u32_e32 v34, v37, v34
	v_cndmask_b32_e64 v37, v38, 0, vcc
	v_add_u32_e32 v35, v37, v35
	v_cmp_eq_u32_e32 vcc, 0, v34
	v_mov_b32_dpp v37, v34 row_shr:2 row_mask:0xf bank_mask:0xf
	v_mov_b32_dpp v38, v35 row_shr:2 row_mask:0xf bank_mask:0xf
	v_cndmask_b32_e64 v37, 0, v37, s[26:27]
	s_and_b64 vcc, s[26:27], vcc
	v_cndmask_b32_e32 v38, 0, v38, vcc
	v_add_u32_e32 v34, v37, v34
	v_add_u32_e32 v35, v38, v35
	v_cmp_eq_u32_e32 vcc, 0, v34
	v_mov_b32_dpp v37, v34 row_shr:4 row_mask:0xf bank_mask:0xf
	v_cmp_lt_u32_e64 s[26:27], 3, v36
	v_mov_b32_dpp v38, v35 row_shr:4 row_mask:0xf bank_mask:0xf
	s_and_b64 vcc, s[26:27], vcc
	v_cndmask_b32_e64 v36, 0, v37, s[26:27]
	v_add_u32_e32 v34, v36, v34
	v_cndmask_b32_e32 v36, 0, v38, vcc
	v_add_u32_e32 v35, v36, v35
	ds_write_b64 v33, v[34:35] offset:8208
.LBB512_62:
	s_or_b64 exec, exec, s[30:31]
	v_cmp_gt_u32_e32 vcc, 64, v0
	v_cmp_lt_u32_e64 s[26:27], 63, v0
	v_mov_b32_e32 v36, 0
	v_mov_b32_e32 v37, 0
	s_waitcnt lgkmcnt(0)
	s_barrier
	s_and_saveexec_b64 s[30:31], s[26:27]
	s_cbranch_execz .LBB512_64
; %bb.63:
	ds_read_b64 v[36:37], v32 offset:8200
	v_cmp_eq_u32_e64 s[26:27], 0, v30
	s_waitcnt lgkmcnt(0)
	v_add_u32_e32 v32, v36, v30
	v_cndmask_b32_e64 v30, 0, v37, s[26:27]
	v_add_u32_e32 v31, v30, v31
	v_mov_b32_e32 v30, v32
.LBB512_64:
	s_or_b64 exec, exec, s[30:31]
	v_add_u32_e32 v32, -1, v39
	v_and_b32_e32 v33, 64, v39
	v_cmp_lt_i32_e64 s[26:27], v32, v33
	s_nop 1
	v_cndmask_b32_e64 v32, v32, v39, s[26:27]
	v_lshlrev_b32_e32 v32, 2, v32
	ds_bpermute_b32 v44, v32, v30
	ds_bpermute_b32 v45, v32, v31
	v_cmp_eq_u32_e64 s[26:27], 0, v39
	s_and_saveexec_b64 s[44:45], vcc
	s_cbranch_execz .LBB512_83
; %bb.65:
	v_mov_b32_e32 v35, 0
	ds_read_b64 v[30:31], v35 offset:8264
	s_waitcnt lgkmcnt(0)
	v_readfirstlane_b32 s3, v30
	v_readfirstlane_b32 s56, v31
	s_and_saveexec_b64 s[30:31], s[26:27]
	s_cbranch_execz .LBB512_67
; %bb.66:
	s_add_i32 s54, s2, 64
	s_mov_b32 s55, 0
	s_lshl_b64 s[58:59], s[54:55], 4
	s_add_u32 s58, s36, s58
	s_addc_u32 s59, s37, s59
	s_and_b32 s61, s56, 0xff000000
	s_mov_b32 s60, s55
	s_and_b32 s63, s56, 0xff0000
	s_mov_b32 s62, s55
	s_or_b64 s[60:61], s[62:63], s[60:61]
	s_and_b32 s63, s56, 0xff00
	s_or_b64 s[60:61], s[60:61], s[62:63]
	s_and_b32 s63, s56, 0xff
	s_or_b64 s[54:55], s[60:61], s[62:63]
	v_mov_b32_e32 v32, s3
	v_mov_b32_e32 v33, s55
	;; [unrolled: 1-line block ×3, first 2 shown]
	v_mov_b64_e32 v[30:31], s[58:59]
	;;#ASMSTART
	global_store_dwordx4 v[30:31], v[32:35] off sc1	
s_waitcnt vmcnt(0)
	;;#ASMEND
.LBB512_67:
	s_or_b64 exec, exec, s[30:31]
	v_xad_u32 v38, v39, -1, s2
	v_add_u32_e32 v34, 64, v38
	v_lshl_add_u64 v[40:41], v[34:35], 4, s[36:37]
	;;#ASMSTART
	global_load_dwordx4 v[30:33], v[40:41] off sc1	
s_waitcnt vmcnt(0)
	;;#ASMEND
	s_nop 0
	v_and_b32_e32 v33, 0xff, v31
	v_and_b32_e32 v34, 0xff00, v31
	v_or3_b32 v30, v30, 0, 0
	v_and_b32_e32 v42, 0xff000000, v31
	v_or3_b32 v33, 0, v33, v34
	;; [unrolled: 2-line block ×3, first 2 shown]
	v_or3_b32 v30, v30, 0, 0
	v_cmp_eq_u16_sdwa s[54:55], v32, v35 src0_sel:BYTE_0 src1_sel:DWORD
	s_and_saveexec_b64 s[30:31], s[54:55]
	s_cbranch_execz .LBB512_71
; %bb.68:
	s_mov_b64 s[54:55], 0
	v_mov_b32_e32 v34, 0
.LBB512_69:                             ; =>This Inner Loop Header: Depth=1
	;;#ASMSTART
	global_load_dwordx4 v[30:33], v[40:41] off sc1	
s_waitcnt vmcnt(0)
	;;#ASMEND
	s_nop 0
	v_cmp_ne_u16_sdwa s[58:59], v32, v34 src0_sel:BYTE_0 src1_sel:DWORD
	s_or_b64 s[54:55], s[58:59], s[54:55]
	s_andn2_b64 exec, exec, s[54:55]
	s_cbranch_execnz .LBB512_69
; %bb.70:
	s_or_b64 exec, exec, s[54:55]
.LBB512_71:
	s_or_b64 exec, exec, s[30:31]
	v_mov_b32_e32 v48, 2
	v_cmp_eq_u16_sdwa s[30:31], v32, v48 src0_sel:BYTE_0 src1_sel:DWORD
	v_lshlrev_b64 v[40:41], v39, -1
	v_and_b32_e32 v49, 63, v39
	v_and_b32_e32 v33, s31, v41
	v_or_b32_e32 v33, 0x80000000, v33
	v_cmp_ne_u32_e32 vcc, 63, v49
	v_and_b32_e32 v34, s30, v40
	v_ffbl_b32_e32 v33, v33
	v_addc_co_u32_e32 v35, vcc, 0, v39, vcc
	v_add_u32_e32 v33, 32, v33
	v_ffbl_b32_e32 v34, v34
	v_lshlrev_b32_e32 v50, 2, v35
	v_min_u32_e32 v33, v34, v33
	ds_bpermute_b32 v34, v50, v31
	v_cmp_eq_u32_e32 vcc, 0, v30
	v_cmp_lt_u32_e64 s[30:31], v49, v33
	ds_bpermute_b32 v35, v50, v30
	s_and_b64 vcc, s[30:31], vcc
	s_waitcnt lgkmcnt(1)
	v_cndmask_b32_e32 v34, 0, v34, vcc
	v_cmp_gt_u32_e32 vcc, 62, v49
	v_add_u32_e32 v31, v34, v31
	s_waitcnt lgkmcnt(0)
	v_cndmask_b32_e64 v35, 0, v35, s[30:31]
	v_cndmask_b32_e64 v34, 0, 1, vcc
	v_lshlrev_b32_e32 v34, 1, v34
	v_add_lshl_u32 v51, v34, v39, 2
	ds_bpermute_b32 v34, v51, v31
	v_add_u32_e32 v30, v35, v30
	ds_bpermute_b32 v35, v51, v30
	v_add_u32_e32 v52, 2, v49
	v_cmp_eq_u32_e32 vcc, 0, v30
	v_add_u32_e32 v54, 4, v49
	v_add_u32_e32 v56, 8, v49
	s_waitcnt lgkmcnt(1)
	v_cndmask_b32_e32 v34, 0, v34, vcc
	v_cmp_gt_u32_e32 vcc, v52, v33
	v_add_u32_e32 v58, 16, v49
	v_add_u32_e32 v60, 32, v49
	v_cndmask_b32_e64 v34, v34, 0, vcc
	v_add_u32_e32 v31, v34, v31
	s_waitcnt lgkmcnt(0)
	v_cndmask_b32_e64 v34, v35, 0, vcc
	v_cmp_gt_u32_e32 vcc, 60, v49
	v_add_u32_e32 v30, v30, v34
	s_nop 0
	v_cndmask_b32_e64 v35, 0, 1, vcc
	v_lshlrev_b32_e32 v35, 2, v35
	v_add_lshl_u32 v53, v35, v39, 2
	ds_bpermute_b32 v35, v53, v31
	ds_bpermute_b32 v34, v53, v30
	v_cmp_eq_u32_e32 vcc, 0, v30
	s_waitcnt lgkmcnt(1)
	s_nop 0
	v_cndmask_b32_e32 v35, 0, v35, vcc
	v_cmp_gt_u32_e32 vcc, v54, v33
	s_nop 1
	v_cndmask_b32_e64 v35, v35, 0, vcc
	s_waitcnt lgkmcnt(0)
	v_cndmask_b32_e64 v34, v34, 0, vcc
	v_cmp_gt_u32_e32 vcc, 56, v49
	v_add_u32_e32 v31, v31, v35
	v_add_u32_e32 v30, v30, v34
	v_cndmask_b32_e64 v35, 0, 1, vcc
	v_lshlrev_b32_e32 v35, 3, v35
	v_add_lshl_u32 v55, v35, v39, 2
	ds_bpermute_b32 v35, v55, v31
	ds_bpermute_b32 v34, v55, v30
	v_cmp_eq_u32_e32 vcc, 0, v30
	s_waitcnt lgkmcnt(1)
	s_nop 0
	v_cndmask_b32_e32 v35, 0, v35, vcc
	v_cmp_gt_u32_e32 vcc, v56, v33
	s_nop 1
	v_cndmask_b32_e64 v35, v35, 0, vcc
	s_waitcnt lgkmcnt(0)
	v_cndmask_b32_e64 v34, v34, 0, vcc
	v_cmp_gt_u32_e32 vcc, 48, v49
	v_add_u32_e32 v31, v31, v35
	v_add_u32_e32 v30, v30, v34
	;; [unrolled: 17-line block ×3, first 2 shown]
	v_cndmask_b32_e64 v35, 0, 1, vcc
	v_lshlrev_b32_e32 v35, 5, v35
	v_add_lshl_u32 v59, v35, v39, 2
	ds_bpermute_b32 v35, v59, v31
	ds_bpermute_b32 v34, v59, v30
	v_cmp_eq_u32_e32 vcc, 0, v30
	v_mov_b32_e32 v39, 0
	s_waitcnt lgkmcnt(1)
	v_cndmask_b32_e32 v35, 0, v35, vcc
	v_cmp_gt_u32_e32 vcc, v60, v33
	s_nop 1
	v_cndmask_b32_e64 v33, v35, 0, vcc
	v_add_u32_e32 v31, v33, v31
	s_waitcnt lgkmcnt(0)
	v_cndmask_b32_e64 v33, v34, 0, vcc
	v_add_u32_e32 v30, v33, v30
	s_branch .LBB512_73
.LBB512_72:                             ;   in Loop: Header=BB512_73 Depth=1
	s_or_b64 exec, exec, s[30:31]
	v_cmp_eq_u16_sdwa s[30:31], v32, v48 src0_sel:BYTE_0 src1_sel:DWORD
	v_cmp_eq_u32_e32 vcc, 0, v30
	ds_bpermute_b32 v43, v50, v30
	v_and_b32_e32 v33, s31, v41
	v_or_b32_e32 v33, 0x80000000, v33
	v_and_b32_e32 v42, s30, v40
	v_ffbl_b32_e32 v33, v33
	v_add_u32_e32 v33, 32, v33
	v_ffbl_b32_e32 v42, v42
	v_min_u32_e32 v33, v42, v33
	ds_bpermute_b32 v42, v50, v31
	v_cmp_lt_u32_e64 s[30:31], v49, v33
	s_and_b64 vcc, s[30:31], vcc
	v_subrev_u32_e32 v38, 64, v38
	s_waitcnt lgkmcnt(1)
	v_cndmask_b32_e64 v43, 0, v43, s[30:31]
	s_waitcnt lgkmcnt(0)
	v_cndmask_b32_e32 v42, 0, v42, vcc
	v_add_u32_e32 v31, v42, v31
	ds_bpermute_b32 v42, v51, v31
	v_add_u32_e32 v30, v43, v30
	v_cmp_eq_u32_e32 vcc, 0, v30
	ds_bpermute_b32 v43, v51, v30
	s_waitcnt lgkmcnt(1)
	v_cndmask_b32_e32 v42, 0, v42, vcc
	v_cmp_gt_u32_e32 vcc, v52, v33
	s_nop 1
	v_cndmask_b32_e64 v42, v42, 0, vcc
	v_add_u32_e32 v31, v42, v31
	ds_bpermute_b32 v42, v53, v31
	s_waitcnt lgkmcnt(1)
	v_cndmask_b32_e64 v43, v43, 0, vcc
	v_add_u32_e32 v30, v30, v43
	v_cmp_eq_u32_e32 vcc, 0, v30
	ds_bpermute_b32 v43, v53, v30
	s_waitcnt lgkmcnt(1)
	v_cndmask_b32_e32 v42, 0, v42, vcc
	v_cmp_gt_u32_e32 vcc, v54, v33
	s_nop 1
	v_cndmask_b32_e64 v42, v42, 0, vcc
	v_add_u32_e32 v31, v31, v42
	ds_bpermute_b32 v42, v55, v31
	s_waitcnt lgkmcnt(1)
	v_cndmask_b32_e64 v43, v43, 0, vcc
	v_add_u32_e32 v30, v30, v43
	ds_bpermute_b32 v43, v55, v30
	v_cmp_eq_u32_e32 vcc, 0, v30
	s_waitcnt lgkmcnt(1)
	s_nop 0
	v_cndmask_b32_e32 v42, 0, v42, vcc
	v_cmp_gt_u32_e32 vcc, v56, v33
	s_nop 1
	v_cndmask_b32_e64 v42, v42, 0, vcc
	v_add_u32_e32 v31, v31, v42
	ds_bpermute_b32 v42, v57, v31
	s_waitcnt lgkmcnt(1)
	v_cndmask_b32_e64 v43, v43, 0, vcc
	v_add_u32_e32 v30, v30, v43
	ds_bpermute_b32 v43, v57, v30
	v_cmp_eq_u32_e32 vcc, 0, v30
	s_waitcnt lgkmcnt(1)
	s_nop 0
	;; [unrolled: 13-line block ×3, first 2 shown]
	v_cndmask_b32_e32 v42, 0, v42, vcc
	v_cmp_gt_u32_e32 vcc, v60, v33
	s_nop 1
	v_cndmask_b32_e64 v33, v42, 0, vcc
	v_add_u32_e32 v31, v33, v31
	s_waitcnt lgkmcnt(0)
	v_cndmask_b32_e64 v33, v43, 0, vcc
	v_cmp_eq_u32_e32 vcc, 0, v34
	v_add3_u32 v30, v30, v34, v33
	s_nop 0
	v_cndmask_b32_e32 v31, 0, v31, vcc
	v_add_u32_e32 v31, v31, v35
.LBB512_73:                             ; =>This Loop Header: Depth=1
                                        ;     Child Loop BB512_76 Depth 2
	v_cmp_ne_u16_sdwa s[30:31], v32, v48 src0_sel:BYTE_0 src1_sel:DWORD
	v_mov_b32_e32 v35, v31
	v_mov_b32_e32 v34, v30
	v_cndmask_b32_e64 v31, 0, 1, s[30:31]
	;;#ASMSTART
	;;#ASMEND
	s_nop 0
	v_cmp_ne_u32_e32 vcc, 0, v31
	s_cmp_lg_u64 vcc, exec
	s_cbranch_scc1 .LBB512_78
; %bb.74:                               ;   in Loop: Header=BB512_73 Depth=1
	v_lshl_add_u64 v[42:43], v[38:39], 4, s[36:37]
	;;#ASMSTART
	global_load_dwordx4 v[30:33], v[42:43] off sc1	
s_waitcnt vmcnt(0)
	;;#ASMEND
	s_nop 0
	v_and_b32_e32 v33, 0xff, v31
	v_and_b32_e32 v61, 0xff00, v31
	v_or3_b32 v30, v30, 0, 0
	v_and_b32_e32 v62, 0xff000000, v31
	v_or3_b32 v33, 0, v33, v61
	;; [unrolled: 2-line block ×3, first 2 shown]
	v_or3_b32 v30, v30, 0, 0
	v_cmp_eq_u16_sdwa s[54:55], v32, v39 src0_sel:BYTE_0 src1_sel:DWORD
	s_and_saveexec_b64 s[30:31], s[54:55]
	s_cbranch_execz .LBB512_72
; %bb.75:                               ;   in Loop: Header=BB512_73 Depth=1
	s_mov_b64 s[54:55], 0
.LBB512_76:                             ;   Parent Loop BB512_73 Depth=1
                                        ; =>  This Inner Loop Header: Depth=2
	;;#ASMSTART
	global_load_dwordx4 v[30:33], v[42:43] off sc1	
s_waitcnt vmcnt(0)
	;;#ASMEND
	s_nop 0
	v_cmp_ne_u16_sdwa s[58:59], v32, v39 src0_sel:BYTE_0 src1_sel:DWORD
	s_or_b64 s[54:55], s[58:59], s[54:55]
	s_andn2_b64 exec, exec, s[54:55]
	s_cbranch_execnz .LBB512_76
; %bb.77:                               ;   in Loop: Header=BB512_73 Depth=1
	s_or_b64 exec, exec, s[54:55]
	s_branch .LBB512_72
.LBB512_78:                             ;   in Loop: Header=BB512_73 Depth=1
                                        ; implicit-def: $vgpr31
                                        ; implicit-def: $vgpr30
                                        ; implicit-def: $vgpr32
	s_cbranch_execz .LBB512_73
; %bb.79:
	s_and_saveexec_b64 s[30:31], s[26:27]
	s_cbranch_execz .LBB512_81
; %bb.80:
	s_cmp_eq_u32 s3, 0
	s_cselect_b64 vcc, -1, 0
	s_mov_b32 s55, 0
	v_cndmask_b32_e32 v30, 0, v35, vcc
	s_add_i32 s54, s2, 64
	v_add_u32_e32 v30, s56, v30
	s_lshl_b64 s[54:55], s[54:55], 4
	s_add_u32 s54, s36, s54
	v_and_b32_e32 v31, 0xff000000, v30
	v_and_b32_e32 v32, 0xff0000, v30
	s_addc_u32 s55, s37, s55
	v_or_b32_e32 v31, v32, v31
	v_and_b32_e32 v32, 0xff00, v30
	v_and_b32_e32 v30, 0xff, v30
	v_add_u32_e32 v38, s3, v34
	v_mov_b32_e32 v41, 0
	v_or3_b32 v39, v31, v32, v30
	v_mov_b32_e32 v40, 2
	v_mov_b64_e32 v[30:31], s[54:55]
	;;#ASMSTART
	global_store_dwordx4 v[30:31], v[38:41] off sc1	
s_waitcnt vmcnt(0)
	;;#ASMEND
	v_mov_b32_e32 v32, s3
	v_mov_b32_e32 v33, s56
	ds_write_b128 v41, v[32:35] offset:8192
.LBB512_81:
	s_or_b64 exec, exec, s[30:31]
	v_cmp_eq_u32_e32 vcc, 0, v0
	s_and_b64 exec, exec, vcc
	s_cbranch_execz .LBB512_83
; %bb.82:
	v_mov_b32_e32 v30, 0
	ds_write_b64 v30, v[34:35] offset:8264
.LBB512_83:
	s_or_b64 exec, exec, s[44:45]
	v_mov_b32_e32 v32, 0
	s_waitcnt lgkmcnt(0)
	s_barrier
	ds_read_b64 v[30:31], v32 offset:8264
	v_cndmask_b32_e64 v34, v44, v36, s[26:27]
	v_cmp_eq_u32_e32 vcc, 0, v34
	v_cndmask_b32_e64 v33, v45, v37, s[26:27]
	s_waitcnt lgkmcnt(0)
	v_cndmask_b32_e32 v35, 0, v31, vcc
	v_add_u32_e32 v33, v35, v33
	v_cmp_eq_u32_e32 vcc, 0, v0
	s_barrier
	s_nop 0
	v_cndmask_b32_e32 v67, v33, v31, vcc
	v_cndmask_b32_e64 v31, v34, 0, vcc
	v_cmp_eq_u32_e32 vcc, 0, v85
	v_add_u32_e32 v66, v30, v31
	v_add_u32_e32 v64, v66, v85
	v_cndmask_b32_e32 v30, 0, v67, vcc
	v_add_u32_e32 v65, v30, v68
	v_cndmask_b32_e64 v30, 0, v65, s[24:25]
	v_add_u32_e32 v63, v30, v68
	v_cndmask_b32_e64 v30, 0, v63, s[22:23]
	;; [unrolled: 2-line block ×8, first 2 shown]
	v_add_u32_e32 v49, v30, v68
	v_add_u32_e32 v62, v64, v84
	v_cndmask_b32_e64 v30, 0, v49, s[8:9]
	v_add_u32_e32 v60, v62, v83
	v_add_u32_e32 v45, v30, v68
	v_add_u32_e32 v58, v60, v82
	v_cndmask_b32_e64 v30, 0, v45, s[6:7]
	v_add_u32_e32 v56, v58, v81
	;; [unrolled: 4-line block ×3, first 2 shown]
	v_add_u32_e32 v41, v30, v68
	ds_read_b128 v[30:33], v32 offset:8192
	v_add_u32_e32 v50, v52, v78
	v_add_u32_e32 v48, v50, v77
	;; [unrolled: 1-line block ×4, first 2 shown]
	v_cndmask_b32_e64 v34, 0, v41, s[28:29]
	v_add_u32_e32 v40, v42, v74
	v_add_u32_e32 v37, v34, v68
	s_waitcnt lgkmcnt(0)
	v_cmp_eq_u32_e32 vcc, 0, v30
	v_add_u32_e32 v36, v40, v73
	v_cndmask_b32_e64 v34, 0, v37, s[0:1]
	v_cndmask_b32_e32 v33, 0, v33, vcc
	v_add_u32_e32 v38, v36, v72
	v_add_u32_e32 v39, v34, v68
	;; [unrolled: 1-line block ×3, first 2 shown]
	s_branch .LBB512_96
.LBB512_84:
                                        ; implicit-def: $vgpr30
                                        ; implicit-def: $vgpr34
                                        ; implicit-def: $vgpr38_vgpr39
                                        ; implicit-def: $vgpr36_vgpr37
                                        ; implicit-def: $vgpr40_vgpr41
                                        ; implicit-def: $vgpr42_vgpr43
                                        ; implicit-def: $vgpr66_vgpr67
                                        ; implicit-def: $vgpr64_vgpr65
                                        ; implicit-def: $vgpr62_vgpr63
                                        ; implicit-def: $vgpr60_vgpr61
                                        ; implicit-def: $vgpr58_vgpr59
                                        ; implicit-def: $vgpr56_vgpr57
                                        ; implicit-def: $vgpr54_vgpr55
                                        ; implicit-def: $vgpr52_vgpr53
                                        ; implicit-def: $vgpr50_vgpr51
                                        ; implicit-def: $vgpr48_vgpr49
                                        ; implicit-def: $vgpr44_vgpr45
	s_cbranch_execz .LBB512_96
; %bb.85:
	s_and_b64 s[0:1], s[38:39], exec
	s_cselect_b32 s1, 0, s53
	s_cselect_b32 s0, 0, s52
	s_cmp_eq_u64 s[0:1], 0
	v_mov_b32_e32 v34, v68
	s_cbranch_scc1 .LBB512_87
; %bb.86:
	v_mov_b32_e32 v30, 0
	global_load_dword v34, v30, s[0:1]
.LBB512_87:
	v_cmp_eq_u32_e64 s[0:1], 0, v84
	v_cmp_eq_u32_e64 s[2:3], 0, v83
	v_cmp_eq_u32_e64 s[4:5], 0, v82
	v_cndmask_b32_e64 v30, 0, v68, s[0:1]
	v_add_u32_e32 v30, v30, v68
	v_cndmask_b32_e64 v30, 0, v30, s[2:3]
	v_add_u32_e32 v30, v30, v68
	v_cndmask_b32_e64 v30, 0, v30, s[4:5]
	v_add_u32_e32 v30, v30, v68
	v_cmp_eq_u32_e64 s[6:7], 0, v81
	v_cmp_eq_u32_e64 s[8:9], 0, v80
	v_cmp_eq_u32_e64 s[10:11], 0, v79
	v_cndmask_b32_e64 v30, 0, v30, s[6:7]
	v_add_u32_e32 v30, v30, v68
	v_cndmask_b32_e64 v30, 0, v30, s[8:9]
	v_add_u32_e32 v30, v30, v68
	v_cndmask_b32_e64 v30, 0, v30, s[10:11]
	v_add_u32_e32 v30, v30, v68
	;; [unrolled: 9-line block ×3, first 2 shown]
	v_cmp_eq_u32_e64 s[18:19], 0, v75
	v_cmp_eq_u32_e64 s[20:21], 0, v74
	;; [unrolled: 1-line block ×3, first 2 shown]
	v_cndmask_b32_e64 v30, 0, v30, s[18:19]
	v_add_u32_e32 v30, v30, v68
	v_cndmask_b32_e64 v30, 0, v30, s[20:21]
	v_add_u32_e32 v30, v30, v68
	v_cndmask_b32_e64 v30, 0, v30, s[22:23]
	v_add3_u32 v31, v87, v80, v79
	v_add_u32_e32 v30, v30, v68
	v_cmp_eq_u32_e32 vcc, 0, v72
	v_add3_u32 v31, v31, v78, v77
	v_add3_u32 v31, v31, v76, v75
	v_cndmask_b32_e32 v30, 0, v30, vcc
	v_add_u32_e32 v30, v30, v68
	v_cmp_eq_u32_e64 s[24:25], 0, v1
	v_add3_u32 v31, v31, v74, v73
	v_add3_u32 v31, v31, v72, v1
	v_cndmask_b32_e64 v30, 0, v30, s[24:25]
	v_add_u32_e32 v30, v30, v69
	v_mbcnt_hi_u32_b32 v35, -1, v86
	v_and_b32_e32 v32, 15, v35
	v_mov_b32_dpp v36, v30 row_shr:1 row_mask:0xf bank_mask:0xf
	v_cmp_eq_u32_e64 s[24:25], 0, v31
	v_mov_b32_dpp v33, v31 row_shr:1 row_mask:0xf bank_mask:0xf
	v_cmp_lt_u32_e64 s[26:27], 1, v32
	v_cndmask_b32_e64 v36, 0, v36, s[24:25]
	v_cmp_eq_u32_e64 s[24:25], 0, v32
	s_nop 1
	v_cndmask_b32_e64 v33, v33, 0, s[24:25]
	v_add_u32_e32 v31, v33, v31
	v_cndmask_b32_e64 v33, v36, 0, s[24:25]
	v_add_u32_e32 v30, v33, v30
	v_cmp_eq_u32_e64 s[24:25], 0, v31
	v_mov_b32_dpp v33, v31 row_shr:2 row_mask:0xf bank_mask:0xf
	v_mov_b32_dpp v36, v30 row_shr:2 row_mask:0xf bank_mask:0xf
	v_cndmask_b32_e64 v33, 0, v33, s[26:27]
	s_and_b64 s[24:25], s[26:27], s[24:25]
	v_cndmask_b32_e64 v36, 0, v36, s[24:25]
	v_add_u32_e32 v31, v31, v33
	v_add_u32_e32 v30, v36, v30
	v_cmp_eq_u32_e64 s[24:25], 0, v31
	v_mov_b32_dpp v33, v31 row_shr:4 row_mask:0xf bank_mask:0xf
	v_cmp_lt_u32_e64 s[26:27], 3, v32
	v_mov_b32_dpp v36, v30 row_shr:4 row_mask:0xf bank_mask:0xf
	s_and_b64 s[24:25], s[26:27], s[24:25]
	v_cndmask_b32_e64 v33, 0, v33, s[26:27]
	v_cndmask_b32_e64 v36, 0, v36, s[24:25]
	v_add_u32_e32 v31, v33, v31
	v_add_u32_e32 v30, v30, v36
	v_cmp_eq_u32_e64 s[24:25], 0, v31
	v_cmp_lt_u32_e64 s[26:27], 7, v32
	v_mov_b32_dpp v33, v31 row_shr:8 row_mask:0xf bank_mask:0xf
	v_mov_b32_dpp v36, v30 row_shr:8 row_mask:0xf bank_mask:0xf
	s_and_b64 s[24:25], s[26:27], s[24:25]
	v_cndmask_b32_e64 v32, 0, v33, s[26:27]
	v_cndmask_b32_e64 v33, 0, v36, s[24:25]
	v_add_u32_e32 v30, v33, v30
	v_add_u32_e32 v31, v32, v31
	v_bfe_i32 v36, v35, 4, 1
	v_mov_b32_dpp v33, v30 row_bcast:15 row_mask:0xf bank_mask:0xf
	v_mov_b32_dpp v32, v31 row_bcast:15 row_mask:0xf bank_mask:0xf
	v_cmp_eq_u32_e64 s[24:25], 0, v31
	v_and_b32_e32 v32, v36, v32
	v_add_u32_e32 v31, v32, v31
	v_cndmask_b32_e64 v33, 0, v33, s[24:25]
	v_and_b32_e32 v32, v36, v33
	v_add_u32_e32 v32, v32, v30
	v_mov_b32_dpp v30, v31 row_bcast:31 row_mask:0xf bank_mask:0xf
	v_cmp_eq_u32_e64 s[24:25], 0, v31
	v_cmp_lt_u32_e64 s[26:27], 31, v35
	v_mov_b32_dpp v33, v32 row_bcast:31 row_mask:0xf bank_mask:0xf
	s_and_b64 s[24:25], s[26:27], s[24:25]
	v_cndmask_b32_e64 v30, 0, v30, s[26:27]
	v_add_u32_e32 v30, v30, v31
	v_cndmask_b32_e64 v31, 0, v33, s[24:25]
	v_add_u32_e32 v31, v31, v32
	v_cmp_eq_u32_e64 s[24:25], v71, v0
	v_lshlrev_b32_e32 v33, 3, v70
	s_and_saveexec_b64 s[26:27], s[24:25]
	s_cbranch_execz .LBB512_89
; %bb.88:
	ds_write_b64 v33, v[30:31] offset:8208
.LBB512_89:
	s_or_b64 exec, exec, s[26:27]
	v_cmp_gt_u32_e64 s[24:25], 8, v0
	s_waitcnt lgkmcnt(0)
	s_barrier
	s_and_saveexec_b64 s[28:29], s[24:25]
	s_cbranch_execz .LBB512_91
; %bb.90:
	v_lshlrev_b32_e32 v32, 3, v0
	ds_read_b64 v[36:37], v32 offset:8208
	v_and_b32_e32 v38, 7, v35
	v_cmp_lt_u32_e64 s[26:27], 1, v38
	s_waitcnt lgkmcnt(0)
	v_mov_b32_dpp v40, v37 row_shr:1 row_mask:0xf bank_mask:0xf
	v_cmp_eq_u32_e64 s[24:25], 0, v36
	v_mov_b32_dpp v39, v36 row_shr:1 row_mask:0xf bank_mask:0xf
	s_nop 0
	v_cndmask_b32_e64 v40, 0, v40, s[24:25]
	v_cmp_eq_u32_e64 s[24:25], 0, v38
	s_nop 1
	v_cndmask_b32_e64 v39, v39, 0, s[24:25]
	v_add_u32_e32 v36, v39, v36
	v_cndmask_b32_e64 v39, v40, 0, s[24:25]
	v_add_u32_e32 v37, v39, v37
	v_cmp_eq_u32_e64 s[24:25], 0, v36
	v_mov_b32_dpp v39, v36 row_shr:2 row_mask:0xf bank_mask:0xf
	v_mov_b32_dpp v40, v37 row_shr:2 row_mask:0xf bank_mask:0xf
	v_cndmask_b32_e64 v39, 0, v39, s[26:27]
	s_and_b64 s[24:25], s[26:27], s[24:25]
	v_cndmask_b32_e64 v40, 0, v40, s[24:25]
	v_add_u32_e32 v36, v39, v36
	v_add_u32_e32 v37, v40, v37
	v_cmp_eq_u32_e64 s[24:25], 0, v36
	v_mov_b32_dpp v39, v36 row_shr:4 row_mask:0xf bank_mask:0xf
	v_cmp_lt_u32_e64 s[26:27], 3, v38
	v_mov_b32_dpp v40, v37 row_shr:4 row_mask:0xf bank_mask:0xf
	s_and_b64 s[24:25], s[26:27], s[24:25]
	v_cndmask_b32_e64 v38, 0, v39, s[26:27]
	v_add_u32_e32 v36, v38, v36
	v_cndmask_b32_e64 v38, 0, v40, s[24:25]
	v_add_u32_e32 v37, v38, v37
	ds_write_b64 v32, v[36:37] offset:8208
.LBB512_91:
	s_or_b64 exec, exec, s[28:29]
	v_cmp_lt_u32_e64 s[24:25], 63, v0
	v_mov_b32_e32 v37, 0
	v_mov_b32_e32 v32, 0
	s_waitcnt vmcnt(0)
	v_mov_b32_e32 v36, v34
	s_waitcnt lgkmcnt(0)
	s_barrier
	s_and_saveexec_b64 s[26:27], s[24:25]
	s_cbranch_execz .LBB512_93
; %bb.92:
	ds_read_b64 v[32:33], v33 offset:8200
	s_waitcnt lgkmcnt(0)
	v_cmp_eq_u32_e64 s[24:25], 0, v32
	s_nop 1
	v_cndmask_b32_e64 v36, 0, v34, s[24:25]
	v_add_u32_e32 v36, v36, v33
.LBB512_93:
	s_or_b64 exec, exec, s[26:27]
	v_cmp_eq_u32_e64 s[24:25], 0, v30
	v_add_u32_e32 v33, v32, v30
	v_and_b32_e32 v38, 64, v35
	v_cndmask_b32_e64 v30, 0, v36, s[24:25]
	v_add_u32_e32 v30, v30, v31
	v_add_u32_e32 v31, -1, v35
	v_cmp_lt_i32_e64 s[24:25], v31, v38
	v_cmp_eq_u32_e64 s[26:27], 0, v85
	s_nop 0
	v_cndmask_b32_e64 v31, v31, v35, s[24:25]
	v_lshlrev_b32_e32 v31, 2, v31
	ds_bpermute_b32 v33, v31, v33
	ds_bpermute_b32 v30, v31, v30
	v_cmp_eq_u32_e64 s[24:25], 0, v35
	s_waitcnt lgkmcnt(1)
	s_nop 0
	v_cndmask_b32_e64 v31, v33, v32, s[24:25]
	s_waitcnt lgkmcnt(0)
	v_cndmask_b32_e64 v30, v30, v36, s[24:25]
	v_cmp_eq_u32_e64 s[24:25], 0, v0
	s_nop 1
	v_cndmask_b32_e64 v67, v30, v34, s[24:25]
	v_cndmask_b32_e64 v30, 0, v67, s[26:27]
	v_add_u32_e32 v65, v30, v68
	v_cndmask_b32_e64 v30, 0, v65, s[0:1]
	v_add_u32_e32 v63, v30, v68
	v_cndmask_b32_e64 v30, 0, v63, s[2:3]
	v_add_u32_e32 v61, v30, v68
	v_cndmask_b32_e64 v30, 0, v61, s[4:5]
	v_add_u32_e32 v59, v30, v68
	v_cndmask_b32_e64 v30, 0, v59, s[6:7]
	v_add_u32_e32 v57, v30, v68
	v_cndmask_b32_e64 v30, 0, v57, s[8:9]
	v_add_u32_e32 v55, v30, v68
	v_cndmask_b32_e64 v30, 0, v55, s[10:11]
	v_add_u32_e32 v53, v30, v68
	v_cndmask_b32_e64 v30, 0, v53, s[12:13]
	v_add_u32_e32 v51, v30, v68
	v_cndmask_b32_e64 v66, v31, 0, s[24:25]
	v_cndmask_b32_e64 v30, 0, v51, s[14:15]
	v_add_u32_e32 v64, v66, v85
	v_add_u32_e32 v49, v30, v68
	v_add_u32_e32 v62, v64, v84
	v_cndmask_b32_e64 v30, 0, v49, s[16:17]
	v_add_u32_e32 v60, v62, v83
	v_add_u32_e32 v45, v30, v68
	v_add_u32_e32 v58, v60, v82
	;; [unrolled: 4-line block ×3, first 2 shown]
	v_cndmask_b32_e64 v30, 0, v43, s[20:21]
	v_add_u32_e32 v52, v54, v79
	v_add_u32_e32 v41, v30, v68
	ds_read_b64 v[30:31], v37 offset:8264
	v_add_u32_e32 v50, v52, v78
	v_add_u32_e32 v48, v50, v77
	;; [unrolled: 1-line block ×3, first 2 shown]
	v_cndmask_b32_e64 v32, 0, v41, s[22:23]
	v_add_u32_e32 v42, v44, v75
	v_add_u32_e32 v37, v32, v68
	;; [unrolled: 1-line block ×3, first 2 shown]
	v_cndmask_b32_e32 v32, 0, v37, vcc
	s_waitcnt lgkmcnt(0)
	v_cmp_eq_u32_e32 vcc, 0, v30
	v_add_u32_e32 v36, v40, v73
	v_add_u32_e32 v39, v32, v68
	v_cndmask_b32_e32 v32, 0, v34, vcc
	v_add_u32_e32 v38, v36, v72
	v_add_u32_e32 v34, v32, v31
	s_and_saveexec_b64 s[0:1], s[24:25]
	s_cbranch_execz .LBB512_95
; %bb.94:
	s_add_u32 s2, s36, 0x400
	v_and_b32_e32 v31, 0xff000000, v34
	v_and_b32_e32 v32, 0xff0000, v34
	s_addc_u32 s3, s37, 0
	v_or_b32_e32 v31, v32, v31
	v_and_b32_e32 v32, 0xff00, v34
	v_and_b32_e32 v35, 0xff, v34
	v_mov_b32_e32 v33, 0
	v_or3_b32 v31, v31, v32, v35
	v_mov_b32_e32 v32, 2
	v_mov_b64_e32 v[68:69], s[2:3]
	;;#ASMSTART
	global_store_dwordx4 v[68:69], v[30:33] off sc1	
s_waitcnt vmcnt(0)
	;;#ASMEND
.LBB512_95:
	s_or_b64 exec, exec, s[0:1]
	v_mov_b32_e32 v32, 0
.LBB512_96:
	s_and_b64 s[0:1], s[38:39], exec
	s_cselect_b32 s1, 0, s47
	s_cselect_b32 s0, 0, s46
	s_cmp_eq_u64 s[0:1], 0
	v_mov_b64_e32 v[68:69], 0
	s_waitcnt lgkmcnt(0)
	s_barrier
	s_cbranch_scc1 .LBB512_98
; %bb.97:
	v_mov_b32_e32 v31, 0
	global_load_dwordx2 v[68:69], v31, s[0:1]
.LBB512_98:
	v_cmp_eq_u32_e32 vcc, 0, v85
	s_movk_i32 s30, 0x200
	v_mov_b32_e32 v33, 0
	v_cndmask_b32_e64 v31, 1, 2, vcc
	v_cmp_eq_u32_e32 vcc, 0, v84
	v_cmp_ne_u32_e64 s[28:29], 0, v85
	v_cmp_ne_u32_e64 s[26:27], 0, v84
	v_cndmask_b32_e64 v35, 1, 2, vcc
	v_cmp_eq_u32_e32 vcc, 0, v83
	v_and_b32_e32 v31, v35, v31
	v_cmp_ne_u32_e64 s[24:25], 0, v83
	v_cndmask_b32_e64 v35, 1, 2, vcc
	v_cmp_eq_u32_e32 vcc, 0, v82
	v_and_b32_e32 v31, v31, v35
	;; [unrolled: 4-line block ×13, first 2 shown]
	v_cmp_ne_u32_e64 s[0:1], 0, v1
	v_cndmask_b32_e64 v35, 1, 2, vcc
	v_and_b32_e32 v31, v31, v35
	v_cmp_gt_u32_e32 vcc, s30, v30
	s_mov_b64 s[36:37], -1
	v_cmp_gt_i16_e64 s[30:31], 2, v31
	s_cbranch_vccz .LBB512_105
; %bb.99:
	s_and_saveexec_b64 s[36:37], s[30:31]
	s_cbranch_execz .LBB512_104
; %bb.100:
	s_waitcnt vmcnt(0)
	v_lshlrev_b64 v[70:71], 3, v[68:69]
	v_lshl_add_u64 v[70:71], s[40:41], 0, v[70:71]
	v_lshlrev_b64 v[86:87], 3, v[32:33]
	v_lshl_add_u64 v[70:71], v[70:71], 0, v[86:87]
	v_cmp_ne_u16_e32 vcc, 1, v31
	s_mov_b64 s[38:39], 0
	s_and_saveexec_b64 s[30:31], vcc
	s_xor_b64 s[30:31], exec, s[30:31]
	s_cbranch_execnz .LBB512_137
; %bb.101:
	s_andn2_saveexec_b64 s[30:31], s[30:31]
	s_cbranch_execnz .LBB512_153
.LBB512_102:
	s_or_b64 exec, exec, s[30:31]
	s_and_b64 exec, exec, s[38:39]
	s_cbranch_execz .LBB512_104
.LBB512_103:
	v_sub_u32_e32 v86, v38, v32
	v_mov_b32_e32 v87, 0
	v_lshl_add_u64 v[70:71], v[86:87], 3, v[70:71]
	global_store_dwordx2 v[70:71], v[46:47], off
.LBB512_104:
	s_or_b64 exec, exec, s[36:37]
	s_mov_b64 s[36:37], 0
.LBB512_105:
	s_and_b64 vcc, exec, s[36:37]
	s_cbranch_vccz .LBB512_115
; %bb.106:
	v_cmp_gt_i16_e32 vcc, 2, v31
	s_and_saveexec_b64 s[30:31], vcc
	s_cbranch_execz .LBB512_111
; %bb.107:
	v_cmp_ne_u16_e32 vcc, 1, v31
	s_mov_b64 s[38:39], 0
	s_and_saveexec_b64 s[36:37], vcc
	s_xor_b64 s[36:37], exec, s[36:37]
	s_cbranch_execnz .LBB512_154
; %bb.108:
	s_andn2_saveexec_b64 s[0:1], s[36:37]
	s_cbranch_execnz .LBB512_170
.LBB512_109:
	s_or_b64 exec, exec, s[0:1]
	s_and_b64 exec, exec, s[38:39]
	s_cbranch_execz .LBB512_111
.LBB512_110:
	v_sub_u32_e32 v2, v38, v32
	v_lshlrev_b32_e32 v2, 3, v2
	ds_write_b64 v2, v[46:47]
.LBB512_111:
	s_or_b64 exec, exec, s[30:31]
	v_cmp_lt_u32_e32 vcc, v0, v30
	s_waitcnt lgkmcnt(0)
	s_barrier
	s_and_saveexec_b64 s[0:1], vcc
	s_cbranch_execz .LBB512_114
; %bb.112:
	s_waitcnt vmcnt(0)
	v_lshlrev_b64 v[4:5], 3, v[68:69]
	v_lshlrev_b64 v[6:7], 3, v[32:33]
	v_lshl_add_u64 v[4:5], v[4:5], 0, v[6:7]
	v_lshlrev_b32_e32 v2, 3, v0
	v_mov_b32_e32 v3, 0
	v_lshl_add_u64 v[4:5], s[40:41], 0, v[4:5]
	v_lshl_add_u64 v[4:5], v[4:5], 0, v[2:3]
	s_mov_b64 s[2:3], 0
	s_mov_b64 s[4:5], 0x1000
	v_mov_b32_e32 v3, v0
.LBB512_113:                            ; =>This Inner Loop Header: Depth=1
	ds_read_b64 v[6:7], v2
	v_add_u32_e32 v3, 0x200, v3
	v_cmp_ge_u32_e32 vcc, v3, v30
	v_add_u32_e32 v2, 0x1000, v2
	s_or_b64 s[2:3], vcc, s[2:3]
	s_waitcnt lgkmcnt(0)
	global_store_dwordx2 v[4:5], v[6:7], off
	v_lshl_add_u64 v[4:5], v[4:5], 0, s[4:5]
	s_andn2_b64 exec, exec, s[2:3]
	s_cbranch_execnz .LBB512_113
.LBB512_114:
	s_or_b64 exec, exec, s[0:1]
.LBB512_115:
	s_cmpk_lg_i32 s33, 0x1e00
	s_cselect_b64 s[0:1], -1, 0
	v_cndmask_b32_e64 v10, 0, 1, s[50:51]
	s_and_b64 s[0:1], s[48:49], s[0:1]
	v_cmp_eq_u32_e32 vcc, 0, v0
	v_sub_u32_e32 v2, v30, v10
	v_cndmask_b32_e64 v3, 0, 1, s[0:1]
	s_and_b64 s[0:1], vcc, s[50:51]
	v_add_u32_e32 v12, v2, v3
	v_cndmask_b32_e64 v2, v85, 0, s[0:1]
	s_mul_hi_u32 s0, s33, 0x88888889
	s_lshr_b32 s0, s0, 3
	v_mad_i32_i24 v3, v0, -15, s33
	v_cmp_eq_u32_e32 vcc, s0, v0
	v_cmp_ne_u32_e64 s[0:1], 0, v3
	s_and_b64 vcc, s[48:49], vcc
	s_mov_b32 s2, 0
	v_cndmask_b32_e64 v4, 1, v2, s[0:1]
	v_cmp_ne_u32_e64 s[0:1], 1, v3
	v_cndmask_b32_e32 v27, v2, v4, vcc
	s_movk_i32 s30, 0x200
	v_cndmask_b32_e64 v5, 1, v84, s[0:1]
	v_cmp_ne_u32_e64 s[0:1], 2, v3
	v_cndmask_b32_e32 v26, v84, v5, vcc
	s_waitcnt vmcnt(0)
	v_lshlrev_b64 v[4:5], 3, v[68:69]
	v_cndmask_b32_e64 v6, 1, v83, s[0:1]
	v_cmp_ne_u32_e64 s[0:1], 3, v3
	v_cndmask_b32_e32 v25, v83, v6, vcc
	s_mov_b64 s[36:37], -1
	v_cndmask_b32_e64 v7, 1, v82, s[0:1]
	v_cmp_ne_u32_e64 s[0:1], 4, v3
	v_cndmask_b32_e32 v24, v82, v7, vcc
	v_lshlrev_b64 v[6:7], 3, v[32:33]
	v_cndmask_b32_e64 v8, 1, v81, s[0:1]
	v_cmp_ne_u32_e64 s[0:1], 5, v3
	v_cndmask_b32_e32 v23, v81, v8, vcc
	v_cmp_ne_u32_e64 s[28:29], 0, v27
	v_cndmask_b32_e64 v9, 1, v80, s[0:1]
	v_cmp_ne_u32_e64 s[0:1], 6, v3
	v_cndmask_b32_e32 v22, v80, v9, vcc
	v_cmp_ne_u32_e64 s[26:27], 0, v26
	v_cndmask_b32_e64 v11, 1, v79, s[0:1]
	v_cmp_ne_u32_e64 s[0:1], 7, v3
	v_cndmask_b32_e32 v21, v79, v11, vcc
	v_mov_b32_e32 v11, s2
	v_cndmask_b32_e64 v13, 1, v78, s[0:1]
	v_cmp_ne_u32_e64 s[0:1], 8, v3
	v_cndmask_b32_e32 v13, v78, v13, vcc
	v_lshl_add_u64 v[8:9], v[10:11], 0, -1
	v_cndmask_b32_e64 v14, 1, v77, s[0:1]
	v_cmp_ne_u32_e64 s[0:1], 9, v3
	v_cndmask_b32_e32 v14, v77, v14, vcc
	v_cmp_ne_u32_e64 s[14:15], 0, v13
	v_cndmask_b32_e64 v15, 1, v76, s[0:1]
	v_cmp_ne_u32_e64 s[0:1], 10, v3
	v_cndmask_b32_e32 v15, v76, v15, vcc
	v_cmp_ne_u32_e64 s[24:25], 0, v25
	;; [unrolled: 4-line block ×6, first 2 shown]
	v_cndmask_b32_e64 v3, 1, v1, s[0:1]
	v_cndmask_b32_e32 v20, v1, v3, vcc
	v_cmp_eq_u32_e32 vcc, 0, v27
	v_add_u32_e32 v1, v32, v10
	v_lshl_add_u64 v[2:3], s[42:43], 0, v[4:5]
	v_cndmask_b32_e64 v10, 1, 2, vcc
	v_cmp_eq_u32_e32 vcc, 0, v26
	v_lshl_add_u64 v[2:3], v[2:3], 0, v[6:7]
	v_cmp_ne_u32_e64 s[12:13], 0, v14
	v_cndmask_b32_e64 v11, 1, 2, vcc
	v_cmp_eq_u32_e32 vcc, 0, v25
	v_and_b32_e32 v10, v11, v10
	v_cmp_ne_u32_e64 s[10:11], 0, v15
	v_cndmask_b32_e64 v11, 1, 2, vcc
	v_cmp_eq_u32_e32 vcc, 0, v24
	v_and_b32_e32 v10, v10, v11
	;; [unrolled: 4-line block ×7, first 2 shown]
	s_nop 0
	v_cndmask_b32_e64 v11, 1, 2, vcc
	v_cmp_eq_u32_e32 vcc, 0, v15
	v_and_b32_e32 v10, v10, v11
	s_barrier
	v_cndmask_b32_e64 v11, 1, 2, vcc
	v_cmp_eq_u32_e32 vcc, 0, v16
	v_and_b32_e32 v10, v10, v11
	s_nop 0
	v_cndmask_b32_e64 v11, 1, 2, vcc
	v_cmp_eq_u32_e32 vcc, 0, v17
	v_and_b32_e32 v10, v10, v11
	s_nop 0
	;; [unrolled: 4-line block ×5, first 2 shown]
	v_cndmask_b32_e64 v11, 1, 2, vcc
	v_and_b32_e32 v13, v10, v11
	v_cmp_gt_u32_e32 vcc, s30, v12
	v_cmp_gt_i16_e64 s[30:31], 2, v13
	s_cbranch_vccz .LBB512_122
; %bb.116:
	s_and_saveexec_b64 s[36:37], s[30:31]
	s_cbranch_execz .LBB512_121
; %bb.117:
	v_lshlrev_b64 v[10:11], 3, v[8:9]
	v_lshl_add_u64 v[10:11], v[2:3], 0, v[10:11]
	v_cmp_ne_u16_e32 vcc, 1, v13
	s_mov_b64 s[38:39], 0
	s_and_saveexec_b64 s[30:31], vcc
	s_xor_b64 s[30:31], exec, s[30:31]
	s_cbranch_execnz .LBB512_171
; %bb.118:
	s_andn2_saveexec_b64 s[30:31], s[30:31]
	s_cbranch_execnz .LBB512_187
.LBB512_119:
	s_or_b64 exec, exec, s[30:31]
	s_and_b64 exec, exec, s[38:39]
	s_cbranch_execz .LBB512_121
.LBB512_120:
	v_mov_b32_e32 v15, 0
	v_sub_u32_e32 v16, v38, v1
	v_mov_b32_e32 v17, v15
	v_mov_b32_e32 v14, v39
	v_lshl_add_u64 v[10:11], v[16:17], 3, v[10:11]
	global_store_dwordx2 v[10:11], v[14:15], off
.LBB512_121:
	s_or_b64 exec, exec, s[36:37]
	s_mov_b64 s[36:37], 0
.LBB512_122:
	s_and_b64 vcc, exec, s[36:37]
	s_cbranch_vccz .LBB512_132
; %bb.123:
	v_cmp_gt_i16_e32 vcc, 2, v13
	s_and_saveexec_b64 s[30:31], vcc
	s_cbranch_execz .LBB512_128
; %bb.124:
	v_cmp_ne_u16_e32 vcc, 1, v13
	s_mov_b64 s[38:39], 0
	s_and_saveexec_b64 s[36:37], vcc
	s_xor_b64 s[36:37], exec, s[36:37]
	s_cbranch_execnz .LBB512_188
; %bb.125:
	s_andn2_saveexec_b64 s[0:1], s[36:37]
	s_cbranch_execnz .LBB512_204
.LBB512_126:
	s_or_b64 exec, exec, s[0:1]
	s_and_b64 exec, exec, s[38:39]
	s_cbranch_execz .LBB512_128
.LBB512_127:
	v_sub_u32_e32 v1, v38, v1
	v_lshlrev_b32_e32 v1, 2, v1
	ds_write_b32 v1, v39
.LBB512_128:
	s_or_b64 exec, exec, s[30:31]
	v_cmp_lt_u32_e32 vcc, v0, v12
	s_waitcnt lgkmcnt(0)
	s_barrier
	s_and_saveexec_b64 s[0:1], vcc
	s_cbranch_execz .LBB512_131
; %bb.129:
	v_lshlrev_b64 v[8:9], 3, v[8:9]
	v_lshl_add_u64 v[4:5], v[4:5], 0, v[8:9]
	v_lshl_add_u64 v[6:7], v[4:5], 0, v[6:7]
	v_lshlrev_b32_e32 v4, 3, v0
	v_mov_b32_e32 v5, 0
	v_lshl_add_u64 v[6:7], s[42:43], 0, v[6:7]
	v_lshlrev_b32_e32 v1, 2, v0
	v_lshl_add_u64 v[6:7], v[6:7], 0, v[4:5]
	s_mov_b64 s[2:3], 0
	s_mov_b64 s[4:5], 0x1000
	v_mov_b32_e32 v8, v0
.LBB512_130:                            ; =>This Inner Loop Header: Depth=1
	ds_read_b32 v4, v1
	v_add_u32_e32 v8, 0x200, v8
	v_cmp_ge_u32_e32 vcc, v8, v12
	v_add_u32_e32 v1, 0x800, v1
	s_or_b64 s[2:3], vcc, s[2:3]
	s_waitcnt lgkmcnt(0)
	global_store_dwordx2 v[6:7], v[4:5], off
	v_lshl_add_u64 v[6:7], v[6:7], 0, s[4:5]
	s_andn2_b64 exec, exec, s[2:3]
	s_cbranch_execnz .LBB512_130
.LBB512_131:
	s_or_b64 exec, exec, s[0:1]
.LBB512_132:
	s_movk_i32 s0, 0x1ff
	v_cmp_eq_u32_e32 vcc, s0, v0
	s_and_b64 s[0:1], vcc, s[48:49]
	s_and_saveexec_b64 s[2:3], s[0:1]
	s_cbranch_execz .LBB512_135
; %bb.133:
	v_mov_b32_e32 v31, 0
	v_lshl_add_u64 v[0:1], v[30:31], 0, v[32:33]
	v_lshl_add_u64 v[0:1], v[0:1], 0, v[68:69]
	s_cmpk_lg_i32 s33, 0x1e00
	global_store_dwordx2 v31, v[0:1], s[34:35]
	s_cbranch_scc1 .LBB512_135
; %bb.134:
	v_lshlrev_b64 v[0:1], 3, v[30:31]
	v_mov_b32_e32 v35, v31
	v_lshl_add_u64 v[0:1], v[2:3], 0, v[0:1]
	global_store_dwordx2 v[0:1], v[34:35], off offset:-8
.LBB512_135:
	s_endpgm
.LBB512_136:
	s_or_b64 exec, exec, s[6:7]
	v_mov_b32_e32 v85, s3
	s_and_saveexec_b64 s[6:7], s[42:43]
	s_cbranch_execnz .LBB512_56
	s_branch .LBB512_57
.LBB512_137:
	s_and_saveexec_b64 s[38:39], s[28:29]
	s_cbranch_execnz .LBB512_205
; %bb.138:
	s_or_b64 exec, exec, s[38:39]
	s_and_saveexec_b64 s[38:39], s[26:27]
	s_cbranch_execnz .LBB512_206
.LBB512_139:
	s_or_b64 exec, exec, s[38:39]
	s_and_saveexec_b64 s[38:39], s[24:25]
	s_cbranch_execnz .LBB512_207
.LBB512_140:
	s_or_b64 exec, exec, s[38:39]
	s_and_saveexec_b64 s[38:39], s[22:23]
	s_cbranch_execnz .LBB512_208
.LBB512_141:
	s_or_b64 exec, exec, s[38:39]
	s_and_saveexec_b64 s[38:39], s[20:21]
	s_cbranch_execnz .LBB512_209
.LBB512_142:
	s_or_b64 exec, exec, s[38:39]
	s_and_saveexec_b64 s[38:39], s[18:19]
	s_cbranch_execnz .LBB512_210
.LBB512_143:
	s_or_b64 exec, exec, s[38:39]
	s_and_saveexec_b64 s[38:39], s[16:17]
	s_cbranch_execnz .LBB512_211
.LBB512_144:
	s_or_b64 exec, exec, s[38:39]
	s_and_saveexec_b64 s[38:39], s[14:15]
	s_cbranch_execnz .LBB512_212
.LBB512_145:
	s_or_b64 exec, exec, s[38:39]
	s_and_saveexec_b64 s[38:39], s[12:13]
	s_cbranch_execnz .LBB512_213
.LBB512_146:
	s_or_b64 exec, exec, s[38:39]
	s_and_saveexec_b64 s[38:39], s[10:11]
	s_cbranch_execnz .LBB512_214
.LBB512_147:
	s_or_b64 exec, exec, s[38:39]
	s_and_saveexec_b64 s[38:39], s[8:9]
	s_cbranch_execnz .LBB512_215
.LBB512_148:
	s_or_b64 exec, exec, s[38:39]
	s_and_saveexec_b64 s[38:39], s[6:7]
	s_cbranch_execnz .LBB512_216
.LBB512_149:
	s_or_b64 exec, exec, s[38:39]
	s_and_saveexec_b64 s[38:39], s[4:5]
	s_cbranch_execnz .LBB512_217
.LBB512_150:
	s_or_b64 exec, exec, s[38:39]
	s_and_saveexec_b64 s[38:39], s[2:3]
	s_cbranch_execz .LBB512_152
.LBB512_151:
	v_sub_u32_e32 v86, v36, v32
	v_mov_b32_e32 v87, 0
	v_lshl_add_u64 v[86:87], v[86:87], 3, v[70:71]
	global_store_dwordx2 v[86:87], v[8:9], off
.LBB512_152:
	s_or_b64 exec, exec, s[38:39]
	s_and_b64 s[38:39], s[0:1], exec
	s_andn2_saveexec_b64 s[30:31], s[30:31]
	s_cbranch_execz .LBB512_102
.LBB512_153:
	v_sub_u32_e32 v86, v66, v32
	v_mov_b32_e32 v87, 0
	v_lshl_add_u64 v[88:89], v[86:87], 3, v[70:71]
	v_sub_u32_e32 v86, v64, v32
	global_store_dwordx2 v[88:89], v[26:27], off
	v_lshl_add_u64 v[88:89], v[86:87], 3, v[70:71]
	v_sub_u32_e32 v86, v62, v32
	global_store_dwordx2 v[88:89], v[28:29], off
	;; [unrolled: 3-line block ×12, first 2 shown]
	v_lshl_add_u64 v[88:89], v[86:87], 3, v[70:71]
	v_sub_u32_e32 v86, v36, v32
	v_lshl_add_u64 v[86:87], v[86:87], 3, v[70:71]
	s_or_b64 s[38:39], s[38:39], exec
	global_store_dwordx2 v[88:89], v[6:7], off
	global_store_dwordx2 v[86:87], v[8:9], off
	s_or_b64 exec, exec, s[30:31]
	s_and_b64 exec, exec, s[38:39]
	s_cbranch_execnz .LBB512_103
	s_branch .LBB512_104
.LBB512_154:
	s_and_saveexec_b64 s[38:39], s[28:29]
	s_cbranch_execnz .LBB512_218
; %bb.155:
	s_or_b64 exec, exec, s[38:39]
	s_and_saveexec_b64 s[28:29], s[26:27]
	s_cbranch_execnz .LBB512_219
.LBB512_156:
	s_or_b64 exec, exec, s[28:29]
	s_and_saveexec_b64 s[26:27], s[24:25]
	s_cbranch_execnz .LBB512_220
.LBB512_157:
	s_or_b64 exec, exec, s[26:27]
	s_and_saveexec_b64 s[24:25], s[22:23]
	s_cbranch_execnz .LBB512_221
.LBB512_158:
	s_or_b64 exec, exec, s[24:25]
	s_and_saveexec_b64 s[22:23], s[20:21]
	s_cbranch_execnz .LBB512_222
.LBB512_159:
	s_or_b64 exec, exec, s[22:23]
	s_and_saveexec_b64 s[20:21], s[18:19]
	s_cbranch_execnz .LBB512_223
.LBB512_160:
	s_or_b64 exec, exec, s[20:21]
	s_and_saveexec_b64 s[18:19], s[16:17]
	s_cbranch_execnz .LBB512_224
.LBB512_161:
	s_or_b64 exec, exec, s[18:19]
	s_and_saveexec_b64 s[16:17], s[14:15]
	s_cbranch_execnz .LBB512_225
.LBB512_162:
	s_or_b64 exec, exec, s[16:17]
	s_and_saveexec_b64 s[14:15], s[12:13]
	s_cbranch_execnz .LBB512_226
.LBB512_163:
	s_or_b64 exec, exec, s[14:15]
	s_and_saveexec_b64 s[12:13], s[10:11]
	s_cbranch_execnz .LBB512_227
.LBB512_164:
	s_or_b64 exec, exec, s[12:13]
	s_and_saveexec_b64 s[10:11], s[8:9]
	s_cbranch_execnz .LBB512_228
.LBB512_165:
	s_or_b64 exec, exec, s[10:11]
	s_and_saveexec_b64 s[8:9], s[6:7]
	s_cbranch_execnz .LBB512_229
.LBB512_166:
	s_or_b64 exec, exec, s[8:9]
	s_and_saveexec_b64 s[6:7], s[4:5]
	s_cbranch_execnz .LBB512_230
.LBB512_167:
	s_or_b64 exec, exec, s[6:7]
	s_and_saveexec_b64 s[4:5], s[2:3]
	s_cbranch_execz .LBB512_169
.LBB512_168:
	v_sub_u32_e32 v2, v36, v32
	v_lshlrev_b32_e32 v2, 3, v2
	ds_write_b64 v2, v[8:9]
.LBB512_169:
	s_or_b64 exec, exec, s[4:5]
	s_and_b64 s[38:39], s[0:1], exec
                                        ; implicit-def: $vgpr8_vgpr9
                                        ; implicit-def: $vgpr4_vgpr5
                                        ; implicit-def: $vgpr12_vgpr13
                                        ; implicit-def: $vgpr16_vgpr17
                                        ; implicit-def: $vgpr20_vgpr21
                                        ; implicit-def: $vgpr24_vgpr25
                                        ; implicit-def: $vgpr28_vgpr29
	s_andn2_saveexec_b64 s[0:1], s[36:37]
	s_cbranch_execz .LBB512_109
.LBB512_170:
	v_sub_u32_e32 v31, v66, v32
	v_lshlrev_b32_e32 v31, 3, v31
	ds_write_b64 v31, v[26:27]
	v_sub_u32_e32 v26, v64, v32
	v_lshlrev_b32_e32 v26, 3, v26
	ds_write_b64 v26, v[28:29]
	;; [unrolled: 3-line block ×13, first 2 shown]
	v_sub_u32_e32 v2, v36, v32
	v_lshlrev_b32_e32 v2, 3, v2
	s_or_b64 s[38:39], s[38:39], exec
	ds_write_b64 v2, v[8:9]
	s_or_b64 exec, exec, s[0:1]
	s_and_b64 exec, exec, s[38:39]
	s_cbranch_execnz .LBB512_110
	s_branch .LBB512_111
.LBB512_171:
	s_and_saveexec_b64 s[38:39], s[28:29]
	s_cbranch_execnz .LBB512_231
; %bb.172:
	s_or_b64 exec, exec, s[38:39]
	s_and_saveexec_b64 s[38:39], s[26:27]
	s_cbranch_execnz .LBB512_232
.LBB512_173:
	s_or_b64 exec, exec, s[38:39]
	s_and_saveexec_b64 s[38:39], s[24:25]
	s_cbranch_execnz .LBB512_233
.LBB512_174:
	s_or_b64 exec, exec, s[38:39]
	s_and_saveexec_b64 s[38:39], s[22:23]
	s_cbranch_execnz .LBB512_234
.LBB512_175:
	s_or_b64 exec, exec, s[38:39]
	s_and_saveexec_b64 s[38:39], s[20:21]
	s_cbranch_execnz .LBB512_235
.LBB512_176:
	s_or_b64 exec, exec, s[38:39]
	s_and_saveexec_b64 s[38:39], s[18:19]
	s_cbranch_execnz .LBB512_236
.LBB512_177:
	s_or_b64 exec, exec, s[38:39]
	s_and_saveexec_b64 s[38:39], s[16:17]
	s_cbranch_execnz .LBB512_237
.LBB512_178:
	s_or_b64 exec, exec, s[38:39]
	s_and_saveexec_b64 s[38:39], s[14:15]
	s_cbranch_execnz .LBB512_238
.LBB512_179:
	s_or_b64 exec, exec, s[38:39]
	s_and_saveexec_b64 s[38:39], s[12:13]
	s_cbranch_execnz .LBB512_239
.LBB512_180:
	s_or_b64 exec, exec, s[38:39]
	s_and_saveexec_b64 s[38:39], s[10:11]
	s_cbranch_execnz .LBB512_240
.LBB512_181:
	s_or_b64 exec, exec, s[38:39]
	s_and_saveexec_b64 s[38:39], s[8:9]
	s_cbranch_execnz .LBB512_241
.LBB512_182:
	s_or_b64 exec, exec, s[38:39]
	s_and_saveexec_b64 s[38:39], s[6:7]
	s_cbranch_execnz .LBB512_242
.LBB512_183:
	s_or_b64 exec, exec, s[38:39]
	s_and_saveexec_b64 s[38:39], s[4:5]
	s_cbranch_execnz .LBB512_243
.LBB512_184:
	s_or_b64 exec, exec, s[38:39]
	s_and_saveexec_b64 s[38:39], s[2:3]
	s_cbranch_execz .LBB512_186
.LBB512_185:
	v_sub_u32_e32 v14, v36, v1
	v_mov_b32_e32 v15, 0
	v_lshl_add_u64 v[16:17], v[14:15], 3, v[10:11]
	v_mov_b32_e32 v14, v37
	global_store_dwordx2 v[16:17], v[14:15], off
.LBB512_186:
	s_or_b64 exec, exec, s[38:39]
	s_and_b64 s[38:39], s[0:1], exec
	s_andn2_saveexec_b64 s[30:31], s[30:31]
	s_cbranch_execz .LBB512_119
.LBB512_187:
	v_mov_b32_e32 v15, 0
	v_sub_u32_e32 v16, v66, v1
	v_mov_b32_e32 v17, v15
	v_mov_b32_e32 v14, v67
	v_lshl_add_u64 v[16:17], v[16:17], 3, v[10:11]
	global_store_dwordx2 v[16:17], v[14:15], off
	v_sub_u32_e32 v16, v64, v1
	v_mov_b32_e32 v17, v15
	v_mov_b32_e32 v14, v65
	v_lshl_add_u64 v[16:17], v[16:17], 3, v[10:11]
	global_store_dwordx2 v[16:17], v[14:15], off
	;; [unrolled: 5-line block ×13, first 2 shown]
	v_sub_u32_e32 v16, v36, v1
	v_mov_b32_e32 v17, v15
	v_mov_b32_e32 v14, v37
	v_lshl_add_u64 v[16:17], v[16:17], 3, v[10:11]
	s_or_b64 s[38:39], s[38:39], exec
	global_store_dwordx2 v[16:17], v[14:15], off
	s_or_b64 exec, exec, s[30:31]
	s_and_b64 exec, exec, s[38:39]
	s_cbranch_execnz .LBB512_120
	s_branch .LBB512_121
.LBB512_188:
	s_and_saveexec_b64 s[38:39], s[28:29]
	s_cbranch_execnz .LBB512_244
; %bb.189:
	s_or_b64 exec, exec, s[38:39]
	s_and_saveexec_b64 s[28:29], s[26:27]
	s_cbranch_execnz .LBB512_245
.LBB512_190:
	s_or_b64 exec, exec, s[28:29]
	s_and_saveexec_b64 s[26:27], s[24:25]
	s_cbranch_execnz .LBB512_246
.LBB512_191:
	s_or_b64 exec, exec, s[26:27]
	s_and_saveexec_b64 s[24:25], s[22:23]
	s_cbranch_execnz .LBB512_247
.LBB512_192:
	s_or_b64 exec, exec, s[24:25]
	s_and_saveexec_b64 s[22:23], s[20:21]
	s_cbranch_execnz .LBB512_248
.LBB512_193:
	s_or_b64 exec, exec, s[22:23]
	s_and_saveexec_b64 s[20:21], s[18:19]
	s_cbranch_execnz .LBB512_249
.LBB512_194:
	s_or_b64 exec, exec, s[20:21]
	s_and_saveexec_b64 s[18:19], s[16:17]
	s_cbranch_execnz .LBB512_250
.LBB512_195:
	s_or_b64 exec, exec, s[18:19]
	s_and_saveexec_b64 s[16:17], s[14:15]
	s_cbranch_execnz .LBB512_251
.LBB512_196:
	s_or_b64 exec, exec, s[16:17]
	s_and_saveexec_b64 s[14:15], s[12:13]
	s_cbranch_execnz .LBB512_252
.LBB512_197:
	s_or_b64 exec, exec, s[14:15]
	s_and_saveexec_b64 s[12:13], s[10:11]
	s_cbranch_execnz .LBB512_253
.LBB512_198:
	s_or_b64 exec, exec, s[12:13]
	s_and_saveexec_b64 s[10:11], s[8:9]
	s_cbranch_execnz .LBB512_254
.LBB512_199:
	s_or_b64 exec, exec, s[10:11]
	s_and_saveexec_b64 s[8:9], s[6:7]
	s_cbranch_execnz .LBB512_255
.LBB512_200:
	s_or_b64 exec, exec, s[8:9]
	s_and_saveexec_b64 s[6:7], s[4:5]
	s_cbranch_execnz .LBB512_256
.LBB512_201:
	s_or_b64 exec, exec, s[6:7]
	s_and_saveexec_b64 s[4:5], s[2:3]
	s_cbranch_execz .LBB512_203
.LBB512_202:
	v_sub_u32_e32 v10, v36, v1
	v_lshlrev_b32_e32 v10, 2, v10
	ds_write_b32 v10, v37
.LBB512_203:
	s_or_b64 exec, exec, s[4:5]
	s_and_b64 s[38:39], s[0:1], exec
                                        ; implicit-def: $vgpr36_vgpr37
                                        ; implicit-def: $vgpr40_vgpr41
                                        ; implicit-def: $vgpr42_vgpr43
                                        ; implicit-def: $vgpr66_vgpr67
                                        ; implicit-def: $vgpr64_vgpr65
                                        ; implicit-def: $vgpr62_vgpr63
                                        ; implicit-def: $vgpr60_vgpr61
                                        ; implicit-def: $vgpr58_vgpr59
                                        ; implicit-def: $vgpr56_vgpr57
                                        ; implicit-def: $vgpr54_vgpr55
                                        ; implicit-def: $vgpr52_vgpr53
                                        ; implicit-def: $vgpr50_vgpr51
                                        ; implicit-def: $vgpr48_vgpr49
                                        ; implicit-def: $vgpr44_vgpr45
	s_andn2_saveexec_b64 s[0:1], s[36:37]
	s_cbranch_execz .LBB512_126
.LBB512_204:
	v_sub_u32_e32 v10, v66, v1
	v_lshlrev_b32_e32 v10, 2, v10
	ds_write_b32 v10, v67
	v_sub_u32_e32 v10, v64, v1
	v_lshlrev_b32_e32 v10, 2, v10
	ds_write_b32 v10, v65
	;; [unrolled: 3-line block ×13, first 2 shown]
	v_sub_u32_e32 v10, v36, v1
	v_lshlrev_b32_e32 v10, 2, v10
	s_or_b64 s[38:39], s[38:39], exec
	ds_write_b32 v10, v37
	s_or_b64 exec, exec, s[0:1]
	s_and_b64 exec, exec, s[38:39]
	s_cbranch_execnz .LBB512_127
	s_branch .LBB512_128
.LBB512_205:
	v_sub_u32_e32 v86, v66, v32
	v_mov_b32_e32 v87, 0
	v_lshl_add_u64 v[86:87], v[86:87], 3, v[70:71]
	global_store_dwordx2 v[86:87], v[26:27], off
	s_or_b64 exec, exec, s[38:39]
	s_and_saveexec_b64 s[38:39], s[26:27]
	s_cbranch_execz .LBB512_139
.LBB512_206:
	v_sub_u32_e32 v86, v64, v32
	v_mov_b32_e32 v87, 0
	v_lshl_add_u64 v[86:87], v[86:87], 3, v[70:71]
	global_store_dwordx2 v[86:87], v[28:29], off
	s_or_b64 exec, exec, s[38:39]
	s_and_saveexec_b64 s[38:39], s[24:25]
	s_cbranch_execz .LBB512_140
.LBB512_207:
	v_sub_u32_e32 v86, v62, v32
	v_mov_b32_e32 v87, 0
	v_lshl_add_u64 v[86:87], v[86:87], 3, v[70:71]
	global_store_dwordx2 v[86:87], v[22:23], off
	s_or_b64 exec, exec, s[38:39]
	s_and_saveexec_b64 s[38:39], s[22:23]
	s_cbranch_execz .LBB512_141
.LBB512_208:
	v_sub_u32_e32 v86, v60, v32
	v_mov_b32_e32 v87, 0
	v_lshl_add_u64 v[86:87], v[86:87], 3, v[70:71]
	global_store_dwordx2 v[86:87], v[24:25], off
	s_or_b64 exec, exec, s[38:39]
	s_and_saveexec_b64 s[38:39], s[20:21]
	s_cbranch_execz .LBB512_142
.LBB512_209:
	v_sub_u32_e32 v86, v58, v32
	v_mov_b32_e32 v87, 0
	v_lshl_add_u64 v[86:87], v[86:87], 3, v[70:71]
	global_store_dwordx2 v[86:87], v[18:19], off
	s_or_b64 exec, exec, s[38:39]
	s_and_saveexec_b64 s[38:39], s[18:19]
	s_cbranch_execz .LBB512_143
.LBB512_210:
	v_sub_u32_e32 v86, v56, v32
	v_mov_b32_e32 v87, 0
	v_lshl_add_u64 v[86:87], v[86:87], 3, v[70:71]
	global_store_dwordx2 v[86:87], v[20:21], off
	s_or_b64 exec, exec, s[38:39]
	s_and_saveexec_b64 s[38:39], s[16:17]
	s_cbranch_execz .LBB512_144
.LBB512_211:
	v_sub_u32_e32 v86, v54, v32
	v_mov_b32_e32 v87, 0
	v_lshl_add_u64 v[86:87], v[86:87], 3, v[70:71]
	global_store_dwordx2 v[86:87], v[14:15], off
	s_or_b64 exec, exec, s[38:39]
	s_and_saveexec_b64 s[38:39], s[14:15]
	s_cbranch_execz .LBB512_145
.LBB512_212:
	v_sub_u32_e32 v86, v52, v32
	v_mov_b32_e32 v87, 0
	v_lshl_add_u64 v[86:87], v[86:87], 3, v[70:71]
	global_store_dwordx2 v[86:87], v[16:17], off
	s_or_b64 exec, exec, s[38:39]
	s_and_saveexec_b64 s[38:39], s[12:13]
	s_cbranch_execz .LBB512_146
.LBB512_213:
	v_sub_u32_e32 v86, v50, v32
	v_mov_b32_e32 v87, 0
	v_lshl_add_u64 v[86:87], v[86:87], 3, v[70:71]
	global_store_dwordx2 v[86:87], v[10:11], off
	s_or_b64 exec, exec, s[38:39]
	s_and_saveexec_b64 s[38:39], s[10:11]
	s_cbranch_execz .LBB512_147
.LBB512_214:
	v_sub_u32_e32 v86, v48, v32
	v_mov_b32_e32 v87, 0
	v_lshl_add_u64 v[86:87], v[86:87], 3, v[70:71]
	global_store_dwordx2 v[86:87], v[12:13], off
	s_or_b64 exec, exec, s[38:39]
	s_and_saveexec_b64 s[38:39], s[8:9]
	s_cbranch_execz .LBB512_148
.LBB512_215:
	v_sub_u32_e32 v86, v44, v32
	v_mov_b32_e32 v87, 0
	v_lshl_add_u64 v[86:87], v[86:87], 3, v[70:71]
	global_store_dwordx2 v[86:87], v[2:3], off
	s_or_b64 exec, exec, s[38:39]
	s_and_saveexec_b64 s[38:39], s[6:7]
	s_cbranch_execz .LBB512_149
.LBB512_216:
	v_sub_u32_e32 v86, v42, v32
	v_mov_b32_e32 v87, 0
	v_lshl_add_u64 v[86:87], v[86:87], 3, v[70:71]
	global_store_dwordx2 v[86:87], v[4:5], off
	s_or_b64 exec, exec, s[38:39]
	s_and_saveexec_b64 s[38:39], s[4:5]
	s_cbranch_execz .LBB512_150
.LBB512_217:
	v_sub_u32_e32 v86, v40, v32
	v_mov_b32_e32 v87, 0
	v_lshl_add_u64 v[86:87], v[86:87], 3, v[70:71]
	global_store_dwordx2 v[86:87], v[6:7], off
	s_or_b64 exec, exec, s[38:39]
	s_and_saveexec_b64 s[38:39], s[2:3]
	s_cbranch_execnz .LBB512_151
	s_branch .LBB512_152
.LBB512_218:
	v_sub_u32_e32 v31, v66, v32
	v_lshlrev_b32_e32 v31, 3, v31
	ds_write_b64 v31, v[26:27]
	s_or_b64 exec, exec, s[38:39]
	s_and_saveexec_b64 s[28:29], s[26:27]
	s_cbranch_execz .LBB512_156
.LBB512_219:
	v_sub_u32_e32 v26, v64, v32
	v_lshlrev_b32_e32 v26, 3, v26
	ds_write_b64 v26, v[28:29]
	s_or_b64 exec, exec, s[28:29]
	s_and_saveexec_b64 s[26:27], s[24:25]
	s_cbranch_execz .LBB512_157
.LBB512_220:
	v_sub_u32_e32 v26, v62, v32
	v_lshlrev_b32_e32 v26, 3, v26
	ds_write_b64 v26, v[22:23]
	s_or_b64 exec, exec, s[26:27]
	s_and_saveexec_b64 s[24:25], s[22:23]
	s_cbranch_execz .LBB512_158
.LBB512_221:
	v_sub_u32_e32 v22, v60, v32
	v_lshlrev_b32_e32 v22, 3, v22
	ds_write_b64 v22, v[24:25]
	s_or_b64 exec, exec, s[24:25]
	s_and_saveexec_b64 s[22:23], s[20:21]
	s_cbranch_execz .LBB512_159
.LBB512_222:
	v_sub_u32_e32 v22, v58, v32
	v_lshlrev_b32_e32 v22, 3, v22
	ds_write_b64 v22, v[18:19]
	s_or_b64 exec, exec, s[22:23]
	s_and_saveexec_b64 s[20:21], s[18:19]
	s_cbranch_execz .LBB512_160
.LBB512_223:
	v_sub_u32_e32 v18, v56, v32
	v_lshlrev_b32_e32 v18, 3, v18
	ds_write_b64 v18, v[20:21]
	s_or_b64 exec, exec, s[20:21]
	s_and_saveexec_b64 s[18:19], s[16:17]
	s_cbranch_execz .LBB512_161
.LBB512_224:
	v_sub_u32_e32 v18, v54, v32
	v_lshlrev_b32_e32 v18, 3, v18
	ds_write_b64 v18, v[14:15]
	s_or_b64 exec, exec, s[18:19]
	s_and_saveexec_b64 s[16:17], s[14:15]
	s_cbranch_execz .LBB512_162
.LBB512_225:
	v_sub_u32_e32 v14, v52, v32
	v_lshlrev_b32_e32 v14, 3, v14
	ds_write_b64 v14, v[16:17]
	s_or_b64 exec, exec, s[16:17]
	s_and_saveexec_b64 s[14:15], s[12:13]
	s_cbranch_execz .LBB512_163
.LBB512_226:
	v_sub_u32_e32 v14, v50, v32
	v_lshlrev_b32_e32 v14, 3, v14
	ds_write_b64 v14, v[10:11]
	s_or_b64 exec, exec, s[14:15]
	s_and_saveexec_b64 s[12:13], s[10:11]
	s_cbranch_execz .LBB512_164
.LBB512_227:
	v_sub_u32_e32 v10, v48, v32
	v_lshlrev_b32_e32 v10, 3, v10
	ds_write_b64 v10, v[12:13]
	s_or_b64 exec, exec, s[12:13]
	s_and_saveexec_b64 s[10:11], s[8:9]
	s_cbranch_execz .LBB512_165
.LBB512_228:
	v_sub_u32_e32 v10, v44, v32
	v_lshlrev_b32_e32 v10, 3, v10
	ds_write_b64 v10, v[2:3]
	s_or_b64 exec, exec, s[10:11]
	s_and_saveexec_b64 s[8:9], s[6:7]
	s_cbranch_execz .LBB512_166
.LBB512_229:
	v_sub_u32_e32 v2, v42, v32
	v_lshlrev_b32_e32 v2, 3, v2
	ds_write_b64 v2, v[4:5]
	s_or_b64 exec, exec, s[8:9]
	s_and_saveexec_b64 s[6:7], s[4:5]
	s_cbranch_execz .LBB512_167
.LBB512_230:
	v_sub_u32_e32 v2, v40, v32
	v_lshlrev_b32_e32 v2, 3, v2
	ds_write_b64 v2, v[6:7]
	s_or_b64 exec, exec, s[6:7]
	s_and_saveexec_b64 s[4:5], s[2:3]
	s_cbranch_execnz .LBB512_168
	s_branch .LBB512_169
.LBB512_231:
	v_sub_u32_e32 v14, v66, v1
	v_mov_b32_e32 v15, 0
	v_lshl_add_u64 v[16:17], v[14:15], 3, v[10:11]
	v_mov_b32_e32 v14, v67
	global_store_dwordx2 v[16:17], v[14:15], off
	s_or_b64 exec, exec, s[38:39]
	s_and_saveexec_b64 s[38:39], s[26:27]
	s_cbranch_execz .LBB512_173
.LBB512_232:
	v_sub_u32_e32 v14, v64, v1
	v_mov_b32_e32 v15, 0
	v_lshl_add_u64 v[16:17], v[14:15], 3, v[10:11]
	v_mov_b32_e32 v14, v65
	global_store_dwordx2 v[16:17], v[14:15], off
	s_or_b64 exec, exec, s[38:39]
	s_and_saveexec_b64 s[38:39], s[24:25]
	s_cbranch_execz .LBB512_174
.LBB512_233:
	v_sub_u32_e32 v14, v62, v1
	v_mov_b32_e32 v15, 0
	v_lshl_add_u64 v[16:17], v[14:15], 3, v[10:11]
	v_mov_b32_e32 v14, v63
	global_store_dwordx2 v[16:17], v[14:15], off
	s_or_b64 exec, exec, s[38:39]
	s_and_saveexec_b64 s[38:39], s[22:23]
	s_cbranch_execz .LBB512_175
.LBB512_234:
	v_sub_u32_e32 v14, v60, v1
	v_mov_b32_e32 v15, 0
	v_lshl_add_u64 v[16:17], v[14:15], 3, v[10:11]
	v_mov_b32_e32 v14, v61
	global_store_dwordx2 v[16:17], v[14:15], off
	s_or_b64 exec, exec, s[38:39]
	s_and_saveexec_b64 s[38:39], s[20:21]
	s_cbranch_execz .LBB512_176
.LBB512_235:
	v_sub_u32_e32 v14, v58, v1
	v_mov_b32_e32 v15, 0
	v_lshl_add_u64 v[16:17], v[14:15], 3, v[10:11]
	v_mov_b32_e32 v14, v59
	global_store_dwordx2 v[16:17], v[14:15], off
	s_or_b64 exec, exec, s[38:39]
	s_and_saveexec_b64 s[38:39], s[18:19]
	s_cbranch_execz .LBB512_177
.LBB512_236:
	v_sub_u32_e32 v14, v56, v1
	v_mov_b32_e32 v15, 0
	v_lshl_add_u64 v[16:17], v[14:15], 3, v[10:11]
	v_mov_b32_e32 v14, v57
	global_store_dwordx2 v[16:17], v[14:15], off
	s_or_b64 exec, exec, s[38:39]
	s_and_saveexec_b64 s[38:39], s[16:17]
	s_cbranch_execz .LBB512_178
.LBB512_237:
	v_sub_u32_e32 v14, v54, v1
	v_mov_b32_e32 v15, 0
	v_lshl_add_u64 v[16:17], v[14:15], 3, v[10:11]
	v_mov_b32_e32 v14, v55
	global_store_dwordx2 v[16:17], v[14:15], off
	s_or_b64 exec, exec, s[38:39]
	s_and_saveexec_b64 s[38:39], s[14:15]
	s_cbranch_execz .LBB512_179
.LBB512_238:
	v_sub_u32_e32 v14, v52, v1
	v_mov_b32_e32 v15, 0
	v_lshl_add_u64 v[16:17], v[14:15], 3, v[10:11]
	v_mov_b32_e32 v14, v53
	global_store_dwordx2 v[16:17], v[14:15], off
	s_or_b64 exec, exec, s[38:39]
	s_and_saveexec_b64 s[38:39], s[12:13]
	s_cbranch_execz .LBB512_180
.LBB512_239:
	v_sub_u32_e32 v14, v50, v1
	v_mov_b32_e32 v15, 0
	v_lshl_add_u64 v[16:17], v[14:15], 3, v[10:11]
	v_mov_b32_e32 v14, v51
	global_store_dwordx2 v[16:17], v[14:15], off
	s_or_b64 exec, exec, s[38:39]
	s_and_saveexec_b64 s[38:39], s[10:11]
	s_cbranch_execz .LBB512_181
.LBB512_240:
	v_sub_u32_e32 v14, v48, v1
	v_mov_b32_e32 v15, 0
	v_lshl_add_u64 v[16:17], v[14:15], 3, v[10:11]
	v_mov_b32_e32 v14, v49
	global_store_dwordx2 v[16:17], v[14:15], off
	s_or_b64 exec, exec, s[38:39]
	s_and_saveexec_b64 s[38:39], s[8:9]
	s_cbranch_execz .LBB512_182
.LBB512_241:
	v_sub_u32_e32 v14, v44, v1
	v_mov_b32_e32 v15, 0
	v_lshl_add_u64 v[16:17], v[14:15], 3, v[10:11]
	v_mov_b32_e32 v14, v45
	global_store_dwordx2 v[16:17], v[14:15], off
	s_or_b64 exec, exec, s[38:39]
	s_and_saveexec_b64 s[38:39], s[6:7]
	s_cbranch_execz .LBB512_183
.LBB512_242:
	v_sub_u32_e32 v14, v42, v1
	v_mov_b32_e32 v15, 0
	v_lshl_add_u64 v[16:17], v[14:15], 3, v[10:11]
	v_mov_b32_e32 v14, v43
	global_store_dwordx2 v[16:17], v[14:15], off
	s_or_b64 exec, exec, s[38:39]
	s_and_saveexec_b64 s[38:39], s[4:5]
	s_cbranch_execz .LBB512_184
.LBB512_243:
	v_sub_u32_e32 v14, v40, v1
	v_mov_b32_e32 v15, 0
	v_lshl_add_u64 v[16:17], v[14:15], 3, v[10:11]
	v_mov_b32_e32 v14, v41
	global_store_dwordx2 v[16:17], v[14:15], off
	s_or_b64 exec, exec, s[38:39]
	s_and_saveexec_b64 s[38:39], s[2:3]
	s_cbranch_execnz .LBB512_185
	s_branch .LBB512_186
.LBB512_244:
	v_sub_u32_e32 v10, v66, v1
	v_lshlrev_b32_e32 v10, 2, v10
	ds_write_b32 v10, v67
	s_or_b64 exec, exec, s[38:39]
	s_and_saveexec_b64 s[28:29], s[26:27]
	s_cbranch_execz .LBB512_190
.LBB512_245:
	v_sub_u32_e32 v10, v64, v1
	v_lshlrev_b32_e32 v10, 2, v10
	ds_write_b32 v10, v65
	s_or_b64 exec, exec, s[28:29]
	s_and_saveexec_b64 s[26:27], s[24:25]
	s_cbranch_execz .LBB512_191
.LBB512_246:
	v_sub_u32_e32 v10, v62, v1
	v_lshlrev_b32_e32 v10, 2, v10
	ds_write_b32 v10, v63
	s_or_b64 exec, exec, s[26:27]
	s_and_saveexec_b64 s[24:25], s[22:23]
	s_cbranch_execz .LBB512_192
.LBB512_247:
	v_sub_u32_e32 v10, v60, v1
	v_lshlrev_b32_e32 v10, 2, v10
	ds_write_b32 v10, v61
	s_or_b64 exec, exec, s[24:25]
	s_and_saveexec_b64 s[22:23], s[20:21]
	s_cbranch_execz .LBB512_193
.LBB512_248:
	v_sub_u32_e32 v10, v58, v1
	v_lshlrev_b32_e32 v10, 2, v10
	ds_write_b32 v10, v59
	s_or_b64 exec, exec, s[22:23]
	s_and_saveexec_b64 s[20:21], s[18:19]
	s_cbranch_execz .LBB512_194
.LBB512_249:
	v_sub_u32_e32 v10, v56, v1
	v_lshlrev_b32_e32 v10, 2, v10
	ds_write_b32 v10, v57
	s_or_b64 exec, exec, s[20:21]
	s_and_saveexec_b64 s[18:19], s[16:17]
	s_cbranch_execz .LBB512_195
.LBB512_250:
	v_sub_u32_e32 v10, v54, v1
	v_lshlrev_b32_e32 v10, 2, v10
	ds_write_b32 v10, v55
	s_or_b64 exec, exec, s[18:19]
	s_and_saveexec_b64 s[16:17], s[14:15]
	s_cbranch_execz .LBB512_196
.LBB512_251:
	v_sub_u32_e32 v10, v52, v1
	v_lshlrev_b32_e32 v10, 2, v10
	ds_write_b32 v10, v53
	s_or_b64 exec, exec, s[16:17]
	s_and_saveexec_b64 s[14:15], s[12:13]
	s_cbranch_execz .LBB512_197
.LBB512_252:
	v_sub_u32_e32 v10, v50, v1
	v_lshlrev_b32_e32 v10, 2, v10
	ds_write_b32 v10, v51
	s_or_b64 exec, exec, s[14:15]
	s_and_saveexec_b64 s[12:13], s[10:11]
	s_cbranch_execz .LBB512_198
.LBB512_253:
	v_sub_u32_e32 v10, v48, v1
	v_lshlrev_b32_e32 v10, 2, v10
	ds_write_b32 v10, v49
	s_or_b64 exec, exec, s[12:13]
	s_and_saveexec_b64 s[10:11], s[8:9]
	s_cbranch_execz .LBB512_199
.LBB512_254:
	v_sub_u32_e32 v10, v44, v1
	v_lshlrev_b32_e32 v10, 2, v10
	ds_write_b32 v10, v45
	s_or_b64 exec, exec, s[10:11]
	s_and_saveexec_b64 s[8:9], s[6:7]
	s_cbranch_execz .LBB512_200
.LBB512_255:
	v_sub_u32_e32 v10, v42, v1
	v_lshlrev_b32_e32 v10, 2, v10
	ds_write_b32 v10, v43
	s_or_b64 exec, exec, s[8:9]
	s_and_saveexec_b64 s[6:7], s[4:5]
	s_cbranch_execz .LBB512_201
.LBB512_256:
	v_sub_u32_e32 v10, v40, v1
	v_lshlrev_b32_e32 v10, 2, v10
	ds_write_b32 v10, v41
	s_or_b64 exec, exec, s[6:7]
	s_and_saveexec_b64 s[4:5], s[2:3]
	s_cbranch_execnz .LBB512_202
	s_branch .LBB512_203
	.section	.rodata,"a",@progbits
	.p2align	6, 0x0
	.amdhsa_kernel _ZN7rocprim17ROCPRIM_400000_NS6detail17trampoline_kernelINS0_14default_configENS1_33run_length_encode_config_selectorIljNS0_4plusIjEEEEZZNS1_33reduce_by_key_impl_wrapped_configILNS1_25lookback_scan_determinismE0ES3_S7_PKlNS0_17constant_iteratorIjlEEPlSE_SE_S6_NS0_8equal_toIlEEEE10hipError_tPvRmT2_T3_mT4_T5_T6_T7_T8_P12ihipStream_tbENKUlT_T0_E_clISt17integral_constantIbLb0EESY_EEDaST_SU_EUlST_E_NS1_11comp_targetILNS1_3genE5ELNS1_11target_archE942ELNS1_3gpuE9ELNS1_3repE0EEENS1_30default_config_static_selectorELNS0_4arch9wavefront6targetE1EEEvT1_
		.amdhsa_group_segment_fixed_size 61440
		.amdhsa_private_segment_fixed_size 0
		.amdhsa_kernarg_size 128
		.amdhsa_user_sgpr_count 2
		.amdhsa_user_sgpr_dispatch_ptr 0
		.amdhsa_user_sgpr_queue_ptr 0
		.amdhsa_user_sgpr_kernarg_segment_ptr 1
		.amdhsa_user_sgpr_dispatch_id 0
		.amdhsa_user_sgpr_kernarg_preload_length 0
		.amdhsa_user_sgpr_kernarg_preload_offset 0
		.amdhsa_user_sgpr_private_segment_size 0
		.amdhsa_uses_dynamic_stack 0
		.amdhsa_enable_private_segment 0
		.amdhsa_system_sgpr_workgroup_id_x 1
		.amdhsa_system_sgpr_workgroup_id_y 0
		.amdhsa_system_sgpr_workgroup_id_z 0
		.amdhsa_system_sgpr_workgroup_info 0
		.amdhsa_system_vgpr_workitem_id 0
		.amdhsa_next_free_vgpr 90
		.amdhsa_next_free_sgpr 64
		.amdhsa_accum_offset 92
		.amdhsa_reserve_vcc 1
		.amdhsa_float_round_mode_32 0
		.amdhsa_float_round_mode_16_64 0
		.amdhsa_float_denorm_mode_32 3
		.amdhsa_float_denorm_mode_16_64 3
		.amdhsa_dx10_clamp 1
		.amdhsa_ieee_mode 1
		.amdhsa_fp16_overflow 0
		.amdhsa_tg_split 0
		.amdhsa_exception_fp_ieee_invalid_op 0
		.amdhsa_exception_fp_denorm_src 0
		.amdhsa_exception_fp_ieee_div_zero 0
		.amdhsa_exception_fp_ieee_overflow 0
		.amdhsa_exception_fp_ieee_underflow 0
		.amdhsa_exception_fp_ieee_inexact 0
		.amdhsa_exception_int_div_zero 0
	.end_amdhsa_kernel
	.section	.text._ZN7rocprim17ROCPRIM_400000_NS6detail17trampoline_kernelINS0_14default_configENS1_33run_length_encode_config_selectorIljNS0_4plusIjEEEEZZNS1_33reduce_by_key_impl_wrapped_configILNS1_25lookback_scan_determinismE0ES3_S7_PKlNS0_17constant_iteratorIjlEEPlSE_SE_S6_NS0_8equal_toIlEEEE10hipError_tPvRmT2_T3_mT4_T5_T6_T7_T8_P12ihipStream_tbENKUlT_T0_E_clISt17integral_constantIbLb0EESY_EEDaST_SU_EUlST_E_NS1_11comp_targetILNS1_3genE5ELNS1_11target_archE942ELNS1_3gpuE9ELNS1_3repE0EEENS1_30default_config_static_selectorELNS0_4arch9wavefront6targetE1EEEvT1_,"axG",@progbits,_ZN7rocprim17ROCPRIM_400000_NS6detail17trampoline_kernelINS0_14default_configENS1_33run_length_encode_config_selectorIljNS0_4plusIjEEEEZZNS1_33reduce_by_key_impl_wrapped_configILNS1_25lookback_scan_determinismE0ES3_S7_PKlNS0_17constant_iteratorIjlEEPlSE_SE_S6_NS0_8equal_toIlEEEE10hipError_tPvRmT2_T3_mT4_T5_T6_T7_T8_P12ihipStream_tbENKUlT_T0_E_clISt17integral_constantIbLb0EESY_EEDaST_SU_EUlST_E_NS1_11comp_targetILNS1_3genE5ELNS1_11target_archE942ELNS1_3gpuE9ELNS1_3repE0EEENS1_30default_config_static_selectorELNS0_4arch9wavefront6targetE1EEEvT1_,comdat
.Lfunc_end512:
	.size	_ZN7rocprim17ROCPRIM_400000_NS6detail17trampoline_kernelINS0_14default_configENS1_33run_length_encode_config_selectorIljNS0_4plusIjEEEEZZNS1_33reduce_by_key_impl_wrapped_configILNS1_25lookback_scan_determinismE0ES3_S7_PKlNS0_17constant_iteratorIjlEEPlSE_SE_S6_NS0_8equal_toIlEEEE10hipError_tPvRmT2_T3_mT4_T5_T6_T7_T8_P12ihipStream_tbENKUlT_T0_E_clISt17integral_constantIbLb0EESY_EEDaST_SU_EUlST_E_NS1_11comp_targetILNS1_3genE5ELNS1_11target_archE942ELNS1_3gpuE9ELNS1_3repE0EEENS1_30default_config_static_selectorELNS0_4arch9wavefront6targetE1EEEvT1_, .Lfunc_end512-_ZN7rocprim17ROCPRIM_400000_NS6detail17trampoline_kernelINS0_14default_configENS1_33run_length_encode_config_selectorIljNS0_4plusIjEEEEZZNS1_33reduce_by_key_impl_wrapped_configILNS1_25lookback_scan_determinismE0ES3_S7_PKlNS0_17constant_iteratorIjlEEPlSE_SE_S6_NS0_8equal_toIlEEEE10hipError_tPvRmT2_T3_mT4_T5_T6_T7_T8_P12ihipStream_tbENKUlT_T0_E_clISt17integral_constantIbLb0EESY_EEDaST_SU_EUlST_E_NS1_11comp_targetILNS1_3genE5ELNS1_11target_archE942ELNS1_3gpuE9ELNS1_3repE0EEENS1_30default_config_static_selectorELNS0_4arch9wavefront6targetE1EEEvT1_
                                        ; -- End function
	.section	.AMDGPU.csdata,"",@progbits
; Kernel info:
; codeLenInByte = 14024
; NumSgprs: 70
; NumVgprs: 90
; NumAgprs: 0
; TotalNumVgprs: 90
; ScratchSize: 0
; MemoryBound: 0
; FloatMode: 240
; IeeeMode: 1
; LDSByteSize: 61440 bytes/workgroup (compile time only)
; SGPRBlocks: 8
; VGPRBlocks: 11
; NumSGPRsForWavesPerEU: 70
; NumVGPRsForWavesPerEU: 90
; AccumOffset: 92
; Occupancy: 2
; WaveLimiterHint : 1
; COMPUTE_PGM_RSRC2:SCRATCH_EN: 0
; COMPUTE_PGM_RSRC2:USER_SGPR: 2
; COMPUTE_PGM_RSRC2:TRAP_HANDLER: 0
; COMPUTE_PGM_RSRC2:TGID_X_EN: 1
; COMPUTE_PGM_RSRC2:TGID_Y_EN: 0
; COMPUTE_PGM_RSRC2:TGID_Z_EN: 0
; COMPUTE_PGM_RSRC2:TIDIG_COMP_CNT: 0
; COMPUTE_PGM_RSRC3_GFX90A:ACCUM_OFFSET: 22
; COMPUTE_PGM_RSRC3_GFX90A:TG_SPLIT: 0
	.section	.text._ZN7rocprim17ROCPRIM_400000_NS6detail17trampoline_kernelINS0_14default_configENS1_33run_length_encode_config_selectorIljNS0_4plusIjEEEEZZNS1_33reduce_by_key_impl_wrapped_configILNS1_25lookback_scan_determinismE0ES3_S7_PKlNS0_17constant_iteratorIjlEEPlSE_SE_S6_NS0_8equal_toIlEEEE10hipError_tPvRmT2_T3_mT4_T5_T6_T7_T8_P12ihipStream_tbENKUlT_T0_E_clISt17integral_constantIbLb0EESY_EEDaST_SU_EUlST_E_NS1_11comp_targetILNS1_3genE4ELNS1_11target_archE910ELNS1_3gpuE8ELNS1_3repE0EEENS1_30default_config_static_selectorELNS0_4arch9wavefront6targetE1EEEvT1_,"axG",@progbits,_ZN7rocprim17ROCPRIM_400000_NS6detail17trampoline_kernelINS0_14default_configENS1_33run_length_encode_config_selectorIljNS0_4plusIjEEEEZZNS1_33reduce_by_key_impl_wrapped_configILNS1_25lookback_scan_determinismE0ES3_S7_PKlNS0_17constant_iteratorIjlEEPlSE_SE_S6_NS0_8equal_toIlEEEE10hipError_tPvRmT2_T3_mT4_T5_T6_T7_T8_P12ihipStream_tbENKUlT_T0_E_clISt17integral_constantIbLb0EESY_EEDaST_SU_EUlST_E_NS1_11comp_targetILNS1_3genE4ELNS1_11target_archE910ELNS1_3gpuE8ELNS1_3repE0EEENS1_30default_config_static_selectorELNS0_4arch9wavefront6targetE1EEEvT1_,comdat
	.protected	_ZN7rocprim17ROCPRIM_400000_NS6detail17trampoline_kernelINS0_14default_configENS1_33run_length_encode_config_selectorIljNS0_4plusIjEEEEZZNS1_33reduce_by_key_impl_wrapped_configILNS1_25lookback_scan_determinismE0ES3_S7_PKlNS0_17constant_iteratorIjlEEPlSE_SE_S6_NS0_8equal_toIlEEEE10hipError_tPvRmT2_T3_mT4_T5_T6_T7_T8_P12ihipStream_tbENKUlT_T0_E_clISt17integral_constantIbLb0EESY_EEDaST_SU_EUlST_E_NS1_11comp_targetILNS1_3genE4ELNS1_11target_archE910ELNS1_3gpuE8ELNS1_3repE0EEENS1_30default_config_static_selectorELNS0_4arch9wavefront6targetE1EEEvT1_ ; -- Begin function _ZN7rocprim17ROCPRIM_400000_NS6detail17trampoline_kernelINS0_14default_configENS1_33run_length_encode_config_selectorIljNS0_4plusIjEEEEZZNS1_33reduce_by_key_impl_wrapped_configILNS1_25lookback_scan_determinismE0ES3_S7_PKlNS0_17constant_iteratorIjlEEPlSE_SE_S6_NS0_8equal_toIlEEEE10hipError_tPvRmT2_T3_mT4_T5_T6_T7_T8_P12ihipStream_tbENKUlT_T0_E_clISt17integral_constantIbLb0EESY_EEDaST_SU_EUlST_E_NS1_11comp_targetILNS1_3genE4ELNS1_11target_archE910ELNS1_3gpuE8ELNS1_3repE0EEENS1_30default_config_static_selectorELNS0_4arch9wavefront6targetE1EEEvT1_
	.globl	_ZN7rocprim17ROCPRIM_400000_NS6detail17trampoline_kernelINS0_14default_configENS1_33run_length_encode_config_selectorIljNS0_4plusIjEEEEZZNS1_33reduce_by_key_impl_wrapped_configILNS1_25lookback_scan_determinismE0ES3_S7_PKlNS0_17constant_iteratorIjlEEPlSE_SE_S6_NS0_8equal_toIlEEEE10hipError_tPvRmT2_T3_mT4_T5_T6_T7_T8_P12ihipStream_tbENKUlT_T0_E_clISt17integral_constantIbLb0EESY_EEDaST_SU_EUlST_E_NS1_11comp_targetILNS1_3genE4ELNS1_11target_archE910ELNS1_3gpuE8ELNS1_3repE0EEENS1_30default_config_static_selectorELNS0_4arch9wavefront6targetE1EEEvT1_
	.p2align	8
	.type	_ZN7rocprim17ROCPRIM_400000_NS6detail17trampoline_kernelINS0_14default_configENS1_33run_length_encode_config_selectorIljNS0_4plusIjEEEEZZNS1_33reduce_by_key_impl_wrapped_configILNS1_25lookback_scan_determinismE0ES3_S7_PKlNS0_17constant_iteratorIjlEEPlSE_SE_S6_NS0_8equal_toIlEEEE10hipError_tPvRmT2_T3_mT4_T5_T6_T7_T8_P12ihipStream_tbENKUlT_T0_E_clISt17integral_constantIbLb0EESY_EEDaST_SU_EUlST_E_NS1_11comp_targetILNS1_3genE4ELNS1_11target_archE910ELNS1_3gpuE8ELNS1_3repE0EEENS1_30default_config_static_selectorELNS0_4arch9wavefront6targetE1EEEvT1_,@function
_ZN7rocprim17ROCPRIM_400000_NS6detail17trampoline_kernelINS0_14default_configENS1_33run_length_encode_config_selectorIljNS0_4plusIjEEEEZZNS1_33reduce_by_key_impl_wrapped_configILNS1_25lookback_scan_determinismE0ES3_S7_PKlNS0_17constant_iteratorIjlEEPlSE_SE_S6_NS0_8equal_toIlEEEE10hipError_tPvRmT2_T3_mT4_T5_T6_T7_T8_P12ihipStream_tbENKUlT_T0_E_clISt17integral_constantIbLb0EESY_EEDaST_SU_EUlST_E_NS1_11comp_targetILNS1_3genE4ELNS1_11target_archE910ELNS1_3gpuE8ELNS1_3repE0EEENS1_30default_config_static_selectorELNS0_4arch9wavefront6targetE1EEEvT1_: ; @_ZN7rocprim17ROCPRIM_400000_NS6detail17trampoline_kernelINS0_14default_configENS1_33run_length_encode_config_selectorIljNS0_4plusIjEEEEZZNS1_33reduce_by_key_impl_wrapped_configILNS1_25lookback_scan_determinismE0ES3_S7_PKlNS0_17constant_iteratorIjlEEPlSE_SE_S6_NS0_8equal_toIlEEEE10hipError_tPvRmT2_T3_mT4_T5_T6_T7_T8_P12ihipStream_tbENKUlT_T0_E_clISt17integral_constantIbLb0EESY_EEDaST_SU_EUlST_E_NS1_11comp_targetILNS1_3genE4ELNS1_11target_archE910ELNS1_3gpuE8ELNS1_3repE0EEENS1_30default_config_static_selectorELNS0_4arch9wavefront6targetE1EEEvT1_
; %bb.0:
	.section	.rodata,"a",@progbits
	.p2align	6, 0x0
	.amdhsa_kernel _ZN7rocprim17ROCPRIM_400000_NS6detail17trampoline_kernelINS0_14default_configENS1_33run_length_encode_config_selectorIljNS0_4plusIjEEEEZZNS1_33reduce_by_key_impl_wrapped_configILNS1_25lookback_scan_determinismE0ES3_S7_PKlNS0_17constant_iteratorIjlEEPlSE_SE_S6_NS0_8equal_toIlEEEE10hipError_tPvRmT2_T3_mT4_T5_T6_T7_T8_P12ihipStream_tbENKUlT_T0_E_clISt17integral_constantIbLb0EESY_EEDaST_SU_EUlST_E_NS1_11comp_targetILNS1_3genE4ELNS1_11target_archE910ELNS1_3gpuE8ELNS1_3repE0EEENS1_30default_config_static_selectorELNS0_4arch9wavefront6targetE1EEEvT1_
		.amdhsa_group_segment_fixed_size 0
		.amdhsa_private_segment_fixed_size 0
		.amdhsa_kernarg_size 128
		.amdhsa_user_sgpr_count 2
		.amdhsa_user_sgpr_dispatch_ptr 0
		.amdhsa_user_sgpr_queue_ptr 0
		.amdhsa_user_sgpr_kernarg_segment_ptr 1
		.amdhsa_user_sgpr_dispatch_id 0
		.amdhsa_user_sgpr_kernarg_preload_length 0
		.amdhsa_user_sgpr_kernarg_preload_offset 0
		.amdhsa_user_sgpr_private_segment_size 0
		.amdhsa_uses_dynamic_stack 0
		.amdhsa_enable_private_segment 0
		.amdhsa_system_sgpr_workgroup_id_x 1
		.amdhsa_system_sgpr_workgroup_id_y 0
		.amdhsa_system_sgpr_workgroup_id_z 0
		.amdhsa_system_sgpr_workgroup_info 0
		.amdhsa_system_vgpr_workitem_id 0
		.amdhsa_next_free_vgpr 1
		.amdhsa_next_free_sgpr 0
		.amdhsa_accum_offset 4
		.amdhsa_reserve_vcc 0
		.amdhsa_float_round_mode_32 0
		.amdhsa_float_round_mode_16_64 0
		.amdhsa_float_denorm_mode_32 3
		.amdhsa_float_denorm_mode_16_64 3
		.amdhsa_dx10_clamp 1
		.amdhsa_ieee_mode 1
		.amdhsa_fp16_overflow 0
		.amdhsa_tg_split 0
		.amdhsa_exception_fp_ieee_invalid_op 0
		.amdhsa_exception_fp_denorm_src 0
		.amdhsa_exception_fp_ieee_div_zero 0
		.amdhsa_exception_fp_ieee_overflow 0
		.amdhsa_exception_fp_ieee_underflow 0
		.amdhsa_exception_fp_ieee_inexact 0
		.amdhsa_exception_int_div_zero 0
	.end_amdhsa_kernel
	.section	.text._ZN7rocprim17ROCPRIM_400000_NS6detail17trampoline_kernelINS0_14default_configENS1_33run_length_encode_config_selectorIljNS0_4plusIjEEEEZZNS1_33reduce_by_key_impl_wrapped_configILNS1_25lookback_scan_determinismE0ES3_S7_PKlNS0_17constant_iteratorIjlEEPlSE_SE_S6_NS0_8equal_toIlEEEE10hipError_tPvRmT2_T3_mT4_T5_T6_T7_T8_P12ihipStream_tbENKUlT_T0_E_clISt17integral_constantIbLb0EESY_EEDaST_SU_EUlST_E_NS1_11comp_targetILNS1_3genE4ELNS1_11target_archE910ELNS1_3gpuE8ELNS1_3repE0EEENS1_30default_config_static_selectorELNS0_4arch9wavefront6targetE1EEEvT1_,"axG",@progbits,_ZN7rocprim17ROCPRIM_400000_NS6detail17trampoline_kernelINS0_14default_configENS1_33run_length_encode_config_selectorIljNS0_4plusIjEEEEZZNS1_33reduce_by_key_impl_wrapped_configILNS1_25lookback_scan_determinismE0ES3_S7_PKlNS0_17constant_iteratorIjlEEPlSE_SE_S6_NS0_8equal_toIlEEEE10hipError_tPvRmT2_T3_mT4_T5_T6_T7_T8_P12ihipStream_tbENKUlT_T0_E_clISt17integral_constantIbLb0EESY_EEDaST_SU_EUlST_E_NS1_11comp_targetILNS1_3genE4ELNS1_11target_archE910ELNS1_3gpuE8ELNS1_3repE0EEENS1_30default_config_static_selectorELNS0_4arch9wavefront6targetE1EEEvT1_,comdat
.Lfunc_end513:
	.size	_ZN7rocprim17ROCPRIM_400000_NS6detail17trampoline_kernelINS0_14default_configENS1_33run_length_encode_config_selectorIljNS0_4plusIjEEEEZZNS1_33reduce_by_key_impl_wrapped_configILNS1_25lookback_scan_determinismE0ES3_S7_PKlNS0_17constant_iteratorIjlEEPlSE_SE_S6_NS0_8equal_toIlEEEE10hipError_tPvRmT2_T3_mT4_T5_T6_T7_T8_P12ihipStream_tbENKUlT_T0_E_clISt17integral_constantIbLb0EESY_EEDaST_SU_EUlST_E_NS1_11comp_targetILNS1_3genE4ELNS1_11target_archE910ELNS1_3gpuE8ELNS1_3repE0EEENS1_30default_config_static_selectorELNS0_4arch9wavefront6targetE1EEEvT1_, .Lfunc_end513-_ZN7rocprim17ROCPRIM_400000_NS6detail17trampoline_kernelINS0_14default_configENS1_33run_length_encode_config_selectorIljNS0_4plusIjEEEEZZNS1_33reduce_by_key_impl_wrapped_configILNS1_25lookback_scan_determinismE0ES3_S7_PKlNS0_17constant_iteratorIjlEEPlSE_SE_S6_NS0_8equal_toIlEEEE10hipError_tPvRmT2_T3_mT4_T5_T6_T7_T8_P12ihipStream_tbENKUlT_T0_E_clISt17integral_constantIbLb0EESY_EEDaST_SU_EUlST_E_NS1_11comp_targetILNS1_3genE4ELNS1_11target_archE910ELNS1_3gpuE8ELNS1_3repE0EEENS1_30default_config_static_selectorELNS0_4arch9wavefront6targetE1EEEvT1_
                                        ; -- End function
	.section	.AMDGPU.csdata,"",@progbits
; Kernel info:
; codeLenInByte = 0
; NumSgprs: 6
; NumVgprs: 0
; NumAgprs: 0
; TotalNumVgprs: 0
; ScratchSize: 0
; MemoryBound: 0
; FloatMode: 240
; IeeeMode: 1
; LDSByteSize: 0 bytes/workgroup (compile time only)
; SGPRBlocks: 0
; VGPRBlocks: 0
; NumSGPRsForWavesPerEU: 6
; NumVGPRsForWavesPerEU: 1
; AccumOffset: 4
; Occupancy: 8
; WaveLimiterHint : 0
; COMPUTE_PGM_RSRC2:SCRATCH_EN: 0
; COMPUTE_PGM_RSRC2:USER_SGPR: 2
; COMPUTE_PGM_RSRC2:TRAP_HANDLER: 0
; COMPUTE_PGM_RSRC2:TGID_X_EN: 1
; COMPUTE_PGM_RSRC2:TGID_Y_EN: 0
; COMPUTE_PGM_RSRC2:TGID_Z_EN: 0
; COMPUTE_PGM_RSRC2:TIDIG_COMP_CNT: 0
; COMPUTE_PGM_RSRC3_GFX90A:ACCUM_OFFSET: 0
; COMPUTE_PGM_RSRC3_GFX90A:TG_SPLIT: 0
	.section	.text._ZN7rocprim17ROCPRIM_400000_NS6detail17trampoline_kernelINS0_14default_configENS1_33run_length_encode_config_selectorIljNS0_4plusIjEEEEZZNS1_33reduce_by_key_impl_wrapped_configILNS1_25lookback_scan_determinismE0ES3_S7_PKlNS0_17constant_iteratorIjlEEPlSE_SE_S6_NS0_8equal_toIlEEEE10hipError_tPvRmT2_T3_mT4_T5_T6_T7_T8_P12ihipStream_tbENKUlT_T0_E_clISt17integral_constantIbLb0EESY_EEDaST_SU_EUlST_E_NS1_11comp_targetILNS1_3genE3ELNS1_11target_archE908ELNS1_3gpuE7ELNS1_3repE0EEENS1_30default_config_static_selectorELNS0_4arch9wavefront6targetE1EEEvT1_,"axG",@progbits,_ZN7rocprim17ROCPRIM_400000_NS6detail17trampoline_kernelINS0_14default_configENS1_33run_length_encode_config_selectorIljNS0_4plusIjEEEEZZNS1_33reduce_by_key_impl_wrapped_configILNS1_25lookback_scan_determinismE0ES3_S7_PKlNS0_17constant_iteratorIjlEEPlSE_SE_S6_NS0_8equal_toIlEEEE10hipError_tPvRmT2_T3_mT4_T5_T6_T7_T8_P12ihipStream_tbENKUlT_T0_E_clISt17integral_constantIbLb0EESY_EEDaST_SU_EUlST_E_NS1_11comp_targetILNS1_3genE3ELNS1_11target_archE908ELNS1_3gpuE7ELNS1_3repE0EEENS1_30default_config_static_selectorELNS0_4arch9wavefront6targetE1EEEvT1_,comdat
	.protected	_ZN7rocprim17ROCPRIM_400000_NS6detail17trampoline_kernelINS0_14default_configENS1_33run_length_encode_config_selectorIljNS0_4plusIjEEEEZZNS1_33reduce_by_key_impl_wrapped_configILNS1_25lookback_scan_determinismE0ES3_S7_PKlNS0_17constant_iteratorIjlEEPlSE_SE_S6_NS0_8equal_toIlEEEE10hipError_tPvRmT2_T3_mT4_T5_T6_T7_T8_P12ihipStream_tbENKUlT_T0_E_clISt17integral_constantIbLb0EESY_EEDaST_SU_EUlST_E_NS1_11comp_targetILNS1_3genE3ELNS1_11target_archE908ELNS1_3gpuE7ELNS1_3repE0EEENS1_30default_config_static_selectorELNS0_4arch9wavefront6targetE1EEEvT1_ ; -- Begin function _ZN7rocprim17ROCPRIM_400000_NS6detail17trampoline_kernelINS0_14default_configENS1_33run_length_encode_config_selectorIljNS0_4plusIjEEEEZZNS1_33reduce_by_key_impl_wrapped_configILNS1_25lookback_scan_determinismE0ES3_S7_PKlNS0_17constant_iteratorIjlEEPlSE_SE_S6_NS0_8equal_toIlEEEE10hipError_tPvRmT2_T3_mT4_T5_T6_T7_T8_P12ihipStream_tbENKUlT_T0_E_clISt17integral_constantIbLb0EESY_EEDaST_SU_EUlST_E_NS1_11comp_targetILNS1_3genE3ELNS1_11target_archE908ELNS1_3gpuE7ELNS1_3repE0EEENS1_30default_config_static_selectorELNS0_4arch9wavefront6targetE1EEEvT1_
	.globl	_ZN7rocprim17ROCPRIM_400000_NS6detail17trampoline_kernelINS0_14default_configENS1_33run_length_encode_config_selectorIljNS0_4plusIjEEEEZZNS1_33reduce_by_key_impl_wrapped_configILNS1_25lookback_scan_determinismE0ES3_S7_PKlNS0_17constant_iteratorIjlEEPlSE_SE_S6_NS0_8equal_toIlEEEE10hipError_tPvRmT2_T3_mT4_T5_T6_T7_T8_P12ihipStream_tbENKUlT_T0_E_clISt17integral_constantIbLb0EESY_EEDaST_SU_EUlST_E_NS1_11comp_targetILNS1_3genE3ELNS1_11target_archE908ELNS1_3gpuE7ELNS1_3repE0EEENS1_30default_config_static_selectorELNS0_4arch9wavefront6targetE1EEEvT1_
	.p2align	8
	.type	_ZN7rocprim17ROCPRIM_400000_NS6detail17trampoline_kernelINS0_14default_configENS1_33run_length_encode_config_selectorIljNS0_4plusIjEEEEZZNS1_33reduce_by_key_impl_wrapped_configILNS1_25lookback_scan_determinismE0ES3_S7_PKlNS0_17constant_iteratorIjlEEPlSE_SE_S6_NS0_8equal_toIlEEEE10hipError_tPvRmT2_T3_mT4_T5_T6_T7_T8_P12ihipStream_tbENKUlT_T0_E_clISt17integral_constantIbLb0EESY_EEDaST_SU_EUlST_E_NS1_11comp_targetILNS1_3genE3ELNS1_11target_archE908ELNS1_3gpuE7ELNS1_3repE0EEENS1_30default_config_static_selectorELNS0_4arch9wavefront6targetE1EEEvT1_,@function
_ZN7rocprim17ROCPRIM_400000_NS6detail17trampoline_kernelINS0_14default_configENS1_33run_length_encode_config_selectorIljNS0_4plusIjEEEEZZNS1_33reduce_by_key_impl_wrapped_configILNS1_25lookback_scan_determinismE0ES3_S7_PKlNS0_17constant_iteratorIjlEEPlSE_SE_S6_NS0_8equal_toIlEEEE10hipError_tPvRmT2_T3_mT4_T5_T6_T7_T8_P12ihipStream_tbENKUlT_T0_E_clISt17integral_constantIbLb0EESY_EEDaST_SU_EUlST_E_NS1_11comp_targetILNS1_3genE3ELNS1_11target_archE908ELNS1_3gpuE7ELNS1_3repE0EEENS1_30default_config_static_selectorELNS0_4arch9wavefront6targetE1EEEvT1_: ; @_ZN7rocprim17ROCPRIM_400000_NS6detail17trampoline_kernelINS0_14default_configENS1_33run_length_encode_config_selectorIljNS0_4plusIjEEEEZZNS1_33reduce_by_key_impl_wrapped_configILNS1_25lookback_scan_determinismE0ES3_S7_PKlNS0_17constant_iteratorIjlEEPlSE_SE_S6_NS0_8equal_toIlEEEE10hipError_tPvRmT2_T3_mT4_T5_T6_T7_T8_P12ihipStream_tbENKUlT_T0_E_clISt17integral_constantIbLb0EESY_EEDaST_SU_EUlST_E_NS1_11comp_targetILNS1_3genE3ELNS1_11target_archE908ELNS1_3gpuE7ELNS1_3repE0EEENS1_30default_config_static_selectorELNS0_4arch9wavefront6targetE1EEEvT1_
; %bb.0:
	.section	.rodata,"a",@progbits
	.p2align	6, 0x0
	.amdhsa_kernel _ZN7rocprim17ROCPRIM_400000_NS6detail17trampoline_kernelINS0_14default_configENS1_33run_length_encode_config_selectorIljNS0_4plusIjEEEEZZNS1_33reduce_by_key_impl_wrapped_configILNS1_25lookback_scan_determinismE0ES3_S7_PKlNS0_17constant_iteratorIjlEEPlSE_SE_S6_NS0_8equal_toIlEEEE10hipError_tPvRmT2_T3_mT4_T5_T6_T7_T8_P12ihipStream_tbENKUlT_T0_E_clISt17integral_constantIbLb0EESY_EEDaST_SU_EUlST_E_NS1_11comp_targetILNS1_3genE3ELNS1_11target_archE908ELNS1_3gpuE7ELNS1_3repE0EEENS1_30default_config_static_selectorELNS0_4arch9wavefront6targetE1EEEvT1_
		.amdhsa_group_segment_fixed_size 0
		.amdhsa_private_segment_fixed_size 0
		.amdhsa_kernarg_size 128
		.amdhsa_user_sgpr_count 2
		.amdhsa_user_sgpr_dispatch_ptr 0
		.amdhsa_user_sgpr_queue_ptr 0
		.amdhsa_user_sgpr_kernarg_segment_ptr 1
		.amdhsa_user_sgpr_dispatch_id 0
		.amdhsa_user_sgpr_kernarg_preload_length 0
		.amdhsa_user_sgpr_kernarg_preload_offset 0
		.amdhsa_user_sgpr_private_segment_size 0
		.amdhsa_uses_dynamic_stack 0
		.amdhsa_enable_private_segment 0
		.amdhsa_system_sgpr_workgroup_id_x 1
		.amdhsa_system_sgpr_workgroup_id_y 0
		.amdhsa_system_sgpr_workgroup_id_z 0
		.amdhsa_system_sgpr_workgroup_info 0
		.amdhsa_system_vgpr_workitem_id 0
		.amdhsa_next_free_vgpr 1
		.amdhsa_next_free_sgpr 0
		.amdhsa_accum_offset 4
		.amdhsa_reserve_vcc 0
		.amdhsa_float_round_mode_32 0
		.amdhsa_float_round_mode_16_64 0
		.amdhsa_float_denorm_mode_32 3
		.amdhsa_float_denorm_mode_16_64 3
		.amdhsa_dx10_clamp 1
		.amdhsa_ieee_mode 1
		.amdhsa_fp16_overflow 0
		.amdhsa_tg_split 0
		.amdhsa_exception_fp_ieee_invalid_op 0
		.amdhsa_exception_fp_denorm_src 0
		.amdhsa_exception_fp_ieee_div_zero 0
		.amdhsa_exception_fp_ieee_overflow 0
		.amdhsa_exception_fp_ieee_underflow 0
		.amdhsa_exception_fp_ieee_inexact 0
		.amdhsa_exception_int_div_zero 0
	.end_amdhsa_kernel
	.section	.text._ZN7rocprim17ROCPRIM_400000_NS6detail17trampoline_kernelINS0_14default_configENS1_33run_length_encode_config_selectorIljNS0_4plusIjEEEEZZNS1_33reduce_by_key_impl_wrapped_configILNS1_25lookback_scan_determinismE0ES3_S7_PKlNS0_17constant_iteratorIjlEEPlSE_SE_S6_NS0_8equal_toIlEEEE10hipError_tPvRmT2_T3_mT4_T5_T6_T7_T8_P12ihipStream_tbENKUlT_T0_E_clISt17integral_constantIbLb0EESY_EEDaST_SU_EUlST_E_NS1_11comp_targetILNS1_3genE3ELNS1_11target_archE908ELNS1_3gpuE7ELNS1_3repE0EEENS1_30default_config_static_selectorELNS0_4arch9wavefront6targetE1EEEvT1_,"axG",@progbits,_ZN7rocprim17ROCPRIM_400000_NS6detail17trampoline_kernelINS0_14default_configENS1_33run_length_encode_config_selectorIljNS0_4plusIjEEEEZZNS1_33reduce_by_key_impl_wrapped_configILNS1_25lookback_scan_determinismE0ES3_S7_PKlNS0_17constant_iteratorIjlEEPlSE_SE_S6_NS0_8equal_toIlEEEE10hipError_tPvRmT2_T3_mT4_T5_T6_T7_T8_P12ihipStream_tbENKUlT_T0_E_clISt17integral_constantIbLb0EESY_EEDaST_SU_EUlST_E_NS1_11comp_targetILNS1_3genE3ELNS1_11target_archE908ELNS1_3gpuE7ELNS1_3repE0EEENS1_30default_config_static_selectorELNS0_4arch9wavefront6targetE1EEEvT1_,comdat
.Lfunc_end514:
	.size	_ZN7rocprim17ROCPRIM_400000_NS6detail17trampoline_kernelINS0_14default_configENS1_33run_length_encode_config_selectorIljNS0_4plusIjEEEEZZNS1_33reduce_by_key_impl_wrapped_configILNS1_25lookback_scan_determinismE0ES3_S7_PKlNS0_17constant_iteratorIjlEEPlSE_SE_S6_NS0_8equal_toIlEEEE10hipError_tPvRmT2_T3_mT4_T5_T6_T7_T8_P12ihipStream_tbENKUlT_T0_E_clISt17integral_constantIbLb0EESY_EEDaST_SU_EUlST_E_NS1_11comp_targetILNS1_3genE3ELNS1_11target_archE908ELNS1_3gpuE7ELNS1_3repE0EEENS1_30default_config_static_selectorELNS0_4arch9wavefront6targetE1EEEvT1_, .Lfunc_end514-_ZN7rocprim17ROCPRIM_400000_NS6detail17trampoline_kernelINS0_14default_configENS1_33run_length_encode_config_selectorIljNS0_4plusIjEEEEZZNS1_33reduce_by_key_impl_wrapped_configILNS1_25lookback_scan_determinismE0ES3_S7_PKlNS0_17constant_iteratorIjlEEPlSE_SE_S6_NS0_8equal_toIlEEEE10hipError_tPvRmT2_T3_mT4_T5_T6_T7_T8_P12ihipStream_tbENKUlT_T0_E_clISt17integral_constantIbLb0EESY_EEDaST_SU_EUlST_E_NS1_11comp_targetILNS1_3genE3ELNS1_11target_archE908ELNS1_3gpuE7ELNS1_3repE0EEENS1_30default_config_static_selectorELNS0_4arch9wavefront6targetE1EEEvT1_
                                        ; -- End function
	.section	.AMDGPU.csdata,"",@progbits
; Kernel info:
; codeLenInByte = 0
; NumSgprs: 6
; NumVgprs: 0
; NumAgprs: 0
; TotalNumVgprs: 0
; ScratchSize: 0
; MemoryBound: 0
; FloatMode: 240
; IeeeMode: 1
; LDSByteSize: 0 bytes/workgroup (compile time only)
; SGPRBlocks: 0
; VGPRBlocks: 0
; NumSGPRsForWavesPerEU: 6
; NumVGPRsForWavesPerEU: 1
; AccumOffset: 4
; Occupancy: 8
; WaveLimiterHint : 0
; COMPUTE_PGM_RSRC2:SCRATCH_EN: 0
; COMPUTE_PGM_RSRC2:USER_SGPR: 2
; COMPUTE_PGM_RSRC2:TRAP_HANDLER: 0
; COMPUTE_PGM_RSRC2:TGID_X_EN: 1
; COMPUTE_PGM_RSRC2:TGID_Y_EN: 0
; COMPUTE_PGM_RSRC2:TGID_Z_EN: 0
; COMPUTE_PGM_RSRC2:TIDIG_COMP_CNT: 0
; COMPUTE_PGM_RSRC3_GFX90A:ACCUM_OFFSET: 0
; COMPUTE_PGM_RSRC3_GFX90A:TG_SPLIT: 0
	.section	.text._ZN7rocprim17ROCPRIM_400000_NS6detail17trampoline_kernelINS0_14default_configENS1_33run_length_encode_config_selectorIljNS0_4plusIjEEEEZZNS1_33reduce_by_key_impl_wrapped_configILNS1_25lookback_scan_determinismE0ES3_S7_PKlNS0_17constant_iteratorIjlEEPlSE_SE_S6_NS0_8equal_toIlEEEE10hipError_tPvRmT2_T3_mT4_T5_T6_T7_T8_P12ihipStream_tbENKUlT_T0_E_clISt17integral_constantIbLb0EESY_EEDaST_SU_EUlST_E_NS1_11comp_targetILNS1_3genE2ELNS1_11target_archE906ELNS1_3gpuE6ELNS1_3repE0EEENS1_30default_config_static_selectorELNS0_4arch9wavefront6targetE1EEEvT1_,"axG",@progbits,_ZN7rocprim17ROCPRIM_400000_NS6detail17trampoline_kernelINS0_14default_configENS1_33run_length_encode_config_selectorIljNS0_4plusIjEEEEZZNS1_33reduce_by_key_impl_wrapped_configILNS1_25lookback_scan_determinismE0ES3_S7_PKlNS0_17constant_iteratorIjlEEPlSE_SE_S6_NS0_8equal_toIlEEEE10hipError_tPvRmT2_T3_mT4_T5_T6_T7_T8_P12ihipStream_tbENKUlT_T0_E_clISt17integral_constantIbLb0EESY_EEDaST_SU_EUlST_E_NS1_11comp_targetILNS1_3genE2ELNS1_11target_archE906ELNS1_3gpuE6ELNS1_3repE0EEENS1_30default_config_static_selectorELNS0_4arch9wavefront6targetE1EEEvT1_,comdat
	.protected	_ZN7rocprim17ROCPRIM_400000_NS6detail17trampoline_kernelINS0_14default_configENS1_33run_length_encode_config_selectorIljNS0_4plusIjEEEEZZNS1_33reduce_by_key_impl_wrapped_configILNS1_25lookback_scan_determinismE0ES3_S7_PKlNS0_17constant_iteratorIjlEEPlSE_SE_S6_NS0_8equal_toIlEEEE10hipError_tPvRmT2_T3_mT4_T5_T6_T7_T8_P12ihipStream_tbENKUlT_T0_E_clISt17integral_constantIbLb0EESY_EEDaST_SU_EUlST_E_NS1_11comp_targetILNS1_3genE2ELNS1_11target_archE906ELNS1_3gpuE6ELNS1_3repE0EEENS1_30default_config_static_selectorELNS0_4arch9wavefront6targetE1EEEvT1_ ; -- Begin function _ZN7rocprim17ROCPRIM_400000_NS6detail17trampoline_kernelINS0_14default_configENS1_33run_length_encode_config_selectorIljNS0_4plusIjEEEEZZNS1_33reduce_by_key_impl_wrapped_configILNS1_25lookback_scan_determinismE0ES3_S7_PKlNS0_17constant_iteratorIjlEEPlSE_SE_S6_NS0_8equal_toIlEEEE10hipError_tPvRmT2_T3_mT4_T5_T6_T7_T8_P12ihipStream_tbENKUlT_T0_E_clISt17integral_constantIbLb0EESY_EEDaST_SU_EUlST_E_NS1_11comp_targetILNS1_3genE2ELNS1_11target_archE906ELNS1_3gpuE6ELNS1_3repE0EEENS1_30default_config_static_selectorELNS0_4arch9wavefront6targetE1EEEvT1_
	.globl	_ZN7rocprim17ROCPRIM_400000_NS6detail17trampoline_kernelINS0_14default_configENS1_33run_length_encode_config_selectorIljNS0_4plusIjEEEEZZNS1_33reduce_by_key_impl_wrapped_configILNS1_25lookback_scan_determinismE0ES3_S7_PKlNS0_17constant_iteratorIjlEEPlSE_SE_S6_NS0_8equal_toIlEEEE10hipError_tPvRmT2_T3_mT4_T5_T6_T7_T8_P12ihipStream_tbENKUlT_T0_E_clISt17integral_constantIbLb0EESY_EEDaST_SU_EUlST_E_NS1_11comp_targetILNS1_3genE2ELNS1_11target_archE906ELNS1_3gpuE6ELNS1_3repE0EEENS1_30default_config_static_selectorELNS0_4arch9wavefront6targetE1EEEvT1_
	.p2align	8
	.type	_ZN7rocprim17ROCPRIM_400000_NS6detail17trampoline_kernelINS0_14default_configENS1_33run_length_encode_config_selectorIljNS0_4plusIjEEEEZZNS1_33reduce_by_key_impl_wrapped_configILNS1_25lookback_scan_determinismE0ES3_S7_PKlNS0_17constant_iteratorIjlEEPlSE_SE_S6_NS0_8equal_toIlEEEE10hipError_tPvRmT2_T3_mT4_T5_T6_T7_T8_P12ihipStream_tbENKUlT_T0_E_clISt17integral_constantIbLb0EESY_EEDaST_SU_EUlST_E_NS1_11comp_targetILNS1_3genE2ELNS1_11target_archE906ELNS1_3gpuE6ELNS1_3repE0EEENS1_30default_config_static_selectorELNS0_4arch9wavefront6targetE1EEEvT1_,@function
_ZN7rocprim17ROCPRIM_400000_NS6detail17trampoline_kernelINS0_14default_configENS1_33run_length_encode_config_selectorIljNS0_4plusIjEEEEZZNS1_33reduce_by_key_impl_wrapped_configILNS1_25lookback_scan_determinismE0ES3_S7_PKlNS0_17constant_iteratorIjlEEPlSE_SE_S6_NS0_8equal_toIlEEEE10hipError_tPvRmT2_T3_mT4_T5_T6_T7_T8_P12ihipStream_tbENKUlT_T0_E_clISt17integral_constantIbLb0EESY_EEDaST_SU_EUlST_E_NS1_11comp_targetILNS1_3genE2ELNS1_11target_archE906ELNS1_3gpuE6ELNS1_3repE0EEENS1_30default_config_static_selectorELNS0_4arch9wavefront6targetE1EEEvT1_: ; @_ZN7rocprim17ROCPRIM_400000_NS6detail17trampoline_kernelINS0_14default_configENS1_33run_length_encode_config_selectorIljNS0_4plusIjEEEEZZNS1_33reduce_by_key_impl_wrapped_configILNS1_25lookback_scan_determinismE0ES3_S7_PKlNS0_17constant_iteratorIjlEEPlSE_SE_S6_NS0_8equal_toIlEEEE10hipError_tPvRmT2_T3_mT4_T5_T6_T7_T8_P12ihipStream_tbENKUlT_T0_E_clISt17integral_constantIbLb0EESY_EEDaST_SU_EUlST_E_NS1_11comp_targetILNS1_3genE2ELNS1_11target_archE906ELNS1_3gpuE6ELNS1_3repE0EEENS1_30default_config_static_selectorELNS0_4arch9wavefront6targetE1EEEvT1_
; %bb.0:
	.section	.rodata,"a",@progbits
	.p2align	6, 0x0
	.amdhsa_kernel _ZN7rocprim17ROCPRIM_400000_NS6detail17trampoline_kernelINS0_14default_configENS1_33run_length_encode_config_selectorIljNS0_4plusIjEEEEZZNS1_33reduce_by_key_impl_wrapped_configILNS1_25lookback_scan_determinismE0ES3_S7_PKlNS0_17constant_iteratorIjlEEPlSE_SE_S6_NS0_8equal_toIlEEEE10hipError_tPvRmT2_T3_mT4_T5_T6_T7_T8_P12ihipStream_tbENKUlT_T0_E_clISt17integral_constantIbLb0EESY_EEDaST_SU_EUlST_E_NS1_11comp_targetILNS1_3genE2ELNS1_11target_archE906ELNS1_3gpuE6ELNS1_3repE0EEENS1_30default_config_static_selectorELNS0_4arch9wavefront6targetE1EEEvT1_
		.amdhsa_group_segment_fixed_size 0
		.amdhsa_private_segment_fixed_size 0
		.amdhsa_kernarg_size 128
		.amdhsa_user_sgpr_count 2
		.amdhsa_user_sgpr_dispatch_ptr 0
		.amdhsa_user_sgpr_queue_ptr 0
		.amdhsa_user_sgpr_kernarg_segment_ptr 1
		.amdhsa_user_sgpr_dispatch_id 0
		.amdhsa_user_sgpr_kernarg_preload_length 0
		.amdhsa_user_sgpr_kernarg_preload_offset 0
		.amdhsa_user_sgpr_private_segment_size 0
		.amdhsa_uses_dynamic_stack 0
		.amdhsa_enable_private_segment 0
		.amdhsa_system_sgpr_workgroup_id_x 1
		.amdhsa_system_sgpr_workgroup_id_y 0
		.amdhsa_system_sgpr_workgroup_id_z 0
		.amdhsa_system_sgpr_workgroup_info 0
		.amdhsa_system_vgpr_workitem_id 0
		.amdhsa_next_free_vgpr 1
		.amdhsa_next_free_sgpr 0
		.amdhsa_accum_offset 4
		.amdhsa_reserve_vcc 0
		.amdhsa_float_round_mode_32 0
		.amdhsa_float_round_mode_16_64 0
		.amdhsa_float_denorm_mode_32 3
		.amdhsa_float_denorm_mode_16_64 3
		.amdhsa_dx10_clamp 1
		.amdhsa_ieee_mode 1
		.amdhsa_fp16_overflow 0
		.amdhsa_tg_split 0
		.amdhsa_exception_fp_ieee_invalid_op 0
		.amdhsa_exception_fp_denorm_src 0
		.amdhsa_exception_fp_ieee_div_zero 0
		.amdhsa_exception_fp_ieee_overflow 0
		.amdhsa_exception_fp_ieee_underflow 0
		.amdhsa_exception_fp_ieee_inexact 0
		.amdhsa_exception_int_div_zero 0
	.end_amdhsa_kernel
	.section	.text._ZN7rocprim17ROCPRIM_400000_NS6detail17trampoline_kernelINS0_14default_configENS1_33run_length_encode_config_selectorIljNS0_4plusIjEEEEZZNS1_33reduce_by_key_impl_wrapped_configILNS1_25lookback_scan_determinismE0ES3_S7_PKlNS0_17constant_iteratorIjlEEPlSE_SE_S6_NS0_8equal_toIlEEEE10hipError_tPvRmT2_T3_mT4_T5_T6_T7_T8_P12ihipStream_tbENKUlT_T0_E_clISt17integral_constantIbLb0EESY_EEDaST_SU_EUlST_E_NS1_11comp_targetILNS1_3genE2ELNS1_11target_archE906ELNS1_3gpuE6ELNS1_3repE0EEENS1_30default_config_static_selectorELNS0_4arch9wavefront6targetE1EEEvT1_,"axG",@progbits,_ZN7rocprim17ROCPRIM_400000_NS6detail17trampoline_kernelINS0_14default_configENS1_33run_length_encode_config_selectorIljNS0_4plusIjEEEEZZNS1_33reduce_by_key_impl_wrapped_configILNS1_25lookback_scan_determinismE0ES3_S7_PKlNS0_17constant_iteratorIjlEEPlSE_SE_S6_NS0_8equal_toIlEEEE10hipError_tPvRmT2_T3_mT4_T5_T6_T7_T8_P12ihipStream_tbENKUlT_T0_E_clISt17integral_constantIbLb0EESY_EEDaST_SU_EUlST_E_NS1_11comp_targetILNS1_3genE2ELNS1_11target_archE906ELNS1_3gpuE6ELNS1_3repE0EEENS1_30default_config_static_selectorELNS0_4arch9wavefront6targetE1EEEvT1_,comdat
.Lfunc_end515:
	.size	_ZN7rocprim17ROCPRIM_400000_NS6detail17trampoline_kernelINS0_14default_configENS1_33run_length_encode_config_selectorIljNS0_4plusIjEEEEZZNS1_33reduce_by_key_impl_wrapped_configILNS1_25lookback_scan_determinismE0ES3_S7_PKlNS0_17constant_iteratorIjlEEPlSE_SE_S6_NS0_8equal_toIlEEEE10hipError_tPvRmT2_T3_mT4_T5_T6_T7_T8_P12ihipStream_tbENKUlT_T0_E_clISt17integral_constantIbLb0EESY_EEDaST_SU_EUlST_E_NS1_11comp_targetILNS1_3genE2ELNS1_11target_archE906ELNS1_3gpuE6ELNS1_3repE0EEENS1_30default_config_static_selectorELNS0_4arch9wavefront6targetE1EEEvT1_, .Lfunc_end515-_ZN7rocprim17ROCPRIM_400000_NS6detail17trampoline_kernelINS0_14default_configENS1_33run_length_encode_config_selectorIljNS0_4plusIjEEEEZZNS1_33reduce_by_key_impl_wrapped_configILNS1_25lookback_scan_determinismE0ES3_S7_PKlNS0_17constant_iteratorIjlEEPlSE_SE_S6_NS0_8equal_toIlEEEE10hipError_tPvRmT2_T3_mT4_T5_T6_T7_T8_P12ihipStream_tbENKUlT_T0_E_clISt17integral_constantIbLb0EESY_EEDaST_SU_EUlST_E_NS1_11comp_targetILNS1_3genE2ELNS1_11target_archE906ELNS1_3gpuE6ELNS1_3repE0EEENS1_30default_config_static_selectorELNS0_4arch9wavefront6targetE1EEEvT1_
                                        ; -- End function
	.section	.AMDGPU.csdata,"",@progbits
; Kernel info:
; codeLenInByte = 0
; NumSgprs: 6
; NumVgprs: 0
; NumAgprs: 0
; TotalNumVgprs: 0
; ScratchSize: 0
; MemoryBound: 0
; FloatMode: 240
; IeeeMode: 1
; LDSByteSize: 0 bytes/workgroup (compile time only)
; SGPRBlocks: 0
; VGPRBlocks: 0
; NumSGPRsForWavesPerEU: 6
; NumVGPRsForWavesPerEU: 1
; AccumOffset: 4
; Occupancy: 8
; WaveLimiterHint : 0
; COMPUTE_PGM_RSRC2:SCRATCH_EN: 0
; COMPUTE_PGM_RSRC2:USER_SGPR: 2
; COMPUTE_PGM_RSRC2:TRAP_HANDLER: 0
; COMPUTE_PGM_RSRC2:TGID_X_EN: 1
; COMPUTE_PGM_RSRC2:TGID_Y_EN: 0
; COMPUTE_PGM_RSRC2:TGID_Z_EN: 0
; COMPUTE_PGM_RSRC2:TIDIG_COMP_CNT: 0
; COMPUTE_PGM_RSRC3_GFX90A:ACCUM_OFFSET: 0
; COMPUTE_PGM_RSRC3_GFX90A:TG_SPLIT: 0
	.section	.text._ZN7rocprim17ROCPRIM_400000_NS6detail17trampoline_kernelINS0_14default_configENS1_33run_length_encode_config_selectorIljNS0_4plusIjEEEEZZNS1_33reduce_by_key_impl_wrapped_configILNS1_25lookback_scan_determinismE0ES3_S7_PKlNS0_17constant_iteratorIjlEEPlSE_SE_S6_NS0_8equal_toIlEEEE10hipError_tPvRmT2_T3_mT4_T5_T6_T7_T8_P12ihipStream_tbENKUlT_T0_E_clISt17integral_constantIbLb0EESY_EEDaST_SU_EUlST_E_NS1_11comp_targetILNS1_3genE10ELNS1_11target_archE1201ELNS1_3gpuE5ELNS1_3repE0EEENS1_30default_config_static_selectorELNS0_4arch9wavefront6targetE1EEEvT1_,"axG",@progbits,_ZN7rocprim17ROCPRIM_400000_NS6detail17trampoline_kernelINS0_14default_configENS1_33run_length_encode_config_selectorIljNS0_4plusIjEEEEZZNS1_33reduce_by_key_impl_wrapped_configILNS1_25lookback_scan_determinismE0ES3_S7_PKlNS0_17constant_iteratorIjlEEPlSE_SE_S6_NS0_8equal_toIlEEEE10hipError_tPvRmT2_T3_mT4_T5_T6_T7_T8_P12ihipStream_tbENKUlT_T0_E_clISt17integral_constantIbLb0EESY_EEDaST_SU_EUlST_E_NS1_11comp_targetILNS1_3genE10ELNS1_11target_archE1201ELNS1_3gpuE5ELNS1_3repE0EEENS1_30default_config_static_selectorELNS0_4arch9wavefront6targetE1EEEvT1_,comdat
	.protected	_ZN7rocprim17ROCPRIM_400000_NS6detail17trampoline_kernelINS0_14default_configENS1_33run_length_encode_config_selectorIljNS0_4plusIjEEEEZZNS1_33reduce_by_key_impl_wrapped_configILNS1_25lookback_scan_determinismE0ES3_S7_PKlNS0_17constant_iteratorIjlEEPlSE_SE_S6_NS0_8equal_toIlEEEE10hipError_tPvRmT2_T3_mT4_T5_T6_T7_T8_P12ihipStream_tbENKUlT_T0_E_clISt17integral_constantIbLb0EESY_EEDaST_SU_EUlST_E_NS1_11comp_targetILNS1_3genE10ELNS1_11target_archE1201ELNS1_3gpuE5ELNS1_3repE0EEENS1_30default_config_static_selectorELNS0_4arch9wavefront6targetE1EEEvT1_ ; -- Begin function _ZN7rocprim17ROCPRIM_400000_NS6detail17trampoline_kernelINS0_14default_configENS1_33run_length_encode_config_selectorIljNS0_4plusIjEEEEZZNS1_33reduce_by_key_impl_wrapped_configILNS1_25lookback_scan_determinismE0ES3_S7_PKlNS0_17constant_iteratorIjlEEPlSE_SE_S6_NS0_8equal_toIlEEEE10hipError_tPvRmT2_T3_mT4_T5_T6_T7_T8_P12ihipStream_tbENKUlT_T0_E_clISt17integral_constantIbLb0EESY_EEDaST_SU_EUlST_E_NS1_11comp_targetILNS1_3genE10ELNS1_11target_archE1201ELNS1_3gpuE5ELNS1_3repE0EEENS1_30default_config_static_selectorELNS0_4arch9wavefront6targetE1EEEvT1_
	.globl	_ZN7rocprim17ROCPRIM_400000_NS6detail17trampoline_kernelINS0_14default_configENS1_33run_length_encode_config_selectorIljNS0_4plusIjEEEEZZNS1_33reduce_by_key_impl_wrapped_configILNS1_25lookback_scan_determinismE0ES3_S7_PKlNS0_17constant_iteratorIjlEEPlSE_SE_S6_NS0_8equal_toIlEEEE10hipError_tPvRmT2_T3_mT4_T5_T6_T7_T8_P12ihipStream_tbENKUlT_T0_E_clISt17integral_constantIbLb0EESY_EEDaST_SU_EUlST_E_NS1_11comp_targetILNS1_3genE10ELNS1_11target_archE1201ELNS1_3gpuE5ELNS1_3repE0EEENS1_30default_config_static_selectorELNS0_4arch9wavefront6targetE1EEEvT1_
	.p2align	8
	.type	_ZN7rocprim17ROCPRIM_400000_NS6detail17trampoline_kernelINS0_14default_configENS1_33run_length_encode_config_selectorIljNS0_4plusIjEEEEZZNS1_33reduce_by_key_impl_wrapped_configILNS1_25lookback_scan_determinismE0ES3_S7_PKlNS0_17constant_iteratorIjlEEPlSE_SE_S6_NS0_8equal_toIlEEEE10hipError_tPvRmT2_T3_mT4_T5_T6_T7_T8_P12ihipStream_tbENKUlT_T0_E_clISt17integral_constantIbLb0EESY_EEDaST_SU_EUlST_E_NS1_11comp_targetILNS1_3genE10ELNS1_11target_archE1201ELNS1_3gpuE5ELNS1_3repE0EEENS1_30default_config_static_selectorELNS0_4arch9wavefront6targetE1EEEvT1_,@function
_ZN7rocprim17ROCPRIM_400000_NS6detail17trampoline_kernelINS0_14default_configENS1_33run_length_encode_config_selectorIljNS0_4plusIjEEEEZZNS1_33reduce_by_key_impl_wrapped_configILNS1_25lookback_scan_determinismE0ES3_S7_PKlNS0_17constant_iteratorIjlEEPlSE_SE_S6_NS0_8equal_toIlEEEE10hipError_tPvRmT2_T3_mT4_T5_T6_T7_T8_P12ihipStream_tbENKUlT_T0_E_clISt17integral_constantIbLb0EESY_EEDaST_SU_EUlST_E_NS1_11comp_targetILNS1_3genE10ELNS1_11target_archE1201ELNS1_3gpuE5ELNS1_3repE0EEENS1_30default_config_static_selectorELNS0_4arch9wavefront6targetE1EEEvT1_: ; @_ZN7rocprim17ROCPRIM_400000_NS6detail17trampoline_kernelINS0_14default_configENS1_33run_length_encode_config_selectorIljNS0_4plusIjEEEEZZNS1_33reduce_by_key_impl_wrapped_configILNS1_25lookback_scan_determinismE0ES3_S7_PKlNS0_17constant_iteratorIjlEEPlSE_SE_S6_NS0_8equal_toIlEEEE10hipError_tPvRmT2_T3_mT4_T5_T6_T7_T8_P12ihipStream_tbENKUlT_T0_E_clISt17integral_constantIbLb0EESY_EEDaST_SU_EUlST_E_NS1_11comp_targetILNS1_3genE10ELNS1_11target_archE1201ELNS1_3gpuE5ELNS1_3repE0EEENS1_30default_config_static_selectorELNS0_4arch9wavefront6targetE1EEEvT1_
; %bb.0:
	.section	.rodata,"a",@progbits
	.p2align	6, 0x0
	.amdhsa_kernel _ZN7rocprim17ROCPRIM_400000_NS6detail17trampoline_kernelINS0_14default_configENS1_33run_length_encode_config_selectorIljNS0_4plusIjEEEEZZNS1_33reduce_by_key_impl_wrapped_configILNS1_25lookback_scan_determinismE0ES3_S7_PKlNS0_17constant_iteratorIjlEEPlSE_SE_S6_NS0_8equal_toIlEEEE10hipError_tPvRmT2_T3_mT4_T5_T6_T7_T8_P12ihipStream_tbENKUlT_T0_E_clISt17integral_constantIbLb0EESY_EEDaST_SU_EUlST_E_NS1_11comp_targetILNS1_3genE10ELNS1_11target_archE1201ELNS1_3gpuE5ELNS1_3repE0EEENS1_30default_config_static_selectorELNS0_4arch9wavefront6targetE1EEEvT1_
		.amdhsa_group_segment_fixed_size 0
		.amdhsa_private_segment_fixed_size 0
		.amdhsa_kernarg_size 128
		.amdhsa_user_sgpr_count 2
		.amdhsa_user_sgpr_dispatch_ptr 0
		.amdhsa_user_sgpr_queue_ptr 0
		.amdhsa_user_sgpr_kernarg_segment_ptr 1
		.amdhsa_user_sgpr_dispatch_id 0
		.amdhsa_user_sgpr_kernarg_preload_length 0
		.amdhsa_user_sgpr_kernarg_preload_offset 0
		.amdhsa_user_sgpr_private_segment_size 0
		.amdhsa_uses_dynamic_stack 0
		.amdhsa_enable_private_segment 0
		.amdhsa_system_sgpr_workgroup_id_x 1
		.amdhsa_system_sgpr_workgroup_id_y 0
		.amdhsa_system_sgpr_workgroup_id_z 0
		.amdhsa_system_sgpr_workgroup_info 0
		.amdhsa_system_vgpr_workitem_id 0
		.amdhsa_next_free_vgpr 1
		.amdhsa_next_free_sgpr 0
		.amdhsa_accum_offset 4
		.amdhsa_reserve_vcc 0
		.amdhsa_float_round_mode_32 0
		.amdhsa_float_round_mode_16_64 0
		.amdhsa_float_denorm_mode_32 3
		.amdhsa_float_denorm_mode_16_64 3
		.amdhsa_dx10_clamp 1
		.amdhsa_ieee_mode 1
		.amdhsa_fp16_overflow 0
		.amdhsa_tg_split 0
		.amdhsa_exception_fp_ieee_invalid_op 0
		.amdhsa_exception_fp_denorm_src 0
		.amdhsa_exception_fp_ieee_div_zero 0
		.amdhsa_exception_fp_ieee_overflow 0
		.amdhsa_exception_fp_ieee_underflow 0
		.amdhsa_exception_fp_ieee_inexact 0
		.amdhsa_exception_int_div_zero 0
	.end_amdhsa_kernel
	.section	.text._ZN7rocprim17ROCPRIM_400000_NS6detail17trampoline_kernelINS0_14default_configENS1_33run_length_encode_config_selectorIljNS0_4plusIjEEEEZZNS1_33reduce_by_key_impl_wrapped_configILNS1_25lookback_scan_determinismE0ES3_S7_PKlNS0_17constant_iteratorIjlEEPlSE_SE_S6_NS0_8equal_toIlEEEE10hipError_tPvRmT2_T3_mT4_T5_T6_T7_T8_P12ihipStream_tbENKUlT_T0_E_clISt17integral_constantIbLb0EESY_EEDaST_SU_EUlST_E_NS1_11comp_targetILNS1_3genE10ELNS1_11target_archE1201ELNS1_3gpuE5ELNS1_3repE0EEENS1_30default_config_static_selectorELNS0_4arch9wavefront6targetE1EEEvT1_,"axG",@progbits,_ZN7rocprim17ROCPRIM_400000_NS6detail17trampoline_kernelINS0_14default_configENS1_33run_length_encode_config_selectorIljNS0_4plusIjEEEEZZNS1_33reduce_by_key_impl_wrapped_configILNS1_25lookback_scan_determinismE0ES3_S7_PKlNS0_17constant_iteratorIjlEEPlSE_SE_S6_NS0_8equal_toIlEEEE10hipError_tPvRmT2_T3_mT4_T5_T6_T7_T8_P12ihipStream_tbENKUlT_T0_E_clISt17integral_constantIbLb0EESY_EEDaST_SU_EUlST_E_NS1_11comp_targetILNS1_3genE10ELNS1_11target_archE1201ELNS1_3gpuE5ELNS1_3repE0EEENS1_30default_config_static_selectorELNS0_4arch9wavefront6targetE1EEEvT1_,comdat
.Lfunc_end516:
	.size	_ZN7rocprim17ROCPRIM_400000_NS6detail17trampoline_kernelINS0_14default_configENS1_33run_length_encode_config_selectorIljNS0_4plusIjEEEEZZNS1_33reduce_by_key_impl_wrapped_configILNS1_25lookback_scan_determinismE0ES3_S7_PKlNS0_17constant_iteratorIjlEEPlSE_SE_S6_NS0_8equal_toIlEEEE10hipError_tPvRmT2_T3_mT4_T5_T6_T7_T8_P12ihipStream_tbENKUlT_T0_E_clISt17integral_constantIbLb0EESY_EEDaST_SU_EUlST_E_NS1_11comp_targetILNS1_3genE10ELNS1_11target_archE1201ELNS1_3gpuE5ELNS1_3repE0EEENS1_30default_config_static_selectorELNS0_4arch9wavefront6targetE1EEEvT1_, .Lfunc_end516-_ZN7rocprim17ROCPRIM_400000_NS6detail17trampoline_kernelINS0_14default_configENS1_33run_length_encode_config_selectorIljNS0_4plusIjEEEEZZNS1_33reduce_by_key_impl_wrapped_configILNS1_25lookback_scan_determinismE0ES3_S7_PKlNS0_17constant_iteratorIjlEEPlSE_SE_S6_NS0_8equal_toIlEEEE10hipError_tPvRmT2_T3_mT4_T5_T6_T7_T8_P12ihipStream_tbENKUlT_T0_E_clISt17integral_constantIbLb0EESY_EEDaST_SU_EUlST_E_NS1_11comp_targetILNS1_3genE10ELNS1_11target_archE1201ELNS1_3gpuE5ELNS1_3repE0EEENS1_30default_config_static_selectorELNS0_4arch9wavefront6targetE1EEEvT1_
                                        ; -- End function
	.section	.AMDGPU.csdata,"",@progbits
; Kernel info:
; codeLenInByte = 0
; NumSgprs: 6
; NumVgprs: 0
; NumAgprs: 0
; TotalNumVgprs: 0
; ScratchSize: 0
; MemoryBound: 0
; FloatMode: 240
; IeeeMode: 1
; LDSByteSize: 0 bytes/workgroup (compile time only)
; SGPRBlocks: 0
; VGPRBlocks: 0
; NumSGPRsForWavesPerEU: 6
; NumVGPRsForWavesPerEU: 1
; AccumOffset: 4
; Occupancy: 8
; WaveLimiterHint : 0
; COMPUTE_PGM_RSRC2:SCRATCH_EN: 0
; COMPUTE_PGM_RSRC2:USER_SGPR: 2
; COMPUTE_PGM_RSRC2:TRAP_HANDLER: 0
; COMPUTE_PGM_RSRC2:TGID_X_EN: 1
; COMPUTE_PGM_RSRC2:TGID_Y_EN: 0
; COMPUTE_PGM_RSRC2:TGID_Z_EN: 0
; COMPUTE_PGM_RSRC2:TIDIG_COMP_CNT: 0
; COMPUTE_PGM_RSRC3_GFX90A:ACCUM_OFFSET: 0
; COMPUTE_PGM_RSRC3_GFX90A:TG_SPLIT: 0
	.section	.text._ZN7rocprim17ROCPRIM_400000_NS6detail17trampoline_kernelINS0_14default_configENS1_33run_length_encode_config_selectorIljNS0_4plusIjEEEEZZNS1_33reduce_by_key_impl_wrapped_configILNS1_25lookback_scan_determinismE0ES3_S7_PKlNS0_17constant_iteratorIjlEEPlSE_SE_S6_NS0_8equal_toIlEEEE10hipError_tPvRmT2_T3_mT4_T5_T6_T7_T8_P12ihipStream_tbENKUlT_T0_E_clISt17integral_constantIbLb0EESY_EEDaST_SU_EUlST_E_NS1_11comp_targetILNS1_3genE10ELNS1_11target_archE1200ELNS1_3gpuE4ELNS1_3repE0EEENS1_30default_config_static_selectorELNS0_4arch9wavefront6targetE1EEEvT1_,"axG",@progbits,_ZN7rocprim17ROCPRIM_400000_NS6detail17trampoline_kernelINS0_14default_configENS1_33run_length_encode_config_selectorIljNS0_4plusIjEEEEZZNS1_33reduce_by_key_impl_wrapped_configILNS1_25lookback_scan_determinismE0ES3_S7_PKlNS0_17constant_iteratorIjlEEPlSE_SE_S6_NS0_8equal_toIlEEEE10hipError_tPvRmT2_T3_mT4_T5_T6_T7_T8_P12ihipStream_tbENKUlT_T0_E_clISt17integral_constantIbLb0EESY_EEDaST_SU_EUlST_E_NS1_11comp_targetILNS1_3genE10ELNS1_11target_archE1200ELNS1_3gpuE4ELNS1_3repE0EEENS1_30default_config_static_selectorELNS0_4arch9wavefront6targetE1EEEvT1_,comdat
	.protected	_ZN7rocprim17ROCPRIM_400000_NS6detail17trampoline_kernelINS0_14default_configENS1_33run_length_encode_config_selectorIljNS0_4plusIjEEEEZZNS1_33reduce_by_key_impl_wrapped_configILNS1_25lookback_scan_determinismE0ES3_S7_PKlNS0_17constant_iteratorIjlEEPlSE_SE_S6_NS0_8equal_toIlEEEE10hipError_tPvRmT2_T3_mT4_T5_T6_T7_T8_P12ihipStream_tbENKUlT_T0_E_clISt17integral_constantIbLb0EESY_EEDaST_SU_EUlST_E_NS1_11comp_targetILNS1_3genE10ELNS1_11target_archE1200ELNS1_3gpuE4ELNS1_3repE0EEENS1_30default_config_static_selectorELNS0_4arch9wavefront6targetE1EEEvT1_ ; -- Begin function _ZN7rocprim17ROCPRIM_400000_NS6detail17trampoline_kernelINS0_14default_configENS1_33run_length_encode_config_selectorIljNS0_4plusIjEEEEZZNS1_33reduce_by_key_impl_wrapped_configILNS1_25lookback_scan_determinismE0ES3_S7_PKlNS0_17constant_iteratorIjlEEPlSE_SE_S6_NS0_8equal_toIlEEEE10hipError_tPvRmT2_T3_mT4_T5_T6_T7_T8_P12ihipStream_tbENKUlT_T0_E_clISt17integral_constantIbLb0EESY_EEDaST_SU_EUlST_E_NS1_11comp_targetILNS1_3genE10ELNS1_11target_archE1200ELNS1_3gpuE4ELNS1_3repE0EEENS1_30default_config_static_selectorELNS0_4arch9wavefront6targetE1EEEvT1_
	.globl	_ZN7rocprim17ROCPRIM_400000_NS6detail17trampoline_kernelINS0_14default_configENS1_33run_length_encode_config_selectorIljNS0_4plusIjEEEEZZNS1_33reduce_by_key_impl_wrapped_configILNS1_25lookback_scan_determinismE0ES3_S7_PKlNS0_17constant_iteratorIjlEEPlSE_SE_S6_NS0_8equal_toIlEEEE10hipError_tPvRmT2_T3_mT4_T5_T6_T7_T8_P12ihipStream_tbENKUlT_T0_E_clISt17integral_constantIbLb0EESY_EEDaST_SU_EUlST_E_NS1_11comp_targetILNS1_3genE10ELNS1_11target_archE1200ELNS1_3gpuE4ELNS1_3repE0EEENS1_30default_config_static_selectorELNS0_4arch9wavefront6targetE1EEEvT1_
	.p2align	8
	.type	_ZN7rocprim17ROCPRIM_400000_NS6detail17trampoline_kernelINS0_14default_configENS1_33run_length_encode_config_selectorIljNS0_4plusIjEEEEZZNS1_33reduce_by_key_impl_wrapped_configILNS1_25lookback_scan_determinismE0ES3_S7_PKlNS0_17constant_iteratorIjlEEPlSE_SE_S6_NS0_8equal_toIlEEEE10hipError_tPvRmT2_T3_mT4_T5_T6_T7_T8_P12ihipStream_tbENKUlT_T0_E_clISt17integral_constantIbLb0EESY_EEDaST_SU_EUlST_E_NS1_11comp_targetILNS1_3genE10ELNS1_11target_archE1200ELNS1_3gpuE4ELNS1_3repE0EEENS1_30default_config_static_selectorELNS0_4arch9wavefront6targetE1EEEvT1_,@function
_ZN7rocprim17ROCPRIM_400000_NS6detail17trampoline_kernelINS0_14default_configENS1_33run_length_encode_config_selectorIljNS0_4plusIjEEEEZZNS1_33reduce_by_key_impl_wrapped_configILNS1_25lookback_scan_determinismE0ES3_S7_PKlNS0_17constant_iteratorIjlEEPlSE_SE_S6_NS0_8equal_toIlEEEE10hipError_tPvRmT2_T3_mT4_T5_T6_T7_T8_P12ihipStream_tbENKUlT_T0_E_clISt17integral_constantIbLb0EESY_EEDaST_SU_EUlST_E_NS1_11comp_targetILNS1_3genE10ELNS1_11target_archE1200ELNS1_3gpuE4ELNS1_3repE0EEENS1_30default_config_static_selectorELNS0_4arch9wavefront6targetE1EEEvT1_: ; @_ZN7rocprim17ROCPRIM_400000_NS6detail17trampoline_kernelINS0_14default_configENS1_33run_length_encode_config_selectorIljNS0_4plusIjEEEEZZNS1_33reduce_by_key_impl_wrapped_configILNS1_25lookback_scan_determinismE0ES3_S7_PKlNS0_17constant_iteratorIjlEEPlSE_SE_S6_NS0_8equal_toIlEEEE10hipError_tPvRmT2_T3_mT4_T5_T6_T7_T8_P12ihipStream_tbENKUlT_T0_E_clISt17integral_constantIbLb0EESY_EEDaST_SU_EUlST_E_NS1_11comp_targetILNS1_3genE10ELNS1_11target_archE1200ELNS1_3gpuE4ELNS1_3repE0EEENS1_30default_config_static_selectorELNS0_4arch9wavefront6targetE1EEEvT1_
; %bb.0:
	.section	.rodata,"a",@progbits
	.p2align	6, 0x0
	.amdhsa_kernel _ZN7rocprim17ROCPRIM_400000_NS6detail17trampoline_kernelINS0_14default_configENS1_33run_length_encode_config_selectorIljNS0_4plusIjEEEEZZNS1_33reduce_by_key_impl_wrapped_configILNS1_25lookback_scan_determinismE0ES3_S7_PKlNS0_17constant_iteratorIjlEEPlSE_SE_S6_NS0_8equal_toIlEEEE10hipError_tPvRmT2_T3_mT4_T5_T6_T7_T8_P12ihipStream_tbENKUlT_T0_E_clISt17integral_constantIbLb0EESY_EEDaST_SU_EUlST_E_NS1_11comp_targetILNS1_3genE10ELNS1_11target_archE1200ELNS1_3gpuE4ELNS1_3repE0EEENS1_30default_config_static_selectorELNS0_4arch9wavefront6targetE1EEEvT1_
		.amdhsa_group_segment_fixed_size 0
		.amdhsa_private_segment_fixed_size 0
		.amdhsa_kernarg_size 128
		.amdhsa_user_sgpr_count 2
		.amdhsa_user_sgpr_dispatch_ptr 0
		.amdhsa_user_sgpr_queue_ptr 0
		.amdhsa_user_sgpr_kernarg_segment_ptr 1
		.amdhsa_user_sgpr_dispatch_id 0
		.amdhsa_user_sgpr_kernarg_preload_length 0
		.amdhsa_user_sgpr_kernarg_preload_offset 0
		.amdhsa_user_sgpr_private_segment_size 0
		.amdhsa_uses_dynamic_stack 0
		.amdhsa_enable_private_segment 0
		.amdhsa_system_sgpr_workgroup_id_x 1
		.amdhsa_system_sgpr_workgroup_id_y 0
		.amdhsa_system_sgpr_workgroup_id_z 0
		.amdhsa_system_sgpr_workgroup_info 0
		.amdhsa_system_vgpr_workitem_id 0
		.amdhsa_next_free_vgpr 1
		.amdhsa_next_free_sgpr 0
		.amdhsa_accum_offset 4
		.amdhsa_reserve_vcc 0
		.amdhsa_float_round_mode_32 0
		.amdhsa_float_round_mode_16_64 0
		.amdhsa_float_denorm_mode_32 3
		.amdhsa_float_denorm_mode_16_64 3
		.amdhsa_dx10_clamp 1
		.amdhsa_ieee_mode 1
		.amdhsa_fp16_overflow 0
		.amdhsa_tg_split 0
		.amdhsa_exception_fp_ieee_invalid_op 0
		.amdhsa_exception_fp_denorm_src 0
		.amdhsa_exception_fp_ieee_div_zero 0
		.amdhsa_exception_fp_ieee_overflow 0
		.amdhsa_exception_fp_ieee_underflow 0
		.amdhsa_exception_fp_ieee_inexact 0
		.amdhsa_exception_int_div_zero 0
	.end_amdhsa_kernel
	.section	.text._ZN7rocprim17ROCPRIM_400000_NS6detail17trampoline_kernelINS0_14default_configENS1_33run_length_encode_config_selectorIljNS0_4plusIjEEEEZZNS1_33reduce_by_key_impl_wrapped_configILNS1_25lookback_scan_determinismE0ES3_S7_PKlNS0_17constant_iteratorIjlEEPlSE_SE_S6_NS0_8equal_toIlEEEE10hipError_tPvRmT2_T3_mT4_T5_T6_T7_T8_P12ihipStream_tbENKUlT_T0_E_clISt17integral_constantIbLb0EESY_EEDaST_SU_EUlST_E_NS1_11comp_targetILNS1_3genE10ELNS1_11target_archE1200ELNS1_3gpuE4ELNS1_3repE0EEENS1_30default_config_static_selectorELNS0_4arch9wavefront6targetE1EEEvT1_,"axG",@progbits,_ZN7rocprim17ROCPRIM_400000_NS6detail17trampoline_kernelINS0_14default_configENS1_33run_length_encode_config_selectorIljNS0_4plusIjEEEEZZNS1_33reduce_by_key_impl_wrapped_configILNS1_25lookback_scan_determinismE0ES3_S7_PKlNS0_17constant_iteratorIjlEEPlSE_SE_S6_NS0_8equal_toIlEEEE10hipError_tPvRmT2_T3_mT4_T5_T6_T7_T8_P12ihipStream_tbENKUlT_T0_E_clISt17integral_constantIbLb0EESY_EEDaST_SU_EUlST_E_NS1_11comp_targetILNS1_3genE10ELNS1_11target_archE1200ELNS1_3gpuE4ELNS1_3repE0EEENS1_30default_config_static_selectorELNS0_4arch9wavefront6targetE1EEEvT1_,comdat
.Lfunc_end517:
	.size	_ZN7rocprim17ROCPRIM_400000_NS6detail17trampoline_kernelINS0_14default_configENS1_33run_length_encode_config_selectorIljNS0_4plusIjEEEEZZNS1_33reduce_by_key_impl_wrapped_configILNS1_25lookback_scan_determinismE0ES3_S7_PKlNS0_17constant_iteratorIjlEEPlSE_SE_S6_NS0_8equal_toIlEEEE10hipError_tPvRmT2_T3_mT4_T5_T6_T7_T8_P12ihipStream_tbENKUlT_T0_E_clISt17integral_constantIbLb0EESY_EEDaST_SU_EUlST_E_NS1_11comp_targetILNS1_3genE10ELNS1_11target_archE1200ELNS1_3gpuE4ELNS1_3repE0EEENS1_30default_config_static_selectorELNS0_4arch9wavefront6targetE1EEEvT1_, .Lfunc_end517-_ZN7rocprim17ROCPRIM_400000_NS6detail17trampoline_kernelINS0_14default_configENS1_33run_length_encode_config_selectorIljNS0_4plusIjEEEEZZNS1_33reduce_by_key_impl_wrapped_configILNS1_25lookback_scan_determinismE0ES3_S7_PKlNS0_17constant_iteratorIjlEEPlSE_SE_S6_NS0_8equal_toIlEEEE10hipError_tPvRmT2_T3_mT4_T5_T6_T7_T8_P12ihipStream_tbENKUlT_T0_E_clISt17integral_constantIbLb0EESY_EEDaST_SU_EUlST_E_NS1_11comp_targetILNS1_3genE10ELNS1_11target_archE1200ELNS1_3gpuE4ELNS1_3repE0EEENS1_30default_config_static_selectorELNS0_4arch9wavefront6targetE1EEEvT1_
                                        ; -- End function
	.section	.AMDGPU.csdata,"",@progbits
; Kernel info:
; codeLenInByte = 0
; NumSgprs: 6
; NumVgprs: 0
; NumAgprs: 0
; TotalNumVgprs: 0
; ScratchSize: 0
; MemoryBound: 0
; FloatMode: 240
; IeeeMode: 1
; LDSByteSize: 0 bytes/workgroup (compile time only)
; SGPRBlocks: 0
; VGPRBlocks: 0
; NumSGPRsForWavesPerEU: 6
; NumVGPRsForWavesPerEU: 1
; AccumOffset: 4
; Occupancy: 8
; WaveLimiterHint : 0
; COMPUTE_PGM_RSRC2:SCRATCH_EN: 0
; COMPUTE_PGM_RSRC2:USER_SGPR: 2
; COMPUTE_PGM_RSRC2:TRAP_HANDLER: 0
; COMPUTE_PGM_RSRC2:TGID_X_EN: 1
; COMPUTE_PGM_RSRC2:TGID_Y_EN: 0
; COMPUTE_PGM_RSRC2:TGID_Z_EN: 0
; COMPUTE_PGM_RSRC2:TIDIG_COMP_CNT: 0
; COMPUTE_PGM_RSRC3_GFX90A:ACCUM_OFFSET: 0
; COMPUTE_PGM_RSRC3_GFX90A:TG_SPLIT: 0
	.section	.text._ZN7rocprim17ROCPRIM_400000_NS6detail17trampoline_kernelINS0_14default_configENS1_33run_length_encode_config_selectorIljNS0_4plusIjEEEEZZNS1_33reduce_by_key_impl_wrapped_configILNS1_25lookback_scan_determinismE0ES3_S7_PKlNS0_17constant_iteratorIjlEEPlSE_SE_S6_NS0_8equal_toIlEEEE10hipError_tPvRmT2_T3_mT4_T5_T6_T7_T8_P12ihipStream_tbENKUlT_T0_E_clISt17integral_constantIbLb0EESY_EEDaST_SU_EUlST_E_NS1_11comp_targetILNS1_3genE9ELNS1_11target_archE1100ELNS1_3gpuE3ELNS1_3repE0EEENS1_30default_config_static_selectorELNS0_4arch9wavefront6targetE1EEEvT1_,"axG",@progbits,_ZN7rocprim17ROCPRIM_400000_NS6detail17trampoline_kernelINS0_14default_configENS1_33run_length_encode_config_selectorIljNS0_4plusIjEEEEZZNS1_33reduce_by_key_impl_wrapped_configILNS1_25lookback_scan_determinismE0ES3_S7_PKlNS0_17constant_iteratorIjlEEPlSE_SE_S6_NS0_8equal_toIlEEEE10hipError_tPvRmT2_T3_mT4_T5_T6_T7_T8_P12ihipStream_tbENKUlT_T0_E_clISt17integral_constantIbLb0EESY_EEDaST_SU_EUlST_E_NS1_11comp_targetILNS1_3genE9ELNS1_11target_archE1100ELNS1_3gpuE3ELNS1_3repE0EEENS1_30default_config_static_selectorELNS0_4arch9wavefront6targetE1EEEvT1_,comdat
	.protected	_ZN7rocprim17ROCPRIM_400000_NS6detail17trampoline_kernelINS0_14default_configENS1_33run_length_encode_config_selectorIljNS0_4plusIjEEEEZZNS1_33reduce_by_key_impl_wrapped_configILNS1_25lookback_scan_determinismE0ES3_S7_PKlNS0_17constant_iteratorIjlEEPlSE_SE_S6_NS0_8equal_toIlEEEE10hipError_tPvRmT2_T3_mT4_T5_T6_T7_T8_P12ihipStream_tbENKUlT_T0_E_clISt17integral_constantIbLb0EESY_EEDaST_SU_EUlST_E_NS1_11comp_targetILNS1_3genE9ELNS1_11target_archE1100ELNS1_3gpuE3ELNS1_3repE0EEENS1_30default_config_static_selectorELNS0_4arch9wavefront6targetE1EEEvT1_ ; -- Begin function _ZN7rocprim17ROCPRIM_400000_NS6detail17trampoline_kernelINS0_14default_configENS1_33run_length_encode_config_selectorIljNS0_4plusIjEEEEZZNS1_33reduce_by_key_impl_wrapped_configILNS1_25lookback_scan_determinismE0ES3_S7_PKlNS0_17constant_iteratorIjlEEPlSE_SE_S6_NS0_8equal_toIlEEEE10hipError_tPvRmT2_T3_mT4_T5_T6_T7_T8_P12ihipStream_tbENKUlT_T0_E_clISt17integral_constantIbLb0EESY_EEDaST_SU_EUlST_E_NS1_11comp_targetILNS1_3genE9ELNS1_11target_archE1100ELNS1_3gpuE3ELNS1_3repE0EEENS1_30default_config_static_selectorELNS0_4arch9wavefront6targetE1EEEvT1_
	.globl	_ZN7rocprim17ROCPRIM_400000_NS6detail17trampoline_kernelINS0_14default_configENS1_33run_length_encode_config_selectorIljNS0_4plusIjEEEEZZNS1_33reduce_by_key_impl_wrapped_configILNS1_25lookback_scan_determinismE0ES3_S7_PKlNS0_17constant_iteratorIjlEEPlSE_SE_S6_NS0_8equal_toIlEEEE10hipError_tPvRmT2_T3_mT4_T5_T6_T7_T8_P12ihipStream_tbENKUlT_T0_E_clISt17integral_constantIbLb0EESY_EEDaST_SU_EUlST_E_NS1_11comp_targetILNS1_3genE9ELNS1_11target_archE1100ELNS1_3gpuE3ELNS1_3repE0EEENS1_30default_config_static_selectorELNS0_4arch9wavefront6targetE1EEEvT1_
	.p2align	8
	.type	_ZN7rocprim17ROCPRIM_400000_NS6detail17trampoline_kernelINS0_14default_configENS1_33run_length_encode_config_selectorIljNS0_4plusIjEEEEZZNS1_33reduce_by_key_impl_wrapped_configILNS1_25lookback_scan_determinismE0ES3_S7_PKlNS0_17constant_iteratorIjlEEPlSE_SE_S6_NS0_8equal_toIlEEEE10hipError_tPvRmT2_T3_mT4_T5_T6_T7_T8_P12ihipStream_tbENKUlT_T0_E_clISt17integral_constantIbLb0EESY_EEDaST_SU_EUlST_E_NS1_11comp_targetILNS1_3genE9ELNS1_11target_archE1100ELNS1_3gpuE3ELNS1_3repE0EEENS1_30default_config_static_selectorELNS0_4arch9wavefront6targetE1EEEvT1_,@function
_ZN7rocprim17ROCPRIM_400000_NS6detail17trampoline_kernelINS0_14default_configENS1_33run_length_encode_config_selectorIljNS0_4plusIjEEEEZZNS1_33reduce_by_key_impl_wrapped_configILNS1_25lookback_scan_determinismE0ES3_S7_PKlNS0_17constant_iteratorIjlEEPlSE_SE_S6_NS0_8equal_toIlEEEE10hipError_tPvRmT2_T3_mT4_T5_T6_T7_T8_P12ihipStream_tbENKUlT_T0_E_clISt17integral_constantIbLb0EESY_EEDaST_SU_EUlST_E_NS1_11comp_targetILNS1_3genE9ELNS1_11target_archE1100ELNS1_3gpuE3ELNS1_3repE0EEENS1_30default_config_static_selectorELNS0_4arch9wavefront6targetE1EEEvT1_: ; @_ZN7rocprim17ROCPRIM_400000_NS6detail17trampoline_kernelINS0_14default_configENS1_33run_length_encode_config_selectorIljNS0_4plusIjEEEEZZNS1_33reduce_by_key_impl_wrapped_configILNS1_25lookback_scan_determinismE0ES3_S7_PKlNS0_17constant_iteratorIjlEEPlSE_SE_S6_NS0_8equal_toIlEEEE10hipError_tPvRmT2_T3_mT4_T5_T6_T7_T8_P12ihipStream_tbENKUlT_T0_E_clISt17integral_constantIbLb0EESY_EEDaST_SU_EUlST_E_NS1_11comp_targetILNS1_3genE9ELNS1_11target_archE1100ELNS1_3gpuE3ELNS1_3repE0EEENS1_30default_config_static_selectorELNS0_4arch9wavefront6targetE1EEEvT1_
; %bb.0:
	.section	.rodata,"a",@progbits
	.p2align	6, 0x0
	.amdhsa_kernel _ZN7rocprim17ROCPRIM_400000_NS6detail17trampoline_kernelINS0_14default_configENS1_33run_length_encode_config_selectorIljNS0_4plusIjEEEEZZNS1_33reduce_by_key_impl_wrapped_configILNS1_25lookback_scan_determinismE0ES3_S7_PKlNS0_17constant_iteratorIjlEEPlSE_SE_S6_NS0_8equal_toIlEEEE10hipError_tPvRmT2_T3_mT4_T5_T6_T7_T8_P12ihipStream_tbENKUlT_T0_E_clISt17integral_constantIbLb0EESY_EEDaST_SU_EUlST_E_NS1_11comp_targetILNS1_3genE9ELNS1_11target_archE1100ELNS1_3gpuE3ELNS1_3repE0EEENS1_30default_config_static_selectorELNS0_4arch9wavefront6targetE1EEEvT1_
		.amdhsa_group_segment_fixed_size 0
		.amdhsa_private_segment_fixed_size 0
		.amdhsa_kernarg_size 128
		.amdhsa_user_sgpr_count 2
		.amdhsa_user_sgpr_dispatch_ptr 0
		.amdhsa_user_sgpr_queue_ptr 0
		.amdhsa_user_sgpr_kernarg_segment_ptr 1
		.amdhsa_user_sgpr_dispatch_id 0
		.amdhsa_user_sgpr_kernarg_preload_length 0
		.amdhsa_user_sgpr_kernarg_preload_offset 0
		.amdhsa_user_sgpr_private_segment_size 0
		.amdhsa_uses_dynamic_stack 0
		.amdhsa_enable_private_segment 0
		.amdhsa_system_sgpr_workgroup_id_x 1
		.amdhsa_system_sgpr_workgroup_id_y 0
		.amdhsa_system_sgpr_workgroup_id_z 0
		.amdhsa_system_sgpr_workgroup_info 0
		.amdhsa_system_vgpr_workitem_id 0
		.amdhsa_next_free_vgpr 1
		.amdhsa_next_free_sgpr 0
		.amdhsa_accum_offset 4
		.amdhsa_reserve_vcc 0
		.amdhsa_float_round_mode_32 0
		.amdhsa_float_round_mode_16_64 0
		.amdhsa_float_denorm_mode_32 3
		.amdhsa_float_denorm_mode_16_64 3
		.amdhsa_dx10_clamp 1
		.amdhsa_ieee_mode 1
		.amdhsa_fp16_overflow 0
		.amdhsa_tg_split 0
		.amdhsa_exception_fp_ieee_invalid_op 0
		.amdhsa_exception_fp_denorm_src 0
		.amdhsa_exception_fp_ieee_div_zero 0
		.amdhsa_exception_fp_ieee_overflow 0
		.amdhsa_exception_fp_ieee_underflow 0
		.amdhsa_exception_fp_ieee_inexact 0
		.amdhsa_exception_int_div_zero 0
	.end_amdhsa_kernel
	.section	.text._ZN7rocprim17ROCPRIM_400000_NS6detail17trampoline_kernelINS0_14default_configENS1_33run_length_encode_config_selectorIljNS0_4plusIjEEEEZZNS1_33reduce_by_key_impl_wrapped_configILNS1_25lookback_scan_determinismE0ES3_S7_PKlNS0_17constant_iteratorIjlEEPlSE_SE_S6_NS0_8equal_toIlEEEE10hipError_tPvRmT2_T3_mT4_T5_T6_T7_T8_P12ihipStream_tbENKUlT_T0_E_clISt17integral_constantIbLb0EESY_EEDaST_SU_EUlST_E_NS1_11comp_targetILNS1_3genE9ELNS1_11target_archE1100ELNS1_3gpuE3ELNS1_3repE0EEENS1_30default_config_static_selectorELNS0_4arch9wavefront6targetE1EEEvT1_,"axG",@progbits,_ZN7rocprim17ROCPRIM_400000_NS6detail17trampoline_kernelINS0_14default_configENS1_33run_length_encode_config_selectorIljNS0_4plusIjEEEEZZNS1_33reduce_by_key_impl_wrapped_configILNS1_25lookback_scan_determinismE0ES3_S7_PKlNS0_17constant_iteratorIjlEEPlSE_SE_S6_NS0_8equal_toIlEEEE10hipError_tPvRmT2_T3_mT4_T5_T6_T7_T8_P12ihipStream_tbENKUlT_T0_E_clISt17integral_constantIbLb0EESY_EEDaST_SU_EUlST_E_NS1_11comp_targetILNS1_3genE9ELNS1_11target_archE1100ELNS1_3gpuE3ELNS1_3repE0EEENS1_30default_config_static_selectorELNS0_4arch9wavefront6targetE1EEEvT1_,comdat
.Lfunc_end518:
	.size	_ZN7rocprim17ROCPRIM_400000_NS6detail17trampoline_kernelINS0_14default_configENS1_33run_length_encode_config_selectorIljNS0_4plusIjEEEEZZNS1_33reduce_by_key_impl_wrapped_configILNS1_25lookback_scan_determinismE0ES3_S7_PKlNS0_17constant_iteratorIjlEEPlSE_SE_S6_NS0_8equal_toIlEEEE10hipError_tPvRmT2_T3_mT4_T5_T6_T7_T8_P12ihipStream_tbENKUlT_T0_E_clISt17integral_constantIbLb0EESY_EEDaST_SU_EUlST_E_NS1_11comp_targetILNS1_3genE9ELNS1_11target_archE1100ELNS1_3gpuE3ELNS1_3repE0EEENS1_30default_config_static_selectorELNS0_4arch9wavefront6targetE1EEEvT1_, .Lfunc_end518-_ZN7rocprim17ROCPRIM_400000_NS6detail17trampoline_kernelINS0_14default_configENS1_33run_length_encode_config_selectorIljNS0_4plusIjEEEEZZNS1_33reduce_by_key_impl_wrapped_configILNS1_25lookback_scan_determinismE0ES3_S7_PKlNS0_17constant_iteratorIjlEEPlSE_SE_S6_NS0_8equal_toIlEEEE10hipError_tPvRmT2_T3_mT4_T5_T6_T7_T8_P12ihipStream_tbENKUlT_T0_E_clISt17integral_constantIbLb0EESY_EEDaST_SU_EUlST_E_NS1_11comp_targetILNS1_3genE9ELNS1_11target_archE1100ELNS1_3gpuE3ELNS1_3repE0EEENS1_30default_config_static_selectorELNS0_4arch9wavefront6targetE1EEEvT1_
                                        ; -- End function
	.section	.AMDGPU.csdata,"",@progbits
; Kernel info:
; codeLenInByte = 0
; NumSgprs: 6
; NumVgprs: 0
; NumAgprs: 0
; TotalNumVgprs: 0
; ScratchSize: 0
; MemoryBound: 0
; FloatMode: 240
; IeeeMode: 1
; LDSByteSize: 0 bytes/workgroup (compile time only)
; SGPRBlocks: 0
; VGPRBlocks: 0
; NumSGPRsForWavesPerEU: 6
; NumVGPRsForWavesPerEU: 1
; AccumOffset: 4
; Occupancy: 8
; WaveLimiterHint : 0
; COMPUTE_PGM_RSRC2:SCRATCH_EN: 0
; COMPUTE_PGM_RSRC2:USER_SGPR: 2
; COMPUTE_PGM_RSRC2:TRAP_HANDLER: 0
; COMPUTE_PGM_RSRC2:TGID_X_EN: 1
; COMPUTE_PGM_RSRC2:TGID_Y_EN: 0
; COMPUTE_PGM_RSRC2:TGID_Z_EN: 0
; COMPUTE_PGM_RSRC2:TIDIG_COMP_CNT: 0
; COMPUTE_PGM_RSRC3_GFX90A:ACCUM_OFFSET: 0
; COMPUTE_PGM_RSRC3_GFX90A:TG_SPLIT: 0
	.section	.text._ZN7rocprim17ROCPRIM_400000_NS6detail17trampoline_kernelINS0_14default_configENS1_33run_length_encode_config_selectorIljNS0_4plusIjEEEEZZNS1_33reduce_by_key_impl_wrapped_configILNS1_25lookback_scan_determinismE0ES3_S7_PKlNS0_17constant_iteratorIjlEEPlSE_SE_S6_NS0_8equal_toIlEEEE10hipError_tPvRmT2_T3_mT4_T5_T6_T7_T8_P12ihipStream_tbENKUlT_T0_E_clISt17integral_constantIbLb0EESY_EEDaST_SU_EUlST_E_NS1_11comp_targetILNS1_3genE8ELNS1_11target_archE1030ELNS1_3gpuE2ELNS1_3repE0EEENS1_30default_config_static_selectorELNS0_4arch9wavefront6targetE1EEEvT1_,"axG",@progbits,_ZN7rocprim17ROCPRIM_400000_NS6detail17trampoline_kernelINS0_14default_configENS1_33run_length_encode_config_selectorIljNS0_4plusIjEEEEZZNS1_33reduce_by_key_impl_wrapped_configILNS1_25lookback_scan_determinismE0ES3_S7_PKlNS0_17constant_iteratorIjlEEPlSE_SE_S6_NS0_8equal_toIlEEEE10hipError_tPvRmT2_T3_mT4_T5_T6_T7_T8_P12ihipStream_tbENKUlT_T0_E_clISt17integral_constantIbLb0EESY_EEDaST_SU_EUlST_E_NS1_11comp_targetILNS1_3genE8ELNS1_11target_archE1030ELNS1_3gpuE2ELNS1_3repE0EEENS1_30default_config_static_selectorELNS0_4arch9wavefront6targetE1EEEvT1_,comdat
	.protected	_ZN7rocprim17ROCPRIM_400000_NS6detail17trampoline_kernelINS0_14default_configENS1_33run_length_encode_config_selectorIljNS0_4plusIjEEEEZZNS1_33reduce_by_key_impl_wrapped_configILNS1_25lookback_scan_determinismE0ES3_S7_PKlNS0_17constant_iteratorIjlEEPlSE_SE_S6_NS0_8equal_toIlEEEE10hipError_tPvRmT2_T3_mT4_T5_T6_T7_T8_P12ihipStream_tbENKUlT_T0_E_clISt17integral_constantIbLb0EESY_EEDaST_SU_EUlST_E_NS1_11comp_targetILNS1_3genE8ELNS1_11target_archE1030ELNS1_3gpuE2ELNS1_3repE0EEENS1_30default_config_static_selectorELNS0_4arch9wavefront6targetE1EEEvT1_ ; -- Begin function _ZN7rocprim17ROCPRIM_400000_NS6detail17trampoline_kernelINS0_14default_configENS1_33run_length_encode_config_selectorIljNS0_4plusIjEEEEZZNS1_33reduce_by_key_impl_wrapped_configILNS1_25lookback_scan_determinismE0ES3_S7_PKlNS0_17constant_iteratorIjlEEPlSE_SE_S6_NS0_8equal_toIlEEEE10hipError_tPvRmT2_T3_mT4_T5_T6_T7_T8_P12ihipStream_tbENKUlT_T0_E_clISt17integral_constantIbLb0EESY_EEDaST_SU_EUlST_E_NS1_11comp_targetILNS1_3genE8ELNS1_11target_archE1030ELNS1_3gpuE2ELNS1_3repE0EEENS1_30default_config_static_selectorELNS0_4arch9wavefront6targetE1EEEvT1_
	.globl	_ZN7rocprim17ROCPRIM_400000_NS6detail17trampoline_kernelINS0_14default_configENS1_33run_length_encode_config_selectorIljNS0_4plusIjEEEEZZNS1_33reduce_by_key_impl_wrapped_configILNS1_25lookback_scan_determinismE0ES3_S7_PKlNS0_17constant_iteratorIjlEEPlSE_SE_S6_NS0_8equal_toIlEEEE10hipError_tPvRmT2_T3_mT4_T5_T6_T7_T8_P12ihipStream_tbENKUlT_T0_E_clISt17integral_constantIbLb0EESY_EEDaST_SU_EUlST_E_NS1_11comp_targetILNS1_3genE8ELNS1_11target_archE1030ELNS1_3gpuE2ELNS1_3repE0EEENS1_30default_config_static_selectorELNS0_4arch9wavefront6targetE1EEEvT1_
	.p2align	8
	.type	_ZN7rocprim17ROCPRIM_400000_NS6detail17trampoline_kernelINS0_14default_configENS1_33run_length_encode_config_selectorIljNS0_4plusIjEEEEZZNS1_33reduce_by_key_impl_wrapped_configILNS1_25lookback_scan_determinismE0ES3_S7_PKlNS0_17constant_iteratorIjlEEPlSE_SE_S6_NS0_8equal_toIlEEEE10hipError_tPvRmT2_T3_mT4_T5_T6_T7_T8_P12ihipStream_tbENKUlT_T0_E_clISt17integral_constantIbLb0EESY_EEDaST_SU_EUlST_E_NS1_11comp_targetILNS1_3genE8ELNS1_11target_archE1030ELNS1_3gpuE2ELNS1_3repE0EEENS1_30default_config_static_selectorELNS0_4arch9wavefront6targetE1EEEvT1_,@function
_ZN7rocprim17ROCPRIM_400000_NS6detail17trampoline_kernelINS0_14default_configENS1_33run_length_encode_config_selectorIljNS0_4plusIjEEEEZZNS1_33reduce_by_key_impl_wrapped_configILNS1_25lookback_scan_determinismE0ES3_S7_PKlNS0_17constant_iteratorIjlEEPlSE_SE_S6_NS0_8equal_toIlEEEE10hipError_tPvRmT2_T3_mT4_T5_T6_T7_T8_P12ihipStream_tbENKUlT_T0_E_clISt17integral_constantIbLb0EESY_EEDaST_SU_EUlST_E_NS1_11comp_targetILNS1_3genE8ELNS1_11target_archE1030ELNS1_3gpuE2ELNS1_3repE0EEENS1_30default_config_static_selectorELNS0_4arch9wavefront6targetE1EEEvT1_: ; @_ZN7rocprim17ROCPRIM_400000_NS6detail17trampoline_kernelINS0_14default_configENS1_33run_length_encode_config_selectorIljNS0_4plusIjEEEEZZNS1_33reduce_by_key_impl_wrapped_configILNS1_25lookback_scan_determinismE0ES3_S7_PKlNS0_17constant_iteratorIjlEEPlSE_SE_S6_NS0_8equal_toIlEEEE10hipError_tPvRmT2_T3_mT4_T5_T6_T7_T8_P12ihipStream_tbENKUlT_T0_E_clISt17integral_constantIbLb0EESY_EEDaST_SU_EUlST_E_NS1_11comp_targetILNS1_3genE8ELNS1_11target_archE1030ELNS1_3gpuE2ELNS1_3repE0EEENS1_30default_config_static_selectorELNS0_4arch9wavefront6targetE1EEEvT1_
; %bb.0:
	.section	.rodata,"a",@progbits
	.p2align	6, 0x0
	.amdhsa_kernel _ZN7rocprim17ROCPRIM_400000_NS6detail17trampoline_kernelINS0_14default_configENS1_33run_length_encode_config_selectorIljNS0_4plusIjEEEEZZNS1_33reduce_by_key_impl_wrapped_configILNS1_25lookback_scan_determinismE0ES3_S7_PKlNS0_17constant_iteratorIjlEEPlSE_SE_S6_NS0_8equal_toIlEEEE10hipError_tPvRmT2_T3_mT4_T5_T6_T7_T8_P12ihipStream_tbENKUlT_T0_E_clISt17integral_constantIbLb0EESY_EEDaST_SU_EUlST_E_NS1_11comp_targetILNS1_3genE8ELNS1_11target_archE1030ELNS1_3gpuE2ELNS1_3repE0EEENS1_30default_config_static_selectorELNS0_4arch9wavefront6targetE1EEEvT1_
		.amdhsa_group_segment_fixed_size 0
		.amdhsa_private_segment_fixed_size 0
		.amdhsa_kernarg_size 128
		.amdhsa_user_sgpr_count 2
		.amdhsa_user_sgpr_dispatch_ptr 0
		.amdhsa_user_sgpr_queue_ptr 0
		.amdhsa_user_sgpr_kernarg_segment_ptr 1
		.amdhsa_user_sgpr_dispatch_id 0
		.amdhsa_user_sgpr_kernarg_preload_length 0
		.amdhsa_user_sgpr_kernarg_preload_offset 0
		.amdhsa_user_sgpr_private_segment_size 0
		.amdhsa_uses_dynamic_stack 0
		.amdhsa_enable_private_segment 0
		.amdhsa_system_sgpr_workgroup_id_x 1
		.amdhsa_system_sgpr_workgroup_id_y 0
		.amdhsa_system_sgpr_workgroup_id_z 0
		.amdhsa_system_sgpr_workgroup_info 0
		.amdhsa_system_vgpr_workitem_id 0
		.amdhsa_next_free_vgpr 1
		.amdhsa_next_free_sgpr 0
		.amdhsa_accum_offset 4
		.amdhsa_reserve_vcc 0
		.amdhsa_float_round_mode_32 0
		.amdhsa_float_round_mode_16_64 0
		.amdhsa_float_denorm_mode_32 3
		.amdhsa_float_denorm_mode_16_64 3
		.amdhsa_dx10_clamp 1
		.amdhsa_ieee_mode 1
		.amdhsa_fp16_overflow 0
		.amdhsa_tg_split 0
		.amdhsa_exception_fp_ieee_invalid_op 0
		.amdhsa_exception_fp_denorm_src 0
		.amdhsa_exception_fp_ieee_div_zero 0
		.amdhsa_exception_fp_ieee_overflow 0
		.amdhsa_exception_fp_ieee_underflow 0
		.amdhsa_exception_fp_ieee_inexact 0
		.amdhsa_exception_int_div_zero 0
	.end_amdhsa_kernel
	.section	.text._ZN7rocprim17ROCPRIM_400000_NS6detail17trampoline_kernelINS0_14default_configENS1_33run_length_encode_config_selectorIljNS0_4plusIjEEEEZZNS1_33reduce_by_key_impl_wrapped_configILNS1_25lookback_scan_determinismE0ES3_S7_PKlNS0_17constant_iteratorIjlEEPlSE_SE_S6_NS0_8equal_toIlEEEE10hipError_tPvRmT2_T3_mT4_T5_T6_T7_T8_P12ihipStream_tbENKUlT_T0_E_clISt17integral_constantIbLb0EESY_EEDaST_SU_EUlST_E_NS1_11comp_targetILNS1_3genE8ELNS1_11target_archE1030ELNS1_3gpuE2ELNS1_3repE0EEENS1_30default_config_static_selectorELNS0_4arch9wavefront6targetE1EEEvT1_,"axG",@progbits,_ZN7rocprim17ROCPRIM_400000_NS6detail17trampoline_kernelINS0_14default_configENS1_33run_length_encode_config_selectorIljNS0_4plusIjEEEEZZNS1_33reduce_by_key_impl_wrapped_configILNS1_25lookback_scan_determinismE0ES3_S7_PKlNS0_17constant_iteratorIjlEEPlSE_SE_S6_NS0_8equal_toIlEEEE10hipError_tPvRmT2_T3_mT4_T5_T6_T7_T8_P12ihipStream_tbENKUlT_T0_E_clISt17integral_constantIbLb0EESY_EEDaST_SU_EUlST_E_NS1_11comp_targetILNS1_3genE8ELNS1_11target_archE1030ELNS1_3gpuE2ELNS1_3repE0EEENS1_30default_config_static_selectorELNS0_4arch9wavefront6targetE1EEEvT1_,comdat
.Lfunc_end519:
	.size	_ZN7rocprim17ROCPRIM_400000_NS6detail17trampoline_kernelINS0_14default_configENS1_33run_length_encode_config_selectorIljNS0_4plusIjEEEEZZNS1_33reduce_by_key_impl_wrapped_configILNS1_25lookback_scan_determinismE0ES3_S7_PKlNS0_17constant_iteratorIjlEEPlSE_SE_S6_NS0_8equal_toIlEEEE10hipError_tPvRmT2_T3_mT4_T5_T6_T7_T8_P12ihipStream_tbENKUlT_T0_E_clISt17integral_constantIbLb0EESY_EEDaST_SU_EUlST_E_NS1_11comp_targetILNS1_3genE8ELNS1_11target_archE1030ELNS1_3gpuE2ELNS1_3repE0EEENS1_30default_config_static_selectorELNS0_4arch9wavefront6targetE1EEEvT1_, .Lfunc_end519-_ZN7rocprim17ROCPRIM_400000_NS6detail17trampoline_kernelINS0_14default_configENS1_33run_length_encode_config_selectorIljNS0_4plusIjEEEEZZNS1_33reduce_by_key_impl_wrapped_configILNS1_25lookback_scan_determinismE0ES3_S7_PKlNS0_17constant_iteratorIjlEEPlSE_SE_S6_NS0_8equal_toIlEEEE10hipError_tPvRmT2_T3_mT4_T5_T6_T7_T8_P12ihipStream_tbENKUlT_T0_E_clISt17integral_constantIbLb0EESY_EEDaST_SU_EUlST_E_NS1_11comp_targetILNS1_3genE8ELNS1_11target_archE1030ELNS1_3gpuE2ELNS1_3repE0EEENS1_30default_config_static_selectorELNS0_4arch9wavefront6targetE1EEEvT1_
                                        ; -- End function
	.section	.AMDGPU.csdata,"",@progbits
; Kernel info:
; codeLenInByte = 0
; NumSgprs: 6
; NumVgprs: 0
; NumAgprs: 0
; TotalNumVgprs: 0
; ScratchSize: 0
; MemoryBound: 0
; FloatMode: 240
; IeeeMode: 1
; LDSByteSize: 0 bytes/workgroup (compile time only)
; SGPRBlocks: 0
; VGPRBlocks: 0
; NumSGPRsForWavesPerEU: 6
; NumVGPRsForWavesPerEU: 1
; AccumOffset: 4
; Occupancy: 8
; WaveLimiterHint : 0
; COMPUTE_PGM_RSRC2:SCRATCH_EN: 0
; COMPUTE_PGM_RSRC2:USER_SGPR: 2
; COMPUTE_PGM_RSRC2:TRAP_HANDLER: 0
; COMPUTE_PGM_RSRC2:TGID_X_EN: 1
; COMPUTE_PGM_RSRC2:TGID_Y_EN: 0
; COMPUTE_PGM_RSRC2:TGID_Z_EN: 0
; COMPUTE_PGM_RSRC2:TIDIG_COMP_CNT: 0
; COMPUTE_PGM_RSRC3_GFX90A:ACCUM_OFFSET: 0
; COMPUTE_PGM_RSRC3_GFX90A:TG_SPLIT: 0
	.section	.text._ZN7rocprim17ROCPRIM_400000_NS6detail17trampoline_kernelINS0_14default_configENS1_33run_length_encode_config_selectorIljNS0_4plusIjEEEEZZNS1_33reduce_by_key_impl_wrapped_configILNS1_25lookback_scan_determinismE0ES3_S7_PKlNS0_17constant_iteratorIjlEEPlSE_SE_S6_NS0_8equal_toIlEEEE10hipError_tPvRmT2_T3_mT4_T5_T6_T7_T8_P12ihipStream_tbENKUlT_T0_E_clISt17integral_constantIbLb1EESY_EEDaST_SU_EUlST_E_NS1_11comp_targetILNS1_3genE0ELNS1_11target_archE4294967295ELNS1_3gpuE0ELNS1_3repE0EEENS1_30default_config_static_selectorELNS0_4arch9wavefront6targetE1EEEvT1_,"axG",@progbits,_ZN7rocprim17ROCPRIM_400000_NS6detail17trampoline_kernelINS0_14default_configENS1_33run_length_encode_config_selectorIljNS0_4plusIjEEEEZZNS1_33reduce_by_key_impl_wrapped_configILNS1_25lookback_scan_determinismE0ES3_S7_PKlNS0_17constant_iteratorIjlEEPlSE_SE_S6_NS0_8equal_toIlEEEE10hipError_tPvRmT2_T3_mT4_T5_T6_T7_T8_P12ihipStream_tbENKUlT_T0_E_clISt17integral_constantIbLb1EESY_EEDaST_SU_EUlST_E_NS1_11comp_targetILNS1_3genE0ELNS1_11target_archE4294967295ELNS1_3gpuE0ELNS1_3repE0EEENS1_30default_config_static_selectorELNS0_4arch9wavefront6targetE1EEEvT1_,comdat
	.protected	_ZN7rocprim17ROCPRIM_400000_NS6detail17trampoline_kernelINS0_14default_configENS1_33run_length_encode_config_selectorIljNS0_4plusIjEEEEZZNS1_33reduce_by_key_impl_wrapped_configILNS1_25lookback_scan_determinismE0ES3_S7_PKlNS0_17constant_iteratorIjlEEPlSE_SE_S6_NS0_8equal_toIlEEEE10hipError_tPvRmT2_T3_mT4_T5_T6_T7_T8_P12ihipStream_tbENKUlT_T0_E_clISt17integral_constantIbLb1EESY_EEDaST_SU_EUlST_E_NS1_11comp_targetILNS1_3genE0ELNS1_11target_archE4294967295ELNS1_3gpuE0ELNS1_3repE0EEENS1_30default_config_static_selectorELNS0_4arch9wavefront6targetE1EEEvT1_ ; -- Begin function _ZN7rocprim17ROCPRIM_400000_NS6detail17trampoline_kernelINS0_14default_configENS1_33run_length_encode_config_selectorIljNS0_4plusIjEEEEZZNS1_33reduce_by_key_impl_wrapped_configILNS1_25lookback_scan_determinismE0ES3_S7_PKlNS0_17constant_iteratorIjlEEPlSE_SE_S6_NS0_8equal_toIlEEEE10hipError_tPvRmT2_T3_mT4_T5_T6_T7_T8_P12ihipStream_tbENKUlT_T0_E_clISt17integral_constantIbLb1EESY_EEDaST_SU_EUlST_E_NS1_11comp_targetILNS1_3genE0ELNS1_11target_archE4294967295ELNS1_3gpuE0ELNS1_3repE0EEENS1_30default_config_static_selectorELNS0_4arch9wavefront6targetE1EEEvT1_
	.globl	_ZN7rocprim17ROCPRIM_400000_NS6detail17trampoline_kernelINS0_14default_configENS1_33run_length_encode_config_selectorIljNS0_4plusIjEEEEZZNS1_33reduce_by_key_impl_wrapped_configILNS1_25lookback_scan_determinismE0ES3_S7_PKlNS0_17constant_iteratorIjlEEPlSE_SE_S6_NS0_8equal_toIlEEEE10hipError_tPvRmT2_T3_mT4_T5_T6_T7_T8_P12ihipStream_tbENKUlT_T0_E_clISt17integral_constantIbLb1EESY_EEDaST_SU_EUlST_E_NS1_11comp_targetILNS1_3genE0ELNS1_11target_archE4294967295ELNS1_3gpuE0ELNS1_3repE0EEENS1_30default_config_static_selectorELNS0_4arch9wavefront6targetE1EEEvT1_
	.p2align	8
	.type	_ZN7rocprim17ROCPRIM_400000_NS6detail17trampoline_kernelINS0_14default_configENS1_33run_length_encode_config_selectorIljNS0_4plusIjEEEEZZNS1_33reduce_by_key_impl_wrapped_configILNS1_25lookback_scan_determinismE0ES3_S7_PKlNS0_17constant_iteratorIjlEEPlSE_SE_S6_NS0_8equal_toIlEEEE10hipError_tPvRmT2_T3_mT4_T5_T6_T7_T8_P12ihipStream_tbENKUlT_T0_E_clISt17integral_constantIbLb1EESY_EEDaST_SU_EUlST_E_NS1_11comp_targetILNS1_3genE0ELNS1_11target_archE4294967295ELNS1_3gpuE0ELNS1_3repE0EEENS1_30default_config_static_selectorELNS0_4arch9wavefront6targetE1EEEvT1_,@function
_ZN7rocprim17ROCPRIM_400000_NS6detail17trampoline_kernelINS0_14default_configENS1_33run_length_encode_config_selectorIljNS0_4plusIjEEEEZZNS1_33reduce_by_key_impl_wrapped_configILNS1_25lookback_scan_determinismE0ES3_S7_PKlNS0_17constant_iteratorIjlEEPlSE_SE_S6_NS0_8equal_toIlEEEE10hipError_tPvRmT2_T3_mT4_T5_T6_T7_T8_P12ihipStream_tbENKUlT_T0_E_clISt17integral_constantIbLb1EESY_EEDaST_SU_EUlST_E_NS1_11comp_targetILNS1_3genE0ELNS1_11target_archE4294967295ELNS1_3gpuE0ELNS1_3repE0EEENS1_30default_config_static_selectorELNS0_4arch9wavefront6targetE1EEEvT1_: ; @_ZN7rocprim17ROCPRIM_400000_NS6detail17trampoline_kernelINS0_14default_configENS1_33run_length_encode_config_selectorIljNS0_4plusIjEEEEZZNS1_33reduce_by_key_impl_wrapped_configILNS1_25lookback_scan_determinismE0ES3_S7_PKlNS0_17constant_iteratorIjlEEPlSE_SE_S6_NS0_8equal_toIlEEEE10hipError_tPvRmT2_T3_mT4_T5_T6_T7_T8_P12ihipStream_tbENKUlT_T0_E_clISt17integral_constantIbLb1EESY_EEDaST_SU_EUlST_E_NS1_11comp_targetILNS1_3genE0ELNS1_11target_archE4294967295ELNS1_3gpuE0ELNS1_3repE0EEENS1_30default_config_static_selectorELNS0_4arch9wavefront6targetE1EEEvT1_
; %bb.0:
	.section	.rodata,"a",@progbits
	.p2align	6, 0x0
	.amdhsa_kernel _ZN7rocprim17ROCPRIM_400000_NS6detail17trampoline_kernelINS0_14default_configENS1_33run_length_encode_config_selectorIljNS0_4plusIjEEEEZZNS1_33reduce_by_key_impl_wrapped_configILNS1_25lookback_scan_determinismE0ES3_S7_PKlNS0_17constant_iteratorIjlEEPlSE_SE_S6_NS0_8equal_toIlEEEE10hipError_tPvRmT2_T3_mT4_T5_T6_T7_T8_P12ihipStream_tbENKUlT_T0_E_clISt17integral_constantIbLb1EESY_EEDaST_SU_EUlST_E_NS1_11comp_targetILNS1_3genE0ELNS1_11target_archE4294967295ELNS1_3gpuE0ELNS1_3repE0EEENS1_30default_config_static_selectorELNS0_4arch9wavefront6targetE1EEEvT1_
		.amdhsa_group_segment_fixed_size 0
		.amdhsa_private_segment_fixed_size 0
		.amdhsa_kernarg_size 128
		.amdhsa_user_sgpr_count 2
		.amdhsa_user_sgpr_dispatch_ptr 0
		.amdhsa_user_sgpr_queue_ptr 0
		.amdhsa_user_sgpr_kernarg_segment_ptr 1
		.amdhsa_user_sgpr_dispatch_id 0
		.amdhsa_user_sgpr_kernarg_preload_length 0
		.amdhsa_user_sgpr_kernarg_preload_offset 0
		.amdhsa_user_sgpr_private_segment_size 0
		.amdhsa_uses_dynamic_stack 0
		.amdhsa_enable_private_segment 0
		.amdhsa_system_sgpr_workgroup_id_x 1
		.amdhsa_system_sgpr_workgroup_id_y 0
		.amdhsa_system_sgpr_workgroup_id_z 0
		.amdhsa_system_sgpr_workgroup_info 0
		.amdhsa_system_vgpr_workitem_id 0
		.amdhsa_next_free_vgpr 1
		.amdhsa_next_free_sgpr 0
		.amdhsa_accum_offset 4
		.amdhsa_reserve_vcc 0
		.amdhsa_float_round_mode_32 0
		.amdhsa_float_round_mode_16_64 0
		.amdhsa_float_denorm_mode_32 3
		.amdhsa_float_denorm_mode_16_64 3
		.amdhsa_dx10_clamp 1
		.amdhsa_ieee_mode 1
		.amdhsa_fp16_overflow 0
		.amdhsa_tg_split 0
		.amdhsa_exception_fp_ieee_invalid_op 0
		.amdhsa_exception_fp_denorm_src 0
		.amdhsa_exception_fp_ieee_div_zero 0
		.amdhsa_exception_fp_ieee_overflow 0
		.amdhsa_exception_fp_ieee_underflow 0
		.amdhsa_exception_fp_ieee_inexact 0
		.amdhsa_exception_int_div_zero 0
	.end_amdhsa_kernel
	.section	.text._ZN7rocprim17ROCPRIM_400000_NS6detail17trampoline_kernelINS0_14default_configENS1_33run_length_encode_config_selectorIljNS0_4plusIjEEEEZZNS1_33reduce_by_key_impl_wrapped_configILNS1_25lookback_scan_determinismE0ES3_S7_PKlNS0_17constant_iteratorIjlEEPlSE_SE_S6_NS0_8equal_toIlEEEE10hipError_tPvRmT2_T3_mT4_T5_T6_T7_T8_P12ihipStream_tbENKUlT_T0_E_clISt17integral_constantIbLb1EESY_EEDaST_SU_EUlST_E_NS1_11comp_targetILNS1_3genE0ELNS1_11target_archE4294967295ELNS1_3gpuE0ELNS1_3repE0EEENS1_30default_config_static_selectorELNS0_4arch9wavefront6targetE1EEEvT1_,"axG",@progbits,_ZN7rocprim17ROCPRIM_400000_NS6detail17trampoline_kernelINS0_14default_configENS1_33run_length_encode_config_selectorIljNS0_4plusIjEEEEZZNS1_33reduce_by_key_impl_wrapped_configILNS1_25lookback_scan_determinismE0ES3_S7_PKlNS0_17constant_iteratorIjlEEPlSE_SE_S6_NS0_8equal_toIlEEEE10hipError_tPvRmT2_T3_mT4_T5_T6_T7_T8_P12ihipStream_tbENKUlT_T0_E_clISt17integral_constantIbLb1EESY_EEDaST_SU_EUlST_E_NS1_11comp_targetILNS1_3genE0ELNS1_11target_archE4294967295ELNS1_3gpuE0ELNS1_3repE0EEENS1_30default_config_static_selectorELNS0_4arch9wavefront6targetE1EEEvT1_,comdat
.Lfunc_end520:
	.size	_ZN7rocprim17ROCPRIM_400000_NS6detail17trampoline_kernelINS0_14default_configENS1_33run_length_encode_config_selectorIljNS0_4plusIjEEEEZZNS1_33reduce_by_key_impl_wrapped_configILNS1_25lookback_scan_determinismE0ES3_S7_PKlNS0_17constant_iteratorIjlEEPlSE_SE_S6_NS0_8equal_toIlEEEE10hipError_tPvRmT2_T3_mT4_T5_T6_T7_T8_P12ihipStream_tbENKUlT_T0_E_clISt17integral_constantIbLb1EESY_EEDaST_SU_EUlST_E_NS1_11comp_targetILNS1_3genE0ELNS1_11target_archE4294967295ELNS1_3gpuE0ELNS1_3repE0EEENS1_30default_config_static_selectorELNS0_4arch9wavefront6targetE1EEEvT1_, .Lfunc_end520-_ZN7rocprim17ROCPRIM_400000_NS6detail17trampoline_kernelINS0_14default_configENS1_33run_length_encode_config_selectorIljNS0_4plusIjEEEEZZNS1_33reduce_by_key_impl_wrapped_configILNS1_25lookback_scan_determinismE0ES3_S7_PKlNS0_17constant_iteratorIjlEEPlSE_SE_S6_NS0_8equal_toIlEEEE10hipError_tPvRmT2_T3_mT4_T5_T6_T7_T8_P12ihipStream_tbENKUlT_T0_E_clISt17integral_constantIbLb1EESY_EEDaST_SU_EUlST_E_NS1_11comp_targetILNS1_3genE0ELNS1_11target_archE4294967295ELNS1_3gpuE0ELNS1_3repE0EEENS1_30default_config_static_selectorELNS0_4arch9wavefront6targetE1EEEvT1_
                                        ; -- End function
	.section	.AMDGPU.csdata,"",@progbits
; Kernel info:
; codeLenInByte = 0
; NumSgprs: 6
; NumVgprs: 0
; NumAgprs: 0
; TotalNumVgprs: 0
; ScratchSize: 0
; MemoryBound: 0
; FloatMode: 240
; IeeeMode: 1
; LDSByteSize: 0 bytes/workgroup (compile time only)
; SGPRBlocks: 0
; VGPRBlocks: 0
; NumSGPRsForWavesPerEU: 6
; NumVGPRsForWavesPerEU: 1
; AccumOffset: 4
; Occupancy: 8
; WaveLimiterHint : 0
; COMPUTE_PGM_RSRC2:SCRATCH_EN: 0
; COMPUTE_PGM_RSRC2:USER_SGPR: 2
; COMPUTE_PGM_RSRC2:TRAP_HANDLER: 0
; COMPUTE_PGM_RSRC2:TGID_X_EN: 1
; COMPUTE_PGM_RSRC2:TGID_Y_EN: 0
; COMPUTE_PGM_RSRC2:TGID_Z_EN: 0
; COMPUTE_PGM_RSRC2:TIDIG_COMP_CNT: 0
; COMPUTE_PGM_RSRC3_GFX90A:ACCUM_OFFSET: 0
; COMPUTE_PGM_RSRC3_GFX90A:TG_SPLIT: 0
	.section	.text._ZN7rocprim17ROCPRIM_400000_NS6detail17trampoline_kernelINS0_14default_configENS1_33run_length_encode_config_selectorIljNS0_4plusIjEEEEZZNS1_33reduce_by_key_impl_wrapped_configILNS1_25lookback_scan_determinismE0ES3_S7_PKlNS0_17constant_iteratorIjlEEPlSE_SE_S6_NS0_8equal_toIlEEEE10hipError_tPvRmT2_T3_mT4_T5_T6_T7_T8_P12ihipStream_tbENKUlT_T0_E_clISt17integral_constantIbLb1EESY_EEDaST_SU_EUlST_E_NS1_11comp_targetILNS1_3genE5ELNS1_11target_archE942ELNS1_3gpuE9ELNS1_3repE0EEENS1_30default_config_static_selectorELNS0_4arch9wavefront6targetE1EEEvT1_,"axG",@progbits,_ZN7rocprim17ROCPRIM_400000_NS6detail17trampoline_kernelINS0_14default_configENS1_33run_length_encode_config_selectorIljNS0_4plusIjEEEEZZNS1_33reduce_by_key_impl_wrapped_configILNS1_25lookback_scan_determinismE0ES3_S7_PKlNS0_17constant_iteratorIjlEEPlSE_SE_S6_NS0_8equal_toIlEEEE10hipError_tPvRmT2_T3_mT4_T5_T6_T7_T8_P12ihipStream_tbENKUlT_T0_E_clISt17integral_constantIbLb1EESY_EEDaST_SU_EUlST_E_NS1_11comp_targetILNS1_3genE5ELNS1_11target_archE942ELNS1_3gpuE9ELNS1_3repE0EEENS1_30default_config_static_selectorELNS0_4arch9wavefront6targetE1EEEvT1_,comdat
	.protected	_ZN7rocprim17ROCPRIM_400000_NS6detail17trampoline_kernelINS0_14default_configENS1_33run_length_encode_config_selectorIljNS0_4plusIjEEEEZZNS1_33reduce_by_key_impl_wrapped_configILNS1_25lookback_scan_determinismE0ES3_S7_PKlNS0_17constant_iteratorIjlEEPlSE_SE_S6_NS0_8equal_toIlEEEE10hipError_tPvRmT2_T3_mT4_T5_T6_T7_T8_P12ihipStream_tbENKUlT_T0_E_clISt17integral_constantIbLb1EESY_EEDaST_SU_EUlST_E_NS1_11comp_targetILNS1_3genE5ELNS1_11target_archE942ELNS1_3gpuE9ELNS1_3repE0EEENS1_30default_config_static_selectorELNS0_4arch9wavefront6targetE1EEEvT1_ ; -- Begin function _ZN7rocprim17ROCPRIM_400000_NS6detail17trampoline_kernelINS0_14default_configENS1_33run_length_encode_config_selectorIljNS0_4plusIjEEEEZZNS1_33reduce_by_key_impl_wrapped_configILNS1_25lookback_scan_determinismE0ES3_S7_PKlNS0_17constant_iteratorIjlEEPlSE_SE_S6_NS0_8equal_toIlEEEE10hipError_tPvRmT2_T3_mT4_T5_T6_T7_T8_P12ihipStream_tbENKUlT_T0_E_clISt17integral_constantIbLb1EESY_EEDaST_SU_EUlST_E_NS1_11comp_targetILNS1_3genE5ELNS1_11target_archE942ELNS1_3gpuE9ELNS1_3repE0EEENS1_30default_config_static_selectorELNS0_4arch9wavefront6targetE1EEEvT1_
	.globl	_ZN7rocprim17ROCPRIM_400000_NS6detail17trampoline_kernelINS0_14default_configENS1_33run_length_encode_config_selectorIljNS0_4plusIjEEEEZZNS1_33reduce_by_key_impl_wrapped_configILNS1_25lookback_scan_determinismE0ES3_S7_PKlNS0_17constant_iteratorIjlEEPlSE_SE_S6_NS0_8equal_toIlEEEE10hipError_tPvRmT2_T3_mT4_T5_T6_T7_T8_P12ihipStream_tbENKUlT_T0_E_clISt17integral_constantIbLb1EESY_EEDaST_SU_EUlST_E_NS1_11comp_targetILNS1_3genE5ELNS1_11target_archE942ELNS1_3gpuE9ELNS1_3repE0EEENS1_30default_config_static_selectorELNS0_4arch9wavefront6targetE1EEEvT1_
	.p2align	8
	.type	_ZN7rocprim17ROCPRIM_400000_NS6detail17trampoline_kernelINS0_14default_configENS1_33run_length_encode_config_selectorIljNS0_4plusIjEEEEZZNS1_33reduce_by_key_impl_wrapped_configILNS1_25lookback_scan_determinismE0ES3_S7_PKlNS0_17constant_iteratorIjlEEPlSE_SE_S6_NS0_8equal_toIlEEEE10hipError_tPvRmT2_T3_mT4_T5_T6_T7_T8_P12ihipStream_tbENKUlT_T0_E_clISt17integral_constantIbLb1EESY_EEDaST_SU_EUlST_E_NS1_11comp_targetILNS1_3genE5ELNS1_11target_archE942ELNS1_3gpuE9ELNS1_3repE0EEENS1_30default_config_static_selectorELNS0_4arch9wavefront6targetE1EEEvT1_,@function
_ZN7rocprim17ROCPRIM_400000_NS6detail17trampoline_kernelINS0_14default_configENS1_33run_length_encode_config_selectorIljNS0_4plusIjEEEEZZNS1_33reduce_by_key_impl_wrapped_configILNS1_25lookback_scan_determinismE0ES3_S7_PKlNS0_17constant_iteratorIjlEEPlSE_SE_S6_NS0_8equal_toIlEEEE10hipError_tPvRmT2_T3_mT4_T5_T6_T7_T8_P12ihipStream_tbENKUlT_T0_E_clISt17integral_constantIbLb1EESY_EEDaST_SU_EUlST_E_NS1_11comp_targetILNS1_3genE5ELNS1_11target_archE942ELNS1_3gpuE9ELNS1_3repE0EEENS1_30default_config_static_selectorELNS0_4arch9wavefront6targetE1EEEvT1_: ; @_ZN7rocprim17ROCPRIM_400000_NS6detail17trampoline_kernelINS0_14default_configENS1_33run_length_encode_config_selectorIljNS0_4plusIjEEEEZZNS1_33reduce_by_key_impl_wrapped_configILNS1_25lookback_scan_determinismE0ES3_S7_PKlNS0_17constant_iteratorIjlEEPlSE_SE_S6_NS0_8equal_toIlEEEE10hipError_tPvRmT2_T3_mT4_T5_T6_T7_T8_P12ihipStream_tbENKUlT_T0_E_clISt17integral_constantIbLb1EESY_EEDaST_SU_EUlST_E_NS1_11comp_targetILNS1_3genE5ELNS1_11target_archE942ELNS1_3gpuE9ELNS1_3repE0EEENS1_30default_config_static_selectorELNS0_4arch9wavefront6targetE1EEEvT1_
; %bb.0:
	s_load_dword s10, s[0:1], 0x10
	s_load_dwordx4 s[44:47], s[0:1], 0x20
	s_load_dwordx2 s[48:49], s[0:1], 0x30
	s_load_dwordx2 s[50:51], s[0:1], 0x70
	s_load_dwordx4 s[28:31], s[0:1], 0x60
	s_load_dwordx8 s[36:43], s[0:1], 0x40
	v_cmp_ne_u32_e64 s[2:3], 0, v0
	v_cmp_eq_u32_e64 s[34:35], 0, v0
	s_and_saveexec_b64 s[4:5], s[34:35]
	s_cbranch_execz .LBB521_4
; %bb.1:
	s_mov_b64 s[8:9], exec
	v_mbcnt_lo_u32_b32 v1, s8, 0
	v_mbcnt_hi_u32_b32 v1, s9, v1
	v_cmp_eq_u32_e32 vcc, 0, v1
                                        ; implicit-def: $vgpr2
	s_and_saveexec_b64 s[6:7], vcc
	s_cbranch_execz .LBB521_3
; %bb.2:
	s_load_dwordx2 s[12:13], s[0:1], 0x78
	s_bcnt1_i32_b64 s8, s[8:9]
	v_mov_b32_e32 v2, 0
	v_mov_b32_e32 v3, s8
	s_waitcnt lgkmcnt(0)
	global_atomic_add v2, v2, v3, s[12:13] sc0
.LBB521_3:
	s_or_b64 exec, exec, s[6:7]
	s_waitcnt vmcnt(0)
	v_readfirstlane_b32 s6, v2
	v_mov_b32_e32 v2, 0
	s_nop 0
	v_add_u32_e32 v1, s6, v1
	ds_write_b32 v2, v1
.LBB521_4:
	s_or_b64 exec, exec, s[4:5]
	s_load_dwordx4 s[4:7], s[0:1], 0x0
	v_mov_b32_e32 v3, 0
	s_waitcnt lgkmcnt(0)
	s_barrier
	ds_read_b32 v1, v3
	s_mul_i32 s0, s40, s39
	s_mul_hi_u32 s1, s40, s38
	s_add_i32 s0, s1, s0
	s_mul_i32 s1, s41, s38
	s_add_i32 s8, s0, s1
	s_lshl_b64 s[0:1], s[6:7], 3
	s_add_u32 s0, s4, s0
	s_mul_i32 s9, s40, s38
	s_addc_u32 s1, s5, s1
	s_waitcnt lgkmcnt(0)
	v_readfirstlane_b32 s58, v1
	s_add_u32 s52, s9, s58
	s_movk_i32 s4, 0x1e00
	s_addc_u32 s53, s8, 0
	v_mul_lo_u32 v2, v1, s4
	s_add_u32 s4, s42, -1
	s_addc_u32 s5, s43, -1
	s_cmp_eq_u64 s[52:53], s[4:5]
	v_lshlrev_b64 v[4:5], 3, v[2:3]
	s_cselect_b64 s[40:41], -1, 0
	s_cmp_lg_u64 s[52:53], s[4:5]
	v_lshl_add_u64 v[48:49], s[0:1], 0, v[4:5]
	s_mov_b64 s[6:7], -1
	s_cselect_b64 s[0:1], -1, 0
	s_mul_i32 s33, s4, 0xffffe200
	s_and_b64 vcc, exec, s[40:41]
	s_barrier
	s_cbranch_vccnz .LBB521_6
; %bb.5:
	v_lshlrev_b32_e32 v2, 3, v0
	v_lshl_add_u64 v[4:5], v[48:49], 0, v[2:3]
	v_add_co_u32_e32 v8, vcc, 0x1000, v4
	v_readfirstlane_b32 s4, v48
	s_nop 0
	v_addc_co_u32_e32 v9, vcc, 0, v5, vcc
	v_add_co_u32_e32 v10, vcc, 0x2000, v4
	v_readfirstlane_b32 s5, v49
	s_nop 0
	v_addc_co_u32_e32 v11, vcc, 0, v5, vcc
	v_add_co_u32_e32 v12, vcc, 0x3000, v4
	s_nop 1
	v_addc_co_u32_e32 v13, vcc, 0, v5, vcc
	v_add_co_u32_e32 v14, vcc, 0x4000, v4
	global_load_dwordx2 v[6:7], v2, s[4:5]
	s_nop 0
	v_addc_co_u32_e32 v15, vcc, 0, v5, vcc
	global_load_dwordx2 v[16:17], v[8:9], off
	global_load_dwordx2 v[18:19], v[10:11], off
	;; [unrolled: 1-line block ×4, first 2 shown]
	v_add_co_u32_e32 v8, vcc, 0x5000, v4
	s_movk_i32 s4, 0x70
	s_nop 0
	v_addc_co_u32_e32 v9, vcc, 0, v5, vcc
	v_add_co_u32_e32 v10, vcc, 0x6000, v4
	v_mad_u32_u24 v1, v0, s4, v2
	s_nop 0
	v_addc_co_u32_e32 v11, vcc, 0, v5, vcc
	v_add_co_u32_e32 v12, vcc, 0x7000, v4
	s_mov_b64 s[4:5], -1
	s_nop 0
	v_addc_co_u32_e32 v13, vcc, 0, v5, vcc
	v_add_co_u32_e32 v14, vcc, 0x8000, v4
	s_nop 1
	v_addc_co_u32_e32 v15, vcc, 0, v5, vcc
	global_load_dwordx2 v[24:25], v[8:9], off
	global_load_dwordx2 v[26:27], v[10:11], off
	;; [unrolled: 1-line block ×4, first 2 shown]
	v_add_co_u32_e32 v8, vcc, 0x9000, v4
	s_nop 1
	v_addc_co_u32_e32 v9, vcc, 0, v5, vcc
	v_add_co_u32_e32 v10, vcc, 0xa000, v4
	s_nop 1
	v_addc_co_u32_e32 v11, vcc, 0, v5, vcc
	v_add_co_u32_e32 v12, vcc, 0xb000, v4
	s_nop 1
	v_addc_co_u32_e32 v13, vcc, 0, v5, vcc
	v_add_co_u32_e32 v14, vcc, 0xc000, v4
	s_nop 1
	v_addc_co_u32_e32 v15, vcc, 0, v5, vcc
	global_load_dwordx2 v[32:33], v[8:9], off
	global_load_dwordx2 v[34:35], v[10:11], off
	;; [unrolled: 1-line block ×4, first 2 shown]
	v_add_co_u32_e32 v8, vcc, 0xd000, v4
	s_nop 1
	v_addc_co_u32_e32 v9, vcc, 0, v5, vcc
	v_add_co_u32_e32 v4, vcc, 0xe000, v4
	global_load_dwordx2 v[8:9], v[8:9], off
	s_nop 0
	v_addc_co_u32_e32 v5, vcc, 0, v5, vcc
	global_load_dwordx2 v[4:5], v[4:5], off
	s_waitcnt vmcnt(13)
	ds_write2st64_b64 v2, v[6:7], v[16:17] offset1:8
	s_waitcnt vmcnt(11)
	ds_write2st64_b64 v2, v[18:19], v[20:21] offset0:16 offset1:24
	s_waitcnt vmcnt(9)
	ds_write2st64_b64 v2, v[22:23], v[24:25] offset0:32 offset1:40
	;; [unrolled: 2-line block ×6, first 2 shown]
	s_waitcnt vmcnt(0)
	ds_write_b64 v2, v[4:5] offset:57344
	s_waitcnt lgkmcnt(0)
	s_barrier
	ds_read2_b64 v[26:29], v1 offset1:1
	ds_read2_b64 v[22:25], v1 offset0:2 offset1:3
	ds_read2_b64 v[18:21], v1 offset0:4 offset1:5
	;; [unrolled: 1-line block ×6, first 2 shown]
	ds_read_b64 v[46:47], v1 offset:112
	s_waitcnt lgkmcnt(7)
	v_mov_b32_e32 v30, v26
	v_mov_b32_e32 v31, v27
	s_waitcnt lgkmcnt(6)
	v_mov_b32_e32 v32, v22
	v_mov_b32_e32 v33, v23
	;; [unrolled: 3-line block ×7, first 2 shown]
	s_add_i32 s33, s33, s28
	s_cbranch_execz .LBB521_7
	s_branch .LBB521_38
.LBB521_6:
	s_mov_b64 s[4:5], 0
                                        ; implicit-def: $vgpr46_vgpr47
                                        ; implicit-def: $vgpr6_vgpr7
                                        ; implicit-def: $vgpr2_vgpr3
                                        ; implicit-def: $vgpr10_vgpr11
                                        ; implicit-def: $vgpr14_vgpr15
                                        ; implicit-def: $vgpr18_vgpr19
                                        ; implicit-def: $vgpr22_vgpr23
                                        ; implicit-def: $vgpr26_vgpr27
                                        ; implicit-def: $vgpr38_vgpr39_vgpr40_vgpr41
                                        ; implicit-def: $vgpr34_vgpr35_vgpr36_vgpr37
                                        ; implicit-def: $vgpr30_vgpr31_vgpr32_vgpr33
                                        ; implicit-def: $vgpr42_vgpr43_vgpr44_vgpr45
	s_add_i32 s33, s33, s28
	s_andn2_b64 vcc, exec, s[6:7]
	s_cbranch_vccnz .LBB521_38
.LBB521_7:
	v_cmp_gt_u32_e32 vcc, s33, v0
                                        ; implicit-def: $vgpr2_vgpr3
	s_and_saveexec_b64 s[4:5], vcc
	s_cbranch_execz .LBB521_9
; %bb.8:
	v_lshlrev_b32_e32 v1, 3, v0
	v_readfirstlane_b32 s6, v48
	v_readfirstlane_b32 s7, v49
	s_nop 4
	global_load_dwordx2 v[2:3], v1, s[6:7]
.LBB521_9:
	s_or_b64 exec, exec, s[4:5]
	v_or_b32_e32 v1, 0x200, v0
	v_cmp_gt_u32_e32 vcc, s33, v1
                                        ; implicit-def: $vgpr4_vgpr5
	s_and_saveexec_b64 s[4:5], vcc
	s_cbranch_execz .LBB521_11
; %bb.10:
	v_lshlrev_b32_e32 v1, 3, v1
	v_readfirstlane_b32 s6, v48
	v_readfirstlane_b32 s7, v49
	s_nop 4
	global_load_dwordx2 v[4:5], v1, s[6:7]
.LBB521_11:
	s_or_b64 exec, exec, s[4:5]
	v_or_b32_e32 v1, 0x400, v0
	v_cmp_gt_u32_e32 vcc, s33, v1
                                        ; implicit-def: $vgpr6_vgpr7
	s_and_saveexec_b64 s[4:5], vcc
	s_cbranch_execz .LBB521_13
; %bb.12:
	v_lshlrev_b32_e32 v1, 3, v1
	v_readfirstlane_b32 s6, v48
	v_readfirstlane_b32 s7, v49
	s_nop 4
	global_load_dwordx2 v[6:7], v1, s[6:7]
.LBB521_13:
	s_or_b64 exec, exec, s[4:5]
	v_or_b32_e32 v1, 0x600, v0
	v_cmp_gt_u32_e32 vcc, s33, v1
                                        ; implicit-def: $vgpr8_vgpr9
	s_and_saveexec_b64 s[4:5], vcc
	s_cbranch_execz .LBB521_15
; %bb.14:
	v_lshlrev_b32_e32 v1, 3, v1
	v_readfirstlane_b32 s6, v48
	v_readfirstlane_b32 s7, v49
	s_nop 4
	global_load_dwordx2 v[8:9], v1, s[6:7]
.LBB521_15:
	s_or_b64 exec, exec, s[4:5]
	v_or_b32_e32 v1, 0x800, v0
	v_cmp_gt_u32_e32 vcc, s33, v1
                                        ; implicit-def: $vgpr10_vgpr11
	s_and_saveexec_b64 s[4:5], vcc
	s_cbranch_execz .LBB521_17
; %bb.16:
	v_lshlrev_b32_e32 v1, 3, v1
	v_readfirstlane_b32 s6, v48
	v_readfirstlane_b32 s7, v49
	s_nop 4
	global_load_dwordx2 v[10:11], v1, s[6:7]
.LBB521_17:
	s_or_b64 exec, exec, s[4:5]
	v_or_b32_e32 v1, 0xa00, v0
	v_cmp_gt_u32_e32 vcc, s33, v1
                                        ; implicit-def: $vgpr12_vgpr13
	s_and_saveexec_b64 s[4:5], vcc
	s_cbranch_execz .LBB521_19
; %bb.18:
	v_lshlrev_b32_e32 v1, 3, v1
	v_readfirstlane_b32 s6, v48
	v_readfirstlane_b32 s7, v49
	s_nop 4
	global_load_dwordx2 v[12:13], v1, s[6:7]
.LBB521_19:
	s_or_b64 exec, exec, s[4:5]
	v_or_b32_e32 v1, 0xc00, v0
	v_cmp_gt_u32_e32 vcc, s33, v1
                                        ; implicit-def: $vgpr14_vgpr15
	s_and_saveexec_b64 s[4:5], vcc
	s_cbranch_execz .LBB521_21
; %bb.20:
	v_lshlrev_b32_e32 v1, 3, v1
	v_readfirstlane_b32 s6, v48
	v_readfirstlane_b32 s7, v49
	s_nop 4
	global_load_dwordx2 v[14:15], v1, s[6:7]
.LBB521_21:
	s_or_b64 exec, exec, s[4:5]
	v_or_b32_e32 v1, 0xe00, v0
	v_cmp_gt_u32_e32 vcc, s33, v1
                                        ; implicit-def: $vgpr16_vgpr17
	s_and_saveexec_b64 s[4:5], vcc
	s_cbranch_execz .LBB521_23
; %bb.22:
	v_lshlrev_b32_e32 v1, 3, v1
	v_readfirstlane_b32 s6, v48
	v_readfirstlane_b32 s7, v49
	s_nop 4
	global_load_dwordx2 v[16:17], v1, s[6:7]
.LBB521_23:
	s_or_b64 exec, exec, s[4:5]
	v_or_b32_e32 v1, 0x1000, v0
	v_cmp_gt_u32_e32 vcc, s33, v1
                                        ; implicit-def: $vgpr18_vgpr19
	s_and_saveexec_b64 s[4:5], vcc
	s_cbranch_execz .LBB521_25
; %bb.24:
	v_lshlrev_b32_e32 v1, 3, v1
	v_readfirstlane_b32 s6, v48
	v_readfirstlane_b32 s7, v49
	s_nop 4
	global_load_dwordx2 v[18:19], v1, s[6:7]
.LBB521_25:
	s_or_b64 exec, exec, s[4:5]
	v_or_b32_e32 v1, 0x1200, v0
	v_cmp_gt_u32_e32 vcc, s33, v1
                                        ; implicit-def: $vgpr20_vgpr21
	s_and_saveexec_b64 s[4:5], vcc
	s_cbranch_execz .LBB521_27
; %bb.26:
	v_lshlrev_b32_e32 v1, 3, v1
	v_readfirstlane_b32 s6, v48
	v_readfirstlane_b32 s7, v49
	s_nop 4
	global_load_dwordx2 v[20:21], v1, s[6:7]
.LBB521_27:
	s_or_b64 exec, exec, s[4:5]
	v_or_b32_e32 v1, 0x1400, v0
	v_cmp_gt_u32_e32 vcc, s33, v1
                                        ; implicit-def: $vgpr22_vgpr23
	s_and_saveexec_b64 s[4:5], vcc
	s_cbranch_execz .LBB521_29
; %bb.28:
	v_lshlrev_b32_e32 v1, 3, v1
	v_readfirstlane_b32 s6, v48
	v_readfirstlane_b32 s7, v49
	s_nop 4
	global_load_dwordx2 v[22:23], v1, s[6:7]
.LBB521_29:
	s_or_b64 exec, exec, s[4:5]
	v_or_b32_e32 v1, 0x1600, v0
	v_cmp_gt_u32_e32 vcc, s33, v1
                                        ; implicit-def: $vgpr24_vgpr25
	s_and_saveexec_b64 s[4:5], vcc
	s_cbranch_execz .LBB521_31
; %bb.30:
	v_lshlrev_b32_e32 v1, 3, v1
	v_readfirstlane_b32 s6, v48
	v_readfirstlane_b32 s7, v49
	s_nop 4
	global_load_dwordx2 v[24:25], v1, s[6:7]
.LBB521_31:
	s_or_b64 exec, exec, s[4:5]
	v_or_b32_e32 v1, 0x1800, v0
	v_cmp_gt_u32_e32 vcc, s33, v1
                                        ; implicit-def: $vgpr26_vgpr27
	s_and_saveexec_b64 s[4:5], vcc
	s_cbranch_execz .LBB521_33
; %bb.32:
	v_lshlrev_b32_e32 v1, 3, v1
	v_readfirstlane_b32 s6, v48
	v_readfirstlane_b32 s7, v49
	s_nop 4
	global_load_dwordx2 v[26:27], v1, s[6:7]
.LBB521_33:
	s_or_b64 exec, exec, s[4:5]
	v_or_b32_e32 v1, 0x1a00, v0
	v_cmp_gt_u32_e32 vcc, s33, v1
                                        ; implicit-def: $vgpr28_vgpr29
	s_and_saveexec_b64 s[4:5], vcc
	s_cbranch_execz .LBB521_35
; %bb.34:
	v_lshlrev_b32_e32 v1, 3, v1
	v_readfirstlane_b32 s6, v48
	v_readfirstlane_b32 s7, v49
	s_nop 4
	global_load_dwordx2 v[28:29], v1, s[6:7]
.LBB521_35:
	s_or_b64 exec, exec, s[4:5]
	v_or_b32_e32 v1, 0x1c00, v0
	v_cmp_gt_u32_e32 vcc, s33, v1
                                        ; implicit-def: $vgpr30_vgpr31
	s_and_saveexec_b64 s[4:5], vcc
	s_cbranch_execz .LBB521_37
; %bb.36:
	v_lshlrev_b32_e32 v1, 3, v1
	v_readfirstlane_b32 s6, v48
	v_readfirstlane_b32 s7, v49
	s_nop 4
	global_load_dwordx2 v[30:31], v1, s[6:7]
.LBB521_37:
	s_or_b64 exec, exec, s[4:5]
	v_lshlrev_b32_e32 v1, 3, v0
	s_movk_i32 s4, 0x70
	s_waitcnt vmcnt(0)
	ds_write2st64_b64 v1, v[2:3], v[4:5] offset1:8
	ds_write2st64_b64 v1, v[6:7], v[8:9] offset0:16 offset1:24
	ds_write2st64_b64 v1, v[10:11], v[12:13] offset0:32 offset1:40
	ds_write2st64_b64 v1, v[14:15], v[16:17] offset0:48 offset1:56
	ds_write2st64_b64 v1, v[18:19], v[20:21] offset0:64 offset1:72
	ds_write2st64_b64 v1, v[22:23], v[24:25] offset0:80 offset1:88
	ds_write2st64_b64 v1, v[26:27], v[28:29] offset0:96 offset1:104
	ds_write_b64 v1, v[30:31] offset:57344
	v_mad_u32_u24 v1, v0, s4, v1
	s_waitcnt lgkmcnt(0)
	s_barrier
	ds_read2_b64 v[26:29], v1 offset1:1
	ds_read2_b64 v[22:25], v1 offset0:2 offset1:3
	ds_read2_b64 v[18:21], v1 offset0:4 offset1:5
	;; [unrolled: 1-line block ×6, first 2 shown]
	ds_read_b64 v[46:47], v1 offset:112
	v_mad_u32_u24 v30, v0, 15, 14
	v_cmp_gt_u32_e64 s[4:5], s33, v30
	s_waitcnt lgkmcnt(7)
	v_mov_b32_e32 v30, v26
	v_mov_b32_e32 v31, v27
	s_waitcnt lgkmcnt(6)
	v_mov_b32_e32 v32, v22
	v_mov_b32_e32 v33, v23
	;; [unrolled: 3-line block ×7, first 2 shown]
.LBB521_38:
	v_mov_b32_e32 v68, s10
                                        ; implicit-def: $vgpr69
	s_and_saveexec_b64 s[6:7], s[4:5]
; %bb.39:
	v_mov_b32_e32 v69, s10
; %bb.40:
	s_or_b64 exec, exec, s[6:7]
	s_cmp_eq_u64 s[52:53], 0
	s_cselect_b64 s[42:43], -1, 0
	s_cmp_lg_u64 s[52:53], 0
	s_mov_b64 s[4:5], 0
	s_cselect_b64 s[54:55], -1, 0
	s_and_b64 vcc, exec, s[0:1]
	s_waitcnt lgkmcnt(0)
	s_barrier
	s_cbranch_vccz .LBB521_46
; %bb.41:
	s_and_b64 vcc, exec, s[54:55]
	s_cbranch_vccz .LBB521_47
; %bb.42:
	global_load_dwordx2 v[44:45], v[48:49], off offset:-8
	v_lshlrev_b32_e32 v1, 3, v0
	v_cmp_ne_u64_e32 vcc, v[8:9], v[46:47]
	v_cmp_ne_u64_e64 s[0:1], v[6:7], v[8:9]
	v_cmp_ne_u64_e64 s[4:5], v[4:5], v[6:7]
	;; [unrolled: 1-line block ×13, first 2 shown]
	ds_write_b64 v1, v[46:47]
	s_waitcnt lgkmcnt(0)
	s_barrier
	s_and_saveexec_b64 s[56:57], s[2:3]
	s_cbranch_execz .LBB521_44
; %bb.43:
	v_add_u32_e32 v1, -8, v1
	s_waitcnt vmcnt(0)
	ds_read_b64 v[44:45], v1
.LBB521_44:
	s_or_b64 exec, exec, s[56:57]
	v_cndmask_b32_e64 v1, 0, 1, vcc
	v_cndmask_b32_e64 v72, 0, 1, s[0:1]
	v_cndmask_b32_e64 v73, 0, 1, s[4:5]
	;; [unrolled: 1-line block ×13, first 2 shown]
	s_waitcnt vmcnt(0) lgkmcnt(0)
	v_cmp_ne_u64_e64 s[0:1], v[44:45], v[26:27]
	s_mov_b64 s[4:5], -1
.LBB521_45:
                                        ; implicit-def: $sgpr10
	s_branch .LBB521_59
.LBB521_46:
                                        ; implicit-def: $sgpr0_sgpr1
                                        ; implicit-def: $vgpr1
                                        ; implicit-def: $vgpr72
                                        ; implicit-def: $vgpr73
                                        ; implicit-def: $vgpr74
                                        ; implicit-def: $vgpr75
                                        ; implicit-def: $vgpr76
                                        ; implicit-def: $vgpr77
                                        ; implicit-def: $vgpr78
                                        ; implicit-def: $vgpr79
                                        ; implicit-def: $vgpr80
                                        ; implicit-def: $vgpr81
                                        ; implicit-def: $vgpr82
                                        ; implicit-def: $vgpr83
                                        ; implicit-def: $vgpr84
                                        ; implicit-def: $sgpr10
	s_cbranch_execnz .LBB521_51
	s_branch .LBB521_59
.LBB521_47:
                                        ; implicit-def: $sgpr0_sgpr1
                                        ; implicit-def: $vgpr1
                                        ; implicit-def: $vgpr72
                                        ; implicit-def: $vgpr73
                                        ; implicit-def: $vgpr74
                                        ; implicit-def: $vgpr75
                                        ; implicit-def: $vgpr76
                                        ; implicit-def: $vgpr77
                                        ; implicit-def: $vgpr78
                                        ; implicit-def: $vgpr79
                                        ; implicit-def: $vgpr80
                                        ; implicit-def: $vgpr81
                                        ; implicit-def: $vgpr82
                                        ; implicit-def: $vgpr83
                                        ; implicit-def: $vgpr84
	s_cbranch_execz .LBB521_45
; %bb.48:
	v_cmp_ne_u64_e32 vcc, v[28:29], v[30:31]
	v_lshlrev_b32_e32 v44, 3, v0
	ds_write_b64 v44, v[46:47]
	v_cndmask_b32_e64 v84, 0, 1, vcc
	v_cmp_ne_u64_e32 vcc, v[28:29], v[32:33]
	s_waitcnt lgkmcnt(0)
	s_barrier
	v_cndmask_b32_e64 v83, 0, 1, vcc
	v_cmp_ne_u64_e32 vcc, v[32:33], v[24:25]
	s_waitcnt lgkmcnt(0)
                                        ; implicit-def: $sgpr0_sgpr1
	s_nop 0
	v_cndmask_b32_e64 v82, 0, 1, vcc
	v_cmp_ne_u64_e32 vcc, v[34:35], v[24:25]
	s_nop 1
	v_cndmask_b32_e64 v81, 0, 1, vcc
	v_cmp_ne_u64_e32 vcc, v[20:21], v[34:35]
	;; [unrolled: 3-line block ×11, first 2 shown]
	s_nop 1
	v_cndmask_b32_e64 v1, 0, 1, vcc
	s_and_saveexec_b64 s[6:7], s[2:3]
	s_xor_b64 s[6:7], exec, s[6:7]
	s_cbranch_execz .LBB521_50
; %bb.49:
	v_add_u32_e32 v30, -8, v44
	ds_read_b64 v[30:31], v30
	s_or_b64 s[4:5], s[4:5], exec
	s_waitcnt lgkmcnt(0)
	v_cmp_ne_u64_e32 vcc, v[30:31], v[26:27]
	s_and_b64 s[0:1], vcc, exec
.LBB521_50:
	s_or_b64 exec, exec, s[6:7]
	s_mov_b32 s10, 1
	s_branch .LBB521_59
.LBB521_51:
	s_mul_hi_u32 s1, s52, 0xffffe200
	s_mul_i32 s0, s53, 0xffffe200
	s_sub_i32 s1, s1, s52
	s_add_i32 s1, s1, s0
	s_mul_i32 s0, s52, 0xffffe200
	s_add_u32 s6, s0, s28
	s_addc_u32 s7, s1, s29
	s_and_b64 vcc, exec, s[54:55]
	s_cbranch_vccz .LBB521_56
; %bb.52:
	global_load_dwordx2 v[30:31], v[48:49], off offset:-8
	v_mad_u32_u24 v34, v0, 15, 14
	v_mov_b32_e32 v35, 0
	v_cmp_gt_u64_e32 vcc, s[6:7], v[34:35]
	v_cmp_ne_u64_e64 s[0:1], v[8:9], v[46:47]
	v_mad_u32_u24 v34, v0, 15, 13
	s_and_b64 s[4:5], vcc, s[0:1]
	v_cmp_gt_u64_e32 vcc, s[6:7], v[34:35]
	v_cmp_ne_u64_e64 s[0:1], v[6:7], v[8:9]
	v_mad_u32_u24 v34, v0, 15, 12
	s_and_b64 s[8:9], vcc, s[0:1]
	;; [unrolled: 4-line block ×13, first 2 shown]
	v_cmp_gt_u64_e32 vcc, s[6:7], v[34:35]
	v_cmp_ne_u64_e64 s[0:1], v[26:27], v[28:29]
	v_lshlrev_b32_e32 v1, 3, v0
	v_mul_u32_u24_e32 v32, 15, v0
	s_and_b64 s[0:1], vcc, s[0:1]
	ds_write_b64 v1, v[46:47]
	s_waitcnt lgkmcnt(0)
	s_barrier
	s_and_saveexec_b64 s[54:55], s[2:3]
	s_cbranch_execz .LBB521_54
; %bb.53:
	v_add_u32_e32 v1, -8, v1
	s_waitcnt vmcnt(0)
	ds_read_b64 v[30:31], v1
.LBB521_54:
	s_or_b64 exec, exec, s[54:55]
	v_mov_b32_e32 v33, v35
	v_cndmask_b32_e64 v84, 0, 1, s[0:1]
	v_cmp_gt_u64_e32 vcc, s[6:7], v[32:33]
	s_waitcnt vmcnt(0) lgkmcnt(0)
	v_cmp_ne_u64_e64 s[0:1], v[30:31], v[26:27]
	v_cndmask_b32_e64 v1, 0, 1, s[4:5]
	v_cndmask_b32_e64 v72, 0, 1, s[8:9]
	;; [unrolled: 1-line block ×13, first 2 shown]
	s_and_b64 s[0:1], vcc, s[0:1]
	s_mov_b64 s[4:5], -1
.LBB521_55:
                                        ; implicit-def: $sgpr10
	v_mov_b32_e32 v85, s10
	s_and_saveexec_b64 s[2:3], s[4:5]
	s_cbranch_execnz .LBB521_60
	s_branch .LBB521_61
.LBB521_56:
                                        ; implicit-def: $sgpr0_sgpr1
                                        ; implicit-def: $vgpr1
                                        ; implicit-def: $vgpr72
                                        ; implicit-def: $vgpr73
                                        ; implicit-def: $vgpr74
                                        ; implicit-def: $vgpr75
                                        ; implicit-def: $vgpr76
                                        ; implicit-def: $vgpr77
                                        ; implicit-def: $vgpr78
                                        ; implicit-def: $vgpr79
                                        ; implicit-def: $vgpr80
                                        ; implicit-def: $vgpr81
                                        ; implicit-def: $vgpr82
                                        ; implicit-def: $vgpr83
                                        ; implicit-def: $vgpr84
	s_cbranch_execz .LBB521_55
; %bb.57:
	v_mad_u32_u24 v30, v0, 15, 14
	v_mov_b32_e32 v31, 0
	v_cmp_gt_u64_e32 vcc, s[6:7], v[30:31]
	v_cmp_ne_u64_e64 s[0:1], v[8:9], v[46:47]
	s_and_b64 s[0:1], vcc, s[0:1]
	v_mad_u32_u24 v30, v0, 15, 13
	v_cndmask_b32_e64 v1, 0, 1, s[0:1]
	v_cmp_gt_u64_e32 vcc, s[6:7], v[30:31]
	v_cmp_ne_u64_e64 s[0:1], v[6:7], v[8:9]
	s_and_b64 s[0:1], vcc, s[0:1]
	v_mad_u32_u24 v30, v0, 15, 12
	v_cndmask_b32_e64 v72, 0, 1, s[0:1]
	;; [unrolled: 5-line block ×13, first 2 shown]
	v_cmp_gt_u64_e32 vcc, s[6:7], v[30:31]
	v_cmp_ne_u64_e64 s[0:1], v[26:27], v[28:29]
	s_and_b64 s[0:1], vcc, s[0:1]
	v_lshlrev_b32_e32 v32, 3, v0
	s_mov_b32 s10, 1
	v_cndmask_b32_e64 v84, 0, 1, s[0:1]
	ds_write_b64 v32, v[46:47]
	s_waitcnt lgkmcnt(0)
	s_barrier
	s_waitcnt lgkmcnt(0)
                                        ; implicit-def: $sgpr0_sgpr1
	s_and_saveexec_b64 s[8:9], s[2:3]
	s_cbranch_execz .LBB521_144
; %bb.58:
	v_add_u32_e32 v30, -8, v32
	ds_read_b64 v[32:33], v30
	v_mul_u32_u24_e32 v30, 15, v0
	v_cmp_gt_u64_e32 vcc, s[6:7], v[30:31]
	s_or_b64 s[4:5], s[4:5], exec
	s_waitcnt lgkmcnt(0)
	v_cmp_ne_u64_e64 s[0:1], v[32:33], v[26:27]
	s_and_b64 s[0:1], vcc, s[0:1]
	s_and_b64 s[0:1], s[0:1], exec
	s_or_b64 exec, exec, s[8:9]
.LBB521_59:
	v_mov_b32_e32 v85, s10
	s_and_saveexec_b64 s[2:3], s[4:5]
.LBB521_60:
	v_cndmask_b32_e64 v85, 0, 1, s[0:1]
.LBB521_61:
	s_or_b64 exec, exec, s[2:3]
	s_cmp_eq_u64 s[38:39], 0
	v_add3_u32 v30, v84, v85, v83
	s_cselect_b64 s[38:39], -1, 0
	s_cmp_lg_u32 s58, 0
	v_cmp_eq_u32_e64 s[26:27], 0, v84
	v_cmp_eq_u32_e64 s[24:25], 0, v83
	;; [unrolled: 1-line block ×3, first 2 shown]
	v_add3_u32 v87, v30, v82, v81
	v_cmp_eq_u32_e64 s[20:21], 0, v81
	v_cmp_eq_u32_e64 s[18:19], 0, v80
	;; [unrolled: 1-line block ×10, first 2 shown]
	v_cmp_eq_u32_e32 vcc, 0, v1
	v_mbcnt_lo_u32_b32 v86, -1, 0
	v_lshrrev_b32_e32 v70, 6, v0
	v_or_b32_e32 v71, 63, v0
	s_cbranch_scc0 .LBB521_92
; %bb.62:
	v_cndmask_b32_e64 v30, 0, v68, s[26:27]
	v_add_u32_e32 v30, v30, v68
	v_cndmask_b32_e64 v30, 0, v30, s[24:25]
	v_add_u32_e32 v30, v30, v68
	;; [unrolled: 2-line block ×11, first 2 shown]
	v_cndmask_b32_e64 v30, 0, v30, s[4:5]
	v_add3_u32 v31, v87, v80, v79
	v_add_u32_e32 v30, v30, v68
	v_add3_u32 v31, v31, v78, v77
	v_cndmask_b32_e64 v30, 0, v30, s[2:3]
	v_add3_u32 v31, v31, v76, v75
	v_add_u32_e32 v30, v30, v68
	v_add3_u32 v31, v31, v74, v73
	v_cndmask_b32_e32 v30, 0, v30, vcc
	v_add3_u32 v31, v31, v72, v1
	v_add_u32_e32 v30, v30, v69
	v_mbcnt_hi_u32_b32 v39, -1, v86
	v_and_b32_e32 v32, 15, v39
	v_mov_b32_dpp v34, v30 row_shr:1 row_mask:0xf bank_mask:0xf
	v_cmp_eq_u32_e32 vcc, 0, v31
	v_mov_b32_dpp v33, v31 row_shr:1 row_mask:0xf bank_mask:0xf
	v_cmp_lt_u32_e64 s[0:1], 1, v32
	v_cndmask_b32_e32 v34, 0, v34, vcc
	v_cmp_eq_u32_e32 vcc, 0, v32
	s_nop 1
	v_cndmask_b32_e64 v33, v33, 0, vcc
	v_add_u32_e32 v31, v33, v31
	v_cndmask_b32_e64 v33, v34, 0, vcc
	v_add_u32_e32 v30, v33, v30
	v_cmp_eq_u32_e32 vcc, 0, v31
	v_mov_b32_dpp v33, v31 row_shr:2 row_mask:0xf bank_mask:0xf
	v_mov_b32_dpp v34, v30 row_shr:2 row_mask:0xf bank_mask:0xf
	v_cndmask_b32_e64 v33, 0, v33, s[0:1]
	s_and_b64 vcc, s[0:1], vcc
	v_cndmask_b32_e32 v34, 0, v34, vcc
	v_add_u32_e32 v31, v31, v33
	v_add_u32_e32 v30, v34, v30
	v_cmp_eq_u32_e32 vcc, 0, v31
	v_mov_b32_dpp v33, v31 row_shr:4 row_mask:0xf bank_mask:0xf
	v_cmp_lt_u32_e64 s[0:1], 3, v32
	v_mov_b32_dpp v34, v30 row_shr:4 row_mask:0xf bank_mask:0xf
	s_and_b64 vcc, s[0:1], vcc
	v_cndmask_b32_e64 v33, 0, v33, s[0:1]
	v_cndmask_b32_e32 v34, 0, v34, vcc
	v_add_u32_e32 v31, v33, v31
	v_add_u32_e32 v30, v30, v34
	v_cmp_eq_u32_e32 vcc, 0, v31
	v_cmp_lt_u32_e64 s[0:1], 7, v32
	v_mov_b32_dpp v33, v31 row_shr:8 row_mask:0xf bank_mask:0xf
	v_mov_b32_dpp v34, v30 row_shr:8 row_mask:0xf bank_mask:0xf
	s_and_b64 vcc, s[0:1], vcc
	v_cndmask_b32_e64 v32, 0, v33, s[0:1]
	v_cndmask_b32_e32 v33, 0, v34, vcc
	v_add_u32_e32 v30, v33, v30
	v_add_u32_e32 v31, v32, v31
	v_bfe_i32 v34, v39, 4, 1
	v_mov_b32_dpp v33, v30 row_bcast:15 row_mask:0xf bank_mask:0xf
	v_mov_b32_dpp v32, v31 row_bcast:15 row_mask:0xf bank_mask:0xf
	v_cmp_eq_u32_e32 vcc, 0, v31
	v_and_b32_e32 v32, v34, v32
	v_add_u32_e32 v31, v32, v31
	v_cndmask_b32_e32 v33, 0, v33, vcc
	v_and_b32_e32 v32, v34, v33
	v_add_u32_e32 v32, v32, v30
	v_mov_b32_dpp v30, v31 row_bcast:31 row_mask:0xf bank_mask:0xf
	v_cmp_eq_u32_e32 vcc, 0, v31
	v_cmp_lt_u32_e64 s[0:1], 31, v39
	v_mov_b32_dpp v33, v32 row_bcast:31 row_mask:0xf bank_mask:0xf
	s_and_b64 vcc, s[0:1], vcc
	v_cndmask_b32_e64 v30, 0, v30, s[0:1]
	v_add_u32_e32 v30, v30, v31
	v_cndmask_b32_e32 v31, 0, v33, vcc
	v_add_u32_e32 v31, v31, v32
	v_cmp_eq_u32_e32 vcc, v71, v0
	v_lshlrev_b32_e32 v32, 3, v70
	s_and_saveexec_b64 s[0:1], vcc
	s_cbranch_execz .LBB521_64
; %bb.63:
	ds_write_b64 v32, v[30:31] offset:8208
.LBB521_64:
	s_or_b64 exec, exec, s[0:1]
	v_cmp_gt_u32_e32 vcc, 8, v0
	s_waitcnt lgkmcnt(0)
	s_barrier
	s_and_saveexec_b64 s[28:29], vcc
	s_cbranch_execz .LBB521_66
; %bb.65:
	v_lshlrev_b32_e32 v33, 3, v0
	ds_read_b64 v[34:35], v33 offset:8208
	v_and_b32_e32 v36, 7, v39
	v_cmp_lt_u32_e64 s[0:1], 1, v36
	s_waitcnt lgkmcnt(0)
	v_mov_b32_dpp v38, v35 row_shr:1 row_mask:0xf bank_mask:0xf
	v_cmp_eq_u32_e32 vcc, 0, v34
	v_mov_b32_dpp v37, v34 row_shr:1 row_mask:0xf bank_mask:0xf
	s_nop 0
	v_cndmask_b32_e32 v38, 0, v38, vcc
	v_cmp_eq_u32_e32 vcc, 0, v36
	s_nop 1
	v_cndmask_b32_e64 v37, v37, 0, vcc
	v_add_u32_e32 v34, v37, v34
	v_cndmask_b32_e64 v37, v38, 0, vcc
	v_add_u32_e32 v35, v37, v35
	v_cmp_eq_u32_e32 vcc, 0, v34
	v_mov_b32_dpp v37, v34 row_shr:2 row_mask:0xf bank_mask:0xf
	v_mov_b32_dpp v38, v35 row_shr:2 row_mask:0xf bank_mask:0xf
	v_cndmask_b32_e64 v37, 0, v37, s[0:1]
	s_and_b64 vcc, s[0:1], vcc
	v_cndmask_b32_e32 v38, 0, v38, vcc
	v_add_u32_e32 v34, v37, v34
	v_add_u32_e32 v35, v38, v35
	v_cmp_eq_u32_e32 vcc, 0, v34
	v_mov_b32_dpp v37, v34 row_shr:4 row_mask:0xf bank_mask:0xf
	v_cmp_lt_u32_e64 s[0:1], 3, v36
	v_mov_b32_dpp v38, v35 row_shr:4 row_mask:0xf bank_mask:0xf
	s_and_b64 vcc, s[0:1], vcc
	v_cndmask_b32_e64 v36, 0, v37, s[0:1]
	v_add_u32_e32 v34, v36, v34
	v_cndmask_b32_e32 v36, 0, v38, vcc
	v_add_u32_e32 v35, v36, v35
	ds_write_b64 v33, v[34:35] offset:8208
.LBB521_66:
	s_or_b64 exec, exec, s[28:29]
	v_cmp_gt_u32_e32 vcc, 64, v0
	v_cmp_lt_u32_e64 s[0:1], 63, v0
	v_mov_b32_e32 v36, 0
	v_mov_b32_e32 v37, 0
	s_waitcnt lgkmcnt(0)
	s_barrier
	s_and_saveexec_b64 s[28:29], s[0:1]
	s_cbranch_execz .LBB521_68
; %bb.67:
	ds_read_b64 v[36:37], v32 offset:8200
	v_cmp_eq_u32_e64 s[0:1], 0, v30
	s_waitcnt lgkmcnt(0)
	v_add_u32_e32 v32, v36, v30
	v_cndmask_b32_e64 v30, 0, v37, s[0:1]
	v_add_u32_e32 v31, v30, v31
	v_mov_b32_e32 v30, v32
.LBB521_68:
	s_or_b64 exec, exec, s[28:29]
	v_add_u32_e32 v32, -1, v39
	v_and_b32_e32 v33, 64, v39
	v_cmp_lt_i32_e64 s[0:1], v32, v33
	v_cmp_eq_u32_e64 s[28:29], 0, v39
	s_nop 0
	v_cndmask_b32_e64 v32, v32, v39, s[0:1]
	v_lshlrev_b32_e32 v32, 2, v32
	ds_bpermute_b32 v44, v32, v30
	ds_bpermute_b32 v45, v32, v31
	s_and_saveexec_b64 s[52:53], vcc
	s_cbranch_execz .LBB521_91
; %bb.69:
	v_mov_b32_e32 v35, 0
	ds_read_b64 v[30:31], v35 offset:8264
	s_waitcnt lgkmcnt(0)
	v_readfirstlane_b32 s56, v30
	v_readfirstlane_b32 s57, v31
	s_and_saveexec_b64 s[0:1], s[28:29]
	s_cbranch_execz .LBB521_71
; %bb.70:
	s_add_i32 s54, s58, 64
	s_mov_b32 s55, 0
	s_lshl_b64 s[60:61], s[54:55], 4
	s_add_u32 s60, s36, s60
	s_addc_u32 s61, s37, s61
	s_and_b32 s63, s57, 0xff000000
	s_mov_b32 s62, s55
	s_and_b32 s65, s57, 0xff0000
	s_mov_b32 s64, s55
	s_or_b64 s[62:63], s[64:65], s[62:63]
	s_and_b32 s65, s57, 0xff00
	s_or_b64 s[62:63], s[62:63], s[64:65]
	s_and_b32 s65, s57, 0xff
	s_or_b64 s[54:55], s[62:63], s[64:65]
	v_mov_b32_e32 v32, s56
	v_mov_b32_e32 v33, s55
	;; [unrolled: 1-line block ×3, first 2 shown]
	v_mov_b64_e32 v[30:31], s[60:61]
	;;#ASMSTART
	global_store_dwordx4 v[30:31], v[32:35] off sc1	
s_waitcnt vmcnt(0)
	;;#ASMEND
.LBB521_71:
	s_or_b64 exec, exec, s[0:1]
	v_xad_u32 v38, v39, -1, s58
	v_add_u32_e32 v34, 64, v38
	v_lshl_add_u64 v[40:41], v[34:35], 4, s[36:37]
	;;#ASMSTART
	global_load_dwordx4 v[30:33], v[40:41] off sc1	
s_waitcnt vmcnt(0)
	;;#ASMEND
	s_nop 0
	v_and_b32_e32 v33, 0xff, v31
	v_and_b32_e32 v34, 0xff00, v31
	v_or3_b32 v30, v30, 0, 0
	v_and_b32_e32 v42, 0xff000000, v31
	v_or3_b32 v33, 0, v33, v34
	;; [unrolled: 2-line block ×3, first 2 shown]
	v_or3_b32 v30, v30, 0, 0
	v_cmp_eq_u16_sdwa s[54:55], v32, v35 src0_sel:BYTE_0 src1_sel:DWORD
	s_and_saveexec_b64 s[0:1], s[54:55]
	s_cbranch_execz .LBB521_77
; %bb.72:
	s_mov_b32 s59, 1
	s_mov_b64 s[54:55], 0
	v_mov_b32_e32 v34, 0
.LBB521_73:                             ; =>This Loop Header: Depth=1
                                        ;     Child Loop BB521_74 Depth 2
	s_max_u32 s60, s59, 1
.LBB521_74:                             ;   Parent Loop BB521_73 Depth=1
                                        ; =>  This Inner Loop Header: Depth=2
	s_add_i32 s60, s60, -1
	s_cmp_eq_u32 s60, 0
	s_sleep 1
	s_cbranch_scc0 .LBB521_74
; %bb.75:                               ;   in Loop: Header=BB521_73 Depth=1
	s_cmp_lt_u32 s59, 32
	s_cselect_b64 s[60:61], -1, 0
	s_cmp_lg_u64 s[60:61], 0
	s_addc_u32 s59, s59, 0
	;;#ASMSTART
	global_load_dwordx4 v[30:33], v[40:41] off sc1	
s_waitcnt vmcnt(0)
	;;#ASMEND
	s_nop 0
	v_cmp_ne_u16_sdwa s[60:61], v32, v34 src0_sel:BYTE_0 src1_sel:DWORD
	s_or_b64 s[54:55], s[60:61], s[54:55]
	s_andn2_b64 exec, exec, s[54:55]
	s_cbranch_execnz .LBB521_73
; %bb.76:
	s_or_b64 exec, exec, s[54:55]
.LBB521_77:
	s_or_b64 exec, exec, s[0:1]
	v_mov_b32_e32 v48, 2
	v_cmp_eq_u16_sdwa s[0:1], v32, v48 src0_sel:BYTE_0 src1_sel:DWORD
	v_lshlrev_b64 v[40:41], v39, -1
	v_and_b32_e32 v49, 63, v39
	v_and_b32_e32 v33, s1, v41
	v_or_b32_e32 v33, 0x80000000, v33
	v_cmp_ne_u32_e32 vcc, 63, v49
	v_and_b32_e32 v34, s0, v40
	v_ffbl_b32_e32 v33, v33
	v_addc_co_u32_e32 v35, vcc, 0, v39, vcc
	v_add_u32_e32 v33, 32, v33
	v_ffbl_b32_e32 v34, v34
	v_lshlrev_b32_e32 v50, 2, v35
	v_min_u32_e32 v33, v34, v33
	ds_bpermute_b32 v34, v50, v31
	v_cmp_eq_u32_e32 vcc, 0, v30
	v_cmp_lt_u32_e64 s[0:1], v49, v33
	ds_bpermute_b32 v35, v50, v30
	s_and_b64 vcc, s[0:1], vcc
	s_waitcnt lgkmcnt(1)
	v_cndmask_b32_e32 v34, 0, v34, vcc
	v_cmp_gt_u32_e32 vcc, 62, v49
	v_add_u32_e32 v31, v34, v31
	s_waitcnt lgkmcnt(0)
	v_cndmask_b32_e64 v35, 0, v35, s[0:1]
	v_cndmask_b32_e64 v34, 0, 1, vcc
	v_lshlrev_b32_e32 v34, 1, v34
	v_add_lshl_u32 v51, v34, v39, 2
	ds_bpermute_b32 v34, v51, v31
	v_add_u32_e32 v30, v35, v30
	ds_bpermute_b32 v35, v51, v30
	v_add_u32_e32 v52, 2, v49
	v_cmp_eq_u32_e32 vcc, 0, v30
	v_add_u32_e32 v54, 4, v49
	v_add_u32_e32 v56, 8, v49
	s_waitcnt lgkmcnt(1)
	v_cndmask_b32_e32 v34, 0, v34, vcc
	v_cmp_gt_u32_e32 vcc, v52, v33
	v_add_u32_e32 v58, 16, v49
	v_add_u32_e32 v60, 32, v49
	v_cndmask_b32_e64 v34, v34, 0, vcc
	v_add_u32_e32 v31, v34, v31
	s_waitcnt lgkmcnt(0)
	v_cndmask_b32_e64 v34, v35, 0, vcc
	v_cmp_gt_u32_e32 vcc, 60, v49
	v_add_u32_e32 v30, v30, v34
	s_nop 0
	v_cndmask_b32_e64 v35, 0, 1, vcc
	v_lshlrev_b32_e32 v35, 2, v35
	v_add_lshl_u32 v53, v35, v39, 2
	ds_bpermute_b32 v35, v53, v31
	ds_bpermute_b32 v34, v53, v30
	v_cmp_eq_u32_e32 vcc, 0, v30
	s_waitcnt lgkmcnt(1)
	s_nop 0
	v_cndmask_b32_e32 v35, 0, v35, vcc
	v_cmp_gt_u32_e32 vcc, v54, v33
	s_nop 1
	v_cndmask_b32_e64 v35, v35, 0, vcc
	s_waitcnt lgkmcnt(0)
	v_cndmask_b32_e64 v34, v34, 0, vcc
	v_cmp_gt_u32_e32 vcc, 56, v49
	v_add_u32_e32 v31, v31, v35
	v_add_u32_e32 v30, v30, v34
	v_cndmask_b32_e64 v35, 0, 1, vcc
	v_lshlrev_b32_e32 v35, 3, v35
	v_add_lshl_u32 v55, v35, v39, 2
	ds_bpermute_b32 v35, v55, v31
	ds_bpermute_b32 v34, v55, v30
	v_cmp_eq_u32_e32 vcc, 0, v30
	s_waitcnt lgkmcnt(1)
	s_nop 0
	v_cndmask_b32_e32 v35, 0, v35, vcc
	v_cmp_gt_u32_e32 vcc, v56, v33
	s_nop 1
	v_cndmask_b32_e64 v35, v35, 0, vcc
	s_waitcnt lgkmcnt(0)
	v_cndmask_b32_e64 v34, v34, 0, vcc
	v_cmp_gt_u32_e32 vcc, 48, v49
	v_add_u32_e32 v31, v31, v35
	v_add_u32_e32 v30, v30, v34
	;; [unrolled: 17-line block ×3, first 2 shown]
	v_cndmask_b32_e64 v35, 0, 1, vcc
	v_lshlrev_b32_e32 v35, 5, v35
	v_add_lshl_u32 v59, v35, v39, 2
	ds_bpermute_b32 v35, v59, v31
	ds_bpermute_b32 v34, v59, v30
	v_cmp_eq_u32_e32 vcc, 0, v30
	v_mov_b32_e32 v39, 0
	s_waitcnt lgkmcnt(1)
	v_cndmask_b32_e32 v35, 0, v35, vcc
	v_cmp_gt_u32_e32 vcc, v60, v33
	s_nop 1
	v_cndmask_b32_e64 v33, v35, 0, vcc
	v_add_u32_e32 v31, v33, v31
	s_waitcnt lgkmcnt(0)
	v_cndmask_b32_e64 v33, v34, 0, vcc
	v_add_u32_e32 v30, v33, v30
	s_branch .LBB521_79
.LBB521_78:                             ;   in Loop: Header=BB521_79 Depth=1
	s_or_b64 exec, exec, s[0:1]
	v_cmp_eq_u16_sdwa s[0:1], v32, v48 src0_sel:BYTE_0 src1_sel:DWORD
	v_cmp_eq_u32_e32 vcc, 0, v30
	ds_bpermute_b32 v43, v50, v30
	v_and_b32_e32 v33, s1, v41
	v_or_b32_e32 v33, 0x80000000, v33
	v_and_b32_e32 v42, s0, v40
	v_ffbl_b32_e32 v33, v33
	v_add_u32_e32 v33, 32, v33
	v_ffbl_b32_e32 v42, v42
	v_min_u32_e32 v33, v42, v33
	ds_bpermute_b32 v42, v50, v31
	v_cmp_lt_u32_e64 s[0:1], v49, v33
	s_and_b64 vcc, s[0:1], vcc
	v_subrev_u32_e32 v38, 64, v38
	s_waitcnt lgkmcnt(1)
	v_cndmask_b32_e64 v43, 0, v43, s[0:1]
	s_waitcnt lgkmcnt(0)
	v_cndmask_b32_e32 v42, 0, v42, vcc
	v_add_u32_e32 v31, v42, v31
	ds_bpermute_b32 v42, v51, v31
	v_add_u32_e32 v30, v43, v30
	v_cmp_eq_u32_e32 vcc, 0, v30
	ds_bpermute_b32 v43, v51, v30
	s_waitcnt lgkmcnt(1)
	v_cndmask_b32_e32 v42, 0, v42, vcc
	v_cmp_gt_u32_e32 vcc, v52, v33
	s_nop 1
	v_cndmask_b32_e64 v42, v42, 0, vcc
	v_add_u32_e32 v31, v42, v31
	ds_bpermute_b32 v42, v53, v31
	s_waitcnt lgkmcnt(1)
	v_cndmask_b32_e64 v43, v43, 0, vcc
	v_add_u32_e32 v30, v30, v43
	v_cmp_eq_u32_e32 vcc, 0, v30
	ds_bpermute_b32 v43, v53, v30
	s_waitcnt lgkmcnt(1)
	v_cndmask_b32_e32 v42, 0, v42, vcc
	v_cmp_gt_u32_e32 vcc, v54, v33
	s_nop 1
	v_cndmask_b32_e64 v42, v42, 0, vcc
	v_add_u32_e32 v31, v31, v42
	ds_bpermute_b32 v42, v55, v31
	s_waitcnt lgkmcnt(1)
	v_cndmask_b32_e64 v43, v43, 0, vcc
	v_add_u32_e32 v30, v30, v43
	ds_bpermute_b32 v43, v55, v30
	v_cmp_eq_u32_e32 vcc, 0, v30
	s_waitcnt lgkmcnt(1)
	s_nop 0
	v_cndmask_b32_e32 v42, 0, v42, vcc
	v_cmp_gt_u32_e32 vcc, v56, v33
	s_nop 1
	v_cndmask_b32_e64 v42, v42, 0, vcc
	v_add_u32_e32 v31, v31, v42
	ds_bpermute_b32 v42, v57, v31
	s_waitcnt lgkmcnt(1)
	v_cndmask_b32_e64 v43, v43, 0, vcc
	v_add_u32_e32 v30, v30, v43
	ds_bpermute_b32 v43, v57, v30
	v_cmp_eq_u32_e32 vcc, 0, v30
	s_waitcnt lgkmcnt(1)
	s_nop 0
	;; [unrolled: 13-line block ×3, first 2 shown]
	v_cndmask_b32_e32 v42, 0, v42, vcc
	v_cmp_gt_u32_e32 vcc, v60, v33
	s_nop 1
	v_cndmask_b32_e64 v33, v42, 0, vcc
	v_add_u32_e32 v31, v33, v31
	s_waitcnt lgkmcnt(0)
	v_cndmask_b32_e64 v33, v43, 0, vcc
	v_cmp_eq_u32_e32 vcc, 0, v34
	v_add3_u32 v30, v30, v34, v33
	s_nop 0
	v_cndmask_b32_e32 v31, 0, v31, vcc
	v_add_u32_e32 v31, v31, v35
.LBB521_79:                             ; =>This Loop Header: Depth=1
                                        ;     Child Loop BB521_82 Depth 2
                                        ;       Child Loop BB521_83 Depth 3
	v_cmp_ne_u16_sdwa s[0:1], v32, v48 src0_sel:BYTE_0 src1_sel:DWORD
	v_mov_b32_e32 v35, v31
	v_mov_b32_e32 v34, v30
	v_cndmask_b32_e64 v31, 0, 1, s[0:1]
	;;#ASMSTART
	;;#ASMEND
	s_nop 0
	v_cmp_ne_u32_e32 vcc, 0, v31
	s_cmp_lg_u64 vcc, exec
	s_cbranch_scc1 .LBB521_86
; %bb.80:                               ;   in Loop: Header=BB521_79 Depth=1
	v_lshl_add_u64 v[42:43], v[38:39], 4, s[36:37]
	;;#ASMSTART
	global_load_dwordx4 v[30:33], v[42:43] off sc1	
s_waitcnt vmcnt(0)
	;;#ASMEND
	s_nop 0
	v_and_b32_e32 v33, 0xff, v31
	v_and_b32_e32 v61, 0xff00, v31
	v_or3_b32 v30, v30, 0, 0
	v_and_b32_e32 v62, 0xff000000, v31
	v_or3_b32 v33, 0, v33, v61
	;; [unrolled: 2-line block ×3, first 2 shown]
	v_or3_b32 v30, v30, 0, 0
	v_cmp_eq_u16_sdwa s[54:55], v32, v39 src0_sel:BYTE_0 src1_sel:DWORD
	s_and_saveexec_b64 s[0:1], s[54:55]
	s_cbranch_execz .LBB521_78
; %bb.81:                               ;   in Loop: Header=BB521_79 Depth=1
	s_mov_b32 s59, 1
	s_mov_b64 s[54:55], 0
.LBB521_82:                             ;   Parent Loop BB521_79 Depth=1
                                        ; =>  This Loop Header: Depth=2
                                        ;       Child Loop BB521_83 Depth 3
	s_max_u32 s60, s59, 1
.LBB521_83:                             ;   Parent Loop BB521_79 Depth=1
                                        ;     Parent Loop BB521_82 Depth=2
                                        ; =>    This Inner Loop Header: Depth=3
	s_add_i32 s60, s60, -1
	s_cmp_eq_u32 s60, 0
	s_sleep 1
	s_cbranch_scc0 .LBB521_83
; %bb.84:                               ;   in Loop: Header=BB521_82 Depth=2
	s_cmp_lt_u32 s59, 32
	s_cselect_b64 s[60:61], -1, 0
	s_cmp_lg_u64 s[60:61], 0
	s_addc_u32 s59, s59, 0
	;;#ASMSTART
	global_load_dwordx4 v[30:33], v[42:43] off sc1	
s_waitcnt vmcnt(0)
	;;#ASMEND
	s_nop 0
	v_cmp_ne_u16_sdwa s[60:61], v32, v39 src0_sel:BYTE_0 src1_sel:DWORD
	s_or_b64 s[54:55], s[60:61], s[54:55]
	s_andn2_b64 exec, exec, s[54:55]
	s_cbranch_execnz .LBB521_82
; %bb.85:                               ;   in Loop: Header=BB521_79 Depth=1
	s_or_b64 exec, exec, s[54:55]
	s_branch .LBB521_78
.LBB521_86:                             ;   in Loop: Header=BB521_79 Depth=1
                                        ; implicit-def: $vgpr31
                                        ; implicit-def: $vgpr30
                                        ; implicit-def: $vgpr32
	s_cbranch_execz .LBB521_79
; %bb.87:
	s_and_saveexec_b64 s[0:1], s[28:29]
	s_cbranch_execz .LBB521_89
; %bb.88:
	s_cmp_eq_u32 s56, 0
	s_cselect_b64 vcc, -1, 0
	s_mov_b32 s55, 0
	v_cndmask_b32_e32 v30, 0, v35, vcc
	s_add_i32 s54, s58, 64
	v_add_u32_e32 v30, s57, v30
	s_lshl_b64 s[54:55], s[54:55], 4
	s_add_u32 s54, s36, s54
	v_and_b32_e32 v31, 0xff000000, v30
	v_and_b32_e32 v32, 0xff0000, v30
	s_addc_u32 s55, s37, s55
	v_or_b32_e32 v31, v32, v31
	v_and_b32_e32 v32, 0xff00, v30
	v_and_b32_e32 v30, 0xff, v30
	v_add_u32_e32 v38, s56, v34
	v_mov_b32_e32 v41, 0
	v_or3_b32 v39, v31, v32, v30
	v_mov_b32_e32 v40, 2
	v_mov_b64_e32 v[30:31], s[54:55]
	;;#ASMSTART
	global_store_dwordx4 v[30:31], v[38:41] off sc1	
s_waitcnt vmcnt(0)
	;;#ASMEND
	v_mov_b32_e32 v32, s56
	v_mov_b32_e32 v33, s57
	ds_write_b128 v41, v[32:35] offset:8192
.LBB521_89:
	s_or_b64 exec, exec, s[0:1]
	s_and_b64 exec, exec, s[34:35]
	s_cbranch_execz .LBB521_91
; %bb.90:
	v_mov_b32_e32 v30, 0
	ds_write_b64 v30, v[34:35] offset:8264
.LBB521_91:
	s_or_b64 exec, exec, s[52:53]
	v_mov_b32_e32 v32, 0
	s_waitcnt lgkmcnt(0)
	s_barrier
	ds_read_b64 v[30:31], v32 offset:8264
	v_cndmask_b32_e64 v34, v44, v36, s[28:29]
	v_cmp_eq_u32_e32 vcc, 0, v34
	v_cndmask_b32_e64 v33, v45, v37, s[28:29]
	s_waitcnt lgkmcnt(0)
	v_cndmask_b32_e32 v35, 0, v31, vcc
	v_add_u32_e32 v33, v35, v33
	v_cndmask_b32_e64 v67, v33, v31, s[34:35]
	v_cndmask_b32_e64 v31, v34, 0, s[34:35]
	v_cmp_eq_u32_e32 vcc, 0, v85
	v_add_u32_e32 v66, v30, v31
	v_add_u32_e32 v64, v66, v85
	v_cndmask_b32_e32 v30, 0, v67, vcc
	v_add_u32_e32 v65, v30, v68
	v_cndmask_b32_e64 v30, 0, v65, s[26:27]
	v_add_u32_e32 v63, v30, v68
	v_cndmask_b32_e64 v30, 0, v63, s[24:25]
	;; [unrolled: 2-line block ×8, first 2 shown]
	v_add_u32_e32 v49, v30, v68
	v_add_u32_e32 v62, v64, v84
	v_cndmask_b32_e64 v30, 0, v49, s[10:11]
	v_add_u32_e32 v60, v62, v83
	v_add_u32_e32 v45, v30, v68
	v_add_u32_e32 v58, v60, v82
	v_cndmask_b32_e64 v30, 0, v45, s[8:9]
	v_add_u32_e32 v56, v58, v81
	;; [unrolled: 4-line block ×3, first 2 shown]
	v_add_u32_e32 v41, v30, v68
	s_barrier
	ds_read_b128 v[30:33], v32 offset:8192
	v_add_u32_e32 v50, v52, v78
	v_add_u32_e32 v48, v50, v77
	;; [unrolled: 1-line block ×4, first 2 shown]
	v_cndmask_b32_e64 v34, 0, v41, s[4:5]
	v_add_u32_e32 v40, v42, v74
	v_add_u32_e32 v37, v34, v68
	s_waitcnt lgkmcnt(0)
	v_cmp_eq_u32_e32 vcc, 0, v30
	v_add_u32_e32 v36, v40, v73
	v_cndmask_b32_e64 v34, 0, v37, s[2:3]
	v_cndmask_b32_e32 v33, 0, v33, vcc
	v_add_u32_e32 v38, v36, v72
	v_add_u32_e32 v39, v34, v68
	;; [unrolled: 1-line block ×3, first 2 shown]
	s_branch .LBB521_104
.LBB521_92:
                                        ; implicit-def: $vgpr30
                                        ; implicit-def: $vgpr34
                                        ; implicit-def: $vgpr38_vgpr39
                                        ; implicit-def: $vgpr36_vgpr37
                                        ; implicit-def: $vgpr40_vgpr41
                                        ; implicit-def: $vgpr42_vgpr43
                                        ; implicit-def: $vgpr66_vgpr67
                                        ; implicit-def: $vgpr64_vgpr65
                                        ; implicit-def: $vgpr62_vgpr63
                                        ; implicit-def: $vgpr60_vgpr61
                                        ; implicit-def: $vgpr58_vgpr59
                                        ; implicit-def: $vgpr56_vgpr57
                                        ; implicit-def: $vgpr54_vgpr55
                                        ; implicit-def: $vgpr52_vgpr53
                                        ; implicit-def: $vgpr50_vgpr51
                                        ; implicit-def: $vgpr48_vgpr49
                                        ; implicit-def: $vgpr44_vgpr45
	s_cbranch_execz .LBB521_104
; %bb.93:
	s_and_b64 s[0:1], s[38:39], exec
	s_cselect_b32 s1, 0, s51
	s_cselect_b32 s0, 0, s50
	s_cmp_eq_u64 s[0:1], 0
	v_mov_b32_e32 v34, v68
	s_cbranch_scc1 .LBB521_95
; %bb.94:
	v_mov_b32_e32 v30, 0
	global_load_dword v34, v30, s[0:1]
.LBB521_95:
	v_cmp_eq_u32_e64 s[2:3], 0, v84
	v_cmp_eq_u32_e64 s[4:5], 0, v83
	v_cmp_eq_u32_e64 s[6:7], 0, v82
	v_cndmask_b32_e64 v30, 0, v68, s[2:3]
	v_add_u32_e32 v30, v30, v68
	v_cndmask_b32_e64 v30, 0, v30, s[4:5]
	v_add_u32_e32 v30, v30, v68
	v_cndmask_b32_e64 v30, 0, v30, s[6:7]
	v_add_u32_e32 v30, v30, v68
	v_cmp_eq_u32_e64 s[8:9], 0, v81
	v_cmp_eq_u32_e64 s[10:11], 0, v80
	v_cmp_eq_u32_e64 s[12:13], 0, v79
	v_cndmask_b32_e64 v30, 0, v30, s[8:9]
	v_add_u32_e32 v30, v30, v68
	v_cndmask_b32_e64 v30, 0, v30, s[10:11]
	v_add_u32_e32 v30, v30, v68
	v_cndmask_b32_e64 v30, 0, v30, s[12:13]
	v_add_u32_e32 v30, v30, v68
	;; [unrolled: 9-line block ×3, first 2 shown]
	v_cmp_eq_u32_e64 s[20:21], 0, v75
	v_cmp_eq_u32_e64 s[22:23], 0, v74
	;; [unrolled: 1-line block ×3, first 2 shown]
	v_cndmask_b32_e64 v30, 0, v30, s[20:21]
	v_add_u32_e32 v30, v30, v68
	v_cndmask_b32_e64 v30, 0, v30, s[22:23]
	v_add_u32_e32 v30, v30, v68
	v_cndmask_b32_e64 v30, 0, v30, s[24:25]
	v_add3_u32 v31, v87, v80, v79
	v_add_u32_e32 v30, v30, v68
	v_cmp_eq_u32_e32 vcc, 0, v72
	v_add3_u32 v31, v31, v78, v77
	v_add3_u32 v31, v31, v76, v75
	v_cndmask_b32_e32 v30, 0, v30, vcc
	v_add_u32_e32 v30, v30, v68
	v_cmp_eq_u32_e64 s[0:1], 0, v1
	v_add3_u32 v31, v31, v74, v73
	v_add3_u32 v31, v31, v72, v1
	v_cndmask_b32_e64 v30, 0, v30, s[0:1]
	v_add_u32_e32 v30, v30, v69
	v_mbcnt_hi_u32_b32 v35, -1, v86
	v_and_b32_e32 v32, 15, v35
	v_mov_b32_dpp v36, v30 row_shr:1 row_mask:0xf bank_mask:0xf
	v_cmp_eq_u32_e64 s[0:1], 0, v31
	v_mov_b32_dpp v33, v31 row_shr:1 row_mask:0xf bank_mask:0xf
	v_cmp_lt_u32_e64 s[26:27], 1, v32
	v_cndmask_b32_e64 v36, 0, v36, s[0:1]
	v_cmp_eq_u32_e64 s[0:1], 0, v32
	s_nop 1
	v_cndmask_b32_e64 v33, v33, 0, s[0:1]
	v_add_u32_e32 v31, v33, v31
	v_cndmask_b32_e64 v33, v36, 0, s[0:1]
	v_add_u32_e32 v30, v33, v30
	v_cmp_eq_u32_e64 s[0:1], 0, v31
	v_mov_b32_dpp v33, v31 row_shr:2 row_mask:0xf bank_mask:0xf
	v_mov_b32_dpp v36, v30 row_shr:2 row_mask:0xf bank_mask:0xf
	v_cndmask_b32_e64 v33, 0, v33, s[26:27]
	s_and_b64 s[0:1], s[26:27], s[0:1]
	v_cndmask_b32_e64 v36, 0, v36, s[0:1]
	v_add_u32_e32 v31, v31, v33
	v_add_u32_e32 v30, v36, v30
	v_cmp_eq_u32_e64 s[0:1], 0, v31
	v_mov_b32_dpp v33, v31 row_shr:4 row_mask:0xf bank_mask:0xf
	v_cmp_lt_u32_e64 s[26:27], 3, v32
	v_mov_b32_dpp v36, v30 row_shr:4 row_mask:0xf bank_mask:0xf
	s_and_b64 s[0:1], s[26:27], s[0:1]
	v_cndmask_b32_e64 v33, 0, v33, s[26:27]
	v_cndmask_b32_e64 v36, 0, v36, s[0:1]
	v_add_u32_e32 v31, v33, v31
	v_add_u32_e32 v30, v30, v36
	v_cmp_eq_u32_e64 s[0:1], 0, v31
	v_cmp_lt_u32_e64 s[26:27], 7, v32
	v_mov_b32_dpp v33, v31 row_shr:8 row_mask:0xf bank_mask:0xf
	v_mov_b32_dpp v36, v30 row_shr:8 row_mask:0xf bank_mask:0xf
	s_and_b64 s[0:1], s[26:27], s[0:1]
	v_cndmask_b32_e64 v32, 0, v33, s[26:27]
	v_cndmask_b32_e64 v33, 0, v36, s[0:1]
	v_add_u32_e32 v30, v33, v30
	v_add_u32_e32 v31, v32, v31
	v_bfe_i32 v36, v35, 4, 1
	v_mov_b32_dpp v33, v30 row_bcast:15 row_mask:0xf bank_mask:0xf
	v_mov_b32_dpp v32, v31 row_bcast:15 row_mask:0xf bank_mask:0xf
	v_cmp_eq_u32_e64 s[0:1], 0, v31
	v_and_b32_e32 v32, v36, v32
	v_add_u32_e32 v31, v32, v31
	v_cndmask_b32_e64 v33, 0, v33, s[0:1]
	v_and_b32_e32 v32, v36, v33
	v_add_u32_e32 v32, v32, v30
	v_mov_b32_dpp v30, v31 row_bcast:31 row_mask:0xf bank_mask:0xf
	v_cmp_eq_u32_e64 s[0:1], 0, v31
	v_cmp_lt_u32_e64 s[26:27], 31, v35
	v_mov_b32_dpp v33, v32 row_bcast:31 row_mask:0xf bank_mask:0xf
	s_and_b64 s[0:1], s[26:27], s[0:1]
	v_cndmask_b32_e64 v30, 0, v30, s[26:27]
	v_add_u32_e32 v30, v30, v31
	v_cndmask_b32_e64 v31, 0, v33, s[0:1]
	v_add_u32_e32 v31, v31, v32
	v_cmp_eq_u32_e64 s[0:1], v71, v0
	s_and_saveexec_b64 s[26:27], s[0:1]
	s_cbranch_execz .LBB521_97
; %bb.96:
	v_lshlrev_b32_e32 v32, 3, v70
	ds_write_b64 v32, v[30:31] offset:8208
.LBB521_97:
	s_or_b64 exec, exec, s[26:27]
	v_cmp_gt_u32_e64 s[0:1], 8, v0
	s_waitcnt lgkmcnt(0)
	s_barrier
	s_and_saveexec_b64 s[28:29], s[0:1]
	s_cbranch_execz .LBB521_99
; %bb.98:
	v_lshlrev_b32_e32 v36, 3, v0
	ds_read_b64 v[32:33], v36 offset:8208
	v_and_b32_e32 v37, 7, v35
	v_cmp_lt_u32_e64 s[26:27], 1, v37
	s_waitcnt lgkmcnt(0)
	v_mov_b32_dpp v39, v33 row_shr:1 row_mask:0xf bank_mask:0xf
	v_cmp_eq_u32_e64 s[0:1], 0, v32
	v_mov_b32_dpp v38, v32 row_shr:1 row_mask:0xf bank_mask:0xf
	s_nop 0
	v_cndmask_b32_e64 v39, 0, v39, s[0:1]
	v_cmp_eq_u32_e64 s[0:1], 0, v37
	s_nop 1
	v_cndmask_b32_e64 v38, v38, 0, s[0:1]
	v_add_u32_e32 v32, v38, v32
	v_cndmask_b32_e64 v38, v39, 0, s[0:1]
	v_add_u32_e32 v33, v38, v33
	v_cmp_eq_u32_e64 s[0:1], 0, v32
	v_mov_b32_dpp v38, v32 row_shr:2 row_mask:0xf bank_mask:0xf
	v_mov_b32_dpp v39, v33 row_shr:2 row_mask:0xf bank_mask:0xf
	v_cndmask_b32_e64 v38, 0, v38, s[26:27]
	s_and_b64 s[0:1], s[26:27], s[0:1]
	v_cndmask_b32_e64 v39, 0, v39, s[0:1]
	v_add_u32_e32 v32, v38, v32
	v_add_u32_e32 v33, v39, v33
	v_cmp_eq_u32_e64 s[0:1], 0, v32
	v_mov_b32_dpp v38, v32 row_shr:4 row_mask:0xf bank_mask:0xf
	v_cmp_lt_u32_e64 s[26:27], 3, v37
	v_mov_b32_dpp v39, v33 row_shr:4 row_mask:0xf bank_mask:0xf
	s_and_b64 s[0:1], s[26:27], s[0:1]
	v_cndmask_b32_e64 v37, 0, v38, s[26:27]
	v_add_u32_e32 v32, v37, v32
	v_cndmask_b32_e64 v37, 0, v39, s[0:1]
	v_add_u32_e32 v33, v37, v33
	ds_write_b64 v36, v[32:33] offset:8208
.LBB521_99:
	s_or_b64 exec, exec, s[28:29]
	v_cmp_lt_u32_e64 s[0:1], 63, v0
	v_mov_b32_e32 v37, 0
	v_mov_b32_e32 v32, 0
	s_waitcnt vmcnt(0)
	v_mov_b32_e32 v33, v34
	s_waitcnt lgkmcnt(0)
	s_barrier
	s_and_saveexec_b64 s[26:27], s[0:1]
	s_cbranch_execz .LBB521_101
; %bb.100:
	v_lshlrev_b32_e32 v32, 3, v70
	ds_read_b64 v[32:33], v32 offset:8200
	s_waitcnt lgkmcnt(0)
	v_cmp_eq_u32_e64 s[0:1], 0, v32
	s_nop 1
	v_cndmask_b32_e64 v36, 0, v34, s[0:1]
	v_add_u32_e32 v33, v36, v33
.LBB521_101:
	s_or_b64 exec, exec, s[26:27]
	v_cmp_eq_u32_e64 s[0:1], 0, v30
	v_add_u32_e32 v36, v32, v30
	v_and_b32_e32 v38, 64, v35
	v_cndmask_b32_e64 v30, 0, v33, s[0:1]
	v_add_u32_e32 v30, v30, v31
	v_add_u32_e32 v31, -1, v35
	v_cmp_lt_i32_e64 s[0:1], v31, v38
	s_nop 1
	v_cndmask_b32_e64 v31, v31, v35, s[0:1]
	v_lshlrev_b32_e32 v31, 2, v31
	ds_bpermute_b32 v30, v31, v30
	ds_bpermute_b32 v36, v31, v36
	v_cmp_eq_u32_e64 s[0:1], 0, v35
	s_waitcnt lgkmcnt(1)
	s_nop 0
	v_cndmask_b32_e64 v30, v30, v33, s[0:1]
	s_waitcnt lgkmcnt(0)
	v_cndmask_b32_e64 v31, v36, v32, s[0:1]
	v_cndmask_b32_e64 v67, v30, v34, s[34:35]
	v_cmp_eq_u32_e64 s[0:1], 0, v85
	v_cndmask_b32_e64 v66, v31, 0, s[34:35]
	v_add_u32_e32 v64, v66, v85
	v_cndmask_b32_e64 v30, 0, v67, s[0:1]
	v_add_u32_e32 v65, v30, v68
	;; [unrolled: 2-line block ×10, first 2 shown]
	v_add_u32_e32 v62, v64, v84
	v_cndmask_b32_e64 v30, 0, v49, s[18:19]
	v_add_u32_e32 v60, v62, v83
	v_add_u32_e32 v45, v30, v68
	v_add_u32_e32 v58, v60, v82
	v_cndmask_b32_e64 v30, 0, v45, s[20:21]
	v_add_u32_e32 v56, v58, v81
	v_add_u32_e32 v43, v30, v68
	;; [unrolled: 4-line block ×3, first 2 shown]
	ds_read_b64 v[30:31], v37 offset:8264
	v_add_u32_e32 v50, v52, v78
	v_add_u32_e32 v48, v50, v77
	;; [unrolled: 1-line block ×3, first 2 shown]
	v_cndmask_b32_e64 v32, 0, v41, s[24:25]
	v_add_u32_e32 v42, v44, v75
	v_add_u32_e32 v37, v32, v68
	;; [unrolled: 1-line block ×3, first 2 shown]
	v_cndmask_b32_e32 v32, 0, v37, vcc
	s_waitcnt lgkmcnt(0)
	v_cmp_eq_u32_e32 vcc, 0, v30
	v_add_u32_e32 v36, v40, v73
	v_add_u32_e32 v39, v32, v68
	v_cndmask_b32_e32 v32, 0, v34, vcc
	v_add_u32_e32 v38, v36, v72
	v_add_u32_e32 v34, v32, v31
	s_and_saveexec_b64 s[0:1], s[34:35]
	s_cbranch_execz .LBB521_103
; %bb.102:
	s_add_u32 s2, s36, 0x400
	v_and_b32_e32 v31, 0xff000000, v34
	v_and_b32_e32 v32, 0xff0000, v34
	s_addc_u32 s3, s37, 0
	v_or_b32_e32 v31, v32, v31
	v_and_b32_e32 v32, 0xff00, v34
	v_and_b32_e32 v35, 0xff, v34
	v_mov_b32_e32 v33, 0
	v_or3_b32 v31, v31, v32, v35
	v_mov_b32_e32 v32, 2
	v_mov_b64_e32 v[68:69], s[2:3]
	;;#ASMSTART
	global_store_dwordx4 v[68:69], v[30:33] off sc1	
s_waitcnt vmcnt(0)
	;;#ASMEND
.LBB521_103:
	s_or_b64 exec, exec, s[0:1]
	v_mov_b32_e32 v32, 0
.LBB521_104:
	s_and_b64 s[0:1], s[38:39], exec
	s_cselect_b32 s1, 0, s31
	s_cselect_b32 s0, 0, s30
	s_cmp_eq_u64 s[0:1], 0
	v_mov_b64_e32 v[68:69], 0
	s_barrier
	s_cbranch_scc1 .LBB521_106
; %bb.105:
	v_mov_b32_e32 v31, 0
	global_load_dwordx2 v[68:69], v31, s[0:1]
.LBB521_106:
	v_cmp_eq_u32_e32 vcc, 0, v85
	s_movk_i32 s0, 0x200
	v_mov_b32_e32 v33, 0
	v_cndmask_b32_e64 v31, 1, 2, vcc
	v_cmp_eq_u32_e32 vcc, 0, v84
	v_cmp_ne_u32_e64 s[30:31], 0, v85
	v_cmp_ne_u32_e64 s[28:29], 0, v84
	v_cndmask_b32_e64 v35, 1, 2, vcc
	v_cmp_eq_u32_e32 vcc, 0, v83
	v_and_b32_e32 v31, v35, v31
	v_cmp_ne_u32_e64 s[26:27], 0, v83
	v_cndmask_b32_e64 v35, 1, 2, vcc
	v_cmp_eq_u32_e32 vcc, 0, v82
	v_and_b32_e32 v31, v31, v35
	;; [unrolled: 4-line block ×13, first 2 shown]
	v_cmp_ne_u32_e64 s[2:3], 0, v1
	v_cndmask_b32_e64 v35, 1, 2, vcc
	v_and_b32_e32 v31, v31, v35
	v_cmp_gt_u32_e32 vcc, s0, v30
	s_mov_b64 s[36:37], -1
	v_cmp_gt_i16_e64 s[0:1], 2, v31
	s_cbranch_vccz .LBB521_113
; %bb.107:
	s_and_saveexec_b64 s[36:37], s[0:1]
	s_cbranch_execz .LBB521_112
; %bb.108:
	s_waitcnt vmcnt(0)
	v_lshlrev_b64 v[70:71], 3, v[68:69]
	v_lshl_add_u64 v[70:71], s[44:45], 0, v[70:71]
	v_lshlrev_b64 v[86:87], 3, v[32:33]
	v_lshl_add_u64 v[70:71], v[70:71], 0, v[86:87]
	v_cmp_ne_u16_e32 vcc, 1, v31
	s_mov_b64 s[38:39], 0
	s_and_saveexec_b64 s[0:1], vcc
	s_xor_b64 s[0:1], exec, s[0:1]
	s_cbranch_execnz .LBB521_145
; %bb.109:
	s_andn2_saveexec_b64 s[0:1], s[0:1]
	s_cbranch_execnz .LBB521_161
.LBB521_110:
	s_or_b64 exec, exec, s[0:1]
	s_and_b64 exec, exec, s[38:39]
	s_cbranch_execz .LBB521_112
.LBB521_111:
	v_sub_u32_e32 v86, v38, v32
	v_mov_b32_e32 v87, 0
	v_lshl_add_u64 v[70:71], v[86:87], 3, v[70:71]
	global_store_dwordx2 v[70:71], v[46:47], off
.LBB521_112:
	s_or_b64 exec, exec, s[36:37]
	s_mov_b64 s[36:37], 0
.LBB521_113:
	s_and_b64 vcc, exec, s[36:37]
	s_cbranch_vccz .LBB521_123
; %bb.114:
	v_cmp_gt_i16_e32 vcc, 2, v31
	s_and_saveexec_b64 s[0:1], vcc
	s_cbranch_execz .LBB521_119
; %bb.115:
	v_cmp_ne_u16_e32 vcc, 1, v31
	s_mov_b64 s[38:39], 0
	s_and_saveexec_b64 s[36:37], vcc
	s_xor_b64 s[36:37], exec, s[36:37]
	s_cbranch_execnz .LBB521_162
; %bb.116:
	s_andn2_saveexec_b64 s[2:3], s[36:37]
	s_cbranch_execnz .LBB521_178
.LBB521_117:
	s_or_b64 exec, exec, s[2:3]
	s_and_b64 exec, exec, s[38:39]
	s_cbranch_execz .LBB521_119
.LBB521_118:
	v_sub_u32_e32 v2, v38, v32
	v_lshlrev_b32_e32 v2, 3, v2
	ds_write_b64 v2, v[46:47]
.LBB521_119:
	s_or_b64 exec, exec, s[0:1]
	v_cmp_lt_u32_e32 vcc, v0, v30
	s_waitcnt lgkmcnt(0)
	s_barrier
	s_and_saveexec_b64 s[0:1], vcc
	s_cbranch_execz .LBB521_122
; %bb.120:
	s_waitcnt vmcnt(0)
	v_lshlrev_b64 v[4:5], 3, v[68:69]
	v_lshlrev_b64 v[6:7], 3, v[32:33]
	v_lshl_add_u64 v[4:5], v[4:5], 0, v[6:7]
	v_lshlrev_b32_e32 v2, 3, v0
	v_mov_b32_e32 v3, 0
	v_lshl_add_u64 v[4:5], s[44:45], 0, v[4:5]
	v_lshl_add_u64 v[4:5], v[4:5], 0, v[2:3]
	s_mov_b64 s[2:3], 0
	s_mov_b64 s[4:5], 0x1000
	v_mov_b32_e32 v3, v0
.LBB521_121:                            ; =>This Inner Loop Header: Depth=1
	ds_read_b64 v[6:7], v2
	v_add_u32_e32 v3, 0x200, v3
	v_cmp_ge_u32_e32 vcc, v3, v30
	v_add_u32_e32 v2, 0x1000, v2
	s_or_b64 s[2:3], vcc, s[2:3]
	s_waitcnt lgkmcnt(0)
	global_store_dwordx2 v[4:5], v[6:7], off
	v_lshl_add_u64 v[4:5], v[4:5], 0, s[4:5]
	s_andn2_b64 exec, exec, s[2:3]
	s_cbranch_execnz .LBB521_121
.LBB521_122:
	s_or_b64 exec, exec, s[0:1]
.LBB521_123:
	s_cmpk_lg_i32 s33, 0x1e00
	s_cselect_b64 s[0:1], -1, 0
	v_cndmask_b32_e64 v10, 0, 1, s[42:43]
	s_and_b64 s[0:1], s[0:1], s[40:41]
	v_sub_u32_e32 v2, v30, v10
	v_cndmask_b32_e64 v3, 0, 1, s[0:1]
	s_and_b64 s[0:1], s[34:35], s[42:43]
	v_add_u32_e32 v12, v2, v3
	v_cndmask_b32_e64 v2, v85, 0, s[0:1]
	s_mul_hi_u32 s0, s33, 0x88888889
	s_lshr_b32 s0, s0, 3
	v_mad_i32_i24 v3, v0, -15, s33
	v_cmp_eq_u32_e32 vcc, s0, v0
	v_cmp_ne_u32_e64 s[0:1], 0, v3
	s_and_b64 vcc, vcc, s[40:41]
	s_mov_b32 s2, 0
	v_cndmask_b32_e64 v4, 1, v2, s[0:1]
	v_cmp_ne_u32_e64 s[0:1], 1, v3
	v_cndmask_b32_e32 v27, v2, v4, vcc
	s_movk_i32 s30, 0x200
	v_cndmask_b32_e64 v5, 1, v84, s[0:1]
	v_cmp_ne_u32_e64 s[0:1], 2, v3
	v_cndmask_b32_e32 v26, v84, v5, vcc
	s_waitcnt vmcnt(0)
	v_lshlrev_b64 v[4:5], 3, v[68:69]
	v_cndmask_b32_e64 v6, 1, v83, s[0:1]
	v_cmp_ne_u32_e64 s[0:1], 3, v3
	v_cndmask_b32_e32 v25, v83, v6, vcc
	s_mov_b64 s[34:35], -1
	v_cndmask_b32_e64 v7, 1, v82, s[0:1]
	v_cmp_ne_u32_e64 s[0:1], 4, v3
	v_cndmask_b32_e32 v24, v82, v7, vcc
	v_lshlrev_b64 v[6:7], 3, v[32:33]
	v_cndmask_b32_e64 v8, 1, v81, s[0:1]
	v_cmp_ne_u32_e64 s[0:1], 5, v3
	v_cndmask_b32_e32 v23, v81, v8, vcc
	v_cmp_ne_u32_e64 s[28:29], 0, v27
	v_cndmask_b32_e64 v9, 1, v80, s[0:1]
	v_cmp_ne_u32_e64 s[0:1], 6, v3
	v_cndmask_b32_e32 v22, v80, v9, vcc
	v_cmp_ne_u32_e64 s[26:27], 0, v26
	v_cndmask_b32_e64 v11, 1, v79, s[0:1]
	v_cmp_ne_u32_e64 s[0:1], 7, v3
	v_cndmask_b32_e32 v21, v79, v11, vcc
	v_mov_b32_e32 v11, s2
	v_cndmask_b32_e64 v13, 1, v78, s[0:1]
	v_cmp_ne_u32_e64 s[0:1], 8, v3
	v_cndmask_b32_e32 v13, v78, v13, vcc
	v_lshl_add_u64 v[8:9], v[10:11], 0, -1
	v_cndmask_b32_e64 v14, 1, v77, s[0:1]
	v_cmp_ne_u32_e64 s[0:1], 9, v3
	v_cndmask_b32_e32 v14, v77, v14, vcc
	v_cmp_ne_u32_e64 s[14:15], 0, v13
	v_cndmask_b32_e64 v15, 1, v76, s[0:1]
	v_cmp_ne_u32_e64 s[0:1], 10, v3
	v_cndmask_b32_e32 v15, v76, v15, vcc
	v_cmp_ne_u32_e64 s[24:25], 0, v25
	;; [unrolled: 4-line block ×6, first 2 shown]
	v_cndmask_b32_e64 v3, 1, v1, s[0:1]
	v_cndmask_b32_e32 v20, v1, v3, vcc
	v_cmp_eq_u32_e32 vcc, 0, v27
	v_add_u32_e32 v1, v32, v10
	v_lshl_add_u64 v[2:3], s[46:47], 0, v[4:5]
	v_cndmask_b32_e64 v10, 1, 2, vcc
	v_cmp_eq_u32_e32 vcc, 0, v26
	v_lshl_add_u64 v[2:3], v[2:3], 0, v[6:7]
	v_cmp_ne_u32_e64 s[12:13], 0, v14
	v_cndmask_b32_e64 v11, 1, 2, vcc
	v_cmp_eq_u32_e32 vcc, 0, v25
	v_and_b32_e32 v10, v11, v10
	v_cmp_ne_u32_e64 s[10:11], 0, v15
	v_cndmask_b32_e64 v11, 1, 2, vcc
	v_cmp_eq_u32_e32 vcc, 0, v24
	v_and_b32_e32 v10, v10, v11
	;; [unrolled: 4-line block ×7, first 2 shown]
	s_nop 0
	v_cndmask_b32_e64 v11, 1, 2, vcc
	v_cmp_eq_u32_e32 vcc, 0, v15
	v_and_b32_e32 v10, v10, v11
	s_barrier
	v_cndmask_b32_e64 v11, 1, 2, vcc
	v_cmp_eq_u32_e32 vcc, 0, v16
	v_and_b32_e32 v10, v10, v11
	s_nop 0
	v_cndmask_b32_e64 v11, 1, 2, vcc
	v_cmp_eq_u32_e32 vcc, 0, v17
	v_and_b32_e32 v10, v10, v11
	s_nop 0
	v_cndmask_b32_e64 v11, 1, 2, vcc
	v_cmp_eq_u32_e32 vcc, 0, v18
	v_and_b32_e32 v10, v10, v11
	s_nop 0
	v_cndmask_b32_e64 v11, 1, 2, vcc
	v_cmp_eq_u32_e32 vcc, 0, v19
	v_and_b32_e32 v10, v10, v11
	s_nop 0
	v_cndmask_b32_e64 v11, 1, 2, vcc
	v_cmp_eq_u32_e32 vcc, 0, v20
	v_and_b32_e32 v10, v10, v11
	s_nop 0
	v_cndmask_b32_e64 v11, 1, 2, vcc
	v_and_b32_e32 v13, v10, v11
	v_cmp_gt_u32_e32 vcc, s30, v12
	v_cmp_gt_i16_e64 s[30:31], 2, v13
	s_cbranch_vccz .LBB521_130
; %bb.124:
	s_and_saveexec_b64 s[34:35], s[30:31]
	s_cbranch_execz .LBB521_129
; %bb.125:
	v_lshlrev_b64 v[10:11], 3, v[8:9]
	v_lshl_add_u64 v[10:11], v[2:3], 0, v[10:11]
	v_cmp_ne_u16_e32 vcc, 1, v13
	s_mov_b64 s[36:37], 0
	s_and_saveexec_b64 s[30:31], vcc
	s_xor_b64 s[30:31], exec, s[30:31]
	s_cbranch_execnz .LBB521_179
; %bb.126:
	s_andn2_saveexec_b64 s[30:31], s[30:31]
	s_cbranch_execnz .LBB521_195
.LBB521_127:
	s_or_b64 exec, exec, s[30:31]
	s_and_b64 exec, exec, s[36:37]
	s_cbranch_execz .LBB521_129
.LBB521_128:
	v_mov_b32_e32 v15, 0
	v_sub_u32_e32 v16, v38, v1
	v_mov_b32_e32 v17, v15
	v_mov_b32_e32 v14, v39
	v_lshl_add_u64 v[10:11], v[16:17], 3, v[10:11]
	global_store_dwordx2 v[10:11], v[14:15], off
.LBB521_129:
	s_or_b64 exec, exec, s[34:35]
	s_mov_b64 s[34:35], 0
.LBB521_130:
	s_and_b64 vcc, exec, s[34:35]
	s_cbranch_vccz .LBB521_140
; %bb.131:
	v_cmp_gt_i16_e32 vcc, 2, v13
	s_and_saveexec_b64 s[30:31], vcc
	s_cbranch_execz .LBB521_136
; %bb.132:
	v_cmp_ne_u16_e32 vcc, 1, v13
	s_mov_b64 s[36:37], 0
	s_and_saveexec_b64 s[34:35], vcc
	s_xor_b64 s[34:35], exec, s[34:35]
	s_cbranch_execnz .LBB521_196
; %bb.133:
	s_andn2_saveexec_b64 s[0:1], s[34:35]
	s_cbranch_execnz .LBB521_212
.LBB521_134:
	s_or_b64 exec, exec, s[0:1]
	s_and_b64 exec, exec, s[36:37]
	s_cbranch_execz .LBB521_136
.LBB521_135:
	v_sub_u32_e32 v1, v38, v1
	v_lshlrev_b32_e32 v1, 2, v1
	ds_write_b32 v1, v39
.LBB521_136:
	s_or_b64 exec, exec, s[30:31]
	v_cmp_lt_u32_e32 vcc, v0, v12
	s_waitcnt lgkmcnt(0)
	s_barrier
	s_and_saveexec_b64 s[0:1], vcc
	s_cbranch_execz .LBB521_139
; %bb.137:
	v_lshlrev_b64 v[8:9], 3, v[8:9]
	v_lshl_add_u64 v[4:5], v[4:5], 0, v[8:9]
	v_lshl_add_u64 v[6:7], v[4:5], 0, v[6:7]
	v_lshlrev_b32_e32 v4, 3, v0
	v_mov_b32_e32 v5, 0
	v_lshl_add_u64 v[6:7], s[46:47], 0, v[6:7]
	v_lshlrev_b32_e32 v1, 2, v0
	v_lshl_add_u64 v[6:7], v[6:7], 0, v[4:5]
	s_mov_b64 s[2:3], 0
	s_mov_b64 s[4:5], 0x1000
	v_mov_b32_e32 v8, v0
.LBB521_138:                            ; =>This Inner Loop Header: Depth=1
	ds_read_b32 v4, v1
	v_add_u32_e32 v8, 0x200, v8
	v_cmp_ge_u32_e32 vcc, v8, v12
	v_add_u32_e32 v1, 0x800, v1
	s_or_b64 s[2:3], vcc, s[2:3]
	s_waitcnt lgkmcnt(0)
	global_store_dwordx2 v[6:7], v[4:5], off
	v_lshl_add_u64 v[6:7], v[6:7], 0, s[4:5]
	s_andn2_b64 exec, exec, s[2:3]
	s_cbranch_execnz .LBB521_138
.LBB521_139:
	s_or_b64 exec, exec, s[0:1]
.LBB521_140:
	s_movk_i32 s0, 0x1ff
	v_cmp_eq_u32_e32 vcc, s0, v0
	s_and_b64 s[0:1], vcc, s[40:41]
	s_and_saveexec_b64 s[2:3], s[0:1]
	s_cbranch_execz .LBB521_143
; %bb.141:
	v_mov_b32_e32 v31, 0
	v_lshl_add_u64 v[0:1], v[30:31], 0, v[32:33]
	v_lshl_add_u64 v[0:1], v[0:1], 0, v[68:69]
	s_cmpk_lg_i32 s33, 0x1e00
	global_store_dwordx2 v31, v[0:1], s[48:49]
	s_cbranch_scc1 .LBB521_143
; %bb.142:
	v_lshlrev_b64 v[0:1], 3, v[30:31]
	v_mov_b32_e32 v35, v31
	v_lshl_add_u64 v[0:1], v[2:3], 0, v[0:1]
	global_store_dwordx2 v[0:1], v[34:35], off offset:-8
.LBB521_143:
	s_endpgm
.LBB521_144:
	s_or_b64 exec, exec, s[8:9]
	v_mov_b32_e32 v85, s10
	s_and_saveexec_b64 s[2:3], s[4:5]
	s_cbranch_execnz .LBB521_60
	s_branch .LBB521_61
.LBB521_145:
	s_and_saveexec_b64 s[38:39], s[30:31]
	s_cbranch_execnz .LBB521_213
; %bb.146:
	s_or_b64 exec, exec, s[38:39]
	s_and_saveexec_b64 s[38:39], s[28:29]
	s_cbranch_execnz .LBB521_214
.LBB521_147:
	s_or_b64 exec, exec, s[38:39]
	s_and_saveexec_b64 s[38:39], s[26:27]
	s_cbranch_execnz .LBB521_215
.LBB521_148:
	s_or_b64 exec, exec, s[38:39]
	s_and_saveexec_b64 s[38:39], s[24:25]
	s_cbranch_execnz .LBB521_216
.LBB521_149:
	s_or_b64 exec, exec, s[38:39]
	s_and_saveexec_b64 s[38:39], s[22:23]
	s_cbranch_execnz .LBB521_217
.LBB521_150:
	s_or_b64 exec, exec, s[38:39]
	s_and_saveexec_b64 s[38:39], s[20:21]
	s_cbranch_execnz .LBB521_218
.LBB521_151:
	s_or_b64 exec, exec, s[38:39]
	s_and_saveexec_b64 s[38:39], s[18:19]
	s_cbranch_execnz .LBB521_219
.LBB521_152:
	s_or_b64 exec, exec, s[38:39]
	s_and_saveexec_b64 s[38:39], s[16:17]
	s_cbranch_execnz .LBB521_220
.LBB521_153:
	s_or_b64 exec, exec, s[38:39]
	s_and_saveexec_b64 s[38:39], s[14:15]
	s_cbranch_execnz .LBB521_221
.LBB521_154:
	s_or_b64 exec, exec, s[38:39]
	s_and_saveexec_b64 s[38:39], s[12:13]
	s_cbranch_execnz .LBB521_222
.LBB521_155:
	s_or_b64 exec, exec, s[38:39]
	s_and_saveexec_b64 s[38:39], s[10:11]
	s_cbranch_execnz .LBB521_223
.LBB521_156:
	s_or_b64 exec, exec, s[38:39]
	s_and_saveexec_b64 s[38:39], s[8:9]
	s_cbranch_execnz .LBB521_224
.LBB521_157:
	s_or_b64 exec, exec, s[38:39]
	s_and_saveexec_b64 s[38:39], s[6:7]
	s_cbranch_execnz .LBB521_225
.LBB521_158:
	s_or_b64 exec, exec, s[38:39]
	s_and_saveexec_b64 s[38:39], s[4:5]
	s_cbranch_execz .LBB521_160
.LBB521_159:
	v_sub_u32_e32 v86, v36, v32
	v_mov_b32_e32 v87, 0
	v_lshl_add_u64 v[86:87], v[86:87], 3, v[70:71]
	global_store_dwordx2 v[86:87], v[8:9], off
.LBB521_160:
	s_or_b64 exec, exec, s[38:39]
	s_and_b64 s[38:39], s[2:3], exec
	s_andn2_saveexec_b64 s[0:1], s[0:1]
	s_cbranch_execz .LBB521_110
.LBB521_161:
	v_sub_u32_e32 v86, v66, v32
	v_mov_b32_e32 v87, 0
	v_lshl_add_u64 v[88:89], v[86:87], 3, v[70:71]
	v_sub_u32_e32 v86, v64, v32
	global_store_dwordx2 v[88:89], v[26:27], off
	v_lshl_add_u64 v[88:89], v[86:87], 3, v[70:71]
	v_sub_u32_e32 v86, v62, v32
	global_store_dwordx2 v[88:89], v[28:29], off
	v_lshl_add_u64 v[88:89], v[86:87], 3, v[70:71]
	v_sub_u32_e32 v86, v60, v32
	global_store_dwordx2 v[88:89], v[22:23], off
	v_lshl_add_u64 v[88:89], v[86:87], 3, v[70:71]
	v_sub_u32_e32 v86, v58, v32
	global_store_dwordx2 v[88:89], v[24:25], off
	v_lshl_add_u64 v[88:89], v[86:87], 3, v[70:71]
	v_sub_u32_e32 v86, v56, v32
	global_store_dwordx2 v[88:89], v[18:19], off
	v_lshl_add_u64 v[88:89], v[86:87], 3, v[70:71]
	v_sub_u32_e32 v86, v54, v32
	global_store_dwordx2 v[88:89], v[20:21], off
	v_lshl_add_u64 v[88:89], v[86:87], 3, v[70:71]
	v_sub_u32_e32 v86, v52, v32
	global_store_dwordx2 v[88:89], v[14:15], off
	v_lshl_add_u64 v[88:89], v[86:87], 3, v[70:71]
	v_sub_u32_e32 v86, v50, v32
	global_store_dwordx2 v[88:89], v[16:17], off
	v_lshl_add_u64 v[88:89], v[86:87], 3, v[70:71]
	v_sub_u32_e32 v86, v48, v32
	global_store_dwordx2 v[88:89], v[10:11], off
	v_lshl_add_u64 v[88:89], v[86:87], 3, v[70:71]
	v_sub_u32_e32 v86, v44, v32
	global_store_dwordx2 v[88:89], v[12:13], off
	v_lshl_add_u64 v[88:89], v[86:87], 3, v[70:71]
	v_sub_u32_e32 v86, v42, v32
	global_store_dwordx2 v[88:89], v[2:3], off
	v_lshl_add_u64 v[88:89], v[86:87], 3, v[70:71]
	v_sub_u32_e32 v86, v40, v32
	global_store_dwordx2 v[88:89], v[4:5], off
	v_lshl_add_u64 v[88:89], v[86:87], 3, v[70:71]
	v_sub_u32_e32 v86, v36, v32
	v_lshl_add_u64 v[86:87], v[86:87], 3, v[70:71]
	s_or_b64 s[38:39], s[38:39], exec
	global_store_dwordx2 v[88:89], v[6:7], off
	global_store_dwordx2 v[86:87], v[8:9], off
	s_or_b64 exec, exec, s[0:1]
	s_and_b64 exec, exec, s[38:39]
	s_cbranch_execnz .LBB521_111
	s_branch .LBB521_112
.LBB521_162:
	s_and_saveexec_b64 s[38:39], s[30:31]
	s_cbranch_execnz .LBB521_226
; %bb.163:
	s_or_b64 exec, exec, s[38:39]
	s_and_saveexec_b64 s[30:31], s[28:29]
	s_cbranch_execnz .LBB521_227
.LBB521_164:
	s_or_b64 exec, exec, s[30:31]
	s_and_saveexec_b64 s[28:29], s[26:27]
	s_cbranch_execnz .LBB521_228
.LBB521_165:
	s_or_b64 exec, exec, s[28:29]
	s_and_saveexec_b64 s[26:27], s[24:25]
	s_cbranch_execnz .LBB521_229
.LBB521_166:
	s_or_b64 exec, exec, s[26:27]
	s_and_saveexec_b64 s[24:25], s[22:23]
	s_cbranch_execnz .LBB521_230
.LBB521_167:
	s_or_b64 exec, exec, s[24:25]
	s_and_saveexec_b64 s[22:23], s[20:21]
	s_cbranch_execnz .LBB521_231
.LBB521_168:
	s_or_b64 exec, exec, s[22:23]
	s_and_saveexec_b64 s[20:21], s[18:19]
	s_cbranch_execnz .LBB521_232
.LBB521_169:
	s_or_b64 exec, exec, s[20:21]
	s_and_saveexec_b64 s[18:19], s[16:17]
	s_cbranch_execnz .LBB521_233
.LBB521_170:
	s_or_b64 exec, exec, s[18:19]
	s_and_saveexec_b64 s[16:17], s[14:15]
	s_cbranch_execnz .LBB521_234
.LBB521_171:
	s_or_b64 exec, exec, s[16:17]
	s_and_saveexec_b64 s[14:15], s[12:13]
	s_cbranch_execnz .LBB521_235
.LBB521_172:
	s_or_b64 exec, exec, s[14:15]
	s_and_saveexec_b64 s[12:13], s[10:11]
	s_cbranch_execnz .LBB521_236
.LBB521_173:
	s_or_b64 exec, exec, s[12:13]
	s_and_saveexec_b64 s[10:11], s[8:9]
	s_cbranch_execnz .LBB521_237
.LBB521_174:
	s_or_b64 exec, exec, s[10:11]
	s_and_saveexec_b64 s[8:9], s[6:7]
	s_cbranch_execnz .LBB521_238
.LBB521_175:
	s_or_b64 exec, exec, s[8:9]
	s_and_saveexec_b64 s[6:7], s[4:5]
	s_cbranch_execz .LBB521_177
.LBB521_176:
	v_sub_u32_e32 v2, v36, v32
	v_lshlrev_b32_e32 v2, 3, v2
	ds_write_b64 v2, v[8:9]
.LBB521_177:
	s_or_b64 exec, exec, s[6:7]
	s_and_b64 s[38:39], s[2:3], exec
                                        ; implicit-def: $vgpr8_vgpr9
                                        ; implicit-def: $vgpr4_vgpr5
                                        ; implicit-def: $vgpr12_vgpr13
                                        ; implicit-def: $vgpr16_vgpr17
                                        ; implicit-def: $vgpr20_vgpr21
                                        ; implicit-def: $vgpr24_vgpr25
                                        ; implicit-def: $vgpr28_vgpr29
	s_andn2_saveexec_b64 s[2:3], s[36:37]
	s_cbranch_execz .LBB521_117
.LBB521_178:
	v_sub_u32_e32 v31, v66, v32
	v_lshlrev_b32_e32 v31, 3, v31
	ds_write_b64 v31, v[26:27]
	v_sub_u32_e32 v26, v64, v32
	v_lshlrev_b32_e32 v26, 3, v26
	ds_write_b64 v26, v[28:29]
	;; [unrolled: 3-line block ×13, first 2 shown]
	v_sub_u32_e32 v2, v36, v32
	v_lshlrev_b32_e32 v2, 3, v2
	s_or_b64 s[38:39], s[38:39], exec
	ds_write_b64 v2, v[8:9]
	s_or_b64 exec, exec, s[2:3]
	s_and_b64 exec, exec, s[38:39]
	s_cbranch_execnz .LBB521_118
	s_branch .LBB521_119
.LBB521_179:
	s_and_saveexec_b64 s[36:37], s[28:29]
	s_cbranch_execnz .LBB521_239
; %bb.180:
	s_or_b64 exec, exec, s[36:37]
	s_and_saveexec_b64 s[36:37], s[26:27]
	s_cbranch_execnz .LBB521_240
.LBB521_181:
	s_or_b64 exec, exec, s[36:37]
	s_and_saveexec_b64 s[36:37], s[24:25]
	s_cbranch_execnz .LBB521_241
.LBB521_182:
	s_or_b64 exec, exec, s[36:37]
	s_and_saveexec_b64 s[36:37], s[22:23]
	s_cbranch_execnz .LBB521_242
.LBB521_183:
	s_or_b64 exec, exec, s[36:37]
	s_and_saveexec_b64 s[36:37], s[20:21]
	s_cbranch_execnz .LBB521_243
.LBB521_184:
	s_or_b64 exec, exec, s[36:37]
	s_and_saveexec_b64 s[36:37], s[18:19]
	s_cbranch_execnz .LBB521_244
.LBB521_185:
	s_or_b64 exec, exec, s[36:37]
	s_and_saveexec_b64 s[36:37], s[16:17]
	s_cbranch_execnz .LBB521_245
.LBB521_186:
	s_or_b64 exec, exec, s[36:37]
	s_and_saveexec_b64 s[36:37], s[14:15]
	s_cbranch_execnz .LBB521_246
.LBB521_187:
	s_or_b64 exec, exec, s[36:37]
	s_and_saveexec_b64 s[36:37], s[12:13]
	s_cbranch_execnz .LBB521_247
.LBB521_188:
	s_or_b64 exec, exec, s[36:37]
	s_and_saveexec_b64 s[36:37], s[10:11]
	s_cbranch_execnz .LBB521_248
.LBB521_189:
	s_or_b64 exec, exec, s[36:37]
	s_and_saveexec_b64 s[36:37], s[8:9]
	s_cbranch_execnz .LBB521_249
.LBB521_190:
	s_or_b64 exec, exec, s[36:37]
	s_and_saveexec_b64 s[36:37], s[6:7]
	s_cbranch_execnz .LBB521_250
.LBB521_191:
	s_or_b64 exec, exec, s[36:37]
	s_and_saveexec_b64 s[36:37], s[4:5]
	s_cbranch_execnz .LBB521_251
.LBB521_192:
	s_or_b64 exec, exec, s[36:37]
	s_and_saveexec_b64 s[36:37], s[2:3]
	s_cbranch_execz .LBB521_194
.LBB521_193:
	v_sub_u32_e32 v14, v36, v1
	v_mov_b32_e32 v15, 0
	v_lshl_add_u64 v[16:17], v[14:15], 3, v[10:11]
	v_mov_b32_e32 v14, v37
	global_store_dwordx2 v[16:17], v[14:15], off
.LBB521_194:
	s_or_b64 exec, exec, s[36:37]
	s_and_b64 s[36:37], s[0:1], exec
	s_andn2_saveexec_b64 s[30:31], s[30:31]
	s_cbranch_execz .LBB521_127
.LBB521_195:
	v_mov_b32_e32 v15, 0
	v_sub_u32_e32 v16, v66, v1
	v_mov_b32_e32 v17, v15
	v_mov_b32_e32 v14, v67
	v_lshl_add_u64 v[16:17], v[16:17], 3, v[10:11]
	global_store_dwordx2 v[16:17], v[14:15], off
	v_sub_u32_e32 v16, v64, v1
	v_mov_b32_e32 v17, v15
	v_mov_b32_e32 v14, v65
	v_lshl_add_u64 v[16:17], v[16:17], 3, v[10:11]
	global_store_dwordx2 v[16:17], v[14:15], off
	;; [unrolled: 5-line block ×13, first 2 shown]
	v_sub_u32_e32 v16, v36, v1
	v_mov_b32_e32 v17, v15
	v_mov_b32_e32 v14, v37
	v_lshl_add_u64 v[16:17], v[16:17], 3, v[10:11]
	s_or_b64 s[36:37], s[36:37], exec
	global_store_dwordx2 v[16:17], v[14:15], off
	s_or_b64 exec, exec, s[30:31]
	s_and_b64 exec, exec, s[36:37]
	s_cbranch_execnz .LBB521_128
	s_branch .LBB521_129
.LBB521_196:
	s_and_saveexec_b64 s[36:37], s[28:29]
	s_cbranch_execnz .LBB521_252
; %bb.197:
	s_or_b64 exec, exec, s[36:37]
	s_and_saveexec_b64 s[28:29], s[26:27]
	s_cbranch_execnz .LBB521_253
.LBB521_198:
	s_or_b64 exec, exec, s[28:29]
	s_and_saveexec_b64 s[26:27], s[24:25]
	s_cbranch_execnz .LBB521_254
.LBB521_199:
	s_or_b64 exec, exec, s[26:27]
	s_and_saveexec_b64 s[24:25], s[22:23]
	s_cbranch_execnz .LBB521_255
.LBB521_200:
	s_or_b64 exec, exec, s[24:25]
	s_and_saveexec_b64 s[22:23], s[20:21]
	s_cbranch_execnz .LBB521_256
.LBB521_201:
	s_or_b64 exec, exec, s[22:23]
	s_and_saveexec_b64 s[20:21], s[18:19]
	s_cbranch_execnz .LBB521_257
.LBB521_202:
	s_or_b64 exec, exec, s[20:21]
	s_and_saveexec_b64 s[18:19], s[16:17]
	s_cbranch_execnz .LBB521_258
.LBB521_203:
	s_or_b64 exec, exec, s[18:19]
	s_and_saveexec_b64 s[16:17], s[14:15]
	s_cbranch_execnz .LBB521_259
.LBB521_204:
	s_or_b64 exec, exec, s[16:17]
	s_and_saveexec_b64 s[14:15], s[12:13]
	s_cbranch_execnz .LBB521_260
.LBB521_205:
	s_or_b64 exec, exec, s[14:15]
	s_and_saveexec_b64 s[12:13], s[10:11]
	s_cbranch_execnz .LBB521_261
.LBB521_206:
	s_or_b64 exec, exec, s[12:13]
	s_and_saveexec_b64 s[10:11], s[8:9]
	s_cbranch_execnz .LBB521_262
.LBB521_207:
	s_or_b64 exec, exec, s[10:11]
	s_and_saveexec_b64 s[8:9], s[6:7]
	s_cbranch_execnz .LBB521_263
.LBB521_208:
	s_or_b64 exec, exec, s[8:9]
	s_and_saveexec_b64 s[6:7], s[4:5]
	s_cbranch_execnz .LBB521_264
.LBB521_209:
	s_or_b64 exec, exec, s[6:7]
	s_and_saveexec_b64 s[4:5], s[2:3]
	s_cbranch_execz .LBB521_211
.LBB521_210:
	v_sub_u32_e32 v10, v36, v1
	v_lshlrev_b32_e32 v10, 2, v10
	ds_write_b32 v10, v37
.LBB521_211:
	s_or_b64 exec, exec, s[4:5]
	s_and_b64 s[36:37], s[0:1], exec
                                        ; implicit-def: $vgpr36_vgpr37
                                        ; implicit-def: $vgpr40_vgpr41
                                        ; implicit-def: $vgpr42_vgpr43
                                        ; implicit-def: $vgpr66_vgpr67
                                        ; implicit-def: $vgpr64_vgpr65
                                        ; implicit-def: $vgpr62_vgpr63
                                        ; implicit-def: $vgpr60_vgpr61
                                        ; implicit-def: $vgpr58_vgpr59
                                        ; implicit-def: $vgpr56_vgpr57
                                        ; implicit-def: $vgpr54_vgpr55
                                        ; implicit-def: $vgpr52_vgpr53
                                        ; implicit-def: $vgpr50_vgpr51
                                        ; implicit-def: $vgpr48_vgpr49
                                        ; implicit-def: $vgpr44_vgpr45
	s_andn2_saveexec_b64 s[0:1], s[34:35]
	s_cbranch_execz .LBB521_134
.LBB521_212:
	v_sub_u32_e32 v10, v66, v1
	v_lshlrev_b32_e32 v10, 2, v10
	ds_write_b32 v10, v67
	v_sub_u32_e32 v10, v64, v1
	v_lshlrev_b32_e32 v10, 2, v10
	ds_write_b32 v10, v65
	v_sub_u32_e32 v10, v62, v1
	v_lshlrev_b32_e32 v10, 2, v10
	ds_write_b32 v10, v63
	v_sub_u32_e32 v10, v60, v1
	v_lshlrev_b32_e32 v10, 2, v10
	ds_write_b32 v10, v61
	v_sub_u32_e32 v10, v58, v1
	v_lshlrev_b32_e32 v10, 2, v10
	ds_write_b32 v10, v59
	v_sub_u32_e32 v10, v56, v1
	v_lshlrev_b32_e32 v10, 2, v10
	ds_write_b32 v10, v57
	v_sub_u32_e32 v10, v54, v1
	v_lshlrev_b32_e32 v10, 2, v10
	ds_write_b32 v10, v55
	v_sub_u32_e32 v10, v52, v1
	v_lshlrev_b32_e32 v10, 2, v10
	ds_write_b32 v10, v53
	v_sub_u32_e32 v10, v50, v1
	v_lshlrev_b32_e32 v10, 2, v10
	ds_write_b32 v10, v51
	v_sub_u32_e32 v10, v48, v1
	v_lshlrev_b32_e32 v10, 2, v10
	ds_write_b32 v10, v49
	v_sub_u32_e32 v10, v44, v1
	v_lshlrev_b32_e32 v10, 2, v10
	ds_write_b32 v10, v45
	v_sub_u32_e32 v10, v42, v1
	v_lshlrev_b32_e32 v10, 2, v10
	ds_write_b32 v10, v43
	v_sub_u32_e32 v10, v40, v1
	v_lshlrev_b32_e32 v10, 2, v10
	ds_write_b32 v10, v41
	v_sub_u32_e32 v10, v36, v1
	v_lshlrev_b32_e32 v10, 2, v10
	s_or_b64 s[36:37], s[36:37], exec
	ds_write_b32 v10, v37
	s_or_b64 exec, exec, s[0:1]
	s_and_b64 exec, exec, s[36:37]
	s_cbranch_execnz .LBB521_135
	s_branch .LBB521_136
.LBB521_213:
	v_sub_u32_e32 v86, v66, v32
	v_mov_b32_e32 v87, 0
	v_lshl_add_u64 v[86:87], v[86:87], 3, v[70:71]
	global_store_dwordx2 v[86:87], v[26:27], off
	s_or_b64 exec, exec, s[38:39]
	s_and_saveexec_b64 s[38:39], s[28:29]
	s_cbranch_execz .LBB521_147
.LBB521_214:
	v_sub_u32_e32 v86, v64, v32
	v_mov_b32_e32 v87, 0
	v_lshl_add_u64 v[86:87], v[86:87], 3, v[70:71]
	global_store_dwordx2 v[86:87], v[28:29], off
	s_or_b64 exec, exec, s[38:39]
	s_and_saveexec_b64 s[38:39], s[26:27]
	s_cbranch_execz .LBB521_148
.LBB521_215:
	v_sub_u32_e32 v86, v62, v32
	v_mov_b32_e32 v87, 0
	v_lshl_add_u64 v[86:87], v[86:87], 3, v[70:71]
	global_store_dwordx2 v[86:87], v[22:23], off
	s_or_b64 exec, exec, s[38:39]
	s_and_saveexec_b64 s[38:39], s[24:25]
	s_cbranch_execz .LBB521_149
.LBB521_216:
	v_sub_u32_e32 v86, v60, v32
	v_mov_b32_e32 v87, 0
	v_lshl_add_u64 v[86:87], v[86:87], 3, v[70:71]
	global_store_dwordx2 v[86:87], v[24:25], off
	s_or_b64 exec, exec, s[38:39]
	s_and_saveexec_b64 s[38:39], s[22:23]
	s_cbranch_execz .LBB521_150
.LBB521_217:
	v_sub_u32_e32 v86, v58, v32
	v_mov_b32_e32 v87, 0
	v_lshl_add_u64 v[86:87], v[86:87], 3, v[70:71]
	global_store_dwordx2 v[86:87], v[18:19], off
	s_or_b64 exec, exec, s[38:39]
	s_and_saveexec_b64 s[38:39], s[20:21]
	s_cbranch_execz .LBB521_151
.LBB521_218:
	v_sub_u32_e32 v86, v56, v32
	v_mov_b32_e32 v87, 0
	v_lshl_add_u64 v[86:87], v[86:87], 3, v[70:71]
	global_store_dwordx2 v[86:87], v[20:21], off
	s_or_b64 exec, exec, s[38:39]
	s_and_saveexec_b64 s[38:39], s[18:19]
	s_cbranch_execz .LBB521_152
.LBB521_219:
	v_sub_u32_e32 v86, v54, v32
	v_mov_b32_e32 v87, 0
	v_lshl_add_u64 v[86:87], v[86:87], 3, v[70:71]
	global_store_dwordx2 v[86:87], v[14:15], off
	s_or_b64 exec, exec, s[38:39]
	s_and_saveexec_b64 s[38:39], s[16:17]
	s_cbranch_execz .LBB521_153
.LBB521_220:
	v_sub_u32_e32 v86, v52, v32
	v_mov_b32_e32 v87, 0
	v_lshl_add_u64 v[86:87], v[86:87], 3, v[70:71]
	global_store_dwordx2 v[86:87], v[16:17], off
	s_or_b64 exec, exec, s[38:39]
	s_and_saveexec_b64 s[38:39], s[14:15]
	s_cbranch_execz .LBB521_154
.LBB521_221:
	v_sub_u32_e32 v86, v50, v32
	v_mov_b32_e32 v87, 0
	v_lshl_add_u64 v[86:87], v[86:87], 3, v[70:71]
	global_store_dwordx2 v[86:87], v[10:11], off
	s_or_b64 exec, exec, s[38:39]
	s_and_saveexec_b64 s[38:39], s[12:13]
	s_cbranch_execz .LBB521_155
.LBB521_222:
	v_sub_u32_e32 v86, v48, v32
	v_mov_b32_e32 v87, 0
	v_lshl_add_u64 v[86:87], v[86:87], 3, v[70:71]
	global_store_dwordx2 v[86:87], v[12:13], off
	s_or_b64 exec, exec, s[38:39]
	s_and_saveexec_b64 s[38:39], s[10:11]
	s_cbranch_execz .LBB521_156
.LBB521_223:
	v_sub_u32_e32 v86, v44, v32
	v_mov_b32_e32 v87, 0
	v_lshl_add_u64 v[86:87], v[86:87], 3, v[70:71]
	global_store_dwordx2 v[86:87], v[2:3], off
	s_or_b64 exec, exec, s[38:39]
	s_and_saveexec_b64 s[38:39], s[8:9]
	s_cbranch_execz .LBB521_157
.LBB521_224:
	v_sub_u32_e32 v86, v42, v32
	v_mov_b32_e32 v87, 0
	v_lshl_add_u64 v[86:87], v[86:87], 3, v[70:71]
	global_store_dwordx2 v[86:87], v[4:5], off
	s_or_b64 exec, exec, s[38:39]
	s_and_saveexec_b64 s[38:39], s[6:7]
	s_cbranch_execz .LBB521_158
.LBB521_225:
	v_sub_u32_e32 v86, v40, v32
	v_mov_b32_e32 v87, 0
	v_lshl_add_u64 v[86:87], v[86:87], 3, v[70:71]
	global_store_dwordx2 v[86:87], v[6:7], off
	s_or_b64 exec, exec, s[38:39]
	s_and_saveexec_b64 s[38:39], s[4:5]
	s_cbranch_execnz .LBB521_159
	s_branch .LBB521_160
.LBB521_226:
	v_sub_u32_e32 v31, v66, v32
	v_lshlrev_b32_e32 v31, 3, v31
	ds_write_b64 v31, v[26:27]
	s_or_b64 exec, exec, s[38:39]
	s_and_saveexec_b64 s[30:31], s[28:29]
	s_cbranch_execz .LBB521_164
.LBB521_227:
	v_sub_u32_e32 v26, v64, v32
	v_lshlrev_b32_e32 v26, 3, v26
	ds_write_b64 v26, v[28:29]
	s_or_b64 exec, exec, s[30:31]
	s_and_saveexec_b64 s[28:29], s[26:27]
	s_cbranch_execz .LBB521_165
.LBB521_228:
	v_sub_u32_e32 v26, v62, v32
	v_lshlrev_b32_e32 v26, 3, v26
	ds_write_b64 v26, v[22:23]
	s_or_b64 exec, exec, s[28:29]
	s_and_saveexec_b64 s[26:27], s[24:25]
	s_cbranch_execz .LBB521_166
.LBB521_229:
	v_sub_u32_e32 v22, v60, v32
	v_lshlrev_b32_e32 v22, 3, v22
	ds_write_b64 v22, v[24:25]
	s_or_b64 exec, exec, s[26:27]
	s_and_saveexec_b64 s[24:25], s[22:23]
	s_cbranch_execz .LBB521_167
.LBB521_230:
	v_sub_u32_e32 v22, v58, v32
	v_lshlrev_b32_e32 v22, 3, v22
	ds_write_b64 v22, v[18:19]
	s_or_b64 exec, exec, s[24:25]
	s_and_saveexec_b64 s[22:23], s[20:21]
	s_cbranch_execz .LBB521_168
.LBB521_231:
	v_sub_u32_e32 v18, v56, v32
	v_lshlrev_b32_e32 v18, 3, v18
	ds_write_b64 v18, v[20:21]
	s_or_b64 exec, exec, s[22:23]
	s_and_saveexec_b64 s[20:21], s[18:19]
	s_cbranch_execz .LBB521_169
.LBB521_232:
	v_sub_u32_e32 v18, v54, v32
	v_lshlrev_b32_e32 v18, 3, v18
	ds_write_b64 v18, v[14:15]
	s_or_b64 exec, exec, s[20:21]
	s_and_saveexec_b64 s[18:19], s[16:17]
	s_cbranch_execz .LBB521_170
.LBB521_233:
	v_sub_u32_e32 v14, v52, v32
	v_lshlrev_b32_e32 v14, 3, v14
	ds_write_b64 v14, v[16:17]
	s_or_b64 exec, exec, s[18:19]
	s_and_saveexec_b64 s[16:17], s[14:15]
	s_cbranch_execz .LBB521_171
.LBB521_234:
	v_sub_u32_e32 v14, v50, v32
	v_lshlrev_b32_e32 v14, 3, v14
	ds_write_b64 v14, v[10:11]
	s_or_b64 exec, exec, s[16:17]
	s_and_saveexec_b64 s[14:15], s[12:13]
	s_cbranch_execz .LBB521_172
.LBB521_235:
	v_sub_u32_e32 v10, v48, v32
	v_lshlrev_b32_e32 v10, 3, v10
	ds_write_b64 v10, v[12:13]
	s_or_b64 exec, exec, s[14:15]
	s_and_saveexec_b64 s[12:13], s[10:11]
	s_cbranch_execz .LBB521_173
.LBB521_236:
	v_sub_u32_e32 v10, v44, v32
	v_lshlrev_b32_e32 v10, 3, v10
	ds_write_b64 v10, v[2:3]
	s_or_b64 exec, exec, s[12:13]
	s_and_saveexec_b64 s[10:11], s[8:9]
	s_cbranch_execz .LBB521_174
.LBB521_237:
	v_sub_u32_e32 v2, v42, v32
	v_lshlrev_b32_e32 v2, 3, v2
	ds_write_b64 v2, v[4:5]
	s_or_b64 exec, exec, s[10:11]
	s_and_saveexec_b64 s[8:9], s[6:7]
	s_cbranch_execz .LBB521_175
.LBB521_238:
	v_sub_u32_e32 v2, v40, v32
	v_lshlrev_b32_e32 v2, 3, v2
	ds_write_b64 v2, v[6:7]
	s_or_b64 exec, exec, s[8:9]
	s_and_saveexec_b64 s[6:7], s[4:5]
	s_cbranch_execnz .LBB521_176
	s_branch .LBB521_177
.LBB521_239:
	v_sub_u32_e32 v14, v66, v1
	v_mov_b32_e32 v15, 0
	v_lshl_add_u64 v[16:17], v[14:15], 3, v[10:11]
	v_mov_b32_e32 v14, v67
	global_store_dwordx2 v[16:17], v[14:15], off
	s_or_b64 exec, exec, s[36:37]
	s_and_saveexec_b64 s[36:37], s[26:27]
	s_cbranch_execz .LBB521_181
.LBB521_240:
	v_sub_u32_e32 v14, v64, v1
	v_mov_b32_e32 v15, 0
	v_lshl_add_u64 v[16:17], v[14:15], 3, v[10:11]
	v_mov_b32_e32 v14, v65
	global_store_dwordx2 v[16:17], v[14:15], off
	s_or_b64 exec, exec, s[36:37]
	s_and_saveexec_b64 s[36:37], s[24:25]
	s_cbranch_execz .LBB521_182
.LBB521_241:
	v_sub_u32_e32 v14, v62, v1
	v_mov_b32_e32 v15, 0
	v_lshl_add_u64 v[16:17], v[14:15], 3, v[10:11]
	v_mov_b32_e32 v14, v63
	global_store_dwordx2 v[16:17], v[14:15], off
	s_or_b64 exec, exec, s[36:37]
	s_and_saveexec_b64 s[36:37], s[22:23]
	s_cbranch_execz .LBB521_183
.LBB521_242:
	v_sub_u32_e32 v14, v60, v1
	v_mov_b32_e32 v15, 0
	v_lshl_add_u64 v[16:17], v[14:15], 3, v[10:11]
	v_mov_b32_e32 v14, v61
	global_store_dwordx2 v[16:17], v[14:15], off
	s_or_b64 exec, exec, s[36:37]
	s_and_saveexec_b64 s[36:37], s[20:21]
	s_cbranch_execz .LBB521_184
.LBB521_243:
	v_sub_u32_e32 v14, v58, v1
	v_mov_b32_e32 v15, 0
	v_lshl_add_u64 v[16:17], v[14:15], 3, v[10:11]
	v_mov_b32_e32 v14, v59
	global_store_dwordx2 v[16:17], v[14:15], off
	s_or_b64 exec, exec, s[36:37]
	s_and_saveexec_b64 s[36:37], s[18:19]
	s_cbranch_execz .LBB521_185
.LBB521_244:
	v_sub_u32_e32 v14, v56, v1
	v_mov_b32_e32 v15, 0
	v_lshl_add_u64 v[16:17], v[14:15], 3, v[10:11]
	v_mov_b32_e32 v14, v57
	global_store_dwordx2 v[16:17], v[14:15], off
	s_or_b64 exec, exec, s[36:37]
	s_and_saveexec_b64 s[36:37], s[16:17]
	s_cbranch_execz .LBB521_186
.LBB521_245:
	v_sub_u32_e32 v14, v54, v1
	v_mov_b32_e32 v15, 0
	v_lshl_add_u64 v[16:17], v[14:15], 3, v[10:11]
	v_mov_b32_e32 v14, v55
	global_store_dwordx2 v[16:17], v[14:15], off
	s_or_b64 exec, exec, s[36:37]
	s_and_saveexec_b64 s[36:37], s[14:15]
	s_cbranch_execz .LBB521_187
.LBB521_246:
	v_sub_u32_e32 v14, v52, v1
	v_mov_b32_e32 v15, 0
	v_lshl_add_u64 v[16:17], v[14:15], 3, v[10:11]
	v_mov_b32_e32 v14, v53
	global_store_dwordx2 v[16:17], v[14:15], off
	s_or_b64 exec, exec, s[36:37]
	s_and_saveexec_b64 s[36:37], s[12:13]
	s_cbranch_execz .LBB521_188
.LBB521_247:
	v_sub_u32_e32 v14, v50, v1
	v_mov_b32_e32 v15, 0
	v_lshl_add_u64 v[16:17], v[14:15], 3, v[10:11]
	v_mov_b32_e32 v14, v51
	global_store_dwordx2 v[16:17], v[14:15], off
	s_or_b64 exec, exec, s[36:37]
	s_and_saveexec_b64 s[36:37], s[10:11]
	s_cbranch_execz .LBB521_189
.LBB521_248:
	v_sub_u32_e32 v14, v48, v1
	v_mov_b32_e32 v15, 0
	v_lshl_add_u64 v[16:17], v[14:15], 3, v[10:11]
	v_mov_b32_e32 v14, v49
	global_store_dwordx2 v[16:17], v[14:15], off
	s_or_b64 exec, exec, s[36:37]
	s_and_saveexec_b64 s[36:37], s[8:9]
	s_cbranch_execz .LBB521_190
.LBB521_249:
	v_sub_u32_e32 v14, v44, v1
	v_mov_b32_e32 v15, 0
	v_lshl_add_u64 v[16:17], v[14:15], 3, v[10:11]
	v_mov_b32_e32 v14, v45
	global_store_dwordx2 v[16:17], v[14:15], off
	s_or_b64 exec, exec, s[36:37]
	s_and_saveexec_b64 s[36:37], s[6:7]
	s_cbranch_execz .LBB521_191
.LBB521_250:
	v_sub_u32_e32 v14, v42, v1
	v_mov_b32_e32 v15, 0
	v_lshl_add_u64 v[16:17], v[14:15], 3, v[10:11]
	v_mov_b32_e32 v14, v43
	global_store_dwordx2 v[16:17], v[14:15], off
	s_or_b64 exec, exec, s[36:37]
	s_and_saveexec_b64 s[36:37], s[4:5]
	s_cbranch_execz .LBB521_192
.LBB521_251:
	v_sub_u32_e32 v14, v40, v1
	v_mov_b32_e32 v15, 0
	v_lshl_add_u64 v[16:17], v[14:15], 3, v[10:11]
	v_mov_b32_e32 v14, v41
	global_store_dwordx2 v[16:17], v[14:15], off
	s_or_b64 exec, exec, s[36:37]
	s_and_saveexec_b64 s[36:37], s[2:3]
	s_cbranch_execnz .LBB521_193
	s_branch .LBB521_194
.LBB521_252:
	v_sub_u32_e32 v10, v66, v1
	v_lshlrev_b32_e32 v10, 2, v10
	ds_write_b32 v10, v67
	s_or_b64 exec, exec, s[36:37]
	s_and_saveexec_b64 s[28:29], s[26:27]
	s_cbranch_execz .LBB521_198
.LBB521_253:
	v_sub_u32_e32 v10, v64, v1
	v_lshlrev_b32_e32 v10, 2, v10
	ds_write_b32 v10, v65
	s_or_b64 exec, exec, s[28:29]
	s_and_saveexec_b64 s[26:27], s[24:25]
	s_cbranch_execz .LBB521_199
.LBB521_254:
	v_sub_u32_e32 v10, v62, v1
	v_lshlrev_b32_e32 v10, 2, v10
	ds_write_b32 v10, v63
	s_or_b64 exec, exec, s[26:27]
	s_and_saveexec_b64 s[24:25], s[22:23]
	s_cbranch_execz .LBB521_200
.LBB521_255:
	v_sub_u32_e32 v10, v60, v1
	v_lshlrev_b32_e32 v10, 2, v10
	ds_write_b32 v10, v61
	s_or_b64 exec, exec, s[24:25]
	s_and_saveexec_b64 s[22:23], s[20:21]
	s_cbranch_execz .LBB521_201
.LBB521_256:
	v_sub_u32_e32 v10, v58, v1
	v_lshlrev_b32_e32 v10, 2, v10
	ds_write_b32 v10, v59
	s_or_b64 exec, exec, s[22:23]
	s_and_saveexec_b64 s[20:21], s[18:19]
	s_cbranch_execz .LBB521_202
.LBB521_257:
	v_sub_u32_e32 v10, v56, v1
	v_lshlrev_b32_e32 v10, 2, v10
	ds_write_b32 v10, v57
	s_or_b64 exec, exec, s[20:21]
	s_and_saveexec_b64 s[18:19], s[16:17]
	s_cbranch_execz .LBB521_203
.LBB521_258:
	v_sub_u32_e32 v10, v54, v1
	v_lshlrev_b32_e32 v10, 2, v10
	ds_write_b32 v10, v55
	s_or_b64 exec, exec, s[18:19]
	s_and_saveexec_b64 s[16:17], s[14:15]
	s_cbranch_execz .LBB521_204
.LBB521_259:
	v_sub_u32_e32 v10, v52, v1
	v_lshlrev_b32_e32 v10, 2, v10
	ds_write_b32 v10, v53
	s_or_b64 exec, exec, s[16:17]
	s_and_saveexec_b64 s[14:15], s[12:13]
	s_cbranch_execz .LBB521_205
.LBB521_260:
	v_sub_u32_e32 v10, v50, v1
	v_lshlrev_b32_e32 v10, 2, v10
	ds_write_b32 v10, v51
	s_or_b64 exec, exec, s[14:15]
	s_and_saveexec_b64 s[12:13], s[10:11]
	s_cbranch_execz .LBB521_206
.LBB521_261:
	v_sub_u32_e32 v10, v48, v1
	v_lshlrev_b32_e32 v10, 2, v10
	ds_write_b32 v10, v49
	s_or_b64 exec, exec, s[12:13]
	s_and_saveexec_b64 s[10:11], s[8:9]
	s_cbranch_execz .LBB521_207
.LBB521_262:
	v_sub_u32_e32 v10, v44, v1
	v_lshlrev_b32_e32 v10, 2, v10
	ds_write_b32 v10, v45
	s_or_b64 exec, exec, s[10:11]
	s_and_saveexec_b64 s[8:9], s[6:7]
	s_cbranch_execz .LBB521_208
.LBB521_263:
	v_sub_u32_e32 v10, v42, v1
	v_lshlrev_b32_e32 v10, 2, v10
	ds_write_b32 v10, v43
	s_or_b64 exec, exec, s[8:9]
	s_and_saveexec_b64 s[6:7], s[4:5]
	s_cbranch_execz .LBB521_209
.LBB521_264:
	v_sub_u32_e32 v10, v40, v1
	v_lshlrev_b32_e32 v10, 2, v10
	ds_write_b32 v10, v41
	s_or_b64 exec, exec, s[6:7]
	s_and_saveexec_b64 s[4:5], s[2:3]
	s_cbranch_execnz .LBB521_210
	s_branch .LBB521_211
	.section	.rodata,"a",@progbits
	.p2align	6, 0x0
	.amdhsa_kernel _ZN7rocprim17ROCPRIM_400000_NS6detail17trampoline_kernelINS0_14default_configENS1_33run_length_encode_config_selectorIljNS0_4plusIjEEEEZZNS1_33reduce_by_key_impl_wrapped_configILNS1_25lookback_scan_determinismE0ES3_S7_PKlNS0_17constant_iteratorIjlEEPlSE_SE_S6_NS0_8equal_toIlEEEE10hipError_tPvRmT2_T3_mT4_T5_T6_T7_T8_P12ihipStream_tbENKUlT_T0_E_clISt17integral_constantIbLb1EESY_EEDaST_SU_EUlST_E_NS1_11comp_targetILNS1_3genE5ELNS1_11target_archE942ELNS1_3gpuE9ELNS1_3repE0EEENS1_30default_config_static_selectorELNS0_4arch9wavefront6targetE1EEEvT1_
		.amdhsa_group_segment_fixed_size 61440
		.amdhsa_private_segment_fixed_size 0
		.amdhsa_kernarg_size 128
		.amdhsa_user_sgpr_count 2
		.amdhsa_user_sgpr_dispatch_ptr 0
		.amdhsa_user_sgpr_queue_ptr 0
		.amdhsa_user_sgpr_kernarg_segment_ptr 1
		.amdhsa_user_sgpr_dispatch_id 0
		.amdhsa_user_sgpr_kernarg_preload_length 0
		.amdhsa_user_sgpr_kernarg_preload_offset 0
		.amdhsa_user_sgpr_private_segment_size 0
		.amdhsa_uses_dynamic_stack 0
		.amdhsa_enable_private_segment 0
		.amdhsa_system_sgpr_workgroup_id_x 1
		.amdhsa_system_sgpr_workgroup_id_y 0
		.amdhsa_system_sgpr_workgroup_id_z 0
		.amdhsa_system_sgpr_workgroup_info 0
		.amdhsa_system_vgpr_workitem_id 0
		.amdhsa_next_free_vgpr 90
		.amdhsa_next_free_sgpr 66
		.amdhsa_accum_offset 92
		.amdhsa_reserve_vcc 1
		.amdhsa_float_round_mode_32 0
		.amdhsa_float_round_mode_16_64 0
		.amdhsa_float_denorm_mode_32 3
		.amdhsa_float_denorm_mode_16_64 3
		.amdhsa_dx10_clamp 1
		.amdhsa_ieee_mode 1
		.amdhsa_fp16_overflow 0
		.amdhsa_tg_split 0
		.amdhsa_exception_fp_ieee_invalid_op 0
		.amdhsa_exception_fp_denorm_src 0
		.amdhsa_exception_fp_ieee_div_zero 0
		.amdhsa_exception_fp_ieee_overflow 0
		.amdhsa_exception_fp_ieee_underflow 0
		.amdhsa_exception_fp_ieee_inexact 0
		.amdhsa_exception_int_div_zero 0
	.end_amdhsa_kernel
	.section	.text._ZN7rocprim17ROCPRIM_400000_NS6detail17trampoline_kernelINS0_14default_configENS1_33run_length_encode_config_selectorIljNS0_4plusIjEEEEZZNS1_33reduce_by_key_impl_wrapped_configILNS1_25lookback_scan_determinismE0ES3_S7_PKlNS0_17constant_iteratorIjlEEPlSE_SE_S6_NS0_8equal_toIlEEEE10hipError_tPvRmT2_T3_mT4_T5_T6_T7_T8_P12ihipStream_tbENKUlT_T0_E_clISt17integral_constantIbLb1EESY_EEDaST_SU_EUlST_E_NS1_11comp_targetILNS1_3genE5ELNS1_11target_archE942ELNS1_3gpuE9ELNS1_3repE0EEENS1_30default_config_static_selectorELNS0_4arch9wavefront6targetE1EEEvT1_,"axG",@progbits,_ZN7rocprim17ROCPRIM_400000_NS6detail17trampoline_kernelINS0_14default_configENS1_33run_length_encode_config_selectorIljNS0_4plusIjEEEEZZNS1_33reduce_by_key_impl_wrapped_configILNS1_25lookback_scan_determinismE0ES3_S7_PKlNS0_17constant_iteratorIjlEEPlSE_SE_S6_NS0_8equal_toIlEEEE10hipError_tPvRmT2_T3_mT4_T5_T6_T7_T8_P12ihipStream_tbENKUlT_T0_E_clISt17integral_constantIbLb1EESY_EEDaST_SU_EUlST_E_NS1_11comp_targetILNS1_3genE5ELNS1_11target_archE942ELNS1_3gpuE9ELNS1_3repE0EEENS1_30default_config_static_selectorELNS0_4arch9wavefront6targetE1EEEvT1_,comdat
.Lfunc_end521:
	.size	_ZN7rocprim17ROCPRIM_400000_NS6detail17trampoline_kernelINS0_14default_configENS1_33run_length_encode_config_selectorIljNS0_4plusIjEEEEZZNS1_33reduce_by_key_impl_wrapped_configILNS1_25lookback_scan_determinismE0ES3_S7_PKlNS0_17constant_iteratorIjlEEPlSE_SE_S6_NS0_8equal_toIlEEEE10hipError_tPvRmT2_T3_mT4_T5_T6_T7_T8_P12ihipStream_tbENKUlT_T0_E_clISt17integral_constantIbLb1EESY_EEDaST_SU_EUlST_E_NS1_11comp_targetILNS1_3genE5ELNS1_11target_archE942ELNS1_3gpuE9ELNS1_3repE0EEENS1_30default_config_static_selectorELNS0_4arch9wavefront6targetE1EEEvT1_, .Lfunc_end521-_ZN7rocprim17ROCPRIM_400000_NS6detail17trampoline_kernelINS0_14default_configENS1_33run_length_encode_config_selectorIljNS0_4plusIjEEEEZZNS1_33reduce_by_key_impl_wrapped_configILNS1_25lookback_scan_determinismE0ES3_S7_PKlNS0_17constant_iteratorIjlEEPlSE_SE_S6_NS0_8equal_toIlEEEE10hipError_tPvRmT2_T3_mT4_T5_T6_T7_T8_P12ihipStream_tbENKUlT_T0_E_clISt17integral_constantIbLb1EESY_EEDaST_SU_EUlST_E_NS1_11comp_targetILNS1_3genE5ELNS1_11target_archE942ELNS1_3gpuE9ELNS1_3repE0EEENS1_30default_config_static_selectorELNS0_4arch9wavefront6targetE1EEEvT1_
                                        ; -- End function
	.section	.AMDGPU.csdata,"",@progbits
; Kernel info:
; codeLenInByte = 14380
; NumSgprs: 72
; NumVgprs: 90
; NumAgprs: 0
; TotalNumVgprs: 90
; ScratchSize: 0
; MemoryBound: 0
; FloatMode: 240
; IeeeMode: 1
; LDSByteSize: 61440 bytes/workgroup (compile time only)
; SGPRBlocks: 8
; VGPRBlocks: 11
; NumSGPRsForWavesPerEU: 72
; NumVGPRsForWavesPerEU: 90
; AccumOffset: 92
; Occupancy: 2
; WaveLimiterHint : 1
; COMPUTE_PGM_RSRC2:SCRATCH_EN: 0
; COMPUTE_PGM_RSRC2:USER_SGPR: 2
; COMPUTE_PGM_RSRC2:TRAP_HANDLER: 0
; COMPUTE_PGM_RSRC2:TGID_X_EN: 1
; COMPUTE_PGM_RSRC2:TGID_Y_EN: 0
; COMPUTE_PGM_RSRC2:TGID_Z_EN: 0
; COMPUTE_PGM_RSRC2:TIDIG_COMP_CNT: 0
; COMPUTE_PGM_RSRC3_GFX90A:ACCUM_OFFSET: 22
; COMPUTE_PGM_RSRC3_GFX90A:TG_SPLIT: 0
	.section	.text._ZN7rocprim17ROCPRIM_400000_NS6detail17trampoline_kernelINS0_14default_configENS1_33run_length_encode_config_selectorIljNS0_4plusIjEEEEZZNS1_33reduce_by_key_impl_wrapped_configILNS1_25lookback_scan_determinismE0ES3_S7_PKlNS0_17constant_iteratorIjlEEPlSE_SE_S6_NS0_8equal_toIlEEEE10hipError_tPvRmT2_T3_mT4_T5_T6_T7_T8_P12ihipStream_tbENKUlT_T0_E_clISt17integral_constantIbLb1EESY_EEDaST_SU_EUlST_E_NS1_11comp_targetILNS1_3genE4ELNS1_11target_archE910ELNS1_3gpuE8ELNS1_3repE0EEENS1_30default_config_static_selectorELNS0_4arch9wavefront6targetE1EEEvT1_,"axG",@progbits,_ZN7rocprim17ROCPRIM_400000_NS6detail17trampoline_kernelINS0_14default_configENS1_33run_length_encode_config_selectorIljNS0_4plusIjEEEEZZNS1_33reduce_by_key_impl_wrapped_configILNS1_25lookback_scan_determinismE0ES3_S7_PKlNS0_17constant_iteratorIjlEEPlSE_SE_S6_NS0_8equal_toIlEEEE10hipError_tPvRmT2_T3_mT4_T5_T6_T7_T8_P12ihipStream_tbENKUlT_T0_E_clISt17integral_constantIbLb1EESY_EEDaST_SU_EUlST_E_NS1_11comp_targetILNS1_3genE4ELNS1_11target_archE910ELNS1_3gpuE8ELNS1_3repE0EEENS1_30default_config_static_selectorELNS0_4arch9wavefront6targetE1EEEvT1_,comdat
	.protected	_ZN7rocprim17ROCPRIM_400000_NS6detail17trampoline_kernelINS0_14default_configENS1_33run_length_encode_config_selectorIljNS0_4plusIjEEEEZZNS1_33reduce_by_key_impl_wrapped_configILNS1_25lookback_scan_determinismE0ES3_S7_PKlNS0_17constant_iteratorIjlEEPlSE_SE_S6_NS0_8equal_toIlEEEE10hipError_tPvRmT2_T3_mT4_T5_T6_T7_T8_P12ihipStream_tbENKUlT_T0_E_clISt17integral_constantIbLb1EESY_EEDaST_SU_EUlST_E_NS1_11comp_targetILNS1_3genE4ELNS1_11target_archE910ELNS1_3gpuE8ELNS1_3repE0EEENS1_30default_config_static_selectorELNS0_4arch9wavefront6targetE1EEEvT1_ ; -- Begin function _ZN7rocprim17ROCPRIM_400000_NS6detail17trampoline_kernelINS0_14default_configENS1_33run_length_encode_config_selectorIljNS0_4plusIjEEEEZZNS1_33reduce_by_key_impl_wrapped_configILNS1_25lookback_scan_determinismE0ES3_S7_PKlNS0_17constant_iteratorIjlEEPlSE_SE_S6_NS0_8equal_toIlEEEE10hipError_tPvRmT2_T3_mT4_T5_T6_T7_T8_P12ihipStream_tbENKUlT_T0_E_clISt17integral_constantIbLb1EESY_EEDaST_SU_EUlST_E_NS1_11comp_targetILNS1_3genE4ELNS1_11target_archE910ELNS1_3gpuE8ELNS1_3repE0EEENS1_30default_config_static_selectorELNS0_4arch9wavefront6targetE1EEEvT1_
	.globl	_ZN7rocprim17ROCPRIM_400000_NS6detail17trampoline_kernelINS0_14default_configENS1_33run_length_encode_config_selectorIljNS0_4plusIjEEEEZZNS1_33reduce_by_key_impl_wrapped_configILNS1_25lookback_scan_determinismE0ES3_S7_PKlNS0_17constant_iteratorIjlEEPlSE_SE_S6_NS0_8equal_toIlEEEE10hipError_tPvRmT2_T3_mT4_T5_T6_T7_T8_P12ihipStream_tbENKUlT_T0_E_clISt17integral_constantIbLb1EESY_EEDaST_SU_EUlST_E_NS1_11comp_targetILNS1_3genE4ELNS1_11target_archE910ELNS1_3gpuE8ELNS1_3repE0EEENS1_30default_config_static_selectorELNS0_4arch9wavefront6targetE1EEEvT1_
	.p2align	8
	.type	_ZN7rocprim17ROCPRIM_400000_NS6detail17trampoline_kernelINS0_14default_configENS1_33run_length_encode_config_selectorIljNS0_4plusIjEEEEZZNS1_33reduce_by_key_impl_wrapped_configILNS1_25lookback_scan_determinismE0ES3_S7_PKlNS0_17constant_iteratorIjlEEPlSE_SE_S6_NS0_8equal_toIlEEEE10hipError_tPvRmT2_T3_mT4_T5_T6_T7_T8_P12ihipStream_tbENKUlT_T0_E_clISt17integral_constantIbLb1EESY_EEDaST_SU_EUlST_E_NS1_11comp_targetILNS1_3genE4ELNS1_11target_archE910ELNS1_3gpuE8ELNS1_3repE0EEENS1_30default_config_static_selectorELNS0_4arch9wavefront6targetE1EEEvT1_,@function
_ZN7rocprim17ROCPRIM_400000_NS6detail17trampoline_kernelINS0_14default_configENS1_33run_length_encode_config_selectorIljNS0_4plusIjEEEEZZNS1_33reduce_by_key_impl_wrapped_configILNS1_25lookback_scan_determinismE0ES3_S7_PKlNS0_17constant_iteratorIjlEEPlSE_SE_S6_NS0_8equal_toIlEEEE10hipError_tPvRmT2_T3_mT4_T5_T6_T7_T8_P12ihipStream_tbENKUlT_T0_E_clISt17integral_constantIbLb1EESY_EEDaST_SU_EUlST_E_NS1_11comp_targetILNS1_3genE4ELNS1_11target_archE910ELNS1_3gpuE8ELNS1_3repE0EEENS1_30default_config_static_selectorELNS0_4arch9wavefront6targetE1EEEvT1_: ; @_ZN7rocprim17ROCPRIM_400000_NS6detail17trampoline_kernelINS0_14default_configENS1_33run_length_encode_config_selectorIljNS0_4plusIjEEEEZZNS1_33reduce_by_key_impl_wrapped_configILNS1_25lookback_scan_determinismE0ES3_S7_PKlNS0_17constant_iteratorIjlEEPlSE_SE_S6_NS0_8equal_toIlEEEE10hipError_tPvRmT2_T3_mT4_T5_T6_T7_T8_P12ihipStream_tbENKUlT_T0_E_clISt17integral_constantIbLb1EESY_EEDaST_SU_EUlST_E_NS1_11comp_targetILNS1_3genE4ELNS1_11target_archE910ELNS1_3gpuE8ELNS1_3repE0EEENS1_30default_config_static_selectorELNS0_4arch9wavefront6targetE1EEEvT1_
; %bb.0:
	.section	.rodata,"a",@progbits
	.p2align	6, 0x0
	.amdhsa_kernel _ZN7rocprim17ROCPRIM_400000_NS6detail17trampoline_kernelINS0_14default_configENS1_33run_length_encode_config_selectorIljNS0_4plusIjEEEEZZNS1_33reduce_by_key_impl_wrapped_configILNS1_25lookback_scan_determinismE0ES3_S7_PKlNS0_17constant_iteratorIjlEEPlSE_SE_S6_NS0_8equal_toIlEEEE10hipError_tPvRmT2_T3_mT4_T5_T6_T7_T8_P12ihipStream_tbENKUlT_T0_E_clISt17integral_constantIbLb1EESY_EEDaST_SU_EUlST_E_NS1_11comp_targetILNS1_3genE4ELNS1_11target_archE910ELNS1_3gpuE8ELNS1_3repE0EEENS1_30default_config_static_selectorELNS0_4arch9wavefront6targetE1EEEvT1_
		.amdhsa_group_segment_fixed_size 0
		.amdhsa_private_segment_fixed_size 0
		.amdhsa_kernarg_size 128
		.amdhsa_user_sgpr_count 2
		.amdhsa_user_sgpr_dispatch_ptr 0
		.amdhsa_user_sgpr_queue_ptr 0
		.amdhsa_user_sgpr_kernarg_segment_ptr 1
		.amdhsa_user_sgpr_dispatch_id 0
		.amdhsa_user_sgpr_kernarg_preload_length 0
		.amdhsa_user_sgpr_kernarg_preload_offset 0
		.amdhsa_user_sgpr_private_segment_size 0
		.amdhsa_uses_dynamic_stack 0
		.amdhsa_enable_private_segment 0
		.amdhsa_system_sgpr_workgroup_id_x 1
		.amdhsa_system_sgpr_workgroup_id_y 0
		.amdhsa_system_sgpr_workgroup_id_z 0
		.amdhsa_system_sgpr_workgroup_info 0
		.amdhsa_system_vgpr_workitem_id 0
		.amdhsa_next_free_vgpr 1
		.amdhsa_next_free_sgpr 0
		.amdhsa_accum_offset 4
		.amdhsa_reserve_vcc 0
		.amdhsa_float_round_mode_32 0
		.amdhsa_float_round_mode_16_64 0
		.amdhsa_float_denorm_mode_32 3
		.amdhsa_float_denorm_mode_16_64 3
		.amdhsa_dx10_clamp 1
		.amdhsa_ieee_mode 1
		.amdhsa_fp16_overflow 0
		.amdhsa_tg_split 0
		.amdhsa_exception_fp_ieee_invalid_op 0
		.amdhsa_exception_fp_denorm_src 0
		.amdhsa_exception_fp_ieee_div_zero 0
		.amdhsa_exception_fp_ieee_overflow 0
		.amdhsa_exception_fp_ieee_underflow 0
		.amdhsa_exception_fp_ieee_inexact 0
		.amdhsa_exception_int_div_zero 0
	.end_amdhsa_kernel
	.section	.text._ZN7rocprim17ROCPRIM_400000_NS6detail17trampoline_kernelINS0_14default_configENS1_33run_length_encode_config_selectorIljNS0_4plusIjEEEEZZNS1_33reduce_by_key_impl_wrapped_configILNS1_25lookback_scan_determinismE0ES3_S7_PKlNS0_17constant_iteratorIjlEEPlSE_SE_S6_NS0_8equal_toIlEEEE10hipError_tPvRmT2_T3_mT4_T5_T6_T7_T8_P12ihipStream_tbENKUlT_T0_E_clISt17integral_constantIbLb1EESY_EEDaST_SU_EUlST_E_NS1_11comp_targetILNS1_3genE4ELNS1_11target_archE910ELNS1_3gpuE8ELNS1_3repE0EEENS1_30default_config_static_selectorELNS0_4arch9wavefront6targetE1EEEvT1_,"axG",@progbits,_ZN7rocprim17ROCPRIM_400000_NS6detail17trampoline_kernelINS0_14default_configENS1_33run_length_encode_config_selectorIljNS0_4plusIjEEEEZZNS1_33reduce_by_key_impl_wrapped_configILNS1_25lookback_scan_determinismE0ES3_S7_PKlNS0_17constant_iteratorIjlEEPlSE_SE_S6_NS0_8equal_toIlEEEE10hipError_tPvRmT2_T3_mT4_T5_T6_T7_T8_P12ihipStream_tbENKUlT_T0_E_clISt17integral_constantIbLb1EESY_EEDaST_SU_EUlST_E_NS1_11comp_targetILNS1_3genE4ELNS1_11target_archE910ELNS1_3gpuE8ELNS1_3repE0EEENS1_30default_config_static_selectorELNS0_4arch9wavefront6targetE1EEEvT1_,comdat
.Lfunc_end522:
	.size	_ZN7rocprim17ROCPRIM_400000_NS6detail17trampoline_kernelINS0_14default_configENS1_33run_length_encode_config_selectorIljNS0_4plusIjEEEEZZNS1_33reduce_by_key_impl_wrapped_configILNS1_25lookback_scan_determinismE0ES3_S7_PKlNS0_17constant_iteratorIjlEEPlSE_SE_S6_NS0_8equal_toIlEEEE10hipError_tPvRmT2_T3_mT4_T5_T6_T7_T8_P12ihipStream_tbENKUlT_T0_E_clISt17integral_constantIbLb1EESY_EEDaST_SU_EUlST_E_NS1_11comp_targetILNS1_3genE4ELNS1_11target_archE910ELNS1_3gpuE8ELNS1_3repE0EEENS1_30default_config_static_selectorELNS0_4arch9wavefront6targetE1EEEvT1_, .Lfunc_end522-_ZN7rocprim17ROCPRIM_400000_NS6detail17trampoline_kernelINS0_14default_configENS1_33run_length_encode_config_selectorIljNS0_4plusIjEEEEZZNS1_33reduce_by_key_impl_wrapped_configILNS1_25lookback_scan_determinismE0ES3_S7_PKlNS0_17constant_iteratorIjlEEPlSE_SE_S6_NS0_8equal_toIlEEEE10hipError_tPvRmT2_T3_mT4_T5_T6_T7_T8_P12ihipStream_tbENKUlT_T0_E_clISt17integral_constantIbLb1EESY_EEDaST_SU_EUlST_E_NS1_11comp_targetILNS1_3genE4ELNS1_11target_archE910ELNS1_3gpuE8ELNS1_3repE0EEENS1_30default_config_static_selectorELNS0_4arch9wavefront6targetE1EEEvT1_
                                        ; -- End function
	.section	.AMDGPU.csdata,"",@progbits
; Kernel info:
; codeLenInByte = 0
; NumSgprs: 6
; NumVgprs: 0
; NumAgprs: 0
; TotalNumVgprs: 0
; ScratchSize: 0
; MemoryBound: 0
; FloatMode: 240
; IeeeMode: 1
; LDSByteSize: 0 bytes/workgroup (compile time only)
; SGPRBlocks: 0
; VGPRBlocks: 0
; NumSGPRsForWavesPerEU: 6
; NumVGPRsForWavesPerEU: 1
; AccumOffset: 4
; Occupancy: 8
; WaveLimiterHint : 0
; COMPUTE_PGM_RSRC2:SCRATCH_EN: 0
; COMPUTE_PGM_RSRC2:USER_SGPR: 2
; COMPUTE_PGM_RSRC2:TRAP_HANDLER: 0
; COMPUTE_PGM_RSRC2:TGID_X_EN: 1
; COMPUTE_PGM_RSRC2:TGID_Y_EN: 0
; COMPUTE_PGM_RSRC2:TGID_Z_EN: 0
; COMPUTE_PGM_RSRC2:TIDIG_COMP_CNT: 0
; COMPUTE_PGM_RSRC3_GFX90A:ACCUM_OFFSET: 0
; COMPUTE_PGM_RSRC3_GFX90A:TG_SPLIT: 0
	.section	.text._ZN7rocprim17ROCPRIM_400000_NS6detail17trampoline_kernelINS0_14default_configENS1_33run_length_encode_config_selectorIljNS0_4plusIjEEEEZZNS1_33reduce_by_key_impl_wrapped_configILNS1_25lookback_scan_determinismE0ES3_S7_PKlNS0_17constant_iteratorIjlEEPlSE_SE_S6_NS0_8equal_toIlEEEE10hipError_tPvRmT2_T3_mT4_T5_T6_T7_T8_P12ihipStream_tbENKUlT_T0_E_clISt17integral_constantIbLb1EESY_EEDaST_SU_EUlST_E_NS1_11comp_targetILNS1_3genE3ELNS1_11target_archE908ELNS1_3gpuE7ELNS1_3repE0EEENS1_30default_config_static_selectorELNS0_4arch9wavefront6targetE1EEEvT1_,"axG",@progbits,_ZN7rocprim17ROCPRIM_400000_NS6detail17trampoline_kernelINS0_14default_configENS1_33run_length_encode_config_selectorIljNS0_4plusIjEEEEZZNS1_33reduce_by_key_impl_wrapped_configILNS1_25lookback_scan_determinismE0ES3_S7_PKlNS0_17constant_iteratorIjlEEPlSE_SE_S6_NS0_8equal_toIlEEEE10hipError_tPvRmT2_T3_mT4_T5_T6_T7_T8_P12ihipStream_tbENKUlT_T0_E_clISt17integral_constantIbLb1EESY_EEDaST_SU_EUlST_E_NS1_11comp_targetILNS1_3genE3ELNS1_11target_archE908ELNS1_3gpuE7ELNS1_3repE0EEENS1_30default_config_static_selectorELNS0_4arch9wavefront6targetE1EEEvT1_,comdat
	.protected	_ZN7rocprim17ROCPRIM_400000_NS6detail17trampoline_kernelINS0_14default_configENS1_33run_length_encode_config_selectorIljNS0_4plusIjEEEEZZNS1_33reduce_by_key_impl_wrapped_configILNS1_25lookback_scan_determinismE0ES3_S7_PKlNS0_17constant_iteratorIjlEEPlSE_SE_S6_NS0_8equal_toIlEEEE10hipError_tPvRmT2_T3_mT4_T5_T6_T7_T8_P12ihipStream_tbENKUlT_T0_E_clISt17integral_constantIbLb1EESY_EEDaST_SU_EUlST_E_NS1_11comp_targetILNS1_3genE3ELNS1_11target_archE908ELNS1_3gpuE7ELNS1_3repE0EEENS1_30default_config_static_selectorELNS0_4arch9wavefront6targetE1EEEvT1_ ; -- Begin function _ZN7rocprim17ROCPRIM_400000_NS6detail17trampoline_kernelINS0_14default_configENS1_33run_length_encode_config_selectorIljNS0_4plusIjEEEEZZNS1_33reduce_by_key_impl_wrapped_configILNS1_25lookback_scan_determinismE0ES3_S7_PKlNS0_17constant_iteratorIjlEEPlSE_SE_S6_NS0_8equal_toIlEEEE10hipError_tPvRmT2_T3_mT4_T5_T6_T7_T8_P12ihipStream_tbENKUlT_T0_E_clISt17integral_constantIbLb1EESY_EEDaST_SU_EUlST_E_NS1_11comp_targetILNS1_3genE3ELNS1_11target_archE908ELNS1_3gpuE7ELNS1_3repE0EEENS1_30default_config_static_selectorELNS0_4arch9wavefront6targetE1EEEvT1_
	.globl	_ZN7rocprim17ROCPRIM_400000_NS6detail17trampoline_kernelINS0_14default_configENS1_33run_length_encode_config_selectorIljNS0_4plusIjEEEEZZNS1_33reduce_by_key_impl_wrapped_configILNS1_25lookback_scan_determinismE0ES3_S7_PKlNS0_17constant_iteratorIjlEEPlSE_SE_S6_NS0_8equal_toIlEEEE10hipError_tPvRmT2_T3_mT4_T5_T6_T7_T8_P12ihipStream_tbENKUlT_T0_E_clISt17integral_constantIbLb1EESY_EEDaST_SU_EUlST_E_NS1_11comp_targetILNS1_3genE3ELNS1_11target_archE908ELNS1_3gpuE7ELNS1_3repE0EEENS1_30default_config_static_selectorELNS0_4arch9wavefront6targetE1EEEvT1_
	.p2align	8
	.type	_ZN7rocprim17ROCPRIM_400000_NS6detail17trampoline_kernelINS0_14default_configENS1_33run_length_encode_config_selectorIljNS0_4plusIjEEEEZZNS1_33reduce_by_key_impl_wrapped_configILNS1_25lookback_scan_determinismE0ES3_S7_PKlNS0_17constant_iteratorIjlEEPlSE_SE_S6_NS0_8equal_toIlEEEE10hipError_tPvRmT2_T3_mT4_T5_T6_T7_T8_P12ihipStream_tbENKUlT_T0_E_clISt17integral_constantIbLb1EESY_EEDaST_SU_EUlST_E_NS1_11comp_targetILNS1_3genE3ELNS1_11target_archE908ELNS1_3gpuE7ELNS1_3repE0EEENS1_30default_config_static_selectorELNS0_4arch9wavefront6targetE1EEEvT1_,@function
_ZN7rocprim17ROCPRIM_400000_NS6detail17trampoline_kernelINS0_14default_configENS1_33run_length_encode_config_selectorIljNS0_4plusIjEEEEZZNS1_33reduce_by_key_impl_wrapped_configILNS1_25lookback_scan_determinismE0ES3_S7_PKlNS0_17constant_iteratorIjlEEPlSE_SE_S6_NS0_8equal_toIlEEEE10hipError_tPvRmT2_T3_mT4_T5_T6_T7_T8_P12ihipStream_tbENKUlT_T0_E_clISt17integral_constantIbLb1EESY_EEDaST_SU_EUlST_E_NS1_11comp_targetILNS1_3genE3ELNS1_11target_archE908ELNS1_3gpuE7ELNS1_3repE0EEENS1_30default_config_static_selectorELNS0_4arch9wavefront6targetE1EEEvT1_: ; @_ZN7rocprim17ROCPRIM_400000_NS6detail17trampoline_kernelINS0_14default_configENS1_33run_length_encode_config_selectorIljNS0_4plusIjEEEEZZNS1_33reduce_by_key_impl_wrapped_configILNS1_25lookback_scan_determinismE0ES3_S7_PKlNS0_17constant_iteratorIjlEEPlSE_SE_S6_NS0_8equal_toIlEEEE10hipError_tPvRmT2_T3_mT4_T5_T6_T7_T8_P12ihipStream_tbENKUlT_T0_E_clISt17integral_constantIbLb1EESY_EEDaST_SU_EUlST_E_NS1_11comp_targetILNS1_3genE3ELNS1_11target_archE908ELNS1_3gpuE7ELNS1_3repE0EEENS1_30default_config_static_selectorELNS0_4arch9wavefront6targetE1EEEvT1_
; %bb.0:
	.section	.rodata,"a",@progbits
	.p2align	6, 0x0
	.amdhsa_kernel _ZN7rocprim17ROCPRIM_400000_NS6detail17trampoline_kernelINS0_14default_configENS1_33run_length_encode_config_selectorIljNS0_4plusIjEEEEZZNS1_33reduce_by_key_impl_wrapped_configILNS1_25lookback_scan_determinismE0ES3_S7_PKlNS0_17constant_iteratorIjlEEPlSE_SE_S6_NS0_8equal_toIlEEEE10hipError_tPvRmT2_T3_mT4_T5_T6_T7_T8_P12ihipStream_tbENKUlT_T0_E_clISt17integral_constantIbLb1EESY_EEDaST_SU_EUlST_E_NS1_11comp_targetILNS1_3genE3ELNS1_11target_archE908ELNS1_3gpuE7ELNS1_3repE0EEENS1_30default_config_static_selectorELNS0_4arch9wavefront6targetE1EEEvT1_
		.amdhsa_group_segment_fixed_size 0
		.amdhsa_private_segment_fixed_size 0
		.amdhsa_kernarg_size 128
		.amdhsa_user_sgpr_count 2
		.amdhsa_user_sgpr_dispatch_ptr 0
		.amdhsa_user_sgpr_queue_ptr 0
		.amdhsa_user_sgpr_kernarg_segment_ptr 1
		.amdhsa_user_sgpr_dispatch_id 0
		.amdhsa_user_sgpr_kernarg_preload_length 0
		.amdhsa_user_sgpr_kernarg_preload_offset 0
		.amdhsa_user_sgpr_private_segment_size 0
		.amdhsa_uses_dynamic_stack 0
		.amdhsa_enable_private_segment 0
		.amdhsa_system_sgpr_workgroup_id_x 1
		.amdhsa_system_sgpr_workgroup_id_y 0
		.amdhsa_system_sgpr_workgroup_id_z 0
		.amdhsa_system_sgpr_workgroup_info 0
		.amdhsa_system_vgpr_workitem_id 0
		.amdhsa_next_free_vgpr 1
		.amdhsa_next_free_sgpr 0
		.amdhsa_accum_offset 4
		.amdhsa_reserve_vcc 0
		.amdhsa_float_round_mode_32 0
		.amdhsa_float_round_mode_16_64 0
		.amdhsa_float_denorm_mode_32 3
		.amdhsa_float_denorm_mode_16_64 3
		.amdhsa_dx10_clamp 1
		.amdhsa_ieee_mode 1
		.amdhsa_fp16_overflow 0
		.amdhsa_tg_split 0
		.amdhsa_exception_fp_ieee_invalid_op 0
		.amdhsa_exception_fp_denorm_src 0
		.amdhsa_exception_fp_ieee_div_zero 0
		.amdhsa_exception_fp_ieee_overflow 0
		.amdhsa_exception_fp_ieee_underflow 0
		.amdhsa_exception_fp_ieee_inexact 0
		.amdhsa_exception_int_div_zero 0
	.end_amdhsa_kernel
	.section	.text._ZN7rocprim17ROCPRIM_400000_NS6detail17trampoline_kernelINS0_14default_configENS1_33run_length_encode_config_selectorIljNS0_4plusIjEEEEZZNS1_33reduce_by_key_impl_wrapped_configILNS1_25lookback_scan_determinismE0ES3_S7_PKlNS0_17constant_iteratorIjlEEPlSE_SE_S6_NS0_8equal_toIlEEEE10hipError_tPvRmT2_T3_mT4_T5_T6_T7_T8_P12ihipStream_tbENKUlT_T0_E_clISt17integral_constantIbLb1EESY_EEDaST_SU_EUlST_E_NS1_11comp_targetILNS1_3genE3ELNS1_11target_archE908ELNS1_3gpuE7ELNS1_3repE0EEENS1_30default_config_static_selectorELNS0_4arch9wavefront6targetE1EEEvT1_,"axG",@progbits,_ZN7rocprim17ROCPRIM_400000_NS6detail17trampoline_kernelINS0_14default_configENS1_33run_length_encode_config_selectorIljNS0_4plusIjEEEEZZNS1_33reduce_by_key_impl_wrapped_configILNS1_25lookback_scan_determinismE0ES3_S7_PKlNS0_17constant_iteratorIjlEEPlSE_SE_S6_NS0_8equal_toIlEEEE10hipError_tPvRmT2_T3_mT4_T5_T6_T7_T8_P12ihipStream_tbENKUlT_T0_E_clISt17integral_constantIbLb1EESY_EEDaST_SU_EUlST_E_NS1_11comp_targetILNS1_3genE3ELNS1_11target_archE908ELNS1_3gpuE7ELNS1_3repE0EEENS1_30default_config_static_selectorELNS0_4arch9wavefront6targetE1EEEvT1_,comdat
.Lfunc_end523:
	.size	_ZN7rocprim17ROCPRIM_400000_NS6detail17trampoline_kernelINS0_14default_configENS1_33run_length_encode_config_selectorIljNS0_4plusIjEEEEZZNS1_33reduce_by_key_impl_wrapped_configILNS1_25lookback_scan_determinismE0ES3_S7_PKlNS0_17constant_iteratorIjlEEPlSE_SE_S6_NS0_8equal_toIlEEEE10hipError_tPvRmT2_T3_mT4_T5_T6_T7_T8_P12ihipStream_tbENKUlT_T0_E_clISt17integral_constantIbLb1EESY_EEDaST_SU_EUlST_E_NS1_11comp_targetILNS1_3genE3ELNS1_11target_archE908ELNS1_3gpuE7ELNS1_3repE0EEENS1_30default_config_static_selectorELNS0_4arch9wavefront6targetE1EEEvT1_, .Lfunc_end523-_ZN7rocprim17ROCPRIM_400000_NS6detail17trampoline_kernelINS0_14default_configENS1_33run_length_encode_config_selectorIljNS0_4plusIjEEEEZZNS1_33reduce_by_key_impl_wrapped_configILNS1_25lookback_scan_determinismE0ES3_S7_PKlNS0_17constant_iteratorIjlEEPlSE_SE_S6_NS0_8equal_toIlEEEE10hipError_tPvRmT2_T3_mT4_T5_T6_T7_T8_P12ihipStream_tbENKUlT_T0_E_clISt17integral_constantIbLb1EESY_EEDaST_SU_EUlST_E_NS1_11comp_targetILNS1_3genE3ELNS1_11target_archE908ELNS1_3gpuE7ELNS1_3repE0EEENS1_30default_config_static_selectorELNS0_4arch9wavefront6targetE1EEEvT1_
                                        ; -- End function
	.section	.AMDGPU.csdata,"",@progbits
; Kernel info:
; codeLenInByte = 0
; NumSgprs: 6
; NumVgprs: 0
; NumAgprs: 0
; TotalNumVgprs: 0
; ScratchSize: 0
; MemoryBound: 0
; FloatMode: 240
; IeeeMode: 1
; LDSByteSize: 0 bytes/workgroup (compile time only)
; SGPRBlocks: 0
; VGPRBlocks: 0
; NumSGPRsForWavesPerEU: 6
; NumVGPRsForWavesPerEU: 1
; AccumOffset: 4
; Occupancy: 8
; WaveLimiterHint : 0
; COMPUTE_PGM_RSRC2:SCRATCH_EN: 0
; COMPUTE_PGM_RSRC2:USER_SGPR: 2
; COMPUTE_PGM_RSRC2:TRAP_HANDLER: 0
; COMPUTE_PGM_RSRC2:TGID_X_EN: 1
; COMPUTE_PGM_RSRC2:TGID_Y_EN: 0
; COMPUTE_PGM_RSRC2:TGID_Z_EN: 0
; COMPUTE_PGM_RSRC2:TIDIG_COMP_CNT: 0
; COMPUTE_PGM_RSRC3_GFX90A:ACCUM_OFFSET: 0
; COMPUTE_PGM_RSRC3_GFX90A:TG_SPLIT: 0
	.section	.text._ZN7rocprim17ROCPRIM_400000_NS6detail17trampoline_kernelINS0_14default_configENS1_33run_length_encode_config_selectorIljNS0_4plusIjEEEEZZNS1_33reduce_by_key_impl_wrapped_configILNS1_25lookback_scan_determinismE0ES3_S7_PKlNS0_17constant_iteratorIjlEEPlSE_SE_S6_NS0_8equal_toIlEEEE10hipError_tPvRmT2_T3_mT4_T5_T6_T7_T8_P12ihipStream_tbENKUlT_T0_E_clISt17integral_constantIbLb1EESY_EEDaST_SU_EUlST_E_NS1_11comp_targetILNS1_3genE2ELNS1_11target_archE906ELNS1_3gpuE6ELNS1_3repE0EEENS1_30default_config_static_selectorELNS0_4arch9wavefront6targetE1EEEvT1_,"axG",@progbits,_ZN7rocprim17ROCPRIM_400000_NS6detail17trampoline_kernelINS0_14default_configENS1_33run_length_encode_config_selectorIljNS0_4plusIjEEEEZZNS1_33reduce_by_key_impl_wrapped_configILNS1_25lookback_scan_determinismE0ES3_S7_PKlNS0_17constant_iteratorIjlEEPlSE_SE_S6_NS0_8equal_toIlEEEE10hipError_tPvRmT2_T3_mT4_T5_T6_T7_T8_P12ihipStream_tbENKUlT_T0_E_clISt17integral_constantIbLb1EESY_EEDaST_SU_EUlST_E_NS1_11comp_targetILNS1_3genE2ELNS1_11target_archE906ELNS1_3gpuE6ELNS1_3repE0EEENS1_30default_config_static_selectorELNS0_4arch9wavefront6targetE1EEEvT1_,comdat
	.protected	_ZN7rocprim17ROCPRIM_400000_NS6detail17trampoline_kernelINS0_14default_configENS1_33run_length_encode_config_selectorIljNS0_4plusIjEEEEZZNS1_33reduce_by_key_impl_wrapped_configILNS1_25lookback_scan_determinismE0ES3_S7_PKlNS0_17constant_iteratorIjlEEPlSE_SE_S6_NS0_8equal_toIlEEEE10hipError_tPvRmT2_T3_mT4_T5_T6_T7_T8_P12ihipStream_tbENKUlT_T0_E_clISt17integral_constantIbLb1EESY_EEDaST_SU_EUlST_E_NS1_11comp_targetILNS1_3genE2ELNS1_11target_archE906ELNS1_3gpuE6ELNS1_3repE0EEENS1_30default_config_static_selectorELNS0_4arch9wavefront6targetE1EEEvT1_ ; -- Begin function _ZN7rocprim17ROCPRIM_400000_NS6detail17trampoline_kernelINS0_14default_configENS1_33run_length_encode_config_selectorIljNS0_4plusIjEEEEZZNS1_33reduce_by_key_impl_wrapped_configILNS1_25lookback_scan_determinismE0ES3_S7_PKlNS0_17constant_iteratorIjlEEPlSE_SE_S6_NS0_8equal_toIlEEEE10hipError_tPvRmT2_T3_mT4_T5_T6_T7_T8_P12ihipStream_tbENKUlT_T0_E_clISt17integral_constantIbLb1EESY_EEDaST_SU_EUlST_E_NS1_11comp_targetILNS1_3genE2ELNS1_11target_archE906ELNS1_3gpuE6ELNS1_3repE0EEENS1_30default_config_static_selectorELNS0_4arch9wavefront6targetE1EEEvT1_
	.globl	_ZN7rocprim17ROCPRIM_400000_NS6detail17trampoline_kernelINS0_14default_configENS1_33run_length_encode_config_selectorIljNS0_4plusIjEEEEZZNS1_33reduce_by_key_impl_wrapped_configILNS1_25lookback_scan_determinismE0ES3_S7_PKlNS0_17constant_iteratorIjlEEPlSE_SE_S6_NS0_8equal_toIlEEEE10hipError_tPvRmT2_T3_mT4_T5_T6_T7_T8_P12ihipStream_tbENKUlT_T0_E_clISt17integral_constantIbLb1EESY_EEDaST_SU_EUlST_E_NS1_11comp_targetILNS1_3genE2ELNS1_11target_archE906ELNS1_3gpuE6ELNS1_3repE0EEENS1_30default_config_static_selectorELNS0_4arch9wavefront6targetE1EEEvT1_
	.p2align	8
	.type	_ZN7rocprim17ROCPRIM_400000_NS6detail17trampoline_kernelINS0_14default_configENS1_33run_length_encode_config_selectorIljNS0_4plusIjEEEEZZNS1_33reduce_by_key_impl_wrapped_configILNS1_25lookback_scan_determinismE0ES3_S7_PKlNS0_17constant_iteratorIjlEEPlSE_SE_S6_NS0_8equal_toIlEEEE10hipError_tPvRmT2_T3_mT4_T5_T6_T7_T8_P12ihipStream_tbENKUlT_T0_E_clISt17integral_constantIbLb1EESY_EEDaST_SU_EUlST_E_NS1_11comp_targetILNS1_3genE2ELNS1_11target_archE906ELNS1_3gpuE6ELNS1_3repE0EEENS1_30default_config_static_selectorELNS0_4arch9wavefront6targetE1EEEvT1_,@function
_ZN7rocprim17ROCPRIM_400000_NS6detail17trampoline_kernelINS0_14default_configENS1_33run_length_encode_config_selectorIljNS0_4plusIjEEEEZZNS1_33reduce_by_key_impl_wrapped_configILNS1_25lookback_scan_determinismE0ES3_S7_PKlNS0_17constant_iteratorIjlEEPlSE_SE_S6_NS0_8equal_toIlEEEE10hipError_tPvRmT2_T3_mT4_T5_T6_T7_T8_P12ihipStream_tbENKUlT_T0_E_clISt17integral_constantIbLb1EESY_EEDaST_SU_EUlST_E_NS1_11comp_targetILNS1_3genE2ELNS1_11target_archE906ELNS1_3gpuE6ELNS1_3repE0EEENS1_30default_config_static_selectorELNS0_4arch9wavefront6targetE1EEEvT1_: ; @_ZN7rocprim17ROCPRIM_400000_NS6detail17trampoline_kernelINS0_14default_configENS1_33run_length_encode_config_selectorIljNS0_4plusIjEEEEZZNS1_33reduce_by_key_impl_wrapped_configILNS1_25lookback_scan_determinismE0ES3_S7_PKlNS0_17constant_iteratorIjlEEPlSE_SE_S6_NS0_8equal_toIlEEEE10hipError_tPvRmT2_T3_mT4_T5_T6_T7_T8_P12ihipStream_tbENKUlT_T0_E_clISt17integral_constantIbLb1EESY_EEDaST_SU_EUlST_E_NS1_11comp_targetILNS1_3genE2ELNS1_11target_archE906ELNS1_3gpuE6ELNS1_3repE0EEENS1_30default_config_static_selectorELNS0_4arch9wavefront6targetE1EEEvT1_
; %bb.0:
	.section	.rodata,"a",@progbits
	.p2align	6, 0x0
	.amdhsa_kernel _ZN7rocprim17ROCPRIM_400000_NS6detail17trampoline_kernelINS0_14default_configENS1_33run_length_encode_config_selectorIljNS0_4plusIjEEEEZZNS1_33reduce_by_key_impl_wrapped_configILNS1_25lookback_scan_determinismE0ES3_S7_PKlNS0_17constant_iteratorIjlEEPlSE_SE_S6_NS0_8equal_toIlEEEE10hipError_tPvRmT2_T3_mT4_T5_T6_T7_T8_P12ihipStream_tbENKUlT_T0_E_clISt17integral_constantIbLb1EESY_EEDaST_SU_EUlST_E_NS1_11comp_targetILNS1_3genE2ELNS1_11target_archE906ELNS1_3gpuE6ELNS1_3repE0EEENS1_30default_config_static_selectorELNS0_4arch9wavefront6targetE1EEEvT1_
		.amdhsa_group_segment_fixed_size 0
		.amdhsa_private_segment_fixed_size 0
		.amdhsa_kernarg_size 128
		.amdhsa_user_sgpr_count 2
		.amdhsa_user_sgpr_dispatch_ptr 0
		.amdhsa_user_sgpr_queue_ptr 0
		.amdhsa_user_sgpr_kernarg_segment_ptr 1
		.amdhsa_user_sgpr_dispatch_id 0
		.amdhsa_user_sgpr_kernarg_preload_length 0
		.amdhsa_user_sgpr_kernarg_preload_offset 0
		.amdhsa_user_sgpr_private_segment_size 0
		.amdhsa_uses_dynamic_stack 0
		.amdhsa_enable_private_segment 0
		.amdhsa_system_sgpr_workgroup_id_x 1
		.amdhsa_system_sgpr_workgroup_id_y 0
		.amdhsa_system_sgpr_workgroup_id_z 0
		.amdhsa_system_sgpr_workgroup_info 0
		.amdhsa_system_vgpr_workitem_id 0
		.amdhsa_next_free_vgpr 1
		.amdhsa_next_free_sgpr 0
		.amdhsa_accum_offset 4
		.amdhsa_reserve_vcc 0
		.amdhsa_float_round_mode_32 0
		.amdhsa_float_round_mode_16_64 0
		.amdhsa_float_denorm_mode_32 3
		.amdhsa_float_denorm_mode_16_64 3
		.amdhsa_dx10_clamp 1
		.amdhsa_ieee_mode 1
		.amdhsa_fp16_overflow 0
		.amdhsa_tg_split 0
		.amdhsa_exception_fp_ieee_invalid_op 0
		.amdhsa_exception_fp_denorm_src 0
		.amdhsa_exception_fp_ieee_div_zero 0
		.amdhsa_exception_fp_ieee_overflow 0
		.amdhsa_exception_fp_ieee_underflow 0
		.amdhsa_exception_fp_ieee_inexact 0
		.amdhsa_exception_int_div_zero 0
	.end_amdhsa_kernel
	.section	.text._ZN7rocprim17ROCPRIM_400000_NS6detail17trampoline_kernelINS0_14default_configENS1_33run_length_encode_config_selectorIljNS0_4plusIjEEEEZZNS1_33reduce_by_key_impl_wrapped_configILNS1_25lookback_scan_determinismE0ES3_S7_PKlNS0_17constant_iteratorIjlEEPlSE_SE_S6_NS0_8equal_toIlEEEE10hipError_tPvRmT2_T3_mT4_T5_T6_T7_T8_P12ihipStream_tbENKUlT_T0_E_clISt17integral_constantIbLb1EESY_EEDaST_SU_EUlST_E_NS1_11comp_targetILNS1_3genE2ELNS1_11target_archE906ELNS1_3gpuE6ELNS1_3repE0EEENS1_30default_config_static_selectorELNS0_4arch9wavefront6targetE1EEEvT1_,"axG",@progbits,_ZN7rocprim17ROCPRIM_400000_NS6detail17trampoline_kernelINS0_14default_configENS1_33run_length_encode_config_selectorIljNS0_4plusIjEEEEZZNS1_33reduce_by_key_impl_wrapped_configILNS1_25lookback_scan_determinismE0ES3_S7_PKlNS0_17constant_iteratorIjlEEPlSE_SE_S6_NS0_8equal_toIlEEEE10hipError_tPvRmT2_T3_mT4_T5_T6_T7_T8_P12ihipStream_tbENKUlT_T0_E_clISt17integral_constantIbLb1EESY_EEDaST_SU_EUlST_E_NS1_11comp_targetILNS1_3genE2ELNS1_11target_archE906ELNS1_3gpuE6ELNS1_3repE0EEENS1_30default_config_static_selectorELNS0_4arch9wavefront6targetE1EEEvT1_,comdat
.Lfunc_end524:
	.size	_ZN7rocprim17ROCPRIM_400000_NS6detail17trampoline_kernelINS0_14default_configENS1_33run_length_encode_config_selectorIljNS0_4plusIjEEEEZZNS1_33reduce_by_key_impl_wrapped_configILNS1_25lookback_scan_determinismE0ES3_S7_PKlNS0_17constant_iteratorIjlEEPlSE_SE_S6_NS0_8equal_toIlEEEE10hipError_tPvRmT2_T3_mT4_T5_T6_T7_T8_P12ihipStream_tbENKUlT_T0_E_clISt17integral_constantIbLb1EESY_EEDaST_SU_EUlST_E_NS1_11comp_targetILNS1_3genE2ELNS1_11target_archE906ELNS1_3gpuE6ELNS1_3repE0EEENS1_30default_config_static_selectorELNS0_4arch9wavefront6targetE1EEEvT1_, .Lfunc_end524-_ZN7rocprim17ROCPRIM_400000_NS6detail17trampoline_kernelINS0_14default_configENS1_33run_length_encode_config_selectorIljNS0_4plusIjEEEEZZNS1_33reduce_by_key_impl_wrapped_configILNS1_25lookback_scan_determinismE0ES3_S7_PKlNS0_17constant_iteratorIjlEEPlSE_SE_S6_NS0_8equal_toIlEEEE10hipError_tPvRmT2_T3_mT4_T5_T6_T7_T8_P12ihipStream_tbENKUlT_T0_E_clISt17integral_constantIbLb1EESY_EEDaST_SU_EUlST_E_NS1_11comp_targetILNS1_3genE2ELNS1_11target_archE906ELNS1_3gpuE6ELNS1_3repE0EEENS1_30default_config_static_selectorELNS0_4arch9wavefront6targetE1EEEvT1_
                                        ; -- End function
	.section	.AMDGPU.csdata,"",@progbits
; Kernel info:
; codeLenInByte = 0
; NumSgprs: 6
; NumVgprs: 0
; NumAgprs: 0
; TotalNumVgprs: 0
; ScratchSize: 0
; MemoryBound: 0
; FloatMode: 240
; IeeeMode: 1
; LDSByteSize: 0 bytes/workgroup (compile time only)
; SGPRBlocks: 0
; VGPRBlocks: 0
; NumSGPRsForWavesPerEU: 6
; NumVGPRsForWavesPerEU: 1
; AccumOffset: 4
; Occupancy: 8
; WaveLimiterHint : 0
; COMPUTE_PGM_RSRC2:SCRATCH_EN: 0
; COMPUTE_PGM_RSRC2:USER_SGPR: 2
; COMPUTE_PGM_RSRC2:TRAP_HANDLER: 0
; COMPUTE_PGM_RSRC2:TGID_X_EN: 1
; COMPUTE_PGM_RSRC2:TGID_Y_EN: 0
; COMPUTE_PGM_RSRC2:TGID_Z_EN: 0
; COMPUTE_PGM_RSRC2:TIDIG_COMP_CNT: 0
; COMPUTE_PGM_RSRC3_GFX90A:ACCUM_OFFSET: 0
; COMPUTE_PGM_RSRC3_GFX90A:TG_SPLIT: 0
	.section	.text._ZN7rocprim17ROCPRIM_400000_NS6detail17trampoline_kernelINS0_14default_configENS1_33run_length_encode_config_selectorIljNS0_4plusIjEEEEZZNS1_33reduce_by_key_impl_wrapped_configILNS1_25lookback_scan_determinismE0ES3_S7_PKlNS0_17constant_iteratorIjlEEPlSE_SE_S6_NS0_8equal_toIlEEEE10hipError_tPvRmT2_T3_mT4_T5_T6_T7_T8_P12ihipStream_tbENKUlT_T0_E_clISt17integral_constantIbLb1EESY_EEDaST_SU_EUlST_E_NS1_11comp_targetILNS1_3genE10ELNS1_11target_archE1201ELNS1_3gpuE5ELNS1_3repE0EEENS1_30default_config_static_selectorELNS0_4arch9wavefront6targetE1EEEvT1_,"axG",@progbits,_ZN7rocprim17ROCPRIM_400000_NS6detail17trampoline_kernelINS0_14default_configENS1_33run_length_encode_config_selectorIljNS0_4plusIjEEEEZZNS1_33reduce_by_key_impl_wrapped_configILNS1_25lookback_scan_determinismE0ES3_S7_PKlNS0_17constant_iteratorIjlEEPlSE_SE_S6_NS0_8equal_toIlEEEE10hipError_tPvRmT2_T3_mT4_T5_T6_T7_T8_P12ihipStream_tbENKUlT_T0_E_clISt17integral_constantIbLb1EESY_EEDaST_SU_EUlST_E_NS1_11comp_targetILNS1_3genE10ELNS1_11target_archE1201ELNS1_3gpuE5ELNS1_3repE0EEENS1_30default_config_static_selectorELNS0_4arch9wavefront6targetE1EEEvT1_,comdat
	.protected	_ZN7rocprim17ROCPRIM_400000_NS6detail17trampoline_kernelINS0_14default_configENS1_33run_length_encode_config_selectorIljNS0_4plusIjEEEEZZNS1_33reduce_by_key_impl_wrapped_configILNS1_25lookback_scan_determinismE0ES3_S7_PKlNS0_17constant_iteratorIjlEEPlSE_SE_S6_NS0_8equal_toIlEEEE10hipError_tPvRmT2_T3_mT4_T5_T6_T7_T8_P12ihipStream_tbENKUlT_T0_E_clISt17integral_constantIbLb1EESY_EEDaST_SU_EUlST_E_NS1_11comp_targetILNS1_3genE10ELNS1_11target_archE1201ELNS1_3gpuE5ELNS1_3repE0EEENS1_30default_config_static_selectorELNS0_4arch9wavefront6targetE1EEEvT1_ ; -- Begin function _ZN7rocprim17ROCPRIM_400000_NS6detail17trampoline_kernelINS0_14default_configENS1_33run_length_encode_config_selectorIljNS0_4plusIjEEEEZZNS1_33reduce_by_key_impl_wrapped_configILNS1_25lookback_scan_determinismE0ES3_S7_PKlNS0_17constant_iteratorIjlEEPlSE_SE_S6_NS0_8equal_toIlEEEE10hipError_tPvRmT2_T3_mT4_T5_T6_T7_T8_P12ihipStream_tbENKUlT_T0_E_clISt17integral_constantIbLb1EESY_EEDaST_SU_EUlST_E_NS1_11comp_targetILNS1_3genE10ELNS1_11target_archE1201ELNS1_3gpuE5ELNS1_3repE0EEENS1_30default_config_static_selectorELNS0_4arch9wavefront6targetE1EEEvT1_
	.globl	_ZN7rocprim17ROCPRIM_400000_NS6detail17trampoline_kernelINS0_14default_configENS1_33run_length_encode_config_selectorIljNS0_4plusIjEEEEZZNS1_33reduce_by_key_impl_wrapped_configILNS1_25lookback_scan_determinismE0ES3_S7_PKlNS0_17constant_iteratorIjlEEPlSE_SE_S6_NS0_8equal_toIlEEEE10hipError_tPvRmT2_T3_mT4_T5_T6_T7_T8_P12ihipStream_tbENKUlT_T0_E_clISt17integral_constantIbLb1EESY_EEDaST_SU_EUlST_E_NS1_11comp_targetILNS1_3genE10ELNS1_11target_archE1201ELNS1_3gpuE5ELNS1_3repE0EEENS1_30default_config_static_selectorELNS0_4arch9wavefront6targetE1EEEvT1_
	.p2align	8
	.type	_ZN7rocprim17ROCPRIM_400000_NS6detail17trampoline_kernelINS0_14default_configENS1_33run_length_encode_config_selectorIljNS0_4plusIjEEEEZZNS1_33reduce_by_key_impl_wrapped_configILNS1_25lookback_scan_determinismE0ES3_S7_PKlNS0_17constant_iteratorIjlEEPlSE_SE_S6_NS0_8equal_toIlEEEE10hipError_tPvRmT2_T3_mT4_T5_T6_T7_T8_P12ihipStream_tbENKUlT_T0_E_clISt17integral_constantIbLb1EESY_EEDaST_SU_EUlST_E_NS1_11comp_targetILNS1_3genE10ELNS1_11target_archE1201ELNS1_3gpuE5ELNS1_3repE0EEENS1_30default_config_static_selectorELNS0_4arch9wavefront6targetE1EEEvT1_,@function
_ZN7rocprim17ROCPRIM_400000_NS6detail17trampoline_kernelINS0_14default_configENS1_33run_length_encode_config_selectorIljNS0_4plusIjEEEEZZNS1_33reduce_by_key_impl_wrapped_configILNS1_25lookback_scan_determinismE0ES3_S7_PKlNS0_17constant_iteratorIjlEEPlSE_SE_S6_NS0_8equal_toIlEEEE10hipError_tPvRmT2_T3_mT4_T5_T6_T7_T8_P12ihipStream_tbENKUlT_T0_E_clISt17integral_constantIbLb1EESY_EEDaST_SU_EUlST_E_NS1_11comp_targetILNS1_3genE10ELNS1_11target_archE1201ELNS1_3gpuE5ELNS1_3repE0EEENS1_30default_config_static_selectorELNS0_4arch9wavefront6targetE1EEEvT1_: ; @_ZN7rocprim17ROCPRIM_400000_NS6detail17trampoline_kernelINS0_14default_configENS1_33run_length_encode_config_selectorIljNS0_4plusIjEEEEZZNS1_33reduce_by_key_impl_wrapped_configILNS1_25lookback_scan_determinismE0ES3_S7_PKlNS0_17constant_iteratorIjlEEPlSE_SE_S6_NS0_8equal_toIlEEEE10hipError_tPvRmT2_T3_mT4_T5_T6_T7_T8_P12ihipStream_tbENKUlT_T0_E_clISt17integral_constantIbLb1EESY_EEDaST_SU_EUlST_E_NS1_11comp_targetILNS1_3genE10ELNS1_11target_archE1201ELNS1_3gpuE5ELNS1_3repE0EEENS1_30default_config_static_selectorELNS0_4arch9wavefront6targetE1EEEvT1_
; %bb.0:
	.section	.rodata,"a",@progbits
	.p2align	6, 0x0
	.amdhsa_kernel _ZN7rocprim17ROCPRIM_400000_NS6detail17trampoline_kernelINS0_14default_configENS1_33run_length_encode_config_selectorIljNS0_4plusIjEEEEZZNS1_33reduce_by_key_impl_wrapped_configILNS1_25lookback_scan_determinismE0ES3_S7_PKlNS0_17constant_iteratorIjlEEPlSE_SE_S6_NS0_8equal_toIlEEEE10hipError_tPvRmT2_T3_mT4_T5_T6_T7_T8_P12ihipStream_tbENKUlT_T0_E_clISt17integral_constantIbLb1EESY_EEDaST_SU_EUlST_E_NS1_11comp_targetILNS1_3genE10ELNS1_11target_archE1201ELNS1_3gpuE5ELNS1_3repE0EEENS1_30default_config_static_selectorELNS0_4arch9wavefront6targetE1EEEvT1_
		.amdhsa_group_segment_fixed_size 0
		.amdhsa_private_segment_fixed_size 0
		.amdhsa_kernarg_size 128
		.amdhsa_user_sgpr_count 2
		.amdhsa_user_sgpr_dispatch_ptr 0
		.amdhsa_user_sgpr_queue_ptr 0
		.amdhsa_user_sgpr_kernarg_segment_ptr 1
		.amdhsa_user_sgpr_dispatch_id 0
		.amdhsa_user_sgpr_kernarg_preload_length 0
		.amdhsa_user_sgpr_kernarg_preload_offset 0
		.amdhsa_user_sgpr_private_segment_size 0
		.amdhsa_uses_dynamic_stack 0
		.amdhsa_enable_private_segment 0
		.amdhsa_system_sgpr_workgroup_id_x 1
		.amdhsa_system_sgpr_workgroup_id_y 0
		.amdhsa_system_sgpr_workgroup_id_z 0
		.amdhsa_system_sgpr_workgroup_info 0
		.amdhsa_system_vgpr_workitem_id 0
		.amdhsa_next_free_vgpr 1
		.amdhsa_next_free_sgpr 0
		.amdhsa_accum_offset 4
		.amdhsa_reserve_vcc 0
		.amdhsa_float_round_mode_32 0
		.amdhsa_float_round_mode_16_64 0
		.amdhsa_float_denorm_mode_32 3
		.amdhsa_float_denorm_mode_16_64 3
		.amdhsa_dx10_clamp 1
		.amdhsa_ieee_mode 1
		.amdhsa_fp16_overflow 0
		.amdhsa_tg_split 0
		.amdhsa_exception_fp_ieee_invalid_op 0
		.amdhsa_exception_fp_denorm_src 0
		.amdhsa_exception_fp_ieee_div_zero 0
		.amdhsa_exception_fp_ieee_overflow 0
		.amdhsa_exception_fp_ieee_underflow 0
		.amdhsa_exception_fp_ieee_inexact 0
		.amdhsa_exception_int_div_zero 0
	.end_amdhsa_kernel
	.section	.text._ZN7rocprim17ROCPRIM_400000_NS6detail17trampoline_kernelINS0_14default_configENS1_33run_length_encode_config_selectorIljNS0_4plusIjEEEEZZNS1_33reduce_by_key_impl_wrapped_configILNS1_25lookback_scan_determinismE0ES3_S7_PKlNS0_17constant_iteratorIjlEEPlSE_SE_S6_NS0_8equal_toIlEEEE10hipError_tPvRmT2_T3_mT4_T5_T6_T7_T8_P12ihipStream_tbENKUlT_T0_E_clISt17integral_constantIbLb1EESY_EEDaST_SU_EUlST_E_NS1_11comp_targetILNS1_3genE10ELNS1_11target_archE1201ELNS1_3gpuE5ELNS1_3repE0EEENS1_30default_config_static_selectorELNS0_4arch9wavefront6targetE1EEEvT1_,"axG",@progbits,_ZN7rocprim17ROCPRIM_400000_NS6detail17trampoline_kernelINS0_14default_configENS1_33run_length_encode_config_selectorIljNS0_4plusIjEEEEZZNS1_33reduce_by_key_impl_wrapped_configILNS1_25lookback_scan_determinismE0ES3_S7_PKlNS0_17constant_iteratorIjlEEPlSE_SE_S6_NS0_8equal_toIlEEEE10hipError_tPvRmT2_T3_mT4_T5_T6_T7_T8_P12ihipStream_tbENKUlT_T0_E_clISt17integral_constantIbLb1EESY_EEDaST_SU_EUlST_E_NS1_11comp_targetILNS1_3genE10ELNS1_11target_archE1201ELNS1_3gpuE5ELNS1_3repE0EEENS1_30default_config_static_selectorELNS0_4arch9wavefront6targetE1EEEvT1_,comdat
.Lfunc_end525:
	.size	_ZN7rocprim17ROCPRIM_400000_NS6detail17trampoline_kernelINS0_14default_configENS1_33run_length_encode_config_selectorIljNS0_4plusIjEEEEZZNS1_33reduce_by_key_impl_wrapped_configILNS1_25lookback_scan_determinismE0ES3_S7_PKlNS0_17constant_iteratorIjlEEPlSE_SE_S6_NS0_8equal_toIlEEEE10hipError_tPvRmT2_T3_mT4_T5_T6_T7_T8_P12ihipStream_tbENKUlT_T0_E_clISt17integral_constantIbLb1EESY_EEDaST_SU_EUlST_E_NS1_11comp_targetILNS1_3genE10ELNS1_11target_archE1201ELNS1_3gpuE5ELNS1_3repE0EEENS1_30default_config_static_selectorELNS0_4arch9wavefront6targetE1EEEvT1_, .Lfunc_end525-_ZN7rocprim17ROCPRIM_400000_NS6detail17trampoline_kernelINS0_14default_configENS1_33run_length_encode_config_selectorIljNS0_4plusIjEEEEZZNS1_33reduce_by_key_impl_wrapped_configILNS1_25lookback_scan_determinismE0ES3_S7_PKlNS0_17constant_iteratorIjlEEPlSE_SE_S6_NS0_8equal_toIlEEEE10hipError_tPvRmT2_T3_mT4_T5_T6_T7_T8_P12ihipStream_tbENKUlT_T0_E_clISt17integral_constantIbLb1EESY_EEDaST_SU_EUlST_E_NS1_11comp_targetILNS1_3genE10ELNS1_11target_archE1201ELNS1_3gpuE5ELNS1_3repE0EEENS1_30default_config_static_selectorELNS0_4arch9wavefront6targetE1EEEvT1_
                                        ; -- End function
	.section	.AMDGPU.csdata,"",@progbits
; Kernel info:
; codeLenInByte = 0
; NumSgprs: 6
; NumVgprs: 0
; NumAgprs: 0
; TotalNumVgprs: 0
; ScratchSize: 0
; MemoryBound: 0
; FloatMode: 240
; IeeeMode: 1
; LDSByteSize: 0 bytes/workgroup (compile time only)
; SGPRBlocks: 0
; VGPRBlocks: 0
; NumSGPRsForWavesPerEU: 6
; NumVGPRsForWavesPerEU: 1
; AccumOffset: 4
; Occupancy: 8
; WaveLimiterHint : 0
; COMPUTE_PGM_RSRC2:SCRATCH_EN: 0
; COMPUTE_PGM_RSRC2:USER_SGPR: 2
; COMPUTE_PGM_RSRC2:TRAP_HANDLER: 0
; COMPUTE_PGM_RSRC2:TGID_X_EN: 1
; COMPUTE_PGM_RSRC2:TGID_Y_EN: 0
; COMPUTE_PGM_RSRC2:TGID_Z_EN: 0
; COMPUTE_PGM_RSRC2:TIDIG_COMP_CNT: 0
; COMPUTE_PGM_RSRC3_GFX90A:ACCUM_OFFSET: 0
; COMPUTE_PGM_RSRC3_GFX90A:TG_SPLIT: 0
	.section	.text._ZN7rocprim17ROCPRIM_400000_NS6detail17trampoline_kernelINS0_14default_configENS1_33run_length_encode_config_selectorIljNS0_4plusIjEEEEZZNS1_33reduce_by_key_impl_wrapped_configILNS1_25lookback_scan_determinismE0ES3_S7_PKlNS0_17constant_iteratorIjlEEPlSE_SE_S6_NS0_8equal_toIlEEEE10hipError_tPvRmT2_T3_mT4_T5_T6_T7_T8_P12ihipStream_tbENKUlT_T0_E_clISt17integral_constantIbLb1EESY_EEDaST_SU_EUlST_E_NS1_11comp_targetILNS1_3genE10ELNS1_11target_archE1200ELNS1_3gpuE4ELNS1_3repE0EEENS1_30default_config_static_selectorELNS0_4arch9wavefront6targetE1EEEvT1_,"axG",@progbits,_ZN7rocprim17ROCPRIM_400000_NS6detail17trampoline_kernelINS0_14default_configENS1_33run_length_encode_config_selectorIljNS0_4plusIjEEEEZZNS1_33reduce_by_key_impl_wrapped_configILNS1_25lookback_scan_determinismE0ES3_S7_PKlNS0_17constant_iteratorIjlEEPlSE_SE_S6_NS0_8equal_toIlEEEE10hipError_tPvRmT2_T3_mT4_T5_T6_T7_T8_P12ihipStream_tbENKUlT_T0_E_clISt17integral_constantIbLb1EESY_EEDaST_SU_EUlST_E_NS1_11comp_targetILNS1_3genE10ELNS1_11target_archE1200ELNS1_3gpuE4ELNS1_3repE0EEENS1_30default_config_static_selectorELNS0_4arch9wavefront6targetE1EEEvT1_,comdat
	.protected	_ZN7rocprim17ROCPRIM_400000_NS6detail17trampoline_kernelINS0_14default_configENS1_33run_length_encode_config_selectorIljNS0_4plusIjEEEEZZNS1_33reduce_by_key_impl_wrapped_configILNS1_25lookback_scan_determinismE0ES3_S7_PKlNS0_17constant_iteratorIjlEEPlSE_SE_S6_NS0_8equal_toIlEEEE10hipError_tPvRmT2_T3_mT4_T5_T6_T7_T8_P12ihipStream_tbENKUlT_T0_E_clISt17integral_constantIbLb1EESY_EEDaST_SU_EUlST_E_NS1_11comp_targetILNS1_3genE10ELNS1_11target_archE1200ELNS1_3gpuE4ELNS1_3repE0EEENS1_30default_config_static_selectorELNS0_4arch9wavefront6targetE1EEEvT1_ ; -- Begin function _ZN7rocprim17ROCPRIM_400000_NS6detail17trampoline_kernelINS0_14default_configENS1_33run_length_encode_config_selectorIljNS0_4plusIjEEEEZZNS1_33reduce_by_key_impl_wrapped_configILNS1_25lookback_scan_determinismE0ES3_S7_PKlNS0_17constant_iteratorIjlEEPlSE_SE_S6_NS0_8equal_toIlEEEE10hipError_tPvRmT2_T3_mT4_T5_T6_T7_T8_P12ihipStream_tbENKUlT_T0_E_clISt17integral_constantIbLb1EESY_EEDaST_SU_EUlST_E_NS1_11comp_targetILNS1_3genE10ELNS1_11target_archE1200ELNS1_3gpuE4ELNS1_3repE0EEENS1_30default_config_static_selectorELNS0_4arch9wavefront6targetE1EEEvT1_
	.globl	_ZN7rocprim17ROCPRIM_400000_NS6detail17trampoline_kernelINS0_14default_configENS1_33run_length_encode_config_selectorIljNS0_4plusIjEEEEZZNS1_33reduce_by_key_impl_wrapped_configILNS1_25lookback_scan_determinismE0ES3_S7_PKlNS0_17constant_iteratorIjlEEPlSE_SE_S6_NS0_8equal_toIlEEEE10hipError_tPvRmT2_T3_mT4_T5_T6_T7_T8_P12ihipStream_tbENKUlT_T0_E_clISt17integral_constantIbLb1EESY_EEDaST_SU_EUlST_E_NS1_11comp_targetILNS1_3genE10ELNS1_11target_archE1200ELNS1_3gpuE4ELNS1_3repE0EEENS1_30default_config_static_selectorELNS0_4arch9wavefront6targetE1EEEvT1_
	.p2align	8
	.type	_ZN7rocprim17ROCPRIM_400000_NS6detail17trampoline_kernelINS0_14default_configENS1_33run_length_encode_config_selectorIljNS0_4plusIjEEEEZZNS1_33reduce_by_key_impl_wrapped_configILNS1_25lookback_scan_determinismE0ES3_S7_PKlNS0_17constant_iteratorIjlEEPlSE_SE_S6_NS0_8equal_toIlEEEE10hipError_tPvRmT2_T3_mT4_T5_T6_T7_T8_P12ihipStream_tbENKUlT_T0_E_clISt17integral_constantIbLb1EESY_EEDaST_SU_EUlST_E_NS1_11comp_targetILNS1_3genE10ELNS1_11target_archE1200ELNS1_3gpuE4ELNS1_3repE0EEENS1_30default_config_static_selectorELNS0_4arch9wavefront6targetE1EEEvT1_,@function
_ZN7rocprim17ROCPRIM_400000_NS6detail17trampoline_kernelINS0_14default_configENS1_33run_length_encode_config_selectorIljNS0_4plusIjEEEEZZNS1_33reduce_by_key_impl_wrapped_configILNS1_25lookback_scan_determinismE0ES3_S7_PKlNS0_17constant_iteratorIjlEEPlSE_SE_S6_NS0_8equal_toIlEEEE10hipError_tPvRmT2_T3_mT4_T5_T6_T7_T8_P12ihipStream_tbENKUlT_T0_E_clISt17integral_constantIbLb1EESY_EEDaST_SU_EUlST_E_NS1_11comp_targetILNS1_3genE10ELNS1_11target_archE1200ELNS1_3gpuE4ELNS1_3repE0EEENS1_30default_config_static_selectorELNS0_4arch9wavefront6targetE1EEEvT1_: ; @_ZN7rocprim17ROCPRIM_400000_NS6detail17trampoline_kernelINS0_14default_configENS1_33run_length_encode_config_selectorIljNS0_4plusIjEEEEZZNS1_33reduce_by_key_impl_wrapped_configILNS1_25lookback_scan_determinismE0ES3_S7_PKlNS0_17constant_iteratorIjlEEPlSE_SE_S6_NS0_8equal_toIlEEEE10hipError_tPvRmT2_T3_mT4_T5_T6_T7_T8_P12ihipStream_tbENKUlT_T0_E_clISt17integral_constantIbLb1EESY_EEDaST_SU_EUlST_E_NS1_11comp_targetILNS1_3genE10ELNS1_11target_archE1200ELNS1_3gpuE4ELNS1_3repE0EEENS1_30default_config_static_selectorELNS0_4arch9wavefront6targetE1EEEvT1_
; %bb.0:
	.section	.rodata,"a",@progbits
	.p2align	6, 0x0
	.amdhsa_kernel _ZN7rocprim17ROCPRIM_400000_NS6detail17trampoline_kernelINS0_14default_configENS1_33run_length_encode_config_selectorIljNS0_4plusIjEEEEZZNS1_33reduce_by_key_impl_wrapped_configILNS1_25lookback_scan_determinismE0ES3_S7_PKlNS0_17constant_iteratorIjlEEPlSE_SE_S6_NS0_8equal_toIlEEEE10hipError_tPvRmT2_T3_mT4_T5_T6_T7_T8_P12ihipStream_tbENKUlT_T0_E_clISt17integral_constantIbLb1EESY_EEDaST_SU_EUlST_E_NS1_11comp_targetILNS1_3genE10ELNS1_11target_archE1200ELNS1_3gpuE4ELNS1_3repE0EEENS1_30default_config_static_selectorELNS0_4arch9wavefront6targetE1EEEvT1_
		.amdhsa_group_segment_fixed_size 0
		.amdhsa_private_segment_fixed_size 0
		.amdhsa_kernarg_size 128
		.amdhsa_user_sgpr_count 2
		.amdhsa_user_sgpr_dispatch_ptr 0
		.amdhsa_user_sgpr_queue_ptr 0
		.amdhsa_user_sgpr_kernarg_segment_ptr 1
		.amdhsa_user_sgpr_dispatch_id 0
		.amdhsa_user_sgpr_kernarg_preload_length 0
		.amdhsa_user_sgpr_kernarg_preload_offset 0
		.amdhsa_user_sgpr_private_segment_size 0
		.amdhsa_uses_dynamic_stack 0
		.amdhsa_enable_private_segment 0
		.amdhsa_system_sgpr_workgroup_id_x 1
		.amdhsa_system_sgpr_workgroup_id_y 0
		.amdhsa_system_sgpr_workgroup_id_z 0
		.amdhsa_system_sgpr_workgroup_info 0
		.amdhsa_system_vgpr_workitem_id 0
		.amdhsa_next_free_vgpr 1
		.amdhsa_next_free_sgpr 0
		.amdhsa_accum_offset 4
		.amdhsa_reserve_vcc 0
		.amdhsa_float_round_mode_32 0
		.amdhsa_float_round_mode_16_64 0
		.amdhsa_float_denorm_mode_32 3
		.amdhsa_float_denorm_mode_16_64 3
		.amdhsa_dx10_clamp 1
		.amdhsa_ieee_mode 1
		.amdhsa_fp16_overflow 0
		.amdhsa_tg_split 0
		.amdhsa_exception_fp_ieee_invalid_op 0
		.amdhsa_exception_fp_denorm_src 0
		.amdhsa_exception_fp_ieee_div_zero 0
		.amdhsa_exception_fp_ieee_overflow 0
		.amdhsa_exception_fp_ieee_underflow 0
		.amdhsa_exception_fp_ieee_inexact 0
		.amdhsa_exception_int_div_zero 0
	.end_amdhsa_kernel
	.section	.text._ZN7rocprim17ROCPRIM_400000_NS6detail17trampoline_kernelINS0_14default_configENS1_33run_length_encode_config_selectorIljNS0_4plusIjEEEEZZNS1_33reduce_by_key_impl_wrapped_configILNS1_25lookback_scan_determinismE0ES3_S7_PKlNS0_17constant_iteratorIjlEEPlSE_SE_S6_NS0_8equal_toIlEEEE10hipError_tPvRmT2_T3_mT4_T5_T6_T7_T8_P12ihipStream_tbENKUlT_T0_E_clISt17integral_constantIbLb1EESY_EEDaST_SU_EUlST_E_NS1_11comp_targetILNS1_3genE10ELNS1_11target_archE1200ELNS1_3gpuE4ELNS1_3repE0EEENS1_30default_config_static_selectorELNS0_4arch9wavefront6targetE1EEEvT1_,"axG",@progbits,_ZN7rocprim17ROCPRIM_400000_NS6detail17trampoline_kernelINS0_14default_configENS1_33run_length_encode_config_selectorIljNS0_4plusIjEEEEZZNS1_33reduce_by_key_impl_wrapped_configILNS1_25lookback_scan_determinismE0ES3_S7_PKlNS0_17constant_iteratorIjlEEPlSE_SE_S6_NS0_8equal_toIlEEEE10hipError_tPvRmT2_T3_mT4_T5_T6_T7_T8_P12ihipStream_tbENKUlT_T0_E_clISt17integral_constantIbLb1EESY_EEDaST_SU_EUlST_E_NS1_11comp_targetILNS1_3genE10ELNS1_11target_archE1200ELNS1_3gpuE4ELNS1_3repE0EEENS1_30default_config_static_selectorELNS0_4arch9wavefront6targetE1EEEvT1_,comdat
.Lfunc_end526:
	.size	_ZN7rocprim17ROCPRIM_400000_NS6detail17trampoline_kernelINS0_14default_configENS1_33run_length_encode_config_selectorIljNS0_4plusIjEEEEZZNS1_33reduce_by_key_impl_wrapped_configILNS1_25lookback_scan_determinismE0ES3_S7_PKlNS0_17constant_iteratorIjlEEPlSE_SE_S6_NS0_8equal_toIlEEEE10hipError_tPvRmT2_T3_mT4_T5_T6_T7_T8_P12ihipStream_tbENKUlT_T0_E_clISt17integral_constantIbLb1EESY_EEDaST_SU_EUlST_E_NS1_11comp_targetILNS1_3genE10ELNS1_11target_archE1200ELNS1_3gpuE4ELNS1_3repE0EEENS1_30default_config_static_selectorELNS0_4arch9wavefront6targetE1EEEvT1_, .Lfunc_end526-_ZN7rocprim17ROCPRIM_400000_NS6detail17trampoline_kernelINS0_14default_configENS1_33run_length_encode_config_selectorIljNS0_4plusIjEEEEZZNS1_33reduce_by_key_impl_wrapped_configILNS1_25lookback_scan_determinismE0ES3_S7_PKlNS0_17constant_iteratorIjlEEPlSE_SE_S6_NS0_8equal_toIlEEEE10hipError_tPvRmT2_T3_mT4_T5_T6_T7_T8_P12ihipStream_tbENKUlT_T0_E_clISt17integral_constantIbLb1EESY_EEDaST_SU_EUlST_E_NS1_11comp_targetILNS1_3genE10ELNS1_11target_archE1200ELNS1_3gpuE4ELNS1_3repE0EEENS1_30default_config_static_selectorELNS0_4arch9wavefront6targetE1EEEvT1_
                                        ; -- End function
	.section	.AMDGPU.csdata,"",@progbits
; Kernel info:
; codeLenInByte = 0
; NumSgprs: 6
; NumVgprs: 0
; NumAgprs: 0
; TotalNumVgprs: 0
; ScratchSize: 0
; MemoryBound: 0
; FloatMode: 240
; IeeeMode: 1
; LDSByteSize: 0 bytes/workgroup (compile time only)
; SGPRBlocks: 0
; VGPRBlocks: 0
; NumSGPRsForWavesPerEU: 6
; NumVGPRsForWavesPerEU: 1
; AccumOffset: 4
; Occupancy: 8
; WaveLimiterHint : 0
; COMPUTE_PGM_RSRC2:SCRATCH_EN: 0
; COMPUTE_PGM_RSRC2:USER_SGPR: 2
; COMPUTE_PGM_RSRC2:TRAP_HANDLER: 0
; COMPUTE_PGM_RSRC2:TGID_X_EN: 1
; COMPUTE_PGM_RSRC2:TGID_Y_EN: 0
; COMPUTE_PGM_RSRC2:TGID_Z_EN: 0
; COMPUTE_PGM_RSRC2:TIDIG_COMP_CNT: 0
; COMPUTE_PGM_RSRC3_GFX90A:ACCUM_OFFSET: 0
; COMPUTE_PGM_RSRC3_GFX90A:TG_SPLIT: 0
	.section	.text._ZN7rocprim17ROCPRIM_400000_NS6detail17trampoline_kernelINS0_14default_configENS1_33run_length_encode_config_selectorIljNS0_4plusIjEEEEZZNS1_33reduce_by_key_impl_wrapped_configILNS1_25lookback_scan_determinismE0ES3_S7_PKlNS0_17constant_iteratorIjlEEPlSE_SE_S6_NS0_8equal_toIlEEEE10hipError_tPvRmT2_T3_mT4_T5_T6_T7_T8_P12ihipStream_tbENKUlT_T0_E_clISt17integral_constantIbLb1EESY_EEDaST_SU_EUlST_E_NS1_11comp_targetILNS1_3genE9ELNS1_11target_archE1100ELNS1_3gpuE3ELNS1_3repE0EEENS1_30default_config_static_selectorELNS0_4arch9wavefront6targetE1EEEvT1_,"axG",@progbits,_ZN7rocprim17ROCPRIM_400000_NS6detail17trampoline_kernelINS0_14default_configENS1_33run_length_encode_config_selectorIljNS0_4plusIjEEEEZZNS1_33reduce_by_key_impl_wrapped_configILNS1_25lookback_scan_determinismE0ES3_S7_PKlNS0_17constant_iteratorIjlEEPlSE_SE_S6_NS0_8equal_toIlEEEE10hipError_tPvRmT2_T3_mT4_T5_T6_T7_T8_P12ihipStream_tbENKUlT_T0_E_clISt17integral_constantIbLb1EESY_EEDaST_SU_EUlST_E_NS1_11comp_targetILNS1_3genE9ELNS1_11target_archE1100ELNS1_3gpuE3ELNS1_3repE0EEENS1_30default_config_static_selectorELNS0_4arch9wavefront6targetE1EEEvT1_,comdat
	.protected	_ZN7rocprim17ROCPRIM_400000_NS6detail17trampoline_kernelINS0_14default_configENS1_33run_length_encode_config_selectorIljNS0_4plusIjEEEEZZNS1_33reduce_by_key_impl_wrapped_configILNS1_25lookback_scan_determinismE0ES3_S7_PKlNS0_17constant_iteratorIjlEEPlSE_SE_S6_NS0_8equal_toIlEEEE10hipError_tPvRmT2_T3_mT4_T5_T6_T7_T8_P12ihipStream_tbENKUlT_T0_E_clISt17integral_constantIbLb1EESY_EEDaST_SU_EUlST_E_NS1_11comp_targetILNS1_3genE9ELNS1_11target_archE1100ELNS1_3gpuE3ELNS1_3repE0EEENS1_30default_config_static_selectorELNS0_4arch9wavefront6targetE1EEEvT1_ ; -- Begin function _ZN7rocprim17ROCPRIM_400000_NS6detail17trampoline_kernelINS0_14default_configENS1_33run_length_encode_config_selectorIljNS0_4plusIjEEEEZZNS1_33reduce_by_key_impl_wrapped_configILNS1_25lookback_scan_determinismE0ES3_S7_PKlNS0_17constant_iteratorIjlEEPlSE_SE_S6_NS0_8equal_toIlEEEE10hipError_tPvRmT2_T3_mT4_T5_T6_T7_T8_P12ihipStream_tbENKUlT_T0_E_clISt17integral_constantIbLb1EESY_EEDaST_SU_EUlST_E_NS1_11comp_targetILNS1_3genE9ELNS1_11target_archE1100ELNS1_3gpuE3ELNS1_3repE0EEENS1_30default_config_static_selectorELNS0_4arch9wavefront6targetE1EEEvT1_
	.globl	_ZN7rocprim17ROCPRIM_400000_NS6detail17trampoline_kernelINS0_14default_configENS1_33run_length_encode_config_selectorIljNS0_4plusIjEEEEZZNS1_33reduce_by_key_impl_wrapped_configILNS1_25lookback_scan_determinismE0ES3_S7_PKlNS0_17constant_iteratorIjlEEPlSE_SE_S6_NS0_8equal_toIlEEEE10hipError_tPvRmT2_T3_mT4_T5_T6_T7_T8_P12ihipStream_tbENKUlT_T0_E_clISt17integral_constantIbLb1EESY_EEDaST_SU_EUlST_E_NS1_11comp_targetILNS1_3genE9ELNS1_11target_archE1100ELNS1_3gpuE3ELNS1_3repE0EEENS1_30default_config_static_selectorELNS0_4arch9wavefront6targetE1EEEvT1_
	.p2align	8
	.type	_ZN7rocprim17ROCPRIM_400000_NS6detail17trampoline_kernelINS0_14default_configENS1_33run_length_encode_config_selectorIljNS0_4plusIjEEEEZZNS1_33reduce_by_key_impl_wrapped_configILNS1_25lookback_scan_determinismE0ES3_S7_PKlNS0_17constant_iteratorIjlEEPlSE_SE_S6_NS0_8equal_toIlEEEE10hipError_tPvRmT2_T3_mT4_T5_T6_T7_T8_P12ihipStream_tbENKUlT_T0_E_clISt17integral_constantIbLb1EESY_EEDaST_SU_EUlST_E_NS1_11comp_targetILNS1_3genE9ELNS1_11target_archE1100ELNS1_3gpuE3ELNS1_3repE0EEENS1_30default_config_static_selectorELNS0_4arch9wavefront6targetE1EEEvT1_,@function
_ZN7rocprim17ROCPRIM_400000_NS6detail17trampoline_kernelINS0_14default_configENS1_33run_length_encode_config_selectorIljNS0_4plusIjEEEEZZNS1_33reduce_by_key_impl_wrapped_configILNS1_25lookback_scan_determinismE0ES3_S7_PKlNS0_17constant_iteratorIjlEEPlSE_SE_S6_NS0_8equal_toIlEEEE10hipError_tPvRmT2_T3_mT4_T5_T6_T7_T8_P12ihipStream_tbENKUlT_T0_E_clISt17integral_constantIbLb1EESY_EEDaST_SU_EUlST_E_NS1_11comp_targetILNS1_3genE9ELNS1_11target_archE1100ELNS1_3gpuE3ELNS1_3repE0EEENS1_30default_config_static_selectorELNS0_4arch9wavefront6targetE1EEEvT1_: ; @_ZN7rocprim17ROCPRIM_400000_NS6detail17trampoline_kernelINS0_14default_configENS1_33run_length_encode_config_selectorIljNS0_4plusIjEEEEZZNS1_33reduce_by_key_impl_wrapped_configILNS1_25lookback_scan_determinismE0ES3_S7_PKlNS0_17constant_iteratorIjlEEPlSE_SE_S6_NS0_8equal_toIlEEEE10hipError_tPvRmT2_T3_mT4_T5_T6_T7_T8_P12ihipStream_tbENKUlT_T0_E_clISt17integral_constantIbLb1EESY_EEDaST_SU_EUlST_E_NS1_11comp_targetILNS1_3genE9ELNS1_11target_archE1100ELNS1_3gpuE3ELNS1_3repE0EEENS1_30default_config_static_selectorELNS0_4arch9wavefront6targetE1EEEvT1_
; %bb.0:
	.section	.rodata,"a",@progbits
	.p2align	6, 0x0
	.amdhsa_kernel _ZN7rocprim17ROCPRIM_400000_NS6detail17trampoline_kernelINS0_14default_configENS1_33run_length_encode_config_selectorIljNS0_4plusIjEEEEZZNS1_33reduce_by_key_impl_wrapped_configILNS1_25lookback_scan_determinismE0ES3_S7_PKlNS0_17constant_iteratorIjlEEPlSE_SE_S6_NS0_8equal_toIlEEEE10hipError_tPvRmT2_T3_mT4_T5_T6_T7_T8_P12ihipStream_tbENKUlT_T0_E_clISt17integral_constantIbLb1EESY_EEDaST_SU_EUlST_E_NS1_11comp_targetILNS1_3genE9ELNS1_11target_archE1100ELNS1_3gpuE3ELNS1_3repE0EEENS1_30default_config_static_selectorELNS0_4arch9wavefront6targetE1EEEvT1_
		.amdhsa_group_segment_fixed_size 0
		.amdhsa_private_segment_fixed_size 0
		.amdhsa_kernarg_size 128
		.amdhsa_user_sgpr_count 2
		.amdhsa_user_sgpr_dispatch_ptr 0
		.amdhsa_user_sgpr_queue_ptr 0
		.amdhsa_user_sgpr_kernarg_segment_ptr 1
		.amdhsa_user_sgpr_dispatch_id 0
		.amdhsa_user_sgpr_kernarg_preload_length 0
		.amdhsa_user_sgpr_kernarg_preload_offset 0
		.amdhsa_user_sgpr_private_segment_size 0
		.amdhsa_uses_dynamic_stack 0
		.amdhsa_enable_private_segment 0
		.amdhsa_system_sgpr_workgroup_id_x 1
		.amdhsa_system_sgpr_workgroup_id_y 0
		.amdhsa_system_sgpr_workgroup_id_z 0
		.amdhsa_system_sgpr_workgroup_info 0
		.amdhsa_system_vgpr_workitem_id 0
		.amdhsa_next_free_vgpr 1
		.amdhsa_next_free_sgpr 0
		.amdhsa_accum_offset 4
		.amdhsa_reserve_vcc 0
		.amdhsa_float_round_mode_32 0
		.amdhsa_float_round_mode_16_64 0
		.amdhsa_float_denorm_mode_32 3
		.amdhsa_float_denorm_mode_16_64 3
		.amdhsa_dx10_clamp 1
		.amdhsa_ieee_mode 1
		.amdhsa_fp16_overflow 0
		.amdhsa_tg_split 0
		.amdhsa_exception_fp_ieee_invalid_op 0
		.amdhsa_exception_fp_denorm_src 0
		.amdhsa_exception_fp_ieee_div_zero 0
		.amdhsa_exception_fp_ieee_overflow 0
		.amdhsa_exception_fp_ieee_underflow 0
		.amdhsa_exception_fp_ieee_inexact 0
		.amdhsa_exception_int_div_zero 0
	.end_amdhsa_kernel
	.section	.text._ZN7rocprim17ROCPRIM_400000_NS6detail17trampoline_kernelINS0_14default_configENS1_33run_length_encode_config_selectorIljNS0_4plusIjEEEEZZNS1_33reduce_by_key_impl_wrapped_configILNS1_25lookback_scan_determinismE0ES3_S7_PKlNS0_17constant_iteratorIjlEEPlSE_SE_S6_NS0_8equal_toIlEEEE10hipError_tPvRmT2_T3_mT4_T5_T6_T7_T8_P12ihipStream_tbENKUlT_T0_E_clISt17integral_constantIbLb1EESY_EEDaST_SU_EUlST_E_NS1_11comp_targetILNS1_3genE9ELNS1_11target_archE1100ELNS1_3gpuE3ELNS1_3repE0EEENS1_30default_config_static_selectorELNS0_4arch9wavefront6targetE1EEEvT1_,"axG",@progbits,_ZN7rocprim17ROCPRIM_400000_NS6detail17trampoline_kernelINS0_14default_configENS1_33run_length_encode_config_selectorIljNS0_4plusIjEEEEZZNS1_33reduce_by_key_impl_wrapped_configILNS1_25lookback_scan_determinismE0ES3_S7_PKlNS0_17constant_iteratorIjlEEPlSE_SE_S6_NS0_8equal_toIlEEEE10hipError_tPvRmT2_T3_mT4_T5_T6_T7_T8_P12ihipStream_tbENKUlT_T0_E_clISt17integral_constantIbLb1EESY_EEDaST_SU_EUlST_E_NS1_11comp_targetILNS1_3genE9ELNS1_11target_archE1100ELNS1_3gpuE3ELNS1_3repE0EEENS1_30default_config_static_selectorELNS0_4arch9wavefront6targetE1EEEvT1_,comdat
.Lfunc_end527:
	.size	_ZN7rocprim17ROCPRIM_400000_NS6detail17trampoline_kernelINS0_14default_configENS1_33run_length_encode_config_selectorIljNS0_4plusIjEEEEZZNS1_33reduce_by_key_impl_wrapped_configILNS1_25lookback_scan_determinismE0ES3_S7_PKlNS0_17constant_iteratorIjlEEPlSE_SE_S6_NS0_8equal_toIlEEEE10hipError_tPvRmT2_T3_mT4_T5_T6_T7_T8_P12ihipStream_tbENKUlT_T0_E_clISt17integral_constantIbLb1EESY_EEDaST_SU_EUlST_E_NS1_11comp_targetILNS1_3genE9ELNS1_11target_archE1100ELNS1_3gpuE3ELNS1_3repE0EEENS1_30default_config_static_selectorELNS0_4arch9wavefront6targetE1EEEvT1_, .Lfunc_end527-_ZN7rocprim17ROCPRIM_400000_NS6detail17trampoline_kernelINS0_14default_configENS1_33run_length_encode_config_selectorIljNS0_4plusIjEEEEZZNS1_33reduce_by_key_impl_wrapped_configILNS1_25lookback_scan_determinismE0ES3_S7_PKlNS0_17constant_iteratorIjlEEPlSE_SE_S6_NS0_8equal_toIlEEEE10hipError_tPvRmT2_T3_mT4_T5_T6_T7_T8_P12ihipStream_tbENKUlT_T0_E_clISt17integral_constantIbLb1EESY_EEDaST_SU_EUlST_E_NS1_11comp_targetILNS1_3genE9ELNS1_11target_archE1100ELNS1_3gpuE3ELNS1_3repE0EEENS1_30default_config_static_selectorELNS0_4arch9wavefront6targetE1EEEvT1_
                                        ; -- End function
	.section	.AMDGPU.csdata,"",@progbits
; Kernel info:
; codeLenInByte = 0
; NumSgprs: 6
; NumVgprs: 0
; NumAgprs: 0
; TotalNumVgprs: 0
; ScratchSize: 0
; MemoryBound: 0
; FloatMode: 240
; IeeeMode: 1
; LDSByteSize: 0 bytes/workgroup (compile time only)
; SGPRBlocks: 0
; VGPRBlocks: 0
; NumSGPRsForWavesPerEU: 6
; NumVGPRsForWavesPerEU: 1
; AccumOffset: 4
; Occupancy: 8
; WaveLimiterHint : 0
; COMPUTE_PGM_RSRC2:SCRATCH_EN: 0
; COMPUTE_PGM_RSRC2:USER_SGPR: 2
; COMPUTE_PGM_RSRC2:TRAP_HANDLER: 0
; COMPUTE_PGM_RSRC2:TGID_X_EN: 1
; COMPUTE_PGM_RSRC2:TGID_Y_EN: 0
; COMPUTE_PGM_RSRC2:TGID_Z_EN: 0
; COMPUTE_PGM_RSRC2:TIDIG_COMP_CNT: 0
; COMPUTE_PGM_RSRC3_GFX90A:ACCUM_OFFSET: 0
; COMPUTE_PGM_RSRC3_GFX90A:TG_SPLIT: 0
	.section	.text._ZN7rocprim17ROCPRIM_400000_NS6detail17trampoline_kernelINS0_14default_configENS1_33run_length_encode_config_selectorIljNS0_4plusIjEEEEZZNS1_33reduce_by_key_impl_wrapped_configILNS1_25lookback_scan_determinismE0ES3_S7_PKlNS0_17constant_iteratorIjlEEPlSE_SE_S6_NS0_8equal_toIlEEEE10hipError_tPvRmT2_T3_mT4_T5_T6_T7_T8_P12ihipStream_tbENKUlT_T0_E_clISt17integral_constantIbLb1EESY_EEDaST_SU_EUlST_E_NS1_11comp_targetILNS1_3genE8ELNS1_11target_archE1030ELNS1_3gpuE2ELNS1_3repE0EEENS1_30default_config_static_selectorELNS0_4arch9wavefront6targetE1EEEvT1_,"axG",@progbits,_ZN7rocprim17ROCPRIM_400000_NS6detail17trampoline_kernelINS0_14default_configENS1_33run_length_encode_config_selectorIljNS0_4plusIjEEEEZZNS1_33reduce_by_key_impl_wrapped_configILNS1_25lookback_scan_determinismE0ES3_S7_PKlNS0_17constant_iteratorIjlEEPlSE_SE_S6_NS0_8equal_toIlEEEE10hipError_tPvRmT2_T3_mT4_T5_T6_T7_T8_P12ihipStream_tbENKUlT_T0_E_clISt17integral_constantIbLb1EESY_EEDaST_SU_EUlST_E_NS1_11comp_targetILNS1_3genE8ELNS1_11target_archE1030ELNS1_3gpuE2ELNS1_3repE0EEENS1_30default_config_static_selectorELNS0_4arch9wavefront6targetE1EEEvT1_,comdat
	.protected	_ZN7rocprim17ROCPRIM_400000_NS6detail17trampoline_kernelINS0_14default_configENS1_33run_length_encode_config_selectorIljNS0_4plusIjEEEEZZNS1_33reduce_by_key_impl_wrapped_configILNS1_25lookback_scan_determinismE0ES3_S7_PKlNS0_17constant_iteratorIjlEEPlSE_SE_S6_NS0_8equal_toIlEEEE10hipError_tPvRmT2_T3_mT4_T5_T6_T7_T8_P12ihipStream_tbENKUlT_T0_E_clISt17integral_constantIbLb1EESY_EEDaST_SU_EUlST_E_NS1_11comp_targetILNS1_3genE8ELNS1_11target_archE1030ELNS1_3gpuE2ELNS1_3repE0EEENS1_30default_config_static_selectorELNS0_4arch9wavefront6targetE1EEEvT1_ ; -- Begin function _ZN7rocprim17ROCPRIM_400000_NS6detail17trampoline_kernelINS0_14default_configENS1_33run_length_encode_config_selectorIljNS0_4plusIjEEEEZZNS1_33reduce_by_key_impl_wrapped_configILNS1_25lookback_scan_determinismE0ES3_S7_PKlNS0_17constant_iteratorIjlEEPlSE_SE_S6_NS0_8equal_toIlEEEE10hipError_tPvRmT2_T3_mT4_T5_T6_T7_T8_P12ihipStream_tbENKUlT_T0_E_clISt17integral_constantIbLb1EESY_EEDaST_SU_EUlST_E_NS1_11comp_targetILNS1_3genE8ELNS1_11target_archE1030ELNS1_3gpuE2ELNS1_3repE0EEENS1_30default_config_static_selectorELNS0_4arch9wavefront6targetE1EEEvT1_
	.globl	_ZN7rocprim17ROCPRIM_400000_NS6detail17trampoline_kernelINS0_14default_configENS1_33run_length_encode_config_selectorIljNS0_4plusIjEEEEZZNS1_33reduce_by_key_impl_wrapped_configILNS1_25lookback_scan_determinismE0ES3_S7_PKlNS0_17constant_iteratorIjlEEPlSE_SE_S6_NS0_8equal_toIlEEEE10hipError_tPvRmT2_T3_mT4_T5_T6_T7_T8_P12ihipStream_tbENKUlT_T0_E_clISt17integral_constantIbLb1EESY_EEDaST_SU_EUlST_E_NS1_11comp_targetILNS1_3genE8ELNS1_11target_archE1030ELNS1_3gpuE2ELNS1_3repE0EEENS1_30default_config_static_selectorELNS0_4arch9wavefront6targetE1EEEvT1_
	.p2align	8
	.type	_ZN7rocprim17ROCPRIM_400000_NS6detail17trampoline_kernelINS0_14default_configENS1_33run_length_encode_config_selectorIljNS0_4plusIjEEEEZZNS1_33reduce_by_key_impl_wrapped_configILNS1_25lookback_scan_determinismE0ES3_S7_PKlNS0_17constant_iteratorIjlEEPlSE_SE_S6_NS0_8equal_toIlEEEE10hipError_tPvRmT2_T3_mT4_T5_T6_T7_T8_P12ihipStream_tbENKUlT_T0_E_clISt17integral_constantIbLb1EESY_EEDaST_SU_EUlST_E_NS1_11comp_targetILNS1_3genE8ELNS1_11target_archE1030ELNS1_3gpuE2ELNS1_3repE0EEENS1_30default_config_static_selectorELNS0_4arch9wavefront6targetE1EEEvT1_,@function
_ZN7rocprim17ROCPRIM_400000_NS6detail17trampoline_kernelINS0_14default_configENS1_33run_length_encode_config_selectorIljNS0_4plusIjEEEEZZNS1_33reduce_by_key_impl_wrapped_configILNS1_25lookback_scan_determinismE0ES3_S7_PKlNS0_17constant_iteratorIjlEEPlSE_SE_S6_NS0_8equal_toIlEEEE10hipError_tPvRmT2_T3_mT4_T5_T6_T7_T8_P12ihipStream_tbENKUlT_T0_E_clISt17integral_constantIbLb1EESY_EEDaST_SU_EUlST_E_NS1_11comp_targetILNS1_3genE8ELNS1_11target_archE1030ELNS1_3gpuE2ELNS1_3repE0EEENS1_30default_config_static_selectorELNS0_4arch9wavefront6targetE1EEEvT1_: ; @_ZN7rocprim17ROCPRIM_400000_NS6detail17trampoline_kernelINS0_14default_configENS1_33run_length_encode_config_selectorIljNS0_4plusIjEEEEZZNS1_33reduce_by_key_impl_wrapped_configILNS1_25lookback_scan_determinismE0ES3_S7_PKlNS0_17constant_iteratorIjlEEPlSE_SE_S6_NS0_8equal_toIlEEEE10hipError_tPvRmT2_T3_mT4_T5_T6_T7_T8_P12ihipStream_tbENKUlT_T0_E_clISt17integral_constantIbLb1EESY_EEDaST_SU_EUlST_E_NS1_11comp_targetILNS1_3genE8ELNS1_11target_archE1030ELNS1_3gpuE2ELNS1_3repE0EEENS1_30default_config_static_selectorELNS0_4arch9wavefront6targetE1EEEvT1_
; %bb.0:
	.section	.rodata,"a",@progbits
	.p2align	6, 0x0
	.amdhsa_kernel _ZN7rocprim17ROCPRIM_400000_NS6detail17trampoline_kernelINS0_14default_configENS1_33run_length_encode_config_selectorIljNS0_4plusIjEEEEZZNS1_33reduce_by_key_impl_wrapped_configILNS1_25lookback_scan_determinismE0ES3_S7_PKlNS0_17constant_iteratorIjlEEPlSE_SE_S6_NS0_8equal_toIlEEEE10hipError_tPvRmT2_T3_mT4_T5_T6_T7_T8_P12ihipStream_tbENKUlT_T0_E_clISt17integral_constantIbLb1EESY_EEDaST_SU_EUlST_E_NS1_11comp_targetILNS1_3genE8ELNS1_11target_archE1030ELNS1_3gpuE2ELNS1_3repE0EEENS1_30default_config_static_selectorELNS0_4arch9wavefront6targetE1EEEvT1_
		.amdhsa_group_segment_fixed_size 0
		.amdhsa_private_segment_fixed_size 0
		.amdhsa_kernarg_size 128
		.amdhsa_user_sgpr_count 2
		.amdhsa_user_sgpr_dispatch_ptr 0
		.amdhsa_user_sgpr_queue_ptr 0
		.amdhsa_user_sgpr_kernarg_segment_ptr 1
		.amdhsa_user_sgpr_dispatch_id 0
		.amdhsa_user_sgpr_kernarg_preload_length 0
		.amdhsa_user_sgpr_kernarg_preload_offset 0
		.amdhsa_user_sgpr_private_segment_size 0
		.amdhsa_uses_dynamic_stack 0
		.amdhsa_enable_private_segment 0
		.amdhsa_system_sgpr_workgroup_id_x 1
		.amdhsa_system_sgpr_workgroup_id_y 0
		.amdhsa_system_sgpr_workgroup_id_z 0
		.amdhsa_system_sgpr_workgroup_info 0
		.amdhsa_system_vgpr_workitem_id 0
		.amdhsa_next_free_vgpr 1
		.amdhsa_next_free_sgpr 0
		.amdhsa_accum_offset 4
		.amdhsa_reserve_vcc 0
		.amdhsa_float_round_mode_32 0
		.amdhsa_float_round_mode_16_64 0
		.amdhsa_float_denorm_mode_32 3
		.amdhsa_float_denorm_mode_16_64 3
		.amdhsa_dx10_clamp 1
		.amdhsa_ieee_mode 1
		.amdhsa_fp16_overflow 0
		.amdhsa_tg_split 0
		.amdhsa_exception_fp_ieee_invalid_op 0
		.amdhsa_exception_fp_denorm_src 0
		.amdhsa_exception_fp_ieee_div_zero 0
		.amdhsa_exception_fp_ieee_overflow 0
		.amdhsa_exception_fp_ieee_underflow 0
		.amdhsa_exception_fp_ieee_inexact 0
		.amdhsa_exception_int_div_zero 0
	.end_amdhsa_kernel
	.section	.text._ZN7rocprim17ROCPRIM_400000_NS6detail17trampoline_kernelINS0_14default_configENS1_33run_length_encode_config_selectorIljNS0_4plusIjEEEEZZNS1_33reduce_by_key_impl_wrapped_configILNS1_25lookback_scan_determinismE0ES3_S7_PKlNS0_17constant_iteratorIjlEEPlSE_SE_S6_NS0_8equal_toIlEEEE10hipError_tPvRmT2_T3_mT4_T5_T6_T7_T8_P12ihipStream_tbENKUlT_T0_E_clISt17integral_constantIbLb1EESY_EEDaST_SU_EUlST_E_NS1_11comp_targetILNS1_3genE8ELNS1_11target_archE1030ELNS1_3gpuE2ELNS1_3repE0EEENS1_30default_config_static_selectorELNS0_4arch9wavefront6targetE1EEEvT1_,"axG",@progbits,_ZN7rocprim17ROCPRIM_400000_NS6detail17trampoline_kernelINS0_14default_configENS1_33run_length_encode_config_selectorIljNS0_4plusIjEEEEZZNS1_33reduce_by_key_impl_wrapped_configILNS1_25lookback_scan_determinismE0ES3_S7_PKlNS0_17constant_iteratorIjlEEPlSE_SE_S6_NS0_8equal_toIlEEEE10hipError_tPvRmT2_T3_mT4_T5_T6_T7_T8_P12ihipStream_tbENKUlT_T0_E_clISt17integral_constantIbLb1EESY_EEDaST_SU_EUlST_E_NS1_11comp_targetILNS1_3genE8ELNS1_11target_archE1030ELNS1_3gpuE2ELNS1_3repE0EEENS1_30default_config_static_selectorELNS0_4arch9wavefront6targetE1EEEvT1_,comdat
.Lfunc_end528:
	.size	_ZN7rocprim17ROCPRIM_400000_NS6detail17trampoline_kernelINS0_14default_configENS1_33run_length_encode_config_selectorIljNS0_4plusIjEEEEZZNS1_33reduce_by_key_impl_wrapped_configILNS1_25lookback_scan_determinismE0ES3_S7_PKlNS0_17constant_iteratorIjlEEPlSE_SE_S6_NS0_8equal_toIlEEEE10hipError_tPvRmT2_T3_mT4_T5_T6_T7_T8_P12ihipStream_tbENKUlT_T0_E_clISt17integral_constantIbLb1EESY_EEDaST_SU_EUlST_E_NS1_11comp_targetILNS1_3genE8ELNS1_11target_archE1030ELNS1_3gpuE2ELNS1_3repE0EEENS1_30default_config_static_selectorELNS0_4arch9wavefront6targetE1EEEvT1_, .Lfunc_end528-_ZN7rocprim17ROCPRIM_400000_NS6detail17trampoline_kernelINS0_14default_configENS1_33run_length_encode_config_selectorIljNS0_4plusIjEEEEZZNS1_33reduce_by_key_impl_wrapped_configILNS1_25lookback_scan_determinismE0ES3_S7_PKlNS0_17constant_iteratorIjlEEPlSE_SE_S6_NS0_8equal_toIlEEEE10hipError_tPvRmT2_T3_mT4_T5_T6_T7_T8_P12ihipStream_tbENKUlT_T0_E_clISt17integral_constantIbLb1EESY_EEDaST_SU_EUlST_E_NS1_11comp_targetILNS1_3genE8ELNS1_11target_archE1030ELNS1_3gpuE2ELNS1_3repE0EEENS1_30default_config_static_selectorELNS0_4arch9wavefront6targetE1EEEvT1_
                                        ; -- End function
	.section	.AMDGPU.csdata,"",@progbits
; Kernel info:
; codeLenInByte = 0
; NumSgprs: 6
; NumVgprs: 0
; NumAgprs: 0
; TotalNumVgprs: 0
; ScratchSize: 0
; MemoryBound: 0
; FloatMode: 240
; IeeeMode: 1
; LDSByteSize: 0 bytes/workgroup (compile time only)
; SGPRBlocks: 0
; VGPRBlocks: 0
; NumSGPRsForWavesPerEU: 6
; NumVGPRsForWavesPerEU: 1
; AccumOffset: 4
; Occupancy: 8
; WaveLimiterHint : 0
; COMPUTE_PGM_RSRC2:SCRATCH_EN: 0
; COMPUTE_PGM_RSRC2:USER_SGPR: 2
; COMPUTE_PGM_RSRC2:TRAP_HANDLER: 0
; COMPUTE_PGM_RSRC2:TGID_X_EN: 1
; COMPUTE_PGM_RSRC2:TGID_Y_EN: 0
; COMPUTE_PGM_RSRC2:TGID_Z_EN: 0
; COMPUTE_PGM_RSRC2:TIDIG_COMP_CNT: 0
; COMPUTE_PGM_RSRC3_GFX90A:ACCUM_OFFSET: 0
; COMPUTE_PGM_RSRC3_GFX90A:TG_SPLIT: 0
	.section	.text._ZN7rocprim17ROCPRIM_400000_NS6detail17trampoline_kernelINS0_14default_configENS1_33run_length_encode_config_selectorIljNS0_4plusIjEEEEZZNS1_33reduce_by_key_impl_wrapped_configILNS1_25lookback_scan_determinismE0ES3_S7_PKlNS0_17constant_iteratorIjlEEPlSE_SE_S6_NS0_8equal_toIlEEEE10hipError_tPvRmT2_T3_mT4_T5_T6_T7_T8_P12ihipStream_tbENKUlT_T0_E_clISt17integral_constantIbLb1EESX_IbLb0EEEEDaST_SU_EUlST_E_NS1_11comp_targetILNS1_3genE0ELNS1_11target_archE4294967295ELNS1_3gpuE0ELNS1_3repE0EEENS1_30default_config_static_selectorELNS0_4arch9wavefront6targetE1EEEvT1_,"axG",@progbits,_ZN7rocprim17ROCPRIM_400000_NS6detail17trampoline_kernelINS0_14default_configENS1_33run_length_encode_config_selectorIljNS0_4plusIjEEEEZZNS1_33reduce_by_key_impl_wrapped_configILNS1_25lookback_scan_determinismE0ES3_S7_PKlNS0_17constant_iteratorIjlEEPlSE_SE_S6_NS0_8equal_toIlEEEE10hipError_tPvRmT2_T3_mT4_T5_T6_T7_T8_P12ihipStream_tbENKUlT_T0_E_clISt17integral_constantIbLb1EESX_IbLb0EEEEDaST_SU_EUlST_E_NS1_11comp_targetILNS1_3genE0ELNS1_11target_archE4294967295ELNS1_3gpuE0ELNS1_3repE0EEENS1_30default_config_static_selectorELNS0_4arch9wavefront6targetE1EEEvT1_,comdat
	.protected	_ZN7rocprim17ROCPRIM_400000_NS6detail17trampoline_kernelINS0_14default_configENS1_33run_length_encode_config_selectorIljNS0_4plusIjEEEEZZNS1_33reduce_by_key_impl_wrapped_configILNS1_25lookback_scan_determinismE0ES3_S7_PKlNS0_17constant_iteratorIjlEEPlSE_SE_S6_NS0_8equal_toIlEEEE10hipError_tPvRmT2_T3_mT4_T5_T6_T7_T8_P12ihipStream_tbENKUlT_T0_E_clISt17integral_constantIbLb1EESX_IbLb0EEEEDaST_SU_EUlST_E_NS1_11comp_targetILNS1_3genE0ELNS1_11target_archE4294967295ELNS1_3gpuE0ELNS1_3repE0EEENS1_30default_config_static_selectorELNS0_4arch9wavefront6targetE1EEEvT1_ ; -- Begin function _ZN7rocprim17ROCPRIM_400000_NS6detail17trampoline_kernelINS0_14default_configENS1_33run_length_encode_config_selectorIljNS0_4plusIjEEEEZZNS1_33reduce_by_key_impl_wrapped_configILNS1_25lookback_scan_determinismE0ES3_S7_PKlNS0_17constant_iteratorIjlEEPlSE_SE_S6_NS0_8equal_toIlEEEE10hipError_tPvRmT2_T3_mT4_T5_T6_T7_T8_P12ihipStream_tbENKUlT_T0_E_clISt17integral_constantIbLb1EESX_IbLb0EEEEDaST_SU_EUlST_E_NS1_11comp_targetILNS1_3genE0ELNS1_11target_archE4294967295ELNS1_3gpuE0ELNS1_3repE0EEENS1_30default_config_static_selectorELNS0_4arch9wavefront6targetE1EEEvT1_
	.globl	_ZN7rocprim17ROCPRIM_400000_NS6detail17trampoline_kernelINS0_14default_configENS1_33run_length_encode_config_selectorIljNS0_4plusIjEEEEZZNS1_33reduce_by_key_impl_wrapped_configILNS1_25lookback_scan_determinismE0ES3_S7_PKlNS0_17constant_iteratorIjlEEPlSE_SE_S6_NS0_8equal_toIlEEEE10hipError_tPvRmT2_T3_mT4_T5_T6_T7_T8_P12ihipStream_tbENKUlT_T0_E_clISt17integral_constantIbLb1EESX_IbLb0EEEEDaST_SU_EUlST_E_NS1_11comp_targetILNS1_3genE0ELNS1_11target_archE4294967295ELNS1_3gpuE0ELNS1_3repE0EEENS1_30default_config_static_selectorELNS0_4arch9wavefront6targetE1EEEvT1_
	.p2align	8
	.type	_ZN7rocprim17ROCPRIM_400000_NS6detail17trampoline_kernelINS0_14default_configENS1_33run_length_encode_config_selectorIljNS0_4plusIjEEEEZZNS1_33reduce_by_key_impl_wrapped_configILNS1_25lookback_scan_determinismE0ES3_S7_PKlNS0_17constant_iteratorIjlEEPlSE_SE_S6_NS0_8equal_toIlEEEE10hipError_tPvRmT2_T3_mT4_T5_T6_T7_T8_P12ihipStream_tbENKUlT_T0_E_clISt17integral_constantIbLb1EESX_IbLb0EEEEDaST_SU_EUlST_E_NS1_11comp_targetILNS1_3genE0ELNS1_11target_archE4294967295ELNS1_3gpuE0ELNS1_3repE0EEENS1_30default_config_static_selectorELNS0_4arch9wavefront6targetE1EEEvT1_,@function
_ZN7rocprim17ROCPRIM_400000_NS6detail17trampoline_kernelINS0_14default_configENS1_33run_length_encode_config_selectorIljNS0_4plusIjEEEEZZNS1_33reduce_by_key_impl_wrapped_configILNS1_25lookback_scan_determinismE0ES3_S7_PKlNS0_17constant_iteratorIjlEEPlSE_SE_S6_NS0_8equal_toIlEEEE10hipError_tPvRmT2_T3_mT4_T5_T6_T7_T8_P12ihipStream_tbENKUlT_T0_E_clISt17integral_constantIbLb1EESX_IbLb0EEEEDaST_SU_EUlST_E_NS1_11comp_targetILNS1_3genE0ELNS1_11target_archE4294967295ELNS1_3gpuE0ELNS1_3repE0EEENS1_30default_config_static_selectorELNS0_4arch9wavefront6targetE1EEEvT1_: ; @_ZN7rocprim17ROCPRIM_400000_NS6detail17trampoline_kernelINS0_14default_configENS1_33run_length_encode_config_selectorIljNS0_4plusIjEEEEZZNS1_33reduce_by_key_impl_wrapped_configILNS1_25lookback_scan_determinismE0ES3_S7_PKlNS0_17constant_iteratorIjlEEPlSE_SE_S6_NS0_8equal_toIlEEEE10hipError_tPvRmT2_T3_mT4_T5_T6_T7_T8_P12ihipStream_tbENKUlT_T0_E_clISt17integral_constantIbLb1EESX_IbLb0EEEEDaST_SU_EUlST_E_NS1_11comp_targetILNS1_3genE0ELNS1_11target_archE4294967295ELNS1_3gpuE0ELNS1_3repE0EEENS1_30default_config_static_selectorELNS0_4arch9wavefront6targetE1EEEvT1_
; %bb.0:
	.section	.rodata,"a",@progbits
	.p2align	6, 0x0
	.amdhsa_kernel _ZN7rocprim17ROCPRIM_400000_NS6detail17trampoline_kernelINS0_14default_configENS1_33run_length_encode_config_selectorIljNS0_4plusIjEEEEZZNS1_33reduce_by_key_impl_wrapped_configILNS1_25lookback_scan_determinismE0ES3_S7_PKlNS0_17constant_iteratorIjlEEPlSE_SE_S6_NS0_8equal_toIlEEEE10hipError_tPvRmT2_T3_mT4_T5_T6_T7_T8_P12ihipStream_tbENKUlT_T0_E_clISt17integral_constantIbLb1EESX_IbLb0EEEEDaST_SU_EUlST_E_NS1_11comp_targetILNS1_3genE0ELNS1_11target_archE4294967295ELNS1_3gpuE0ELNS1_3repE0EEENS1_30default_config_static_selectorELNS0_4arch9wavefront6targetE1EEEvT1_
		.amdhsa_group_segment_fixed_size 0
		.amdhsa_private_segment_fixed_size 0
		.amdhsa_kernarg_size 128
		.amdhsa_user_sgpr_count 2
		.amdhsa_user_sgpr_dispatch_ptr 0
		.amdhsa_user_sgpr_queue_ptr 0
		.amdhsa_user_sgpr_kernarg_segment_ptr 1
		.amdhsa_user_sgpr_dispatch_id 0
		.amdhsa_user_sgpr_kernarg_preload_length 0
		.amdhsa_user_sgpr_kernarg_preload_offset 0
		.amdhsa_user_sgpr_private_segment_size 0
		.amdhsa_uses_dynamic_stack 0
		.amdhsa_enable_private_segment 0
		.amdhsa_system_sgpr_workgroup_id_x 1
		.amdhsa_system_sgpr_workgroup_id_y 0
		.amdhsa_system_sgpr_workgroup_id_z 0
		.amdhsa_system_sgpr_workgroup_info 0
		.amdhsa_system_vgpr_workitem_id 0
		.amdhsa_next_free_vgpr 1
		.amdhsa_next_free_sgpr 0
		.amdhsa_accum_offset 4
		.amdhsa_reserve_vcc 0
		.amdhsa_float_round_mode_32 0
		.amdhsa_float_round_mode_16_64 0
		.amdhsa_float_denorm_mode_32 3
		.amdhsa_float_denorm_mode_16_64 3
		.amdhsa_dx10_clamp 1
		.amdhsa_ieee_mode 1
		.amdhsa_fp16_overflow 0
		.amdhsa_tg_split 0
		.amdhsa_exception_fp_ieee_invalid_op 0
		.amdhsa_exception_fp_denorm_src 0
		.amdhsa_exception_fp_ieee_div_zero 0
		.amdhsa_exception_fp_ieee_overflow 0
		.amdhsa_exception_fp_ieee_underflow 0
		.amdhsa_exception_fp_ieee_inexact 0
		.amdhsa_exception_int_div_zero 0
	.end_amdhsa_kernel
	.section	.text._ZN7rocprim17ROCPRIM_400000_NS6detail17trampoline_kernelINS0_14default_configENS1_33run_length_encode_config_selectorIljNS0_4plusIjEEEEZZNS1_33reduce_by_key_impl_wrapped_configILNS1_25lookback_scan_determinismE0ES3_S7_PKlNS0_17constant_iteratorIjlEEPlSE_SE_S6_NS0_8equal_toIlEEEE10hipError_tPvRmT2_T3_mT4_T5_T6_T7_T8_P12ihipStream_tbENKUlT_T0_E_clISt17integral_constantIbLb1EESX_IbLb0EEEEDaST_SU_EUlST_E_NS1_11comp_targetILNS1_3genE0ELNS1_11target_archE4294967295ELNS1_3gpuE0ELNS1_3repE0EEENS1_30default_config_static_selectorELNS0_4arch9wavefront6targetE1EEEvT1_,"axG",@progbits,_ZN7rocprim17ROCPRIM_400000_NS6detail17trampoline_kernelINS0_14default_configENS1_33run_length_encode_config_selectorIljNS0_4plusIjEEEEZZNS1_33reduce_by_key_impl_wrapped_configILNS1_25lookback_scan_determinismE0ES3_S7_PKlNS0_17constant_iteratorIjlEEPlSE_SE_S6_NS0_8equal_toIlEEEE10hipError_tPvRmT2_T3_mT4_T5_T6_T7_T8_P12ihipStream_tbENKUlT_T0_E_clISt17integral_constantIbLb1EESX_IbLb0EEEEDaST_SU_EUlST_E_NS1_11comp_targetILNS1_3genE0ELNS1_11target_archE4294967295ELNS1_3gpuE0ELNS1_3repE0EEENS1_30default_config_static_selectorELNS0_4arch9wavefront6targetE1EEEvT1_,comdat
.Lfunc_end529:
	.size	_ZN7rocprim17ROCPRIM_400000_NS6detail17trampoline_kernelINS0_14default_configENS1_33run_length_encode_config_selectorIljNS0_4plusIjEEEEZZNS1_33reduce_by_key_impl_wrapped_configILNS1_25lookback_scan_determinismE0ES3_S7_PKlNS0_17constant_iteratorIjlEEPlSE_SE_S6_NS0_8equal_toIlEEEE10hipError_tPvRmT2_T3_mT4_T5_T6_T7_T8_P12ihipStream_tbENKUlT_T0_E_clISt17integral_constantIbLb1EESX_IbLb0EEEEDaST_SU_EUlST_E_NS1_11comp_targetILNS1_3genE0ELNS1_11target_archE4294967295ELNS1_3gpuE0ELNS1_3repE0EEENS1_30default_config_static_selectorELNS0_4arch9wavefront6targetE1EEEvT1_, .Lfunc_end529-_ZN7rocprim17ROCPRIM_400000_NS6detail17trampoline_kernelINS0_14default_configENS1_33run_length_encode_config_selectorIljNS0_4plusIjEEEEZZNS1_33reduce_by_key_impl_wrapped_configILNS1_25lookback_scan_determinismE0ES3_S7_PKlNS0_17constant_iteratorIjlEEPlSE_SE_S6_NS0_8equal_toIlEEEE10hipError_tPvRmT2_T3_mT4_T5_T6_T7_T8_P12ihipStream_tbENKUlT_T0_E_clISt17integral_constantIbLb1EESX_IbLb0EEEEDaST_SU_EUlST_E_NS1_11comp_targetILNS1_3genE0ELNS1_11target_archE4294967295ELNS1_3gpuE0ELNS1_3repE0EEENS1_30default_config_static_selectorELNS0_4arch9wavefront6targetE1EEEvT1_
                                        ; -- End function
	.section	.AMDGPU.csdata,"",@progbits
; Kernel info:
; codeLenInByte = 0
; NumSgprs: 6
; NumVgprs: 0
; NumAgprs: 0
; TotalNumVgprs: 0
; ScratchSize: 0
; MemoryBound: 0
; FloatMode: 240
; IeeeMode: 1
; LDSByteSize: 0 bytes/workgroup (compile time only)
; SGPRBlocks: 0
; VGPRBlocks: 0
; NumSGPRsForWavesPerEU: 6
; NumVGPRsForWavesPerEU: 1
; AccumOffset: 4
; Occupancy: 8
; WaveLimiterHint : 0
; COMPUTE_PGM_RSRC2:SCRATCH_EN: 0
; COMPUTE_PGM_RSRC2:USER_SGPR: 2
; COMPUTE_PGM_RSRC2:TRAP_HANDLER: 0
; COMPUTE_PGM_RSRC2:TGID_X_EN: 1
; COMPUTE_PGM_RSRC2:TGID_Y_EN: 0
; COMPUTE_PGM_RSRC2:TGID_Z_EN: 0
; COMPUTE_PGM_RSRC2:TIDIG_COMP_CNT: 0
; COMPUTE_PGM_RSRC3_GFX90A:ACCUM_OFFSET: 0
; COMPUTE_PGM_RSRC3_GFX90A:TG_SPLIT: 0
	.section	.text._ZN7rocprim17ROCPRIM_400000_NS6detail17trampoline_kernelINS0_14default_configENS1_33run_length_encode_config_selectorIljNS0_4plusIjEEEEZZNS1_33reduce_by_key_impl_wrapped_configILNS1_25lookback_scan_determinismE0ES3_S7_PKlNS0_17constant_iteratorIjlEEPlSE_SE_S6_NS0_8equal_toIlEEEE10hipError_tPvRmT2_T3_mT4_T5_T6_T7_T8_P12ihipStream_tbENKUlT_T0_E_clISt17integral_constantIbLb1EESX_IbLb0EEEEDaST_SU_EUlST_E_NS1_11comp_targetILNS1_3genE5ELNS1_11target_archE942ELNS1_3gpuE9ELNS1_3repE0EEENS1_30default_config_static_selectorELNS0_4arch9wavefront6targetE1EEEvT1_,"axG",@progbits,_ZN7rocprim17ROCPRIM_400000_NS6detail17trampoline_kernelINS0_14default_configENS1_33run_length_encode_config_selectorIljNS0_4plusIjEEEEZZNS1_33reduce_by_key_impl_wrapped_configILNS1_25lookback_scan_determinismE0ES3_S7_PKlNS0_17constant_iteratorIjlEEPlSE_SE_S6_NS0_8equal_toIlEEEE10hipError_tPvRmT2_T3_mT4_T5_T6_T7_T8_P12ihipStream_tbENKUlT_T0_E_clISt17integral_constantIbLb1EESX_IbLb0EEEEDaST_SU_EUlST_E_NS1_11comp_targetILNS1_3genE5ELNS1_11target_archE942ELNS1_3gpuE9ELNS1_3repE0EEENS1_30default_config_static_selectorELNS0_4arch9wavefront6targetE1EEEvT1_,comdat
	.protected	_ZN7rocprim17ROCPRIM_400000_NS6detail17trampoline_kernelINS0_14default_configENS1_33run_length_encode_config_selectorIljNS0_4plusIjEEEEZZNS1_33reduce_by_key_impl_wrapped_configILNS1_25lookback_scan_determinismE0ES3_S7_PKlNS0_17constant_iteratorIjlEEPlSE_SE_S6_NS0_8equal_toIlEEEE10hipError_tPvRmT2_T3_mT4_T5_T6_T7_T8_P12ihipStream_tbENKUlT_T0_E_clISt17integral_constantIbLb1EESX_IbLb0EEEEDaST_SU_EUlST_E_NS1_11comp_targetILNS1_3genE5ELNS1_11target_archE942ELNS1_3gpuE9ELNS1_3repE0EEENS1_30default_config_static_selectorELNS0_4arch9wavefront6targetE1EEEvT1_ ; -- Begin function _ZN7rocprim17ROCPRIM_400000_NS6detail17trampoline_kernelINS0_14default_configENS1_33run_length_encode_config_selectorIljNS0_4plusIjEEEEZZNS1_33reduce_by_key_impl_wrapped_configILNS1_25lookback_scan_determinismE0ES3_S7_PKlNS0_17constant_iteratorIjlEEPlSE_SE_S6_NS0_8equal_toIlEEEE10hipError_tPvRmT2_T3_mT4_T5_T6_T7_T8_P12ihipStream_tbENKUlT_T0_E_clISt17integral_constantIbLb1EESX_IbLb0EEEEDaST_SU_EUlST_E_NS1_11comp_targetILNS1_3genE5ELNS1_11target_archE942ELNS1_3gpuE9ELNS1_3repE0EEENS1_30default_config_static_selectorELNS0_4arch9wavefront6targetE1EEEvT1_
	.globl	_ZN7rocprim17ROCPRIM_400000_NS6detail17trampoline_kernelINS0_14default_configENS1_33run_length_encode_config_selectorIljNS0_4plusIjEEEEZZNS1_33reduce_by_key_impl_wrapped_configILNS1_25lookback_scan_determinismE0ES3_S7_PKlNS0_17constant_iteratorIjlEEPlSE_SE_S6_NS0_8equal_toIlEEEE10hipError_tPvRmT2_T3_mT4_T5_T6_T7_T8_P12ihipStream_tbENKUlT_T0_E_clISt17integral_constantIbLb1EESX_IbLb0EEEEDaST_SU_EUlST_E_NS1_11comp_targetILNS1_3genE5ELNS1_11target_archE942ELNS1_3gpuE9ELNS1_3repE0EEENS1_30default_config_static_selectorELNS0_4arch9wavefront6targetE1EEEvT1_
	.p2align	8
	.type	_ZN7rocprim17ROCPRIM_400000_NS6detail17trampoline_kernelINS0_14default_configENS1_33run_length_encode_config_selectorIljNS0_4plusIjEEEEZZNS1_33reduce_by_key_impl_wrapped_configILNS1_25lookback_scan_determinismE0ES3_S7_PKlNS0_17constant_iteratorIjlEEPlSE_SE_S6_NS0_8equal_toIlEEEE10hipError_tPvRmT2_T3_mT4_T5_T6_T7_T8_P12ihipStream_tbENKUlT_T0_E_clISt17integral_constantIbLb1EESX_IbLb0EEEEDaST_SU_EUlST_E_NS1_11comp_targetILNS1_3genE5ELNS1_11target_archE942ELNS1_3gpuE9ELNS1_3repE0EEENS1_30default_config_static_selectorELNS0_4arch9wavefront6targetE1EEEvT1_,@function
_ZN7rocprim17ROCPRIM_400000_NS6detail17trampoline_kernelINS0_14default_configENS1_33run_length_encode_config_selectorIljNS0_4plusIjEEEEZZNS1_33reduce_by_key_impl_wrapped_configILNS1_25lookback_scan_determinismE0ES3_S7_PKlNS0_17constant_iteratorIjlEEPlSE_SE_S6_NS0_8equal_toIlEEEE10hipError_tPvRmT2_T3_mT4_T5_T6_T7_T8_P12ihipStream_tbENKUlT_T0_E_clISt17integral_constantIbLb1EESX_IbLb0EEEEDaST_SU_EUlST_E_NS1_11comp_targetILNS1_3genE5ELNS1_11target_archE942ELNS1_3gpuE9ELNS1_3repE0EEENS1_30default_config_static_selectorELNS0_4arch9wavefront6targetE1EEEvT1_: ; @_ZN7rocprim17ROCPRIM_400000_NS6detail17trampoline_kernelINS0_14default_configENS1_33run_length_encode_config_selectorIljNS0_4plusIjEEEEZZNS1_33reduce_by_key_impl_wrapped_configILNS1_25lookback_scan_determinismE0ES3_S7_PKlNS0_17constant_iteratorIjlEEPlSE_SE_S6_NS0_8equal_toIlEEEE10hipError_tPvRmT2_T3_mT4_T5_T6_T7_T8_P12ihipStream_tbENKUlT_T0_E_clISt17integral_constantIbLb1EESX_IbLb0EEEEDaST_SU_EUlST_E_NS1_11comp_targetILNS1_3genE5ELNS1_11target_archE942ELNS1_3gpuE9ELNS1_3repE0EEENS1_30default_config_static_selectorELNS0_4arch9wavefront6targetE1EEEvT1_
; %bb.0:
	s_load_dwordx8 s[36:43], s[0:1], 0x40
	s_load_dwordx4 s[4:7], s[0:1], 0x0
	s_load_dword s3, s[0:1], 0x10
	s_load_dwordx4 s[44:47], s[0:1], 0x60
	s_waitcnt lgkmcnt(0)
	s_mul_i32 s8, s40, s39
	s_mul_hi_u32 s9, s40, s38
	s_add_i32 s8, s9, s8
	s_mul_i32 s9, s41, s38
	s_add_i32 s8, s8, s9
	s_lshl_b64 s[6:7], s[6:7], 3
	s_add_u32 s6, s4, s6
	s_addc_u32 s7, s5, s7
	s_mul_i32 s4, s2, 0x1e00
	s_mov_b32 s5, 0
	s_lshl_b64 s[4:5], s[4:5], 3
	s_mul_i32 s9, s40, s38
	s_add_u32 s40, s6, s4
	s_addc_u32 s41, s7, s5
	s_add_u32 s52, s9, s2
	s_addc_u32 s53, s8, 0
	s_add_u32 s6, s42, -1
	s_addc_u32 s7, s43, -1
	s_cmp_eq_u64 s[52:53], s[6:7]
	s_cselect_b64 s[34:35], -1, 0
	s_cmp_lg_u64 s[52:53], s[6:7]
	s_mov_b64 s[8:9], -1
	s_cselect_b64 s[4:5], -1, 0
	s_mul_i32 s33, s6, 0xffffe200
	s_and_b64 vcc, exec, s[34:35]
	s_cbranch_vccnz .LBB530_2
; %bb.1:
	v_lshlrev_b32_e32 v2, 3, v0
	v_mov_b32_e32 v3, 0
	v_lshl_add_u64 v[4:5], s[40:41], 0, v[2:3]
	v_add_co_u32_e32 v8, vcc, 0x1000, v4
	global_load_dwordx2 v[6:7], v2, s[40:41]
	s_nop 0
	v_addc_co_u32_e32 v9, vcc, 0, v5, vcc
	v_add_co_u32_e32 v10, vcc, 0x2000, v4
	s_movk_i32 s6, 0x70
	s_nop 0
	v_addc_co_u32_e32 v11, vcc, 0, v5, vcc
	v_add_co_u32_e32 v12, vcc, 0x3000, v4
	v_mad_u32_u24 v1, v0, s6, v2
	s_nop 0
	v_addc_co_u32_e32 v13, vcc, 0, v5, vcc
	v_add_co_u32_e32 v14, vcc, 0x4000, v4
	s_nop 1
	v_addc_co_u32_e32 v15, vcc, 0, v5, vcc
	global_load_dwordx2 v[16:17], v[8:9], off
	global_load_dwordx2 v[18:19], v[10:11], off
	;; [unrolled: 1-line block ×4, first 2 shown]
	v_add_co_u32_e32 v8, vcc, 0x5000, v4
	s_mov_b64 s[6:7], -1
	s_nop 0
	v_addc_co_u32_e32 v9, vcc, 0, v5, vcc
	v_add_co_u32_e32 v10, vcc, 0x6000, v4
	s_nop 1
	v_addc_co_u32_e32 v11, vcc, 0, v5, vcc
	v_add_co_u32_e32 v12, vcc, 0x7000, v4
	;; [unrolled: 3-line block ×3, first 2 shown]
	s_nop 1
	v_addc_co_u32_e32 v15, vcc, 0, v5, vcc
	global_load_dwordx2 v[24:25], v[8:9], off
	global_load_dwordx2 v[26:27], v[10:11], off
	;; [unrolled: 1-line block ×4, first 2 shown]
	v_add_co_u32_e32 v8, vcc, 0x9000, v4
	s_nop 1
	v_addc_co_u32_e32 v9, vcc, 0, v5, vcc
	v_add_co_u32_e32 v10, vcc, 0xa000, v4
	s_nop 1
	v_addc_co_u32_e32 v11, vcc, 0, v5, vcc
	;; [unrolled: 3-line block ×4, first 2 shown]
	global_load_dwordx2 v[32:33], v[8:9], off
	global_load_dwordx2 v[34:35], v[10:11], off
	;; [unrolled: 1-line block ×4, first 2 shown]
	v_add_co_u32_e32 v8, vcc, 0xd000, v4
	s_nop 1
	v_addc_co_u32_e32 v9, vcc, 0, v5, vcc
	v_add_co_u32_e32 v4, vcc, 0xe000, v4
	global_load_dwordx2 v[8:9], v[8:9], off
	s_nop 0
	v_addc_co_u32_e32 v5, vcc, 0, v5, vcc
	global_load_dwordx2 v[4:5], v[4:5], off
	s_waitcnt vmcnt(13)
	ds_write2st64_b64 v2, v[6:7], v[16:17] offset1:8
	s_waitcnt vmcnt(11)
	ds_write2st64_b64 v2, v[18:19], v[20:21] offset0:16 offset1:24
	s_waitcnt vmcnt(9)
	ds_write2st64_b64 v2, v[22:23], v[24:25] offset0:32 offset1:40
	;; [unrolled: 2-line block ×6, first 2 shown]
	s_waitcnt vmcnt(0)
	ds_write_b64 v2, v[4:5] offset:57344
	s_waitcnt lgkmcnt(0)
	s_barrier
	ds_read2_b64 v[26:29], v1 offset1:1
	ds_read2_b64 v[22:25], v1 offset0:2 offset1:3
	ds_read2_b64 v[18:21], v1 offset0:4 offset1:5
	;; [unrolled: 1-line block ×6, first 2 shown]
	ds_read_b64 v[46:47], v1 offset:112
	s_waitcnt lgkmcnt(7)
	v_mov_b32_e32 v30, v26
	v_mov_b32_e32 v31, v27
	s_waitcnt lgkmcnt(6)
	v_mov_b32_e32 v32, v22
	v_mov_b32_e32 v33, v23
	;; [unrolled: 3-line block ×7, first 2 shown]
	s_add_i32 s33, s33, s44
	s_cbranch_execz .LBB530_3
	s_branch .LBB530_34
.LBB530_2:
	s_mov_b64 s[6:7], 0
                                        ; implicit-def: $vgpr46_vgpr47
                                        ; implicit-def: $vgpr6_vgpr7
                                        ; implicit-def: $vgpr2_vgpr3
                                        ; implicit-def: $vgpr10_vgpr11
                                        ; implicit-def: $vgpr14_vgpr15
                                        ; implicit-def: $vgpr18_vgpr19
                                        ; implicit-def: $vgpr22_vgpr23
                                        ; implicit-def: $vgpr26_vgpr27
                                        ; implicit-def: $vgpr38_vgpr39_vgpr40_vgpr41
                                        ; implicit-def: $vgpr34_vgpr35_vgpr36_vgpr37
                                        ; implicit-def: $vgpr30_vgpr31_vgpr32_vgpr33
                                        ; implicit-def: $vgpr42_vgpr43_vgpr44_vgpr45
	s_add_i32 s33, s33, s44
	s_andn2_b64 vcc, exec, s[8:9]
	s_cbranch_vccnz .LBB530_34
.LBB530_3:
	v_cmp_gt_u32_e32 vcc, s33, v0
                                        ; implicit-def: $vgpr2_vgpr3
	s_and_saveexec_b64 s[6:7], vcc
	s_cbranch_execz .LBB530_5
; %bb.4:
	v_lshlrev_b32_e32 v1, 3, v0
	global_load_dwordx2 v[2:3], v1, s[40:41]
.LBB530_5:
	s_or_b64 exec, exec, s[6:7]
	v_or_b32_e32 v1, 0x200, v0
	v_cmp_gt_u32_e32 vcc, s33, v1
                                        ; implicit-def: $vgpr4_vgpr5
	s_and_saveexec_b64 s[6:7], vcc
	s_cbranch_execz .LBB530_7
; %bb.6:
	v_lshlrev_b32_e32 v1, 3, v1
	global_load_dwordx2 v[4:5], v1, s[40:41]
.LBB530_7:
	s_or_b64 exec, exec, s[6:7]
	v_or_b32_e32 v1, 0x400, v0
	v_cmp_gt_u32_e32 vcc, s33, v1
                                        ; implicit-def: $vgpr6_vgpr7
	s_and_saveexec_b64 s[6:7], vcc
	s_cbranch_execz .LBB530_9
; %bb.8:
	v_lshlrev_b32_e32 v1, 3, v1
	global_load_dwordx2 v[6:7], v1, s[40:41]
.LBB530_9:
	s_or_b64 exec, exec, s[6:7]
	v_or_b32_e32 v1, 0x600, v0
	v_cmp_gt_u32_e32 vcc, s33, v1
                                        ; implicit-def: $vgpr8_vgpr9
	s_and_saveexec_b64 s[6:7], vcc
	s_cbranch_execz .LBB530_11
; %bb.10:
	v_lshlrev_b32_e32 v1, 3, v1
	global_load_dwordx2 v[8:9], v1, s[40:41]
.LBB530_11:
	s_or_b64 exec, exec, s[6:7]
	v_or_b32_e32 v1, 0x800, v0
	v_cmp_gt_u32_e32 vcc, s33, v1
                                        ; implicit-def: $vgpr10_vgpr11
	s_and_saveexec_b64 s[6:7], vcc
	s_cbranch_execz .LBB530_13
; %bb.12:
	v_lshlrev_b32_e32 v1, 3, v1
	global_load_dwordx2 v[10:11], v1, s[40:41]
.LBB530_13:
	s_or_b64 exec, exec, s[6:7]
	v_or_b32_e32 v1, 0xa00, v0
	v_cmp_gt_u32_e32 vcc, s33, v1
                                        ; implicit-def: $vgpr12_vgpr13
	s_and_saveexec_b64 s[6:7], vcc
	s_cbranch_execz .LBB530_15
; %bb.14:
	v_lshlrev_b32_e32 v1, 3, v1
	global_load_dwordx2 v[12:13], v1, s[40:41]
.LBB530_15:
	s_or_b64 exec, exec, s[6:7]
	v_or_b32_e32 v1, 0xc00, v0
	v_cmp_gt_u32_e32 vcc, s33, v1
                                        ; implicit-def: $vgpr14_vgpr15
	s_and_saveexec_b64 s[6:7], vcc
	s_cbranch_execz .LBB530_17
; %bb.16:
	v_lshlrev_b32_e32 v1, 3, v1
	global_load_dwordx2 v[14:15], v1, s[40:41]
.LBB530_17:
	s_or_b64 exec, exec, s[6:7]
	v_or_b32_e32 v1, 0xe00, v0
	v_cmp_gt_u32_e32 vcc, s33, v1
                                        ; implicit-def: $vgpr16_vgpr17
	s_and_saveexec_b64 s[6:7], vcc
	s_cbranch_execz .LBB530_19
; %bb.18:
	v_lshlrev_b32_e32 v1, 3, v1
	global_load_dwordx2 v[16:17], v1, s[40:41]
.LBB530_19:
	s_or_b64 exec, exec, s[6:7]
	v_or_b32_e32 v1, 0x1000, v0
	v_cmp_gt_u32_e32 vcc, s33, v1
                                        ; implicit-def: $vgpr18_vgpr19
	s_and_saveexec_b64 s[6:7], vcc
	s_cbranch_execz .LBB530_21
; %bb.20:
	v_lshlrev_b32_e32 v1, 3, v1
	global_load_dwordx2 v[18:19], v1, s[40:41]
.LBB530_21:
	s_or_b64 exec, exec, s[6:7]
	v_or_b32_e32 v1, 0x1200, v0
	v_cmp_gt_u32_e32 vcc, s33, v1
                                        ; implicit-def: $vgpr20_vgpr21
	s_and_saveexec_b64 s[6:7], vcc
	s_cbranch_execz .LBB530_23
; %bb.22:
	v_lshlrev_b32_e32 v1, 3, v1
	global_load_dwordx2 v[20:21], v1, s[40:41]
.LBB530_23:
	s_or_b64 exec, exec, s[6:7]
	v_or_b32_e32 v1, 0x1400, v0
	v_cmp_gt_u32_e32 vcc, s33, v1
                                        ; implicit-def: $vgpr22_vgpr23
	s_and_saveexec_b64 s[6:7], vcc
	s_cbranch_execz .LBB530_25
; %bb.24:
	v_lshlrev_b32_e32 v1, 3, v1
	global_load_dwordx2 v[22:23], v1, s[40:41]
.LBB530_25:
	s_or_b64 exec, exec, s[6:7]
	v_or_b32_e32 v1, 0x1600, v0
	v_cmp_gt_u32_e32 vcc, s33, v1
                                        ; implicit-def: $vgpr24_vgpr25
	s_and_saveexec_b64 s[6:7], vcc
	s_cbranch_execz .LBB530_27
; %bb.26:
	v_lshlrev_b32_e32 v1, 3, v1
	global_load_dwordx2 v[24:25], v1, s[40:41]
.LBB530_27:
	s_or_b64 exec, exec, s[6:7]
	v_or_b32_e32 v1, 0x1800, v0
	v_cmp_gt_u32_e32 vcc, s33, v1
                                        ; implicit-def: $vgpr26_vgpr27
	s_and_saveexec_b64 s[6:7], vcc
	s_cbranch_execz .LBB530_29
; %bb.28:
	v_lshlrev_b32_e32 v1, 3, v1
	global_load_dwordx2 v[26:27], v1, s[40:41]
.LBB530_29:
	s_or_b64 exec, exec, s[6:7]
	v_or_b32_e32 v1, 0x1a00, v0
	v_cmp_gt_u32_e32 vcc, s33, v1
                                        ; implicit-def: $vgpr28_vgpr29
	s_and_saveexec_b64 s[6:7], vcc
	s_cbranch_execz .LBB530_31
; %bb.30:
	v_lshlrev_b32_e32 v1, 3, v1
	global_load_dwordx2 v[28:29], v1, s[40:41]
.LBB530_31:
	s_or_b64 exec, exec, s[6:7]
	v_or_b32_e32 v1, 0x1c00, v0
	v_cmp_gt_u32_e32 vcc, s33, v1
                                        ; implicit-def: $vgpr30_vgpr31
	s_and_saveexec_b64 s[6:7], vcc
	s_cbranch_execz .LBB530_33
; %bb.32:
	v_lshlrev_b32_e32 v1, 3, v1
	global_load_dwordx2 v[30:31], v1, s[40:41]
.LBB530_33:
	s_or_b64 exec, exec, s[6:7]
	v_lshlrev_b32_e32 v1, 3, v0
	s_movk_i32 s6, 0x70
	s_waitcnt vmcnt(0)
	ds_write2st64_b64 v1, v[2:3], v[4:5] offset1:8
	ds_write2st64_b64 v1, v[6:7], v[8:9] offset0:16 offset1:24
	ds_write2st64_b64 v1, v[10:11], v[12:13] offset0:32 offset1:40
	ds_write2st64_b64 v1, v[14:15], v[16:17] offset0:48 offset1:56
	ds_write2st64_b64 v1, v[18:19], v[20:21] offset0:64 offset1:72
	ds_write2st64_b64 v1, v[22:23], v[24:25] offset0:80 offset1:88
	ds_write2st64_b64 v1, v[26:27], v[28:29] offset0:96 offset1:104
	ds_write_b64 v1, v[30:31] offset:57344
	v_mad_u32_u24 v1, v0, s6, v1
	s_waitcnt lgkmcnt(0)
	s_barrier
	ds_read2_b64 v[26:29], v1 offset1:1
	ds_read2_b64 v[22:25], v1 offset0:2 offset1:3
	ds_read2_b64 v[18:21], v1 offset0:4 offset1:5
	;; [unrolled: 1-line block ×6, first 2 shown]
	ds_read_b64 v[46:47], v1 offset:112
	v_mad_u32_u24 v30, v0, 15, 14
	v_cmp_gt_u32_e64 s[6:7], s33, v30
	s_waitcnt lgkmcnt(7)
	v_mov_b32_e32 v30, v26
	v_mov_b32_e32 v31, v27
	s_waitcnt lgkmcnt(6)
	v_mov_b32_e32 v32, v22
	v_mov_b32_e32 v33, v23
	;; [unrolled: 3-line block ×7, first 2 shown]
.LBB530_34:
	v_mov_b32_e32 v68, s3
                                        ; implicit-def: $vgpr69
	s_and_saveexec_b64 s[8:9], s[6:7]
; %bb.35:
	v_mov_b32_e32 v69, s3
; %bb.36:
	s_or_b64 exec, exec, s[8:9]
	s_load_dwordx2 s[50:51], s[0:1], 0x70
	s_cmp_eq_u64 s[52:53], 0
	s_cselect_b64 s[48:49], -1, 0
	s_cmp_lg_u64 s[52:53], 0
	s_mov_b64 s[6:7], 0
	s_cselect_b64 s[42:43], -1, 0
	s_and_b64 vcc, exec, s[4:5]
	s_waitcnt lgkmcnt(0)
	s_barrier
	s_cbranch_vccz .LBB530_42
; %bb.37:
	s_and_b64 vcc, exec, s[42:43]
	s_cbranch_vccz .LBB530_43
; %bb.38:
	s_add_u32 s4, s40, -8
	s_addc_u32 s5, s41, -1
	s_load_dwordx2 s[54:55], s[4:5], 0x0
	v_lshlrev_b32_e32 v1, 3, v0
	v_cmp_ne_u64_e32 vcc, v[8:9], v[46:47]
	v_cmp_ne_u64_e64 s[28:29], v[6:7], v[8:9]
	v_cmp_ne_u64_e64 s[4:5], v[4:5], v[6:7]
	;; [unrolled: 1-line block ×13, first 2 shown]
	v_cmp_ne_u32_e64 s[30:31], 0, v0
	s_waitcnt lgkmcnt(0)
	v_mov_b64_e32 v[44:45], s[54:55]
	ds_write_b64 v1, v[46:47]
	s_waitcnt lgkmcnt(0)
	s_barrier
	s_and_saveexec_b64 s[54:55], s[30:31]
	s_cbranch_execz .LBB530_40
; %bb.39:
	v_add_u32_e32 v1, -8, v1
	ds_read_b64 v[44:45], v1
.LBB530_40:
	s_or_b64 exec, exec, s[54:55]
	v_cndmask_b32_e64 v1, 0, 1, vcc
	v_cndmask_b32_e64 v72, 0, 1, s[28:29]
	v_cndmask_b32_e64 v73, 0, 1, s[4:5]
	;; [unrolled: 1-line block ×13, first 2 shown]
	s_waitcnt lgkmcnt(0)
	v_cmp_ne_u64_e64 s[4:5], v[44:45], v[26:27]
	s_mov_b64 s[6:7], -1
.LBB530_41:
                                        ; implicit-def: $sgpr3
	s_branch .LBB530_55
.LBB530_42:
                                        ; implicit-def: $sgpr4_sgpr5
                                        ; implicit-def: $vgpr1
                                        ; implicit-def: $vgpr72
                                        ; implicit-def: $vgpr73
                                        ; implicit-def: $vgpr74
                                        ; implicit-def: $vgpr75
                                        ; implicit-def: $vgpr76
                                        ; implicit-def: $vgpr77
                                        ; implicit-def: $vgpr78
                                        ; implicit-def: $vgpr79
                                        ; implicit-def: $vgpr80
                                        ; implicit-def: $vgpr81
                                        ; implicit-def: $vgpr82
                                        ; implicit-def: $vgpr83
                                        ; implicit-def: $vgpr84
                                        ; implicit-def: $sgpr3
	s_cbranch_execnz .LBB530_47
	s_branch .LBB530_55
.LBB530_43:
                                        ; implicit-def: $sgpr4_sgpr5
                                        ; implicit-def: $vgpr1
                                        ; implicit-def: $vgpr72
                                        ; implicit-def: $vgpr73
                                        ; implicit-def: $vgpr74
                                        ; implicit-def: $vgpr75
                                        ; implicit-def: $vgpr76
                                        ; implicit-def: $vgpr77
                                        ; implicit-def: $vgpr78
                                        ; implicit-def: $vgpr79
                                        ; implicit-def: $vgpr80
                                        ; implicit-def: $vgpr81
                                        ; implicit-def: $vgpr82
                                        ; implicit-def: $vgpr83
                                        ; implicit-def: $vgpr84
	s_cbranch_execz .LBB530_41
; %bb.44:
	v_cmp_ne_u64_e32 vcc, v[28:29], v[30:31]
	v_lshlrev_b32_e32 v44, 3, v0
	ds_write_b64 v44, v[46:47]
	v_cndmask_b32_e64 v84, 0, 1, vcc
	v_cmp_ne_u64_e32 vcc, v[28:29], v[32:33]
	s_waitcnt lgkmcnt(0)
	s_barrier
	v_cndmask_b32_e64 v83, 0, 1, vcc
	v_cmp_ne_u64_e32 vcc, v[32:33], v[24:25]
	s_waitcnt lgkmcnt(0)
                                        ; implicit-def: $sgpr4_sgpr5
	s_nop 0
	v_cndmask_b32_e64 v82, 0, 1, vcc
	v_cmp_ne_u64_e32 vcc, v[34:35], v[24:25]
	s_nop 1
	v_cndmask_b32_e64 v81, 0, 1, vcc
	v_cmp_ne_u64_e32 vcc, v[20:21], v[34:35]
	;; [unrolled: 3-line block ×11, first 2 shown]
	s_nop 1
	v_cndmask_b32_e64 v1, 0, 1, vcc
	v_cmp_ne_u32_e32 vcc, 0, v0
	s_and_saveexec_b64 s[8:9], vcc
	s_xor_b64 s[8:9], exec, s[8:9]
	s_cbranch_execz .LBB530_46
; %bb.45:
	v_add_u32_e32 v30, -8, v44
	ds_read_b64 v[30:31], v30
	s_or_b64 s[6:7], s[6:7], exec
	s_waitcnt lgkmcnt(0)
	v_cmp_ne_u64_e32 vcc, v[30:31], v[26:27]
	s_and_b64 s[4:5], vcc, exec
.LBB530_46:
	s_or_b64 exec, exec, s[8:9]
	s_mov_b32 s3, 1
	s_branch .LBB530_55
.LBB530_47:
	s_mul_hi_u32 s4, s52, 0xffffe200
	s_mul_i32 s3, s53, 0xffffe200
	s_sub_i32 s4, s4, s52
	s_add_i32 s4, s4, s3
	s_mul_i32 s3, s52, 0xffffe200
	s_add_u32 s8, s3, s44
	s_addc_u32 s9, s4, s45
	s_and_b64 vcc, exec, s[42:43]
	s_cbranch_vccz .LBB530_52
; %bb.48:
	s_add_u32 s4, s40, -8
	s_addc_u32 s5, s41, -1
	v_mad_u32_u24 v32, v0, 15, 14
	v_mov_b32_e32 v33, 0
	s_load_dwordx2 s[42:43], s[4:5], 0x0
	v_cmp_gt_u64_e32 vcc, s[8:9], v[32:33]
	v_cmp_ne_u64_e64 s[4:5], v[8:9], v[46:47]
	v_mad_u32_u24 v32, v0, 15, 13
	s_and_b64 s[6:7], vcc, s[4:5]
	v_cmp_gt_u64_e32 vcc, s[8:9], v[32:33]
	v_cmp_ne_u64_e64 s[4:5], v[6:7], v[8:9]
	v_mad_u32_u24 v32, v0, 15, 12
	s_and_b64 s[10:11], vcc, s[4:5]
	v_cmp_gt_u64_e32 vcc, s[8:9], v[32:33]
	v_cmp_ne_u64_e64 s[4:5], v[4:5], v[6:7]
	v_mad_u32_u24 v32, v0, 15, 11
	s_and_b64 s[12:13], vcc, s[4:5]
	v_cmp_gt_u64_e32 vcc, s[8:9], v[32:33]
	v_cmp_ne_u64_e64 s[4:5], v[2:3], v[4:5]
	v_mad_u32_u24 v32, v0, 15, 10
	s_and_b64 s[14:15], vcc, s[4:5]
	v_cmp_gt_u64_e32 vcc, s[8:9], v[32:33]
	v_cmp_ne_u64_e64 s[4:5], v[12:13], v[2:3]
	v_mad_u32_u24 v32, v0, 15, 9
	s_and_b64 s[16:17], vcc, s[4:5]
	v_cmp_gt_u64_e32 vcc, s[8:9], v[32:33]
	v_cmp_ne_u64_e64 s[4:5], v[10:11], v[12:13]
	v_mad_u32_u24 v32, v0, 15, 8
	s_and_b64 s[18:19], vcc, s[4:5]
	v_cmp_gt_u64_e32 vcc, s[8:9], v[32:33]
	v_cmp_ne_u64_e64 s[4:5], v[16:17], v[10:11]
	v_mad_u32_u24 v32, v0, 15, 7
	s_and_b64 s[20:21], vcc, s[4:5]
	v_cmp_gt_u64_e32 vcc, s[8:9], v[32:33]
	v_cmp_ne_u64_e64 s[4:5], v[14:15], v[16:17]
	v_mad_u32_u24 v32, v0, 15, 6
	s_and_b64 s[22:23], vcc, s[4:5]
	v_cmp_gt_u64_e32 vcc, s[8:9], v[32:33]
	v_cmp_ne_u64_e64 s[4:5], v[20:21], v[14:15]
	v_mad_u32_u24 v32, v0, 15, 5
	s_and_b64 s[24:25], vcc, s[4:5]
	v_cmp_gt_u64_e32 vcc, s[8:9], v[32:33]
	v_cmp_ne_u64_e64 s[4:5], v[18:19], v[20:21]
	v_mad_u32_u24 v32, v0, 15, 4
	s_and_b64 s[26:27], vcc, s[4:5]
	v_cmp_gt_u64_e32 vcc, s[8:9], v[32:33]
	v_cmp_ne_u64_e64 s[4:5], v[24:25], v[18:19]
	v_mad_u32_u24 v32, v0, 15, 3
	s_and_b64 s[28:29], vcc, s[4:5]
	v_cmp_gt_u64_e32 vcc, s[8:9], v[32:33]
	v_cmp_ne_u64_e64 s[4:5], v[22:23], v[24:25]
	v_mad_u32_u24 v32, v0, 15, 2
	s_and_b64 s[30:31], vcc, s[4:5]
	v_cmp_gt_u64_e32 vcc, s[8:9], v[32:33]
	v_cmp_ne_u64_e64 s[4:5], v[28:29], v[22:23]
	v_mad_u32_u24 v32, v0, 15, 1
	s_and_b64 s[40:41], vcc, s[4:5]
	v_cmp_gt_u64_e32 vcc, s[8:9], v[32:33]
	v_cmp_ne_u64_e64 s[4:5], v[26:27], v[28:29]
	v_lshlrev_b32_e32 v1, 3, v0
	v_mul_u32_u24_e32 v30, 15, v0
	s_and_b64 s[4:5], vcc, s[4:5]
	v_cmp_ne_u32_e32 vcc, 0, v0
	s_waitcnt lgkmcnt(0)
	v_mov_b64_e32 v[34:35], s[42:43]
	ds_write_b64 v1, v[46:47]
	s_waitcnt lgkmcnt(0)
	s_barrier
	s_and_saveexec_b64 s[42:43], vcc
	s_cbranch_execz .LBB530_50
; %bb.49:
	v_add_u32_e32 v1, -8, v1
	ds_read_b64 v[34:35], v1
.LBB530_50:
	s_or_b64 exec, exec, s[42:43]
	v_mov_b32_e32 v31, v33
	v_cndmask_b32_e64 v84, 0, 1, s[4:5]
	v_cmp_gt_u64_e32 vcc, s[8:9], v[30:31]
	s_waitcnt lgkmcnt(0)
	v_cmp_ne_u64_e64 s[4:5], v[34:35], v[26:27]
	v_cndmask_b32_e64 v1, 0, 1, s[6:7]
	v_cndmask_b32_e64 v72, 0, 1, s[10:11]
	;; [unrolled: 1-line block ×13, first 2 shown]
	s_and_b64 s[4:5], vcc, s[4:5]
	s_mov_b64 s[6:7], -1
.LBB530_51:
                                        ; implicit-def: $sgpr3
	v_mov_b32_e32 v85, s3
	s_and_saveexec_b64 s[8:9], s[6:7]
	s_cbranch_execnz .LBB530_56
	s_branch .LBB530_57
.LBB530_52:
                                        ; implicit-def: $sgpr4_sgpr5
                                        ; implicit-def: $vgpr1
                                        ; implicit-def: $vgpr72
                                        ; implicit-def: $vgpr73
                                        ; implicit-def: $vgpr74
                                        ; implicit-def: $vgpr75
                                        ; implicit-def: $vgpr76
                                        ; implicit-def: $vgpr77
                                        ; implicit-def: $vgpr78
                                        ; implicit-def: $vgpr79
                                        ; implicit-def: $vgpr80
                                        ; implicit-def: $vgpr81
                                        ; implicit-def: $vgpr82
                                        ; implicit-def: $vgpr83
                                        ; implicit-def: $vgpr84
	s_cbranch_execz .LBB530_51
; %bb.53:
	v_mad_u32_u24 v30, v0, 15, 14
	v_mov_b32_e32 v31, 0
	v_cmp_gt_u64_e32 vcc, s[8:9], v[30:31]
	v_cmp_ne_u64_e64 s[4:5], v[8:9], v[46:47]
	s_and_b64 s[4:5], vcc, s[4:5]
	v_mad_u32_u24 v30, v0, 15, 13
	v_cndmask_b32_e64 v1, 0, 1, s[4:5]
	v_cmp_gt_u64_e32 vcc, s[8:9], v[30:31]
	v_cmp_ne_u64_e64 s[4:5], v[6:7], v[8:9]
	s_and_b64 s[4:5], vcc, s[4:5]
	v_mad_u32_u24 v30, v0, 15, 12
	v_cndmask_b32_e64 v72, 0, 1, s[4:5]
	;; [unrolled: 5-line block ×13, first 2 shown]
	v_cmp_gt_u64_e32 vcc, s[8:9], v[30:31]
	v_cmp_ne_u64_e64 s[4:5], v[26:27], v[28:29]
	s_and_b64 s[4:5], vcc, s[4:5]
	v_lshlrev_b32_e32 v32, 3, v0
	s_mov_b32 s3, 1
	v_cndmask_b32_e64 v84, 0, 1, s[4:5]
	v_cmp_ne_u32_e32 vcc, 0, v0
	ds_write_b64 v32, v[46:47]
	s_waitcnt lgkmcnt(0)
	s_barrier
	s_waitcnt lgkmcnt(0)
                                        ; implicit-def: $sgpr4_sgpr5
	s_and_saveexec_b64 s[10:11], vcc
	s_cbranch_execz .LBB530_140
; %bb.54:
	v_add_u32_e32 v30, -8, v32
	ds_read_b64 v[32:33], v30
	v_mul_u32_u24_e32 v30, 15, v0
	v_cmp_gt_u64_e32 vcc, s[8:9], v[30:31]
	s_or_b64 s[6:7], s[6:7], exec
	s_waitcnt lgkmcnt(0)
	v_cmp_ne_u64_e64 s[4:5], v[32:33], v[26:27]
	s_and_b64 s[4:5], vcc, s[4:5]
	s_and_b64 s[4:5], s[4:5], exec
	s_or_b64 exec, exec, s[10:11]
.LBB530_55:
	v_mov_b32_e32 v85, s3
	s_and_saveexec_b64 s[8:9], s[6:7]
.LBB530_56:
	v_cndmask_b32_e64 v85, 0, 1, s[4:5]
.LBB530_57:
	s_or_b64 exec, exec, s[8:9]
	s_load_dwordx4 s[40:43], s[0:1], 0x20
	s_load_dwordx2 s[44:45], s[0:1], 0x30
	s_cmp_eq_u64 s[38:39], 0
	v_add3_u32 v30, v84, v85, v83
	s_cselect_b64 s[38:39], -1, 0
	s_cmp_lg_u32 s2, 0
	v_cmp_eq_u32_e64 s[24:25], 0, v84
	v_cmp_eq_u32_e64 s[22:23], 0, v83
	;; [unrolled: 1-line block ×3, first 2 shown]
	v_add3_u32 v87, v30, v82, v81
	v_cmp_eq_u32_e64 s[18:19], 0, v81
	v_cmp_eq_u32_e64 s[16:17], 0, v80
	;; [unrolled: 1-line block ×10, first 2 shown]
	v_cmp_eq_u32_e32 vcc, 0, v1
	v_mbcnt_lo_u32_b32 v86, -1, 0
	v_lshrrev_b32_e32 v70, 6, v0
	v_or_b32_e32 v71, 63, v0
	s_cbranch_scc0 .LBB530_88
; %bb.58:
	v_cndmask_b32_e64 v30, 0, v68, s[24:25]
	v_add_u32_e32 v30, v30, v68
	v_cndmask_b32_e64 v30, 0, v30, s[22:23]
	v_add_u32_e32 v30, v30, v68
	;; [unrolled: 2-line block ×11, first 2 shown]
	v_cndmask_b32_e64 v30, 0, v30, s[28:29]
	v_add3_u32 v31, v87, v80, v79
	v_add_u32_e32 v30, v30, v68
	v_add3_u32 v31, v31, v78, v77
	v_cndmask_b32_e64 v30, 0, v30, s[0:1]
	v_add3_u32 v31, v31, v76, v75
	v_add_u32_e32 v30, v30, v68
	v_add3_u32 v31, v31, v74, v73
	v_cndmask_b32_e32 v30, 0, v30, vcc
	v_add3_u32 v31, v31, v72, v1
	v_add_u32_e32 v30, v30, v69
	v_mbcnt_hi_u32_b32 v39, -1, v86
	v_and_b32_e32 v32, 15, v39
	v_mov_b32_dpp v34, v30 row_shr:1 row_mask:0xf bank_mask:0xf
	v_cmp_eq_u32_e32 vcc, 0, v31
	v_mov_b32_dpp v33, v31 row_shr:1 row_mask:0xf bank_mask:0xf
	v_cmp_lt_u32_e64 s[26:27], 1, v32
	v_cndmask_b32_e32 v34, 0, v34, vcc
	v_cmp_eq_u32_e32 vcc, 0, v32
	s_nop 1
	v_cndmask_b32_e64 v33, v33, 0, vcc
	v_add_u32_e32 v31, v33, v31
	v_cndmask_b32_e64 v33, v34, 0, vcc
	v_add_u32_e32 v30, v33, v30
	v_cmp_eq_u32_e32 vcc, 0, v31
	v_mov_b32_dpp v33, v31 row_shr:2 row_mask:0xf bank_mask:0xf
	v_mov_b32_dpp v34, v30 row_shr:2 row_mask:0xf bank_mask:0xf
	v_cndmask_b32_e64 v33, 0, v33, s[26:27]
	s_and_b64 vcc, s[26:27], vcc
	v_cndmask_b32_e32 v34, 0, v34, vcc
	v_add_u32_e32 v31, v31, v33
	v_add_u32_e32 v30, v34, v30
	v_cmp_eq_u32_e32 vcc, 0, v31
	v_mov_b32_dpp v33, v31 row_shr:4 row_mask:0xf bank_mask:0xf
	v_cmp_lt_u32_e64 s[26:27], 3, v32
	v_mov_b32_dpp v34, v30 row_shr:4 row_mask:0xf bank_mask:0xf
	s_and_b64 vcc, s[26:27], vcc
	v_cndmask_b32_e64 v33, 0, v33, s[26:27]
	v_cndmask_b32_e32 v34, 0, v34, vcc
	v_add_u32_e32 v31, v33, v31
	v_add_u32_e32 v30, v30, v34
	v_cmp_eq_u32_e32 vcc, 0, v31
	v_cmp_lt_u32_e64 s[26:27], 7, v32
	v_mov_b32_dpp v33, v31 row_shr:8 row_mask:0xf bank_mask:0xf
	v_mov_b32_dpp v34, v30 row_shr:8 row_mask:0xf bank_mask:0xf
	s_and_b64 vcc, s[26:27], vcc
	v_cndmask_b32_e64 v32, 0, v33, s[26:27]
	v_cndmask_b32_e32 v33, 0, v34, vcc
	v_add_u32_e32 v30, v33, v30
	v_add_u32_e32 v31, v32, v31
	v_bfe_i32 v34, v39, 4, 1
	v_mov_b32_dpp v33, v30 row_bcast:15 row_mask:0xf bank_mask:0xf
	v_mov_b32_dpp v32, v31 row_bcast:15 row_mask:0xf bank_mask:0xf
	v_cmp_eq_u32_e32 vcc, 0, v31
	v_and_b32_e32 v32, v34, v32
	v_add_u32_e32 v31, v32, v31
	v_cndmask_b32_e32 v33, 0, v33, vcc
	v_and_b32_e32 v32, v34, v33
	v_add_u32_e32 v32, v32, v30
	v_mov_b32_dpp v30, v31 row_bcast:31 row_mask:0xf bank_mask:0xf
	v_cmp_eq_u32_e32 vcc, 0, v31
	v_cmp_lt_u32_e64 s[26:27], 31, v39
	v_mov_b32_dpp v33, v32 row_bcast:31 row_mask:0xf bank_mask:0xf
	s_and_b64 vcc, s[26:27], vcc
	v_cndmask_b32_e64 v30, 0, v30, s[26:27]
	v_add_u32_e32 v30, v30, v31
	v_cndmask_b32_e32 v31, 0, v33, vcc
	v_add_u32_e32 v31, v31, v32
	v_cmp_eq_u32_e32 vcc, v71, v0
	v_lshlrev_b32_e32 v32, 3, v70
	s_and_saveexec_b64 s[26:27], vcc
	s_cbranch_execz .LBB530_60
; %bb.59:
	ds_write_b64 v32, v[30:31] offset:8208
.LBB530_60:
	s_or_b64 exec, exec, s[26:27]
	v_cmp_gt_u32_e32 vcc, 8, v0
	s_waitcnt lgkmcnt(0)
	s_barrier
	s_and_saveexec_b64 s[30:31], vcc
	s_cbranch_execz .LBB530_62
; %bb.61:
	v_lshlrev_b32_e32 v33, 3, v0
	ds_read_b64 v[34:35], v33 offset:8208
	v_and_b32_e32 v36, 7, v39
	v_cmp_lt_u32_e64 s[26:27], 1, v36
	s_waitcnt lgkmcnt(0)
	v_mov_b32_dpp v38, v35 row_shr:1 row_mask:0xf bank_mask:0xf
	v_cmp_eq_u32_e32 vcc, 0, v34
	v_mov_b32_dpp v37, v34 row_shr:1 row_mask:0xf bank_mask:0xf
	s_nop 0
	v_cndmask_b32_e32 v38, 0, v38, vcc
	v_cmp_eq_u32_e32 vcc, 0, v36
	s_nop 1
	v_cndmask_b32_e64 v37, v37, 0, vcc
	v_add_u32_e32 v34, v37, v34
	v_cndmask_b32_e64 v37, v38, 0, vcc
	v_add_u32_e32 v35, v37, v35
	v_cmp_eq_u32_e32 vcc, 0, v34
	v_mov_b32_dpp v37, v34 row_shr:2 row_mask:0xf bank_mask:0xf
	v_mov_b32_dpp v38, v35 row_shr:2 row_mask:0xf bank_mask:0xf
	v_cndmask_b32_e64 v37, 0, v37, s[26:27]
	s_and_b64 vcc, s[26:27], vcc
	v_cndmask_b32_e32 v38, 0, v38, vcc
	v_add_u32_e32 v34, v37, v34
	v_add_u32_e32 v35, v38, v35
	v_cmp_eq_u32_e32 vcc, 0, v34
	v_mov_b32_dpp v37, v34 row_shr:4 row_mask:0xf bank_mask:0xf
	v_cmp_lt_u32_e64 s[26:27], 3, v36
	v_mov_b32_dpp v38, v35 row_shr:4 row_mask:0xf bank_mask:0xf
	s_and_b64 vcc, s[26:27], vcc
	v_cndmask_b32_e64 v36, 0, v37, s[26:27]
	v_add_u32_e32 v34, v36, v34
	v_cndmask_b32_e32 v36, 0, v38, vcc
	v_add_u32_e32 v35, v36, v35
	ds_write_b64 v33, v[34:35] offset:8208
.LBB530_62:
	s_or_b64 exec, exec, s[30:31]
	v_cmp_gt_u32_e32 vcc, 64, v0
	v_cmp_lt_u32_e64 s[26:27], 63, v0
	v_mov_b32_e32 v36, 0
	v_mov_b32_e32 v37, 0
	s_waitcnt lgkmcnt(0)
	s_barrier
	s_and_saveexec_b64 s[30:31], s[26:27]
	s_cbranch_execz .LBB530_64
; %bb.63:
	ds_read_b64 v[36:37], v32 offset:8200
	v_cmp_eq_u32_e64 s[26:27], 0, v30
	s_waitcnt lgkmcnt(0)
	v_add_u32_e32 v32, v36, v30
	v_cndmask_b32_e64 v30, 0, v37, s[26:27]
	v_add_u32_e32 v31, v30, v31
	v_mov_b32_e32 v30, v32
.LBB530_64:
	s_or_b64 exec, exec, s[30:31]
	v_add_u32_e32 v32, -1, v39
	v_and_b32_e32 v33, 64, v39
	v_cmp_lt_i32_e64 s[26:27], v32, v33
	s_nop 1
	v_cndmask_b32_e64 v32, v32, v39, s[26:27]
	v_lshlrev_b32_e32 v32, 2, v32
	ds_bpermute_b32 v44, v32, v30
	ds_bpermute_b32 v45, v32, v31
	v_cmp_eq_u32_e64 s[26:27], 0, v39
	s_and_saveexec_b64 s[52:53], vcc
	s_cbranch_execz .LBB530_87
; %bb.65:
	v_mov_b32_e32 v35, 0
	ds_read_b64 v[30:31], v35 offset:8264
	s_waitcnt lgkmcnt(0)
	v_readfirstlane_b32 s3, v30
	v_readfirstlane_b32 s56, v31
	s_and_saveexec_b64 s[30:31], s[26:27]
	s_cbranch_execz .LBB530_67
; %bb.66:
	s_add_i32 s54, s2, 64
	s_mov_b32 s55, 0
	s_lshl_b64 s[58:59], s[54:55], 4
	s_add_u32 s58, s36, s58
	s_addc_u32 s59, s37, s59
	s_and_b32 s61, s56, 0xff000000
	s_mov_b32 s60, s55
	s_and_b32 s63, s56, 0xff0000
	s_mov_b32 s62, s55
	s_or_b64 s[60:61], s[62:63], s[60:61]
	s_and_b32 s63, s56, 0xff00
	s_or_b64 s[60:61], s[60:61], s[62:63]
	s_and_b32 s63, s56, 0xff
	s_or_b64 s[54:55], s[60:61], s[62:63]
	v_mov_b32_e32 v32, s3
	v_mov_b32_e32 v33, s55
	;; [unrolled: 1-line block ×3, first 2 shown]
	v_mov_b64_e32 v[30:31], s[58:59]
	;;#ASMSTART
	global_store_dwordx4 v[30:31], v[32:35] off sc1	
s_waitcnt vmcnt(0)
	;;#ASMEND
.LBB530_67:
	s_or_b64 exec, exec, s[30:31]
	v_xad_u32 v38, v39, -1, s2
	v_add_u32_e32 v34, 64, v38
	v_lshl_add_u64 v[40:41], v[34:35], 4, s[36:37]
	;;#ASMSTART
	global_load_dwordx4 v[30:33], v[40:41] off sc1	
s_waitcnt vmcnt(0)
	;;#ASMEND
	s_nop 0
	v_and_b32_e32 v33, 0xff, v31
	v_and_b32_e32 v34, 0xff00, v31
	v_or3_b32 v30, v30, 0, 0
	v_and_b32_e32 v42, 0xff000000, v31
	v_or3_b32 v33, 0, v33, v34
	;; [unrolled: 2-line block ×3, first 2 shown]
	v_or3_b32 v30, v30, 0, 0
	v_cmp_eq_u16_sdwa s[54:55], v32, v35 src0_sel:BYTE_0 src1_sel:DWORD
	s_and_saveexec_b64 s[30:31], s[54:55]
	s_cbranch_execz .LBB530_73
; %bb.68:
	s_mov_b32 s57, 1
	s_mov_b64 s[54:55], 0
	v_mov_b32_e32 v34, 0
.LBB530_69:                             ; =>This Loop Header: Depth=1
                                        ;     Child Loop BB530_70 Depth 2
	s_max_u32 s58, s57, 1
.LBB530_70:                             ;   Parent Loop BB530_69 Depth=1
                                        ; =>  This Inner Loop Header: Depth=2
	s_add_i32 s58, s58, -1
	s_cmp_eq_u32 s58, 0
	s_sleep 1
	s_cbranch_scc0 .LBB530_70
; %bb.71:                               ;   in Loop: Header=BB530_69 Depth=1
	s_cmp_lt_u32 s57, 32
	s_cselect_b64 s[58:59], -1, 0
	s_cmp_lg_u64 s[58:59], 0
	s_addc_u32 s57, s57, 0
	;;#ASMSTART
	global_load_dwordx4 v[30:33], v[40:41] off sc1	
s_waitcnt vmcnt(0)
	;;#ASMEND
	s_nop 0
	v_cmp_ne_u16_sdwa s[58:59], v32, v34 src0_sel:BYTE_0 src1_sel:DWORD
	s_or_b64 s[54:55], s[58:59], s[54:55]
	s_andn2_b64 exec, exec, s[54:55]
	s_cbranch_execnz .LBB530_69
; %bb.72:
	s_or_b64 exec, exec, s[54:55]
.LBB530_73:
	s_or_b64 exec, exec, s[30:31]
	v_mov_b32_e32 v48, 2
	v_cmp_eq_u16_sdwa s[30:31], v32, v48 src0_sel:BYTE_0 src1_sel:DWORD
	v_lshlrev_b64 v[40:41], v39, -1
	v_and_b32_e32 v49, 63, v39
	v_and_b32_e32 v33, s31, v41
	v_or_b32_e32 v33, 0x80000000, v33
	v_cmp_ne_u32_e32 vcc, 63, v49
	v_and_b32_e32 v34, s30, v40
	v_ffbl_b32_e32 v33, v33
	v_addc_co_u32_e32 v35, vcc, 0, v39, vcc
	v_add_u32_e32 v33, 32, v33
	v_ffbl_b32_e32 v34, v34
	v_lshlrev_b32_e32 v50, 2, v35
	v_min_u32_e32 v33, v34, v33
	ds_bpermute_b32 v34, v50, v31
	v_cmp_eq_u32_e32 vcc, 0, v30
	v_cmp_lt_u32_e64 s[30:31], v49, v33
	ds_bpermute_b32 v35, v50, v30
	s_and_b64 vcc, s[30:31], vcc
	s_waitcnt lgkmcnt(1)
	v_cndmask_b32_e32 v34, 0, v34, vcc
	v_cmp_gt_u32_e32 vcc, 62, v49
	v_add_u32_e32 v31, v34, v31
	s_waitcnt lgkmcnt(0)
	v_cndmask_b32_e64 v35, 0, v35, s[30:31]
	v_cndmask_b32_e64 v34, 0, 1, vcc
	v_lshlrev_b32_e32 v34, 1, v34
	v_add_lshl_u32 v51, v34, v39, 2
	ds_bpermute_b32 v34, v51, v31
	v_add_u32_e32 v30, v35, v30
	ds_bpermute_b32 v35, v51, v30
	v_add_u32_e32 v52, 2, v49
	v_cmp_eq_u32_e32 vcc, 0, v30
	v_add_u32_e32 v54, 4, v49
	v_add_u32_e32 v56, 8, v49
	s_waitcnt lgkmcnt(1)
	v_cndmask_b32_e32 v34, 0, v34, vcc
	v_cmp_gt_u32_e32 vcc, v52, v33
	v_add_u32_e32 v58, 16, v49
	v_add_u32_e32 v60, 32, v49
	v_cndmask_b32_e64 v34, v34, 0, vcc
	v_add_u32_e32 v31, v34, v31
	s_waitcnt lgkmcnt(0)
	v_cndmask_b32_e64 v34, v35, 0, vcc
	v_cmp_gt_u32_e32 vcc, 60, v49
	v_add_u32_e32 v30, v30, v34
	s_nop 0
	v_cndmask_b32_e64 v35, 0, 1, vcc
	v_lshlrev_b32_e32 v35, 2, v35
	v_add_lshl_u32 v53, v35, v39, 2
	ds_bpermute_b32 v35, v53, v31
	ds_bpermute_b32 v34, v53, v30
	v_cmp_eq_u32_e32 vcc, 0, v30
	s_waitcnt lgkmcnt(1)
	s_nop 0
	v_cndmask_b32_e32 v35, 0, v35, vcc
	v_cmp_gt_u32_e32 vcc, v54, v33
	s_nop 1
	v_cndmask_b32_e64 v35, v35, 0, vcc
	s_waitcnt lgkmcnt(0)
	v_cndmask_b32_e64 v34, v34, 0, vcc
	v_cmp_gt_u32_e32 vcc, 56, v49
	v_add_u32_e32 v31, v31, v35
	v_add_u32_e32 v30, v30, v34
	v_cndmask_b32_e64 v35, 0, 1, vcc
	v_lshlrev_b32_e32 v35, 3, v35
	v_add_lshl_u32 v55, v35, v39, 2
	ds_bpermute_b32 v35, v55, v31
	ds_bpermute_b32 v34, v55, v30
	v_cmp_eq_u32_e32 vcc, 0, v30
	s_waitcnt lgkmcnt(1)
	s_nop 0
	v_cndmask_b32_e32 v35, 0, v35, vcc
	v_cmp_gt_u32_e32 vcc, v56, v33
	s_nop 1
	v_cndmask_b32_e64 v35, v35, 0, vcc
	s_waitcnt lgkmcnt(0)
	v_cndmask_b32_e64 v34, v34, 0, vcc
	v_cmp_gt_u32_e32 vcc, 48, v49
	v_add_u32_e32 v31, v31, v35
	v_add_u32_e32 v30, v30, v34
	;; [unrolled: 17-line block ×3, first 2 shown]
	v_cndmask_b32_e64 v35, 0, 1, vcc
	v_lshlrev_b32_e32 v35, 5, v35
	v_add_lshl_u32 v59, v35, v39, 2
	ds_bpermute_b32 v35, v59, v31
	ds_bpermute_b32 v34, v59, v30
	v_cmp_eq_u32_e32 vcc, 0, v30
	v_mov_b32_e32 v39, 0
	s_waitcnt lgkmcnt(1)
	v_cndmask_b32_e32 v35, 0, v35, vcc
	v_cmp_gt_u32_e32 vcc, v60, v33
	s_nop 1
	v_cndmask_b32_e64 v33, v35, 0, vcc
	v_add_u32_e32 v31, v33, v31
	s_waitcnt lgkmcnt(0)
	v_cndmask_b32_e64 v33, v34, 0, vcc
	v_add_u32_e32 v30, v33, v30
	s_branch .LBB530_75
.LBB530_74:                             ;   in Loop: Header=BB530_75 Depth=1
	s_or_b64 exec, exec, s[30:31]
	v_cmp_eq_u16_sdwa s[30:31], v32, v48 src0_sel:BYTE_0 src1_sel:DWORD
	v_cmp_eq_u32_e32 vcc, 0, v30
	ds_bpermute_b32 v43, v50, v30
	v_and_b32_e32 v33, s31, v41
	v_or_b32_e32 v33, 0x80000000, v33
	v_and_b32_e32 v42, s30, v40
	v_ffbl_b32_e32 v33, v33
	v_add_u32_e32 v33, 32, v33
	v_ffbl_b32_e32 v42, v42
	v_min_u32_e32 v33, v42, v33
	ds_bpermute_b32 v42, v50, v31
	v_cmp_lt_u32_e64 s[30:31], v49, v33
	s_and_b64 vcc, s[30:31], vcc
	v_subrev_u32_e32 v38, 64, v38
	s_waitcnt lgkmcnt(1)
	v_cndmask_b32_e64 v43, 0, v43, s[30:31]
	s_waitcnt lgkmcnt(0)
	v_cndmask_b32_e32 v42, 0, v42, vcc
	v_add_u32_e32 v31, v42, v31
	ds_bpermute_b32 v42, v51, v31
	v_add_u32_e32 v30, v43, v30
	v_cmp_eq_u32_e32 vcc, 0, v30
	ds_bpermute_b32 v43, v51, v30
	s_waitcnt lgkmcnt(1)
	v_cndmask_b32_e32 v42, 0, v42, vcc
	v_cmp_gt_u32_e32 vcc, v52, v33
	s_nop 1
	v_cndmask_b32_e64 v42, v42, 0, vcc
	v_add_u32_e32 v31, v42, v31
	ds_bpermute_b32 v42, v53, v31
	s_waitcnt lgkmcnt(1)
	v_cndmask_b32_e64 v43, v43, 0, vcc
	v_add_u32_e32 v30, v30, v43
	v_cmp_eq_u32_e32 vcc, 0, v30
	ds_bpermute_b32 v43, v53, v30
	s_waitcnt lgkmcnt(1)
	v_cndmask_b32_e32 v42, 0, v42, vcc
	v_cmp_gt_u32_e32 vcc, v54, v33
	s_nop 1
	v_cndmask_b32_e64 v42, v42, 0, vcc
	v_add_u32_e32 v31, v31, v42
	ds_bpermute_b32 v42, v55, v31
	s_waitcnt lgkmcnt(1)
	v_cndmask_b32_e64 v43, v43, 0, vcc
	v_add_u32_e32 v30, v30, v43
	ds_bpermute_b32 v43, v55, v30
	v_cmp_eq_u32_e32 vcc, 0, v30
	s_waitcnt lgkmcnt(1)
	s_nop 0
	v_cndmask_b32_e32 v42, 0, v42, vcc
	v_cmp_gt_u32_e32 vcc, v56, v33
	s_nop 1
	v_cndmask_b32_e64 v42, v42, 0, vcc
	v_add_u32_e32 v31, v31, v42
	ds_bpermute_b32 v42, v57, v31
	s_waitcnt lgkmcnt(1)
	v_cndmask_b32_e64 v43, v43, 0, vcc
	v_add_u32_e32 v30, v30, v43
	ds_bpermute_b32 v43, v57, v30
	v_cmp_eq_u32_e32 vcc, 0, v30
	s_waitcnt lgkmcnt(1)
	s_nop 0
	;; [unrolled: 13-line block ×3, first 2 shown]
	v_cndmask_b32_e32 v42, 0, v42, vcc
	v_cmp_gt_u32_e32 vcc, v60, v33
	s_nop 1
	v_cndmask_b32_e64 v33, v42, 0, vcc
	v_add_u32_e32 v31, v33, v31
	s_waitcnt lgkmcnt(0)
	v_cndmask_b32_e64 v33, v43, 0, vcc
	v_cmp_eq_u32_e32 vcc, 0, v34
	v_add3_u32 v30, v30, v34, v33
	s_nop 0
	v_cndmask_b32_e32 v31, 0, v31, vcc
	v_add_u32_e32 v31, v31, v35
.LBB530_75:                             ; =>This Loop Header: Depth=1
                                        ;     Child Loop BB530_78 Depth 2
                                        ;       Child Loop BB530_79 Depth 3
	v_cmp_ne_u16_sdwa s[30:31], v32, v48 src0_sel:BYTE_0 src1_sel:DWORD
	v_mov_b32_e32 v35, v31
	v_mov_b32_e32 v34, v30
	v_cndmask_b32_e64 v31, 0, 1, s[30:31]
	;;#ASMSTART
	;;#ASMEND
	s_nop 0
	v_cmp_ne_u32_e32 vcc, 0, v31
	s_cmp_lg_u64 vcc, exec
	s_cbranch_scc1 .LBB530_82
; %bb.76:                               ;   in Loop: Header=BB530_75 Depth=1
	v_lshl_add_u64 v[42:43], v[38:39], 4, s[36:37]
	;;#ASMSTART
	global_load_dwordx4 v[30:33], v[42:43] off sc1	
s_waitcnt vmcnt(0)
	;;#ASMEND
	s_nop 0
	v_and_b32_e32 v33, 0xff, v31
	v_and_b32_e32 v61, 0xff00, v31
	v_or3_b32 v30, v30, 0, 0
	v_and_b32_e32 v62, 0xff000000, v31
	v_or3_b32 v33, 0, v33, v61
	;; [unrolled: 2-line block ×3, first 2 shown]
	v_or3_b32 v30, v30, 0, 0
	v_cmp_eq_u16_sdwa s[54:55], v32, v39 src0_sel:BYTE_0 src1_sel:DWORD
	s_and_saveexec_b64 s[30:31], s[54:55]
	s_cbranch_execz .LBB530_74
; %bb.77:                               ;   in Loop: Header=BB530_75 Depth=1
	s_mov_b32 s57, 1
	s_mov_b64 s[54:55], 0
.LBB530_78:                             ;   Parent Loop BB530_75 Depth=1
                                        ; =>  This Loop Header: Depth=2
                                        ;       Child Loop BB530_79 Depth 3
	s_max_u32 s58, s57, 1
.LBB530_79:                             ;   Parent Loop BB530_75 Depth=1
                                        ;     Parent Loop BB530_78 Depth=2
                                        ; =>    This Inner Loop Header: Depth=3
	s_add_i32 s58, s58, -1
	s_cmp_eq_u32 s58, 0
	s_sleep 1
	s_cbranch_scc0 .LBB530_79
; %bb.80:                               ;   in Loop: Header=BB530_78 Depth=2
	s_cmp_lt_u32 s57, 32
	s_cselect_b64 s[58:59], -1, 0
	s_cmp_lg_u64 s[58:59], 0
	s_addc_u32 s57, s57, 0
	;;#ASMSTART
	global_load_dwordx4 v[30:33], v[42:43] off sc1	
s_waitcnt vmcnt(0)
	;;#ASMEND
	s_nop 0
	v_cmp_ne_u16_sdwa s[58:59], v32, v39 src0_sel:BYTE_0 src1_sel:DWORD
	s_or_b64 s[54:55], s[58:59], s[54:55]
	s_andn2_b64 exec, exec, s[54:55]
	s_cbranch_execnz .LBB530_78
; %bb.81:                               ;   in Loop: Header=BB530_75 Depth=1
	s_or_b64 exec, exec, s[54:55]
	s_branch .LBB530_74
.LBB530_82:                             ;   in Loop: Header=BB530_75 Depth=1
                                        ; implicit-def: $vgpr31
                                        ; implicit-def: $vgpr30
                                        ; implicit-def: $vgpr32
	s_cbranch_execz .LBB530_75
; %bb.83:
	s_and_saveexec_b64 s[30:31], s[26:27]
	s_cbranch_execz .LBB530_85
; %bb.84:
	s_cmp_eq_u32 s3, 0
	s_cselect_b64 vcc, -1, 0
	s_mov_b32 s55, 0
	v_cndmask_b32_e32 v30, 0, v35, vcc
	s_add_i32 s54, s2, 64
	v_add_u32_e32 v30, s56, v30
	s_lshl_b64 s[54:55], s[54:55], 4
	s_add_u32 s54, s36, s54
	v_and_b32_e32 v31, 0xff000000, v30
	v_and_b32_e32 v32, 0xff0000, v30
	s_addc_u32 s55, s37, s55
	v_or_b32_e32 v31, v32, v31
	v_and_b32_e32 v32, 0xff00, v30
	v_and_b32_e32 v30, 0xff, v30
	v_add_u32_e32 v38, s3, v34
	v_mov_b32_e32 v41, 0
	v_or3_b32 v39, v31, v32, v30
	v_mov_b32_e32 v40, 2
	v_mov_b64_e32 v[30:31], s[54:55]
	;;#ASMSTART
	global_store_dwordx4 v[30:31], v[38:41] off sc1	
s_waitcnt vmcnt(0)
	;;#ASMEND
	v_mov_b32_e32 v32, s3
	v_mov_b32_e32 v33, s56
	ds_write_b128 v41, v[32:35] offset:8192
.LBB530_85:
	s_or_b64 exec, exec, s[30:31]
	v_cmp_eq_u32_e32 vcc, 0, v0
	s_and_b64 exec, exec, vcc
	s_cbranch_execz .LBB530_87
; %bb.86:
	v_mov_b32_e32 v30, 0
	ds_write_b64 v30, v[34:35] offset:8264
.LBB530_87:
	s_or_b64 exec, exec, s[52:53]
	v_mov_b32_e32 v32, 0
	s_waitcnt lgkmcnt(0)
	s_barrier
	ds_read_b64 v[30:31], v32 offset:8264
	v_cndmask_b32_e64 v34, v44, v36, s[26:27]
	v_cmp_eq_u32_e32 vcc, 0, v34
	v_cndmask_b32_e64 v33, v45, v37, s[26:27]
	s_waitcnt lgkmcnt(0)
	v_cndmask_b32_e32 v35, 0, v31, vcc
	v_add_u32_e32 v33, v35, v33
	v_cmp_eq_u32_e32 vcc, 0, v0
	s_barrier
	s_nop 0
	v_cndmask_b32_e32 v67, v33, v31, vcc
	v_cndmask_b32_e64 v31, v34, 0, vcc
	v_cmp_eq_u32_e32 vcc, 0, v85
	v_add_u32_e32 v66, v30, v31
	v_add_u32_e32 v64, v66, v85
	v_cndmask_b32_e32 v30, 0, v67, vcc
	v_add_u32_e32 v65, v30, v68
	v_cndmask_b32_e64 v30, 0, v65, s[24:25]
	v_add_u32_e32 v63, v30, v68
	v_cndmask_b32_e64 v30, 0, v63, s[22:23]
	;; [unrolled: 2-line block ×8, first 2 shown]
	v_add_u32_e32 v49, v30, v68
	v_add_u32_e32 v62, v64, v84
	v_cndmask_b32_e64 v30, 0, v49, s[8:9]
	v_add_u32_e32 v60, v62, v83
	v_add_u32_e32 v45, v30, v68
	v_add_u32_e32 v58, v60, v82
	v_cndmask_b32_e64 v30, 0, v45, s[6:7]
	v_add_u32_e32 v56, v58, v81
	v_add_u32_e32 v43, v30, v68
	v_add_u32_e32 v54, v56, v80
	v_cndmask_b32_e64 v30, 0, v43, s[4:5]
	v_add_u32_e32 v52, v54, v79
	v_add_u32_e32 v41, v30, v68
	ds_read_b128 v[30:33], v32 offset:8192
	v_add_u32_e32 v50, v52, v78
	v_add_u32_e32 v48, v50, v77
	;; [unrolled: 1-line block ×4, first 2 shown]
	v_cndmask_b32_e64 v34, 0, v41, s[28:29]
	v_add_u32_e32 v40, v42, v74
	v_add_u32_e32 v37, v34, v68
	s_waitcnt lgkmcnt(0)
	v_cmp_eq_u32_e32 vcc, 0, v30
	v_add_u32_e32 v36, v40, v73
	v_cndmask_b32_e64 v34, 0, v37, s[0:1]
	v_cndmask_b32_e32 v33, 0, v33, vcc
	v_add_u32_e32 v38, v36, v72
	v_add_u32_e32 v39, v34, v68
	;; [unrolled: 1-line block ×3, first 2 shown]
	s_branch .LBB530_100
.LBB530_88:
                                        ; implicit-def: $vgpr30
                                        ; implicit-def: $vgpr34
                                        ; implicit-def: $vgpr38_vgpr39
                                        ; implicit-def: $vgpr36_vgpr37
                                        ; implicit-def: $vgpr40_vgpr41
                                        ; implicit-def: $vgpr42_vgpr43
                                        ; implicit-def: $vgpr66_vgpr67
                                        ; implicit-def: $vgpr64_vgpr65
                                        ; implicit-def: $vgpr62_vgpr63
                                        ; implicit-def: $vgpr60_vgpr61
                                        ; implicit-def: $vgpr58_vgpr59
                                        ; implicit-def: $vgpr56_vgpr57
                                        ; implicit-def: $vgpr54_vgpr55
                                        ; implicit-def: $vgpr52_vgpr53
                                        ; implicit-def: $vgpr50_vgpr51
                                        ; implicit-def: $vgpr48_vgpr49
                                        ; implicit-def: $vgpr44_vgpr45
	s_cbranch_execz .LBB530_100
; %bb.89:
	s_and_b64 s[0:1], s[38:39], exec
	s_cselect_b32 s1, 0, s51
	s_cselect_b32 s0, 0, s50
	s_cmp_eq_u64 s[0:1], 0
	v_mov_b32_e32 v34, v68
	s_cbranch_scc1 .LBB530_91
; %bb.90:
	v_mov_b32_e32 v30, 0
	global_load_dword v34, v30, s[0:1]
.LBB530_91:
	v_cmp_eq_u32_e64 s[0:1], 0, v84
	v_cmp_eq_u32_e64 s[2:3], 0, v83
	v_cmp_eq_u32_e64 s[4:5], 0, v82
	v_cndmask_b32_e64 v30, 0, v68, s[0:1]
	v_add_u32_e32 v30, v30, v68
	v_cndmask_b32_e64 v30, 0, v30, s[2:3]
	v_add_u32_e32 v30, v30, v68
	v_cndmask_b32_e64 v30, 0, v30, s[4:5]
	v_add_u32_e32 v30, v30, v68
	v_cmp_eq_u32_e64 s[6:7], 0, v81
	v_cmp_eq_u32_e64 s[8:9], 0, v80
	v_cmp_eq_u32_e64 s[10:11], 0, v79
	v_cndmask_b32_e64 v30, 0, v30, s[6:7]
	v_add_u32_e32 v30, v30, v68
	v_cndmask_b32_e64 v30, 0, v30, s[8:9]
	v_add_u32_e32 v30, v30, v68
	v_cndmask_b32_e64 v30, 0, v30, s[10:11]
	v_add_u32_e32 v30, v30, v68
	;; [unrolled: 9-line block ×3, first 2 shown]
	v_cmp_eq_u32_e64 s[18:19], 0, v75
	v_cmp_eq_u32_e64 s[20:21], 0, v74
	;; [unrolled: 1-line block ×3, first 2 shown]
	v_cndmask_b32_e64 v30, 0, v30, s[18:19]
	v_add_u32_e32 v30, v30, v68
	v_cndmask_b32_e64 v30, 0, v30, s[20:21]
	v_add_u32_e32 v30, v30, v68
	v_cndmask_b32_e64 v30, 0, v30, s[22:23]
	v_add3_u32 v31, v87, v80, v79
	v_add_u32_e32 v30, v30, v68
	v_cmp_eq_u32_e32 vcc, 0, v72
	v_add3_u32 v31, v31, v78, v77
	v_add3_u32 v31, v31, v76, v75
	v_cndmask_b32_e32 v30, 0, v30, vcc
	v_add_u32_e32 v30, v30, v68
	v_cmp_eq_u32_e64 s[24:25], 0, v1
	v_add3_u32 v31, v31, v74, v73
	v_add3_u32 v31, v31, v72, v1
	v_cndmask_b32_e64 v30, 0, v30, s[24:25]
	v_add_u32_e32 v30, v30, v69
	v_mbcnt_hi_u32_b32 v35, -1, v86
	v_and_b32_e32 v32, 15, v35
	v_mov_b32_dpp v36, v30 row_shr:1 row_mask:0xf bank_mask:0xf
	v_cmp_eq_u32_e64 s[24:25], 0, v31
	v_mov_b32_dpp v33, v31 row_shr:1 row_mask:0xf bank_mask:0xf
	v_cmp_lt_u32_e64 s[26:27], 1, v32
	v_cndmask_b32_e64 v36, 0, v36, s[24:25]
	v_cmp_eq_u32_e64 s[24:25], 0, v32
	s_nop 1
	v_cndmask_b32_e64 v33, v33, 0, s[24:25]
	v_add_u32_e32 v31, v33, v31
	v_cndmask_b32_e64 v33, v36, 0, s[24:25]
	v_add_u32_e32 v30, v33, v30
	v_cmp_eq_u32_e64 s[24:25], 0, v31
	v_mov_b32_dpp v33, v31 row_shr:2 row_mask:0xf bank_mask:0xf
	v_mov_b32_dpp v36, v30 row_shr:2 row_mask:0xf bank_mask:0xf
	v_cndmask_b32_e64 v33, 0, v33, s[26:27]
	s_and_b64 s[24:25], s[26:27], s[24:25]
	v_cndmask_b32_e64 v36, 0, v36, s[24:25]
	v_add_u32_e32 v31, v31, v33
	v_add_u32_e32 v30, v36, v30
	v_cmp_eq_u32_e64 s[24:25], 0, v31
	v_mov_b32_dpp v33, v31 row_shr:4 row_mask:0xf bank_mask:0xf
	v_cmp_lt_u32_e64 s[26:27], 3, v32
	v_mov_b32_dpp v36, v30 row_shr:4 row_mask:0xf bank_mask:0xf
	s_and_b64 s[24:25], s[26:27], s[24:25]
	v_cndmask_b32_e64 v33, 0, v33, s[26:27]
	v_cndmask_b32_e64 v36, 0, v36, s[24:25]
	v_add_u32_e32 v31, v33, v31
	v_add_u32_e32 v30, v30, v36
	v_cmp_eq_u32_e64 s[24:25], 0, v31
	v_cmp_lt_u32_e64 s[26:27], 7, v32
	v_mov_b32_dpp v33, v31 row_shr:8 row_mask:0xf bank_mask:0xf
	v_mov_b32_dpp v36, v30 row_shr:8 row_mask:0xf bank_mask:0xf
	s_and_b64 s[24:25], s[26:27], s[24:25]
	v_cndmask_b32_e64 v32, 0, v33, s[26:27]
	v_cndmask_b32_e64 v33, 0, v36, s[24:25]
	v_add_u32_e32 v30, v33, v30
	v_add_u32_e32 v31, v32, v31
	v_bfe_i32 v36, v35, 4, 1
	v_mov_b32_dpp v33, v30 row_bcast:15 row_mask:0xf bank_mask:0xf
	v_mov_b32_dpp v32, v31 row_bcast:15 row_mask:0xf bank_mask:0xf
	v_cmp_eq_u32_e64 s[24:25], 0, v31
	v_and_b32_e32 v32, v36, v32
	v_add_u32_e32 v31, v32, v31
	v_cndmask_b32_e64 v33, 0, v33, s[24:25]
	v_and_b32_e32 v32, v36, v33
	v_add_u32_e32 v32, v32, v30
	v_mov_b32_dpp v30, v31 row_bcast:31 row_mask:0xf bank_mask:0xf
	v_cmp_eq_u32_e64 s[24:25], 0, v31
	v_cmp_lt_u32_e64 s[26:27], 31, v35
	v_mov_b32_dpp v33, v32 row_bcast:31 row_mask:0xf bank_mask:0xf
	s_and_b64 s[24:25], s[26:27], s[24:25]
	v_cndmask_b32_e64 v30, 0, v30, s[26:27]
	v_add_u32_e32 v30, v30, v31
	v_cndmask_b32_e64 v31, 0, v33, s[24:25]
	v_add_u32_e32 v31, v31, v32
	v_cmp_eq_u32_e64 s[24:25], v71, v0
	s_and_saveexec_b64 s[26:27], s[24:25]
	s_cbranch_execz .LBB530_93
; %bb.92:
	v_lshlrev_b32_e32 v32, 3, v70
	ds_write_b64 v32, v[30:31] offset:8208
.LBB530_93:
	s_or_b64 exec, exec, s[26:27]
	v_cmp_gt_u32_e64 s[24:25], 8, v0
	s_waitcnt lgkmcnt(0)
	s_barrier
	s_and_saveexec_b64 s[28:29], s[24:25]
	s_cbranch_execz .LBB530_95
; %bb.94:
	v_lshlrev_b32_e32 v36, 3, v0
	ds_read_b64 v[32:33], v36 offset:8208
	v_and_b32_e32 v37, 7, v35
	v_cmp_lt_u32_e64 s[26:27], 1, v37
	s_waitcnt lgkmcnt(0)
	v_mov_b32_dpp v39, v33 row_shr:1 row_mask:0xf bank_mask:0xf
	v_cmp_eq_u32_e64 s[24:25], 0, v32
	v_mov_b32_dpp v38, v32 row_shr:1 row_mask:0xf bank_mask:0xf
	s_nop 0
	v_cndmask_b32_e64 v39, 0, v39, s[24:25]
	v_cmp_eq_u32_e64 s[24:25], 0, v37
	s_nop 1
	v_cndmask_b32_e64 v38, v38, 0, s[24:25]
	v_add_u32_e32 v32, v38, v32
	v_cndmask_b32_e64 v38, v39, 0, s[24:25]
	v_add_u32_e32 v33, v38, v33
	v_cmp_eq_u32_e64 s[24:25], 0, v32
	v_mov_b32_dpp v38, v32 row_shr:2 row_mask:0xf bank_mask:0xf
	v_mov_b32_dpp v39, v33 row_shr:2 row_mask:0xf bank_mask:0xf
	v_cndmask_b32_e64 v38, 0, v38, s[26:27]
	s_and_b64 s[24:25], s[26:27], s[24:25]
	v_cndmask_b32_e64 v39, 0, v39, s[24:25]
	v_add_u32_e32 v32, v38, v32
	v_add_u32_e32 v33, v39, v33
	v_cmp_eq_u32_e64 s[24:25], 0, v32
	v_mov_b32_dpp v38, v32 row_shr:4 row_mask:0xf bank_mask:0xf
	v_cmp_lt_u32_e64 s[26:27], 3, v37
	v_mov_b32_dpp v39, v33 row_shr:4 row_mask:0xf bank_mask:0xf
	s_and_b64 s[24:25], s[26:27], s[24:25]
	v_cndmask_b32_e64 v37, 0, v38, s[26:27]
	v_add_u32_e32 v32, v37, v32
	v_cndmask_b32_e64 v37, 0, v39, s[24:25]
	v_add_u32_e32 v33, v37, v33
	ds_write_b64 v36, v[32:33] offset:8208
.LBB530_95:
	s_or_b64 exec, exec, s[28:29]
	v_cmp_lt_u32_e64 s[24:25], 63, v0
	v_mov_b32_e32 v37, 0
	v_mov_b32_e32 v32, 0
	s_waitcnt vmcnt(0)
	v_mov_b32_e32 v33, v34
	s_waitcnt lgkmcnt(0)
	s_barrier
	s_and_saveexec_b64 s[26:27], s[24:25]
	s_cbranch_execz .LBB530_97
; %bb.96:
	v_lshlrev_b32_e32 v32, 3, v70
	ds_read_b64 v[32:33], v32 offset:8200
	s_waitcnt lgkmcnt(0)
	v_cmp_eq_u32_e64 s[24:25], 0, v32
	s_nop 1
	v_cndmask_b32_e64 v36, 0, v34, s[24:25]
	v_add_u32_e32 v33, v36, v33
.LBB530_97:
	s_or_b64 exec, exec, s[26:27]
	v_cmp_eq_u32_e64 s[24:25], 0, v30
	v_add_u32_e32 v36, v32, v30
	v_and_b32_e32 v38, 64, v35
	v_cndmask_b32_e64 v30, 0, v33, s[24:25]
	v_add_u32_e32 v30, v30, v31
	v_add_u32_e32 v31, -1, v35
	v_cmp_lt_i32_e64 s[24:25], v31, v38
	v_cmp_eq_u32_e64 s[26:27], 0, v85
	s_nop 0
	v_cndmask_b32_e64 v31, v31, v35, s[24:25]
	v_lshlrev_b32_e32 v31, 2, v31
	ds_bpermute_b32 v36, v31, v36
	ds_bpermute_b32 v30, v31, v30
	v_cmp_eq_u32_e64 s[24:25], 0, v35
	s_waitcnt lgkmcnt(1)
	s_nop 0
	v_cndmask_b32_e64 v31, v36, v32, s[24:25]
	s_waitcnt lgkmcnt(0)
	v_cndmask_b32_e64 v30, v30, v33, s[24:25]
	v_cmp_eq_u32_e64 s[24:25], 0, v0
	s_nop 1
	v_cndmask_b32_e64 v67, v30, v34, s[24:25]
	v_cndmask_b32_e64 v30, 0, v67, s[26:27]
	v_add_u32_e32 v65, v30, v68
	v_cndmask_b32_e64 v30, 0, v65, s[0:1]
	v_add_u32_e32 v63, v30, v68
	;; [unrolled: 2-line block ×8, first 2 shown]
	v_cndmask_b32_e64 v66, v31, 0, s[24:25]
	v_cndmask_b32_e64 v30, 0, v51, s[14:15]
	v_add_u32_e32 v64, v66, v85
	v_add_u32_e32 v49, v30, v68
	v_add_u32_e32 v62, v64, v84
	v_cndmask_b32_e64 v30, 0, v49, s[16:17]
	v_add_u32_e32 v60, v62, v83
	v_add_u32_e32 v45, v30, v68
	v_add_u32_e32 v58, v60, v82
	;; [unrolled: 4-line block ×3, first 2 shown]
	v_cndmask_b32_e64 v30, 0, v43, s[20:21]
	v_add_u32_e32 v52, v54, v79
	v_add_u32_e32 v41, v30, v68
	ds_read_b64 v[30:31], v37 offset:8264
	v_add_u32_e32 v50, v52, v78
	v_add_u32_e32 v48, v50, v77
	;; [unrolled: 1-line block ×3, first 2 shown]
	v_cndmask_b32_e64 v32, 0, v41, s[22:23]
	v_add_u32_e32 v42, v44, v75
	v_add_u32_e32 v37, v32, v68
	;; [unrolled: 1-line block ×3, first 2 shown]
	v_cndmask_b32_e32 v32, 0, v37, vcc
	s_waitcnt lgkmcnt(0)
	v_cmp_eq_u32_e32 vcc, 0, v30
	v_add_u32_e32 v36, v40, v73
	v_add_u32_e32 v39, v32, v68
	v_cndmask_b32_e32 v32, 0, v34, vcc
	v_add_u32_e32 v38, v36, v72
	v_add_u32_e32 v34, v32, v31
	s_and_saveexec_b64 s[0:1], s[24:25]
	s_cbranch_execz .LBB530_99
; %bb.98:
	s_add_u32 s2, s36, 0x400
	v_and_b32_e32 v31, 0xff000000, v34
	v_and_b32_e32 v32, 0xff0000, v34
	s_addc_u32 s3, s37, 0
	v_or_b32_e32 v31, v32, v31
	v_and_b32_e32 v32, 0xff00, v34
	v_and_b32_e32 v35, 0xff, v34
	v_mov_b32_e32 v33, 0
	v_or3_b32 v31, v31, v32, v35
	v_mov_b32_e32 v32, 2
	v_mov_b64_e32 v[68:69], s[2:3]
	;;#ASMSTART
	global_store_dwordx4 v[68:69], v[30:33] off sc1	
s_waitcnt vmcnt(0)
	;;#ASMEND
.LBB530_99:
	s_or_b64 exec, exec, s[0:1]
	v_mov_b32_e32 v32, 0
.LBB530_100:
	s_and_b64 s[0:1], s[38:39], exec
	s_cselect_b32 s1, 0, s47
	s_cselect_b32 s0, 0, s46
	s_cmp_eq_u64 s[0:1], 0
	v_mov_b64_e32 v[68:69], 0
	s_waitcnt lgkmcnt(0)
	s_barrier
	s_cbranch_scc1 .LBB530_102
; %bb.101:
	v_mov_b32_e32 v31, 0
	global_load_dwordx2 v[68:69], v31, s[0:1]
.LBB530_102:
	v_cmp_eq_u32_e32 vcc, 0, v85
	s_movk_i32 s30, 0x200
	v_mov_b32_e32 v33, 0
	v_cndmask_b32_e64 v31, 1, 2, vcc
	v_cmp_eq_u32_e32 vcc, 0, v84
	v_cmp_ne_u32_e64 s[28:29], 0, v85
	v_cmp_ne_u32_e64 s[26:27], 0, v84
	v_cndmask_b32_e64 v35, 1, 2, vcc
	v_cmp_eq_u32_e32 vcc, 0, v83
	v_and_b32_e32 v31, v35, v31
	v_cmp_ne_u32_e64 s[24:25], 0, v83
	v_cndmask_b32_e64 v35, 1, 2, vcc
	v_cmp_eq_u32_e32 vcc, 0, v82
	v_and_b32_e32 v31, v31, v35
	;; [unrolled: 4-line block ×13, first 2 shown]
	v_cmp_ne_u32_e64 s[0:1], 0, v1
	v_cndmask_b32_e64 v35, 1, 2, vcc
	v_and_b32_e32 v31, v31, v35
	v_cmp_gt_u32_e32 vcc, s30, v30
	s_mov_b64 s[36:37], -1
	v_cmp_gt_i16_e64 s[30:31], 2, v31
	s_cbranch_vccz .LBB530_109
; %bb.103:
	s_and_saveexec_b64 s[36:37], s[30:31]
	s_cbranch_execz .LBB530_108
; %bb.104:
	s_waitcnt vmcnt(0)
	v_lshlrev_b64 v[70:71], 3, v[68:69]
	v_lshl_add_u64 v[70:71], s[40:41], 0, v[70:71]
	v_lshlrev_b64 v[86:87], 3, v[32:33]
	v_lshl_add_u64 v[70:71], v[70:71], 0, v[86:87]
	v_cmp_ne_u16_e32 vcc, 1, v31
	s_mov_b64 s[38:39], 0
	s_and_saveexec_b64 s[30:31], vcc
	s_xor_b64 s[30:31], exec, s[30:31]
	s_cbranch_execnz .LBB530_141
; %bb.105:
	s_andn2_saveexec_b64 s[30:31], s[30:31]
	s_cbranch_execnz .LBB530_157
.LBB530_106:
	s_or_b64 exec, exec, s[30:31]
	s_and_b64 exec, exec, s[38:39]
	s_cbranch_execz .LBB530_108
.LBB530_107:
	v_sub_u32_e32 v86, v38, v32
	v_mov_b32_e32 v87, 0
	v_lshl_add_u64 v[70:71], v[86:87], 3, v[70:71]
	global_store_dwordx2 v[70:71], v[46:47], off
.LBB530_108:
	s_or_b64 exec, exec, s[36:37]
	s_mov_b64 s[36:37], 0
.LBB530_109:
	s_and_b64 vcc, exec, s[36:37]
	s_cbranch_vccz .LBB530_119
; %bb.110:
	v_cmp_gt_i16_e32 vcc, 2, v31
	s_and_saveexec_b64 s[30:31], vcc
	s_cbranch_execz .LBB530_115
; %bb.111:
	v_cmp_ne_u16_e32 vcc, 1, v31
	s_mov_b64 s[38:39], 0
	s_and_saveexec_b64 s[36:37], vcc
	s_xor_b64 s[36:37], exec, s[36:37]
	s_cbranch_execnz .LBB530_158
; %bb.112:
	s_andn2_saveexec_b64 s[0:1], s[36:37]
	s_cbranch_execnz .LBB530_174
.LBB530_113:
	s_or_b64 exec, exec, s[0:1]
	s_and_b64 exec, exec, s[38:39]
	s_cbranch_execz .LBB530_115
.LBB530_114:
	v_sub_u32_e32 v2, v38, v32
	v_lshlrev_b32_e32 v2, 3, v2
	ds_write_b64 v2, v[46:47]
.LBB530_115:
	s_or_b64 exec, exec, s[30:31]
	v_cmp_lt_u32_e32 vcc, v0, v30
	s_waitcnt lgkmcnt(0)
	s_barrier
	s_and_saveexec_b64 s[0:1], vcc
	s_cbranch_execz .LBB530_118
; %bb.116:
	s_waitcnt vmcnt(0)
	v_lshlrev_b64 v[4:5], 3, v[68:69]
	v_lshlrev_b64 v[6:7], 3, v[32:33]
	v_lshl_add_u64 v[4:5], v[4:5], 0, v[6:7]
	v_lshlrev_b32_e32 v2, 3, v0
	v_mov_b32_e32 v3, 0
	v_lshl_add_u64 v[4:5], s[40:41], 0, v[4:5]
	v_lshl_add_u64 v[4:5], v[4:5], 0, v[2:3]
	s_mov_b64 s[2:3], 0
	s_mov_b64 s[4:5], 0x1000
	v_mov_b32_e32 v3, v0
.LBB530_117:                            ; =>This Inner Loop Header: Depth=1
	ds_read_b64 v[6:7], v2
	v_add_u32_e32 v3, 0x200, v3
	v_cmp_ge_u32_e32 vcc, v3, v30
	v_add_u32_e32 v2, 0x1000, v2
	s_or_b64 s[2:3], vcc, s[2:3]
	s_waitcnt lgkmcnt(0)
	global_store_dwordx2 v[4:5], v[6:7], off
	v_lshl_add_u64 v[4:5], v[4:5], 0, s[4:5]
	s_andn2_b64 exec, exec, s[2:3]
	s_cbranch_execnz .LBB530_117
.LBB530_118:
	s_or_b64 exec, exec, s[0:1]
.LBB530_119:
	s_cmpk_lg_i32 s33, 0x1e00
	s_cselect_b64 s[0:1], -1, 0
	v_cndmask_b32_e64 v10, 0, 1, s[48:49]
	s_and_b64 s[0:1], s[34:35], s[0:1]
	v_cmp_eq_u32_e32 vcc, 0, v0
	v_sub_u32_e32 v2, v30, v10
	v_cndmask_b32_e64 v3, 0, 1, s[0:1]
	s_and_b64 s[0:1], vcc, s[48:49]
	v_add_u32_e32 v12, v2, v3
	v_cndmask_b32_e64 v2, v85, 0, s[0:1]
	s_mul_hi_u32 s0, s33, 0x88888889
	s_lshr_b32 s0, s0, 3
	v_mad_i32_i24 v3, v0, -15, s33
	v_cmp_eq_u32_e32 vcc, s0, v0
	v_cmp_ne_u32_e64 s[0:1], 0, v3
	s_and_b64 vcc, s[34:35], vcc
	s_mov_b32 s2, 0
	v_cndmask_b32_e64 v4, 1, v2, s[0:1]
	v_cmp_ne_u32_e64 s[0:1], 1, v3
	v_cndmask_b32_e32 v27, v2, v4, vcc
	s_movk_i32 s30, 0x200
	v_cndmask_b32_e64 v5, 1, v84, s[0:1]
	v_cmp_ne_u32_e64 s[0:1], 2, v3
	v_cndmask_b32_e32 v26, v84, v5, vcc
	s_waitcnt vmcnt(0)
	v_lshlrev_b64 v[4:5], 3, v[68:69]
	v_cndmask_b32_e64 v6, 1, v83, s[0:1]
	v_cmp_ne_u32_e64 s[0:1], 3, v3
	v_cndmask_b32_e32 v25, v83, v6, vcc
	s_mov_b64 s[36:37], -1
	v_cndmask_b32_e64 v7, 1, v82, s[0:1]
	v_cmp_ne_u32_e64 s[0:1], 4, v3
	v_cndmask_b32_e32 v24, v82, v7, vcc
	v_lshlrev_b64 v[6:7], 3, v[32:33]
	v_cndmask_b32_e64 v8, 1, v81, s[0:1]
	v_cmp_ne_u32_e64 s[0:1], 5, v3
	v_cndmask_b32_e32 v23, v81, v8, vcc
	v_cmp_ne_u32_e64 s[28:29], 0, v27
	v_cndmask_b32_e64 v9, 1, v80, s[0:1]
	v_cmp_ne_u32_e64 s[0:1], 6, v3
	v_cndmask_b32_e32 v22, v80, v9, vcc
	v_cmp_ne_u32_e64 s[26:27], 0, v26
	v_cndmask_b32_e64 v11, 1, v79, s[0:1]
	v_cmp_ne_u32_e64 s[0:1], 7, v3
	v_cndmask_b32_e32 v21, v79, v11, vcc
	v_mov_b32_e32 v11, s2
	v_cndmask_b32_e64 v13, 1, v78, s[0:1]
	v_cmp_ne_u32_e64 s[0:1], 8, v3
	v_cndmask_b32_e32 v13, v78, v13, vcc
	v_lshl_add_u64 v[8:9], v[10:11], 0, -1
	v_cndmask_b32_e64 v14, 1, v77, s[0:1]
	v_cmp_ne_u32_e64 s[0:1], 9, v3
	v_cndmask_b32_e32 v14, v77, v14, vcc
	v_cmp_ne_u32_e64 s[14:15], 0, v13
	v_cndmask_b32_e64 v15, 1, v76, s[0:1]
	v_cmp_ne_u32_e64 s[0:1], 10, v3
	v_cndmask_b32_e32 v15, v76, v15, vcc
	v_cmp_ne_u32_e64 s[24:25], 0, v25
	;; [unrolled: 4-line block ×6, first 2 shown]
	v_cndmask_b32_e64 v3, 1, v1, s[0:1]
	v_cndmask_b32_e32 v20, v1, v3, vcc
	v_cmp_eq_u32_e32 vcc, 0, v27
	v_add_u32_e32 v1, v32, v10
	v_lshl_add_u64 v[2:3], s[42:43], 0, v[4:5]
	v_cndmask_b32_e64 v10, 1, 2, vcc
	v_cmp_eq_u32_e32 vcc, 0, v26
	v_lshl_add_u64 v[2:3], v[2:3], 0, v[6:7]
	v_cmp_ne_u32_e64 s[12:13], 0, v14
	v_cndmask_b32_e64 v11, 1, 2, vcc
	v_cmp_eq_u32_e32 vcc, 0, v25
	v_and_b32_e32 v10, v11, v10
	v_cmp_ne_u32_e64 s[10:11], 0, v15
	v_cndmask_b32_e64 v11, 1, 2, vcc
	v_cmp_eq_u32_e32 vcc, 0, v24
	v_and_b32_e32 v10, v10, v11
	;; [unrolled: 4-line block ×7, first 2 shown]
	s_nop 0
	v_cndmask_b32_e64 v11, 1, 2, vcc
	v_cmp_eq_u32_e32 vcc, 0, v15
	v_and_b32_e32 v10, v10, v11
	s_barrier
	v_cndmask_b32_e64 v11, 1, 2, vcc
	v_cmp_eq_u32_e32 vcc, 0, v16
	v_and_b32_e32 v10, v10, v11
	s_nop 0
	v_cndmask_b32_e64 v11, 1, 2, vcc
	v_cmp_eq_u32_e32 vcc, 0, v17
	v_and_b32_e32 v10, v10, v11
	s_nop 0
	;; [unrolled: 4-line block ×5, first 2 shown]
	v_cndmask_b32_e64 v11, 1, 2, vcc
	v_and_b32_e32 v13, v10, v11
	v_cmp_gt_u32_e32 vcc, s30, v12
	v_cmp_gt_i16_e64 s[30:31], 2, v13
	s_cbranch_vccz .LBB530_126
; %bb.120:
	s_and_saveexec_b64 s[36:37], s[30:31]
	s_cbranch_execz .LBB530_125
; %bb.121:
	v_lshlrev_b64 v[10:11], 3, v[8:9]
	v_lshl_add_u64 v[10:11], v[2:3], 0, v[10:11]
	v_cmp_ne_u16_e32 vcc, 1, v13
	s_mov_b64 s[38:39], 0
	s_and_saveexec_b64 s[30:31], vcc
	s_xor_b64 s[30:31], exec, s[30:31]
	s_cbranch_execnz .LBB530_175
; %bb.122:
	s_andn2_saveexec_b64 s[30:31], s[30:31]
	s_cbranch_execnz .LBB530_191
.LBB530_123:
	s_or_b64 exec, exec, s[30:31]
	s_and_b64 exec, exec, s[38:39]
	s_cbranch_execz .LBB530_125
.LBB530_124:
	v_mov_b32_e32 v15, 0
	v_sub_u32_e32 v16, v38, v1
	v_mov_b32_e32 v17, v15
	v_mov_b32_e32 v14, v39
	v_lshl_add_u64 v[10:11], v[16:17], 3, v[10:11]
	global_store_dwordx2 v[10:11], v[14:15], off
.LBB530_125:
	s_or_b64 exec, exec, s[36:37]
	s_mov_b64 s[36:37], 0
.LBB530_126:
	s_and_b64 vcc, exec, s[36:37]
	s_cbranch_vccz .LBB530_136
; %bb.127:
	v_cmp_gt_i16_e32 vcc, 2, v13
	s_and_saveexec_b64 s[30:31], vcc
	s_cbranch_execz .LBB530_132
; %bb.128:
	v_cmp_ne_u16_e32 vcc, 1, v13
	s_mov_b64 s[38:39], 0
	s_and_saveexec_b64 s[36:37], vcc
	s_xor_b64 s[36:37], exec, s[36:37]
	s_cbranch_execnz .LBB530_192
; %bb.129:
	s_andn2_saveexec_b64 s[0:1], s[36:37]
	s_cbranch_execnz .LBB530_208
.LBB530_130:
	s_or_b64 exec, exec, s[0:1]
	s_and_b64 exec, exec, s[38:39]
	s_cbranch_execz .LBB530_132
.LBB530_131:
	v_sub_u32_e32 v1, v38, v1
	v_lshlrev_b32_e32 v1, 2, v1
	ds_write_b32 v1, v39
.LBB530_132:
	s_or_b64 exec, exec, s[30:31]
	v_cmp_lt_u32_e32 vcc, v0, v12
	s_waitcnt lgkmcnt(0)
	s_barrier
	s_and_saveexec_b64 s[0:1], vcc
	s_cbranch_execz .LBB530_135
; %bb.133:
	v_lshlrev_b64 v[8:9], 3, v[8:9]
	v_lshl_add_u64 v[4:5], v[4:5], 0, v[8:9]
	v_lshl_add_u64 v[6:7], v[4:5], 0, v[6:7]
	v_lshlrev_b32_e32 v4, 3, v0
	v_mov_b32_e32 v5, 0
	v_lshl_add_u64 v[6:7], s[42:43], 0, v[6:7]
	v_lshlrev_b32_e32 v1, 2, v0
	v_lshl_add_u64 v[6:7], v[6:7], 0, v[4:5]
	s_mov_b64 s[2:3], 0
	s_mov_b64 s[4:5], 0x1000
	v_mov_b32_e32 v8, v0
.LBB530_134:                            ; =>This Inner Loop Header: Depth=1
	ds_read_b32 v4, v1
	v_add_u32_e32 v8, 0x200, v8
	v_cmp_ge_u32_e32 vcc, v8, v12
	v_add_u32_e32 v1, 0x800, v1
	s_or_b64 s[2:3], vcc, s[2:3]
	s_waitcnt lgkmcnt(0)
	global_store_dwordx2 v[6:7], v[4:5], off
	v_lshl_add_u64 v[6:7], v[6:7], 0, s[4:5]
	s_andn2_b64 exec, exec, s[2:3]
	s_cbranch_execnz .LBB530_134
.LBB530_135:
	s_or_b64 exec, exec, s[0:1]
.LBB530_136:
	s_movk_i32 s0, 0x1ff
	v_cmp_eq_u32_e32 vcc, s0, v0
	s_and_b64 s[0:1], vcc, s[34:35]
	s_and_saveexec_b64 s[2:3], s[0:1]
	s_cbranch_execz .LBB530_139
; %bb.137:
	v_mov_b32_e32 v31, 0
	v_lshl_add_u64 v[0:1], v[30:31], 0, v[32:33]
	v_lshl_add_u64 v[0:1], v[0:1], 0, v[68:69]
	s_cmpk_lg_i32 s33, 0x1e00
	global_store_dwordx2 v31, v[0:1], s[44:45]
	s_cbranch_scc1 .LBB530_139
; %bb.138:
	v_lshlrev_b64 v[0:1], 3, v[30:31]
	v_mov_b32_e32 v35, v31
	v_lshl_add_u64 v[0:1], v[2:3], 0, v[0:1]
	global_store_dwordx2 v[0:1], v[34:35], off offset:-8
.LBB530_139:
	s_endpgm
.LBB530_140:
	s_or_b64 exec, exec, s[10:11]
	v_mov_b32_e32 v85, s3
	s_and_saveexec_b64 s[8:9], s[6:7]
	s_cbranch_execnz .LBB530_56
	s_branch .LBB530_57
.LBB530_141:
	s_and_saveexec_b64 s[38:39], s[28:29]
	s_cbranch_execnz .LBB530_209
; %bb.142:
	s_or_b64 exec, exec, s[38:39]
	s_and_saveexec_b64 s[38:39], s[26:27]
	s_cbranch_execnz .LBB530_210
.LBB530_143:
	s_or_b64 exec, exec, s[38:39]
	s_and_saveexec_b64 s[38:39], s[24:25]
	s_cbranch_execnz .LBB530_211
.LBB530_144:
	s_or_b64 exec, exec, s[38:39]
	s_and_saveexec_b64 s[38:39], s[22:23]
	s_cbranch_execnz .LBB530_212
.LBB530_145:
	s_or_b64 exec, exec, s[38:39]
	s_and_saveexec_b64 s[38:39], s[20:21]
	s_cbranch_execnz .LBB530_213
.LBB530_146:
	s_or_b64 exec, exec, s[38:39]
	s_and_saveexec_b64 s[38:39], s[18:19]
	s_cbranch_execnz .LBB530_214
.LBB530_147:
	s_or_b64 exec, exec, s[38:39]
	s_and_saveexec_b64 s[38:39], s[16:17]
	s_cbranch_execnz .LBB530_215
.LBB530_148:
	s_or_b64 exec, exec, s[38:39]
	s_and_saveexec_b64 s[38:39], s[14:15]
	s_cbranch_execnz .LBB530_216
.LBB530_149:
	s_or_b64 exec, exec, s[38:39]
	s_and_saveexec_b64 s[38:39], s[12:13]
	s_cbranch_execnz .LBB530_217
.LBB530_150:
	s_or_b64 exec, exec, s[38:39]
	s_and_saveexec_b64 s[38:39], s[10:11]
	s_cbranch_execnz .LBB530_218
.LBB530_151:
	s_or_b64 exec, exec, s[38:39]
	s_and_saveexec_b64 s[38:39], s[8:9]
	s_cbranch_execnz .LBB530_219
.LBB530_152:
	s_or_b64 exec, exec, s[38:39]
	s_and_saveexec_b64 s[38:39], s[6:7]
	s_cbranch_execnz .LBB530_220
.LBB530_153:
	s_or_b64 exec, exec, s[38:39]
	s_and_saveexec_b64 s[38:39], s[4:5]
	s_cbranch_execnz .LBB530_221
.LBB530_154:
	s_or_b64 exec, exec, s[38:39]
	s_and_saveexec_b64 s[38:39], s[2:3]
	s_cbranch_execz .LBB530_156
.LBB530_155:
	v_sub_u32_e32 v86, v36, v32
	v_mov_b32_e32 v87, 0
	v_lshl_add_u64 v[86:87], v[86:87], 3, v[70:71]
	global_store_dwordx2 v[86:87], v[8:9], off
.LBB530_156:
	s_or_b64 exec, exec, s[38:39]
	s_and_b64 s[38:39], s[0:1], exec
	s_andn2_saveexec_b64 s[30:31], s[30:31]
	s_cbranch_execz .LBB530_106
.LBB530_157:
	v_sub_u32_e32 v86, v66, v32
	v_mov_b32_e32 v87, 0
	v_lshl_add_u64 v[88:89], v[86:87], 3, v[70:71]
	v_sub_u32_e32 v86, v64, v32
	global_store_dwordx2 v[88:89], v[26:27], off
	v_lshl_add_u64 v[88:89], v[86:87], 3, v[70:71]
	v_sub_u32_e32 v86, v62, v32
	global_store_dwordx2 v[88:89], v[28:29], off
	;; [unrolled: 3-line block ×12, first 2 shown]
	v_lshl_add_u64 v[88:89], v[86:87], 3, v[70:71]
	v_sub_u32_e32 v86, v36, v32
	v_lshl_add_u64 v[86:87], v[86:87], 3, v[70:71]
	s_or_b64 s[38:39], s[38:39], exec
	global_store_dwordx2 v[88:89], v[6:7], off
	global_store_dwordx2 v[86:87], v[8:9], off
	s_or_b64 exec, exec, s[30:31]
	s_and_b64 exec, exec, s[38:39]
	s_cbranch_execnz .LBB530_107
	s_branch .LBB530_108
.LBB530_158:
	s_and_saveexec_b64 s[38:39], s[28:29]
	s_cbranch_execnz .LBB530_222
; %bb.159:
	s_or_b64 exec, exec, s[38:39]
	s_and_saveexec_b64 s[28:29], s[26:27]
	s_cbranch_execnz .LBB530_223
.LBB530_160:
	s_or_b64 exec, exec, s[28:29]
	s_and_saveexec_b64 s[26:27], s[24:25]
	s_cbranch_execnz .LBB530_224
.LBB530_161:
	s_or_b64 exec, exec, s[26:27]
	s_and_saveexec_b64 s[24:25], s[22:23]
	s_cbranch_execnz .LBB530_225
.LBB530_162:
	s_or_b64 exec, exec, s[24:25]
	s_and_saveexec_b64 s[22:23], s[20:21]
	s_cbranch_execnz .LBB530_226
.LBB530_163:
	s_or_b64 exec, exec, s[22:23]
	s_and_saveexec_b64 s[20:21], s[18:19]
	s_cbranch_execnz .LBB530_227
.LBB530_164:
	s_or_b64 exec, exec, s[20:21]
	s_and_saveexec_b64 s[18:19], s[16:17]
	s_cbranch_execnz .LBB530_228
.LBB530_165:
	s_or_b64 exec, exec, s[18:19]
	s_and_saveexec_b64 s[16:17], s[14:15]
	s_cbranch_execnz .LBB530_229
.LBB530_166:
	s_or_b64 exec, exec, s[16:17]
	s_and_saveexec_b64 s[14:15], s[12:13]
	s_cbranch_execnz .LBB530_230
.LBB530_167:
	s_or_b64 exec, exec, s[14:15]
	s_and_saveexec_b64 s[12:13], s[10:11]
	s_cbranch_execnz .LBB530_231
.LBB530_168:
	s_or_b64 exec, exec, s[12:13]
	s_and_saveexec_b64 s[10:11], s[8:9]
	s_cbranch_execnz .LBB530_232
.LBB530_169:
	s_or_b64 exec, exec, s[10:11]
	s_and_saveexec_b64 s[8:9], s[6:7]
	s_cbranch_execnz .LBB530_233
.LBB530_170:
	s_or_b64 exec, exec, s[8:9]
	s_and_saveexec_b64 s[6:7], s[4:5]
	s_cbranch_execnz .LBB530_234
.LBB530_171:
	s_or_b64 exec, exec, s[6:7]
	s_and_saveexec_b64 s[4:5], s[2:3]
	s_cbranch_execz .LBB530_173
.LBB530_172:
	v_sub_u32_e32 v2, v36, v32
	v_lshlrev_b32_e32 v2, 3, v2
	ds_write_b64 v2, v[8:9]
.LBB530_173:
	s_or_b64 exec, exec, s[4:5]
	s_and_b64 s[38:39], s[0:1], exec
                                        ; implicit-def: $vgpr8_vgpr9
                                        ; implicit-def: $vgpr4_vgpr5
                                        ; implicit-def: $vgpr12_vgpr13
                                        ; implicit-def: $vgpr16_vgpr17
                                        ; implicit-def: $vgpr20_vgpr21
                                        ; implicit-def: $vgpr24_vgpr25
                                        ; implicit-def: $vgpr28_vgpr29
	s_andn2_saveexec_b64 s[0:1], s[36:37]
	s_cbranch_execz .LBB530_113
.LBB530_174:
	v_sub_u32_e32 v31, v66, v32
	v_lshlrev_b32_e32 v31, 3, v31
	ds_write_b64 v31, v[26:27]
	v_sub_u32_e32 v26, v64, v32
	v_lshlrev_b32_e32 v26, 3, v26
	ds_write_b64 v26, v[28:29]
	;; [unrolled: 3-line block ×13, first 2 shown]
	v_sub_u32_e32 v2, v36, v32
	v_lshlrev_b32_e32 v2, 3, v2
	s_or_b64 s[38:39], s[38:39], exec
	ds_write_b64 v2, v[8:9]
	s_or_b64 exec, exec, s[0:1]
	s_and_b64 exec, exec, s[38:39]
	s_cbranch_execnz .LBB530_114
	s_branch .LBB530_115
.LBB530_175:
	s_and_saveexec_b64 s[38:39], s[28:29]
	s_cbranch_execnz .LBB530_235
; %bb.176:
	s_or_b64 exec, exec, s[38:39]
	s_and_saveexec_b64 s[38:39], s[26:27]
	s_cbranch_execnz .LBB530_236
.LBB530_177:
	s_or_b64 exec, exec, s[38:39]
	s_and_saveexec_b64 s[38:39], s[24:25]
	s_cbranch_execnz .LBB530_237
.LBB530_178:
	s_or_b64 exec, exec, s[38:39]
	s_and_saveexec_b64 s[38:39], s[22:23]
	s_cbranch_execnz .LBB530_238
.LBB530_179:
	s_or_b64 exec, exec, s[38:39]
	s_and_saveexec_b64 s[38:39], s[20:21]
	s_cbranch_execnz .LBB530_239
.LBB530_180:
	s_or_b64 exec, exec, s[38:39]
	s_and_saveexec_b64 s[38:39], s[18:19]
	s_cbranch_execnz .LBB530_240
.LBB530_181:
	s_or_b64 exec, exec, s[38:39]
	s_and_saveexec_b64 s[38:39], s[16:17]
	s_cbranch_execnz .LBB530_241
.LBB530_182:
	s_or_b64 exec, exec, s[38:39]
	s_and_saveexec_b64 s[38:39], s[14:15]
	s_cbranch_execnz .LBB530_242
.LBB530_183:
	s_or_b64 exec, exec, s[38:39]
	s_and_saveexec_b64 s[38:39], s[12:13]
	s_cbranch_execnz .LBB530_243
.LBB530_184:
	s_or_b64 exec, exec, s[38:39]
	s_and_saveexec_b64 s[38:39], s[10:11]
	s_cbranch_execnz .LBB530_244
.LBB530_185:
	s_or_b64 exec, exec, s[38:39]
	s_and_saveexec_b64 s[38:39], s[8:9]
	s_cbranch_execnz .LBB530_245
.LBB530_186:
	s_or_b64 exec, exec, s[38:39]
	s_and_saveexec_b64 s[38:39], s[6:7]
	s_cbranch_execnz .LBB530_246
.LBB530_187:
	s_or_b64 exec, exec, s[38:39]
	s_and_saveexec_b64 s[38:39], s[4:5]
	s_cbranch_execnz .LBB530_247
.LBB530_188:
	s_or_b64 exec, exec, s[38:39]
	s_and_saveexec_b64 s[38:39], s[2:3]
	s_cbranch_execz .LBB530_190
.LBB530_189:
	v_sub_u32_e32 v14, v36, v1
	v_mov_b32_e32 v15, 0
	v_lshl_add_u64 v[16:17], v[14:15], 3, v[10:11]
	v_mov_b32_e32 v14, v37
	global_store_dwordx2 v[16:17], v[14:15], off
.LBB530_190:
	s_or_b64 exec, exec, s[38:39]
	s_and_b64 s[38:39], s[0:1], exec
	s_andn2_saveexec_b64 s[30:31], s[30:31]
	s_cbranch_execz .LBB530_123
.LBB530_191:
	v_mov_b32_e32 v15, 0
	v_sub_u32_e32 v16, v66, v1
	v_mov_b32_e32 v17, v15
	v_mov_b32_e32 v14, v67
	v_lshl_add_u64 v[16:17], v[16:17], 3, v[10:11]
	global_store_dwordx2 v[16:17], v[14:15], off
	v_sub_u32_e32 v16, v64, v1
	v_mov_b32_e32 v17, v15
	v_mov_b32_e32 v14, v65
	v_lshl_add_u64 v[16:17], v[16:17], 3, v[10:11]
	global_store_dwordx2 v[16:17], v[14:15], off
	;; [unrolled: 5-line block ×13, first 2 shown]
	v_sub_u32_e32 v16, v36, v1
	v_mov_b32_e32 v17, v15
	v_mov_b32_e32 v14, v37
	v_lshl_add_u64 v[16:17], v[16:17], 3, v[10:11]
	s_or_b64 s[38:39], s[38:39], exec
	global_store_dwordx2 v[16:17], v[14:15], off
	s_or_b64 exec, exec, s[30:31]
	s_and_b64 exec, exec, s[38:39]
	s_cbranch_execnz .LBB530_124
	s_branch .LBB530_125
.LBB530_192:
	s_and_saveexec_b64 s[38:39], s[28:29]
	s_cbranch_execnz .LBB530_248
; %bb.193:
	s_or_b64 exec, exec, s[38:39]
	s_and_saveexec_b64 s[28:29], s[26:27]
	s_cbranch_execnz .LBB530_249
.LBB530_194:
	s_or_b64 exec, exec, s[28:29]
	s_and_saveexec_b64 s[26:27], s[24:25]
	s_cbranch_execnz .LBB530_250
.LBB530_195:
	s_or_b64 exec, exec, s[26:27]
	s_and_saveexec_b64 s[24:25], s[22:23]
	s_cbranch_execnz .LBB530_251
.LBB530_196:
	s_or_b64 exec, exec, s[24:25]
	s_and_saveexec_b64 s[22:23], s[20:21]
	s_cbranch_execnz .LBB530_252
.LBB530_197:
	s_or_b64 exec, exec, s[22:23]
	s_and_saveexec_b64 s[20:21], s[18:19]
	s_cbranch_execnz .LBB530_253
.LBB530_198:
	s_or_b64 exec, exec, s[20:21]
	s_and_saveexec_b64 s[18:19], s[16:17]
	s_cbranch_execnz .LBB530_254
.LBB530_199:
	s_or_b64 exec, exec, s[18:19]
	s_and_saveexec_b64 s[16:17], s[14:15]
	s_cbranch_execnz .LBB530_255
.LBB530_200:
	s_or_b64 exec, exec, s[16:17]
	s_and_saveexec_b64 s[14:15], s[12:13]
	s_cbranch_execnz .LBB530_256
.LBB530_201:
	s_or_b64 exec, exec, s[14:15]
	s_and_saveexec_b64 s[12:13], s[10:11]
	s_cbranch_execnz .LBB530_257
.LBB530_202:
	s_or_b64 exec, exec, s[12:13]
	s_and_saveexec_b64 s[10:11], s[8:9]
	s_cbranch_execnz .LBB530_258
.LBB530_203:
	s_or_b64 exec, exec, s[10:11]
	s_and_saveexec_b64 s[8:9], s[6:7]
	s_cbranch_execnz .LBB530_259
.LBB530_204:
	s_or_b64 exec, exec, s[8:9]
	s_and_saveexec_b64 s[6:7], s[4:5]
	s_cbranch_execnz .LBB530_260
.LBB530_205:
	s_or_b64 exec, exec, s[6:7]
	s_and_saveexec_b64 s[4:5], s[2:3]
	s_cbranch_execz .LBB530_207
.LBB530_206:
	v_sub_u32_e32 v10, v36, v1
	v_lshlrev_b32_e32 v10, 2, v10
	ds_write_b32 v10, v37
.LBB530_207:
	s_or_b64 exec, exec, s[4:5]
	s_and_b64 s[38:39], s[0:1], exec
                                        ; implicit-def: $vgpr36_vgpr37
                                        ; implicit-def: $vgpr40_vgpr41
                                        ; implicit-def: $vgpr42_vgpr43
                                        ; implicit-def: $vgpr66_vgpr67
                                        ; implicit-def: $vgpr64_vgpr65
                                        ; implicit-def: $vgpr62_vgpr63
                                        ; implicit-def: $vgpr60_vgpr61
                                        ; implicit-def: $vgpr58_vgpr59
                                        ; implicit-def: $vgpr56_vgpr57
                                        ; implicit-def: $vgpr54_vgpr55
                                        ; implicit-def: $vgpr52_vgpr53
                                        ; implicit-def: $vgpr50_vgpr51
                                        ; implicit-def: $vgpr48_vgpr49
                                        ; implicit-def: $vgpr44_vgpr45
	s_andn2_saveexec_b64 s[0:1], s[36:37]
	s_cbranch_execz .LBB530_130
.LBB530_208:
	v_sub_u32_e32 v10, v66, v1
	v_lshlrev_b32_e32 v10, 2, v10
	ds_write_b32 v10, v67
	v_sub_u32_e32 v10, v64, v1
	v_lshlrev_b32_e32 v10, 2, v10
	ds_write_b32 v10, v65
	v_sub_u32_e32 v10, v62, v1
	v_lshlrev_b32_e32 v10, 2, v10
	ds_write_b32 v10, v63
	v_sub_u32_e32 v10, v60, v1
	v_lshlrev_b32_e32 v10, 2, v10
	ds_write_b32 v10, v61
	v_sub_u32_e32 v10, v58, v1
	v_lshlrev_b32_e32 v10, 2, v10
	ds_write_b32 v10, v59
	v_sub_u32_e32 v10, v56, v1
	v_lshlrev_b32_e32 v10, 2, v10
	ds_write_b32 v10, v57
	v_sub_u32_e32 v10, v54, v1
	v_lshlrev_b32_e32 v10, 2, v10
	ds_write_b32 v10, v55
	v_sub_u32_e32 v10, v52, v1
	v_lshlrev_b32_e32 v10, 2, v10
	ds_write_b32 v10, v53
	v_sub_u32_e32 v10, v50, v1
	v_lshlrev_b32_e32 v10, 2, v10
	ds_write_b32 v10, v51
	v_sub_u32_e32 v10, v48, v1
	v_lshlrev_b32_e32 v10, 2, v10
	ds_write_b32 v10, v49
	v_sub_u32_e32 v10, v44, v1
	v_lshlrev_b32_e32 v10, 2, v10
	ds_write_b32 v10, v45
	v_sub_u32_e32 v10, v42, v1
	v_lshlrev_b32_e32 v10, 2, v10
	ds_write_b32 v10, v43
	v_sub_u32_e32 v10, v40, v1
	v_lshlrev_b32_e32 v10, 2, v10
	ds_write_b32 v10, v41
	v_sub_u32_e32 v10, v36, v1
	v_lshlrev_b32_e32 v10, 2, v10
	s_or_b64 s[38:39], s[38:39], exec
	ds_write_b32 v10, v37
	s_or_b64 exec, exec, s[0:1]
	s_and_b64 exec, exec, s[38:39]
	s_cbranch_execnz .LBB530_131
	s_branch .LBB530_132
.LBB530_209:
	v_sub_u32_e32 v86, v66, v32
	v_mov_b32_e32 v87, 0
	v_lshl_add_u64 v[86:87], v[86:87], 3, v[70:71]
	global_store_dwordx2 v[86:87], v[26:27], off
	s_or_b64 exec, exec, s[38:39]
	s_and_saveexec_b64 s[38:39], s[26:27]
	s_cbranch_execz .LBB530_143
.LBB530_210:
	v_sub_u32_e32 v86, v64, v32
	v_mov_b32_e32 v87, 0
	v_lshl_add_u64 v[86:87], v[86:87], 3, v[70:71]
	global_store_dwordx2 v[86:87], v[28:29], off
	s_or_b64 exec, exec, s[38:39]
	s_and_saveexec_b64 s[38:39], s[24:25]
	s_cbranch_execz .LBB530_144
.LBB530_211:
	v_sub_u32_e32 v86, v62, v32
	v_mov_b32_e32 v87, 0
	v_lshl_add_u64 v[86:87], v[86:87], 3, v[70:71]
	global_store_dwordx2 v[86:87], v[22:23], off
	s_or_b64 exec, exec, s[38:39]
	s_and_saveexec_b64 s[38:39], s[22:23]
	s_cbranch_execz .LBB530_145
.LBB530_212:
	v_sub_u32_e32 v86, v60, v32
	v_mov_b32_e32 v87, 0
	v_lshl_add_u64 v[86:87], v[86:87], 3, v[70:71]
	global_store_dwordx2 v[86:87], v[24:25], off
	s_or_b64 exec, exec, s[38:39]
	s_and_saveexec_b64 s[38:39], s[20:21]
	s_cbranch_execz .LBB530_146
.LBB530_213:
	v_sub_u32_e32 v86, v58, v32
	v_mov_b32_e32 v87, 0
	v_lshl_add_u64 v[86:87], v[86:87], 3, v[70:71]
	global_store_dwordx2 v[86:87], v[18:19], off
	s_or_b64 exec, exec, s[38:39]
	s_and_saveexec_b64 s[38:39], s[18:19]
	s_cbranch_execz .LBB530_147
.LBB530_214:
	v_sub_u32_e32 v86, v56, v32
	v_mov_b32_e32 v87, 0
	v_lshl_add_u64 v[86:87], v[86:87], 3, v[70:71]
	global_store_dwordx2 v[86:87], v[20:21], off
	s_or_b64 exec, exec, s[38:39]
	s_and_saveexec_b64 s[38:39], s[16:17]
	s_cbranch_execz .LBB530_148
.LBB530_215:
	v_sub_u32_e32 v86, v54, v32
	v_mov_b32_e32 v87, 0
	v_lshl_add_u64 v[86:87], v[86:87], 3, v[70:71]
	global_store_dwordx2 v[86:87], v[14:15], off
	s_or_b64 exec, exec, s[38:39]
	s_and_saveexec_b64 s[38:39], s[14:15]
	s_cbranch_execz .LBB530_149
.LBB530_216:
	v_sub_u32_e32 v86, v52, v32
	v_mov_b32_e32 v87, 0
	v_lshl_add_u64 v[86:87], v[86:87], 3, v[70:71]
	global_store_dwordx2 v[86:87], v[16:17], off
	s_or_b64 exec, exec, s[38:39]
	s_and_saveexec_b64 s[38:39], s[12:13]
	s_cbranch_execz .LBB530_150
.LBB530_217:
	v_sub_u32_e32 v86, v50, v32
	v_mov_b32_e32 v87, 0
	v_lshl_add_u64 v[86:87], v[86:87], 3, v[70:71]
	global_store_dwordx2 v[86:87], v[10:11], off
	s_or_b64 exec, exec, s[38:39]
	s_and_saveexec_b64 s[38:39], s[10:11]
	s_cbranch_execz .LBB530_151
.LBB530_218:
	v_sub_u32_e32 v86, v48, v32
	v_mov_b32_e32 v87, 0
	v_lshl_add_u64 v[86:87], v[86:87], 3, v[70:71]
	global_store_dwordx2 v[86:87], v[12:13], off
	s_or_b64 exec, exec, s[38:39]
	s_and_saveexec_b64 s[38:39], s[8:9]
	s_cbranch_execz .LBB530_152
.LBB530_219:
	v_sub_u32_e32 v86, v44, v32
	v_mov_b32_e32 v87, 0
	v_lshl_add_u64 v[86:87], v[86:87], 3, v[70:71]
	global_store_dwordx2 v[86:87], v[2:3], off
	s_or_b64 exec, exec, s[38:39]
	s_and_saveexec_b64 s[38:39], s[6:7]
	s_cbranch_execz .LBB530_153
.LBB530_220:
	v_sub_u32_e32 v86, v42, v32
	v_mov_b32_e32 v87, 0
	v_lshl_add_u64 v[86:87], v[86:87], 3, v[70:71]
	global_store_dwordx2 v[86:87], v[4:5], off
	s_or_b64 exec, exec, s[38:39]
	s_and_saveexec_b64 s[38:39], s[4:5]
	s_cbranch_execz .LBB530_154
.LBB530_221:
	v_sub_u32_e32 v86, v40, v32
	v_mov_b32_e32 v87, 0
	v_lshl_add_u64 v[86:87], v[86:87], 3, v[70:71]
	global_store_dwordx2 v[86:87], v[6:7], off
	s_or_b64 exec, exec, s[38:39]
	s_and_saveexec_b64 s[38:39], s[2:3]
	s_cbranch_execnz .LBB530_155
	s_branch .LBB530_156
.LBB530_222:
	v_sub_u32_e32 v31, v66, v32
	v_lshlrev_b32_e32 v31, 3, v31
	ds_write_b64 v31, v[26:27]
	s_or_b64 exec, exec, s[38:39]
	s_and_saveexec_b64 s[28:29], s[26:27]
	s_cbranch_execz .LBB530_160
.LBB530_223:
	v_sub_u32_e32 v26, v64, v32
	v_lshlrev_b32_e32 v26, 3, v26
	ds_write_b64 v26, v[28:29]
	s_or_b64 exec, exec, s[28:29]
	s_and_saveexec_b64 s[26:27], s[24:25]
	s_cbranch_execz .LBB530_161
.LBB530_224:
	v_sub_u32_e32 v26, v62, v32
	v_lshlrev_b32_e32 v26, 3, v26
	ds_write_b64 v26, v[22:23]
	s_or_b64 exec, exec, s[26:27]
	s_and_saveexec_b64 s[24:25], s[22:23]
	s_cbranch_execz .LBB530_162
.LBB530_225:
	v_sub_u32_e32 v22, v60, v32
	v_lshlrev_b32_e32 v22, 3, v22
	ds_write_b64 v22, v[24:25]
	s_or_b64 exec, exec, s[24:25]
	s_and_saveexec_b64 s[22:23], s[20:21]
	s_cbranch_execz .LBB530_163
.LBB530_226:
	v_sub_u32_e32 v22, v58, v32
	v_lshlrev_b32_e32 v22, 3, v22
	ds_write_b64 v22, v[18:19]
	s_or_b64 exec, exec, s[22:23]
	s_and_saveexec_b64 s[20:21], s[18:19]
	s_cbranch_execz .LBB530_164
.LBB530_227:
	v_sub_u32_e32 v18, v56, v32
	v_lshlrev_b32_e32 v18, 3, v18
	ds_write_b64 v18, v[20:21]
	s_or_b64 exec, exec, s[20:21]
	s_and_saveexec_b64 s[18:19], s[16:17]
	s_cbranch_execz .LBB530_165
.LBB530_228:
	v_sub_u32_e32 v18, v54, v32
	v_lshlrev_b32_e32 v18, 3, v18
	ds_write_b64 v18, v[14:15]
	s_or_b64 exec, exec, s[18:19]
	s_and_saveexec_b64 s[16:17], s[14:15]
	s_cbranch_execz .LBB530_166
.LBB530_229:
	v_sub_u32_e32 v14, v52, v32
	v_lshlrev_b32_e32 v14, 3, v14
	ds_write_b64 v14, v[16:17]
	s_or_b64 exec, exec, s[16:17]
	s_and_saveexec_b64 s[14:15], s[12:13]
	s_cbranch_execz .LBB530_167
.LBB530_230:
	v_sub_u32_e32 v14, v50, v32
	v_lshlrev_b32_e32 v14, 3, v14
	ds_write_b64 v14, v[10:11]
	s_or_b64 exec, exec, s[14:15]
	s_and_saveexec_b64 s[12:13], s[10:11]
	s_cbranch_execz .LBB530_168
.LBB530_231:
	v_sub_u32_e32 v10, v48, v32
	v_lshlrev_b32_e32 v10, 3, v10
	ds_write_b64 v10, v[12:13]
	s_or_b64 exec, exec, s[12:13]
	s_and_saveexec_b64 s[10:11], s[8:9]
	s_cbranch_execz .LBB530_169
.LBB530_232:
	v_sub_u32_e32 v10, v44, v32
	v_lshlrev_b32_e32 v10, 3, v10
	ds_write_b64 v10, v[2:3]
	s_or_b64 exec, exec, s[10:11]
	s_and_saveexec_b64 s[8:9], s[6:7]
	s_cbranch_execz .LBB530_170
.LBB530_233:
	v_sub_u32_e32 v2, v42, v32
	v_lshlrev_b32_e32 v2, 3, v2
	ds_write_b64 v2, v[4:5]
	s_or_b64 exec, exec, s[8:9]
	s_and_saveexec_b64 s[6:7], s[4:5]
	s_cbranch_execz .LBB530_171
.LBB530_234:
	v_sub_u32_e32 v2, v40, v32
	v_lshlrev_b32_e32 v2, 3, v2
	ds_write_b64 v2, v[6:7]
	s_or_b64 exec, exec, s[6:7]
	s_and_saveexec_b64 s[4:5], s[2:3]
	s_cbranch_execnz .LBB530_172
	s_branch .LBB530_173
.LBB530_235:
	v_sub_u32_e32 v14, v66, v1
	v_mov_b32_e32 v15, 0
	v_lshl_add_u64 v[16:17], v[14:15], 3, v[10:11]
	v_mov_b32_e32 v14, v67
	global_store_dwordx2 v[16:17], v[14:15], off
	s_or_b64 exec, exec, s[38:39]
	s_and_saveexec_b64 s[38:39], s[26:27]
	s_cbranch_execz .LBB530_177
.LBB530_236:
	v_sub_u32_e32 v14, v64, v1
	v_mov_b32_e32 v15, 0
	v_lshl_add_u64 v[16:17], v[14:15], 3, v[10:11]
	v_mov_b32_e32 v14, v65
	global_store_dwordx2 v[16:17], v[14:15], off
	s_or_b64 exec, exec, s[38:39]
	s_and_saveexec_b64 s[38:39], s[24:25]
	s_cbranch_execz .LBB530_178
.LBB530_237:
	v_sub_u32_e32 v14, v62, v1
	v_mov_b32_e32 v15, 0
	v_lshl_add_u64 v[16:17], v[14:15], 3, v[10:11]
	v_mov_b32_e32 v14, v63
	global_store_dwordx2 v[16:17], v[14:15], off
	s_or_b64 exec, exec, s[38:39]
	s_and_saveexec_b64 s[38:39], s[22:23]
	s_cbranch_execz .LBB530_179
.LBB530_238:
	v_sub_u32_e32 v14, v60, v1
	v_mov_b32_e32 v15, 0
	v_lshl_add_u64 v[16:17], v[14:15], 3, v[10:11]
	v_mov_b32_e32 v14, v61
	global_store_dwordx2 v[16:17], v[14:15], off
	s_or_b64 exec, exec, s[38:39]
	s_and_saveexec_b64 s[38:39], s[20:21]
	s_cbranch_execz .LBB530_180
.LBB530_239:
	v_sub_u32_e32 v14, v58, v1
	v_mov_b32_e32 v15, 0
	v_lshl_add_u64 v[16:17], v[14:15], 3, v[10:11]
	v_mov_b32_e32 v14, v59
	global_store_dwordx2 v[16:17], v[14:15], off
	s_or_b64 exec, exec, s[38:39]
	s_and_saveexec_b64 s[38:39], s[18:19]
	s_cbranch_execz .LBB530_181
.LBB530_240:
	v_sub_u32_e32 v14, v56, v1
	v_mov_b32_e32 v15, 0
	v_lshl_add_u64 v[16:17], v[14:15], 3, v[10:11]
	v_mov_b32_e32 v14, v57
	global_store_dwordx2 v[16:17], v[14:15], off
	s_or_b64 exec, exec, s[38:39]
	s_and_saveexec_b64 s[38:39], s[16:17]
	s_cbranch_execz .LBB530_182
.LBB530_241:
	v_sub_u32_e32 v14, v54, v1
	v_mov_b32_e32 v15, 0
	v_lshl_add_u64 v[16:17], v[14:15], 3, v[10:11]
	v_mov_b32_e32 v14, v55
	global_store_dwordx2 v[16:17], v[14:15], off
	s_or_b64 exec, exec, s[38:39]
	s_and_saveexec_b64 s[38:39], s[14:15]
	s_cbranch_execz .LBB530_183
.LBB530_242:
	v_sub_u32_e32 v14, v52, v1
	v_mov_b32_e32 v15, 0
	v_lshl_add_u64 v[16:17], v[14:15], 3, v[10:11]
	v_mov_b32_e32 v14, v53
	global_store_dwordx2 v[16:17], v[14:15], off
	s_or_b64 exec, exec, s[38:39]
	s_and_saveexec_b64 s[38:39], s[12:13]
	s_cbranch_execz .LBB530_184
.LBB530_243:
	v_sub_u32_e32 v14, v50, v1
	v_mov_b32_e32 v15, 0
	v_lshl_add_u64 v[16:17], v[14:15], 3, v[10:11]
	v_mov_b32_e32 v14, v51
	global_store_dwordx2 v[16:17], v[14:15], off
	s_or_b64 exec, exec, s[38:39]
	s_and_saveexec_b64 s[38:39], s[10:11]
	s_cbranch_execz .LBB530_185
.LBB530_244:
	v_sub_u32_e32 v14, v48, v1
	v_mov_b32_e32 v15, 0
	v_lshl_add_u64 v[16:17], v[14:15], 3, v[10:11]
	v_mov_b32_e32 v14, v49
	global_store_dwordx2 v[16:17], v[14:15], off
	s_or_b64 exec, exec, s[38:39]
	s_and_saveexec_b64 s[38:39], s[8:9]
	s_cbranch_execz .LBB530_186
.LBB530_245:
	v_sub_u32_e32 v14, v44, v1
	v_mov_b32_e32 v15, 0
	v_lshl_add_u64 v[16:17], v[14:15], 3, v[10:11]
	v_mov_b32_e32 v14, v45
	global_store_dwordx2 v[16:17], v[14:15], off
	s_or_b64 exec, exec, s[38:39]
	s_and_saveexec_b64 s[38:39], s[6:7]
	s_cbranch_execz .LBB530_187
.LBB530_246:
	v_sub_u32_e32 v14, v42, v1
	v_mov_b32_e32 v15, 0
	v_lshl_add_u64 v[16:17], v[14:15], 3, v[10:11]
	v_mov_b32_e32 v14, v43
	global_store_dwordx2 v[16:17], v[14:15], off
	s_or_b64 exec, exec, s[38:39]
	s_and_saveexec_b64 s[38:39], s[4:5]
	s_cbranch_execz .LBB530_188
.LBB530_247:
	v_sub_u32_e32 v14, v40, v1
	v_mov_b32_e32 v15, 0
	v_lshl_add_u64 v[16:17], v[14:15], 3, v[10:11]
	v_mov_b32_e32 v14, v41
	global_store_dwordx2 v[16:17], v[14:15], off
	s_or_b64 exec, exec, s[38:39]
	s_and_saveexec_b64 s[38:39], s[2:3]
	s_cbranch_execnz .LBB530_189
	s_branch .LBB530_190
.LBB530_248:
	v_sub_u32_e32 v10, v66, v1
	v_lshlrev_b32_e32 v10, 2, v10
	ds_write_b32 v10, v67
	s_or_b64 exec, exec, s[38:39]
	s_and_saveexec_b64 s[28:29], s[26:27]
	s_cbranch_execz .LBB530_194
.LBB530_249:
	v_sub_u32_e32 v10, v64, v1
	v_lshlrev_b32_e32 v10, 2, v10
	ds_write_b32 v10, v65
	s_or_b64 exec, exec, s[28:29]
	s_and_saveexec_b64 s[26:27], s[24:25]
	s_cbranch_execz .LBB530_195
.LBB530_250:
	v_sub_u32_e32 v10, v62, v1
	v_lshlrev_b32_e32 v10, 2, v10
	ds_write_b32 v10, v63
	s_or_b64 exec, exec, s[26:27]
	s_and_saveexec_b64 s[24:25], s[22:23]
	s_cbranch_execz .LBB530_196
.LBB530_251:
	v_sub_u32_e32 v10, v60, v1
	v_lshlrev_b32_e32 v10, 2, v10
	ds_write_b32 v10, v61
	s_or_b64 exec, exec, s[24:25]
	s_and_saveexec_b64 s[22:23], s[20:21]
	s_cbranch_execz .LBB530_197
.LBB530_252:
	v_sub_u32_e32 v10, v58, v1
	v_lshlrev_b32_e32 v10, 2, v10
	ds_write_b32 v10, v59
	s_or_b64 exec, exec, s[22:23]
	s_and_saveexec_b64 s[20:21], s[18:19]
	s_cbranch_execz .LBB530_198
.LBB530_253:
	v_sub_u32_e32 v10, v56, v1
	v_lshlrev_b32_e32 v10, 2, v10
	ds_write_b32 v10, v57
	s_or_b64 exec, exec, s[20:21]
	s_and_saveexec_b64 s[18:19], s[16:17]
	s_cbranch_execz .LBB530_199
.LBB530_254:
	v_sub_u32_e32 v10, v54, v1
	v_lshlrev_b32_e32 v10, 2, v10
	ds_write_b32 v10, v55
	s_or_b64 exec, exec, s[18:19]
	s_and_saveexec_b64 s[16:17], s[14:15]
	s_cbranch_execz .LBB530_200
.LBB530_255:
	v_sub_u32_e32 v10, v52, v1
	v_lshlrev_b32_e32 v10, 2, v10
	ds_write_b32 v10, v53
	s_or_b64 exec, exec, s[16:17]
	s_and_saveexec_b64 s[14:15], s[12:13]
	s_cbranch_execz .LBB530_201
.LBB530_256:
	v_sub_u32_e32 v10, v50, v1
	v_lshlrev_b32_e32 v10, 2, v10
	ds_write_b32 v10, v51
	s_or_b64 exec, exec, s[14:15]
	s_and_saveexec_b64 s[12:13], s[10:11]
	s_cbranch_execz .LBB530_202
.LBB530_257:
	v_sub_u32_e32 v10, v48, v1
	v_lshlrev_b32_e32 v10, 2, v10
	ds_write_b32 v10, v49
	s_or_b64 exec, exec, s[12:13]
	s_and_saveexec_b64 s[10:11], s[8:9]
	s_cbranch_execz .LBB530_203
.LBB530_258:
	v_sub_u32_e32 v10, v44, v1
	v_lshlrev_b32_e32 v10, 2, v10
	ds_write_b32 v10, v45
	s_or_b64 exec, exec, s[10:11]
	s_and_saveexec_b64 s[8:9], s[6:7]
	s_cbranch_execz .LBB530_204
.LBB530_259:
	v_sub_u32_e32 v10, v42, v1
	v_lshlrev_b32_e32 v10, 2, v10
	ds_write_b32 v10, v43
	s_or_b64 exec, exec, s[8:9]
	s_and_saveexec_b64 s[6:7], s[4:5]
	s_cbranch_execz .LBB530_205
.LBB530_260:
	v_sub_u32_e32 v10, v40, v1
	v_lshlrev_b32_e32 v10, 2, v10
	ds_write_b32 v10, v41
	s_or_b64 exec, exec, s[6:7]
	s_and_saveexec_b64 s[4:5], s[2:3]
	s_cbranch_execnz .LBB530_206
	s_branch .LBB530_207
	.section	.rodata,"a",@progbits
	.p2align	6, 0x0
	.amdhsa_kernel _ZN7rocprim17ROCPRIM_400000_NS6detail17trampoline_kernelINS0_14default_configENS1_33run_length_encode_config_selectorIljNS0_4plusIjEEEEZZNS1_33reduce_by_key_impl_wrapped_configILNS1_25lookback_scan_determinismE0ES3_S7_PKlNS0_17constant_iteratorIjlEEPlSE_SE_S6_NS0_8equal_toIlEEEE10hipError_tPvRmT2_T3_mT4_T5_T6_T7_T8_P12ihipStream_tbENKUlT_T0_E_clISt17integral_constantIbLb1EESX_IbLb0EEEEDaST_SU_EUlST_E_NS1_11comp_targetILNS1_3genE5ELNS1_11target_archE942ELNS1_3gpuE9ELNS1_3repE0EEENS1_30default_config_static_selectorELNS0_4arch9wavefront6targetE1EEEvT1_
		.amdhsa_group_segment_fixed_size 61440
		.amdhsa_private_segment_fixed_size 0
		.amdhsa_kernarg_size 128
		.amdhsa_user_sgpr_count 2
		.amdhsa_user_sgpr_dispatch_ptr 0
		.amdhsa_user_sgpr_queue_ptr 0
		.amdhsa_user_sgpr_kernarg_segment_ptr 1
		.amdhsa_user_sgpr_dispatch_id 0
		.amdhsa_user_sgpr_kernarg_preload_length 0
		.amdhsa_user_sgpr_kernarg_preload_offset 0
		.amdhsa_user_sgpr_private_segment_size 0
		.amdhsa_uses_dynamic_stack 0
		.amdhsa_enable_private_segment 0
		.amdhsa_system_sgpr_workgroup_id_x 1
		.amdhsa_system_sgpr_workgroup_id_y 0
		.amdhsa_system_sgpr_workgroup_id_z 0
		.amdhsa_system_sgpr_workgroup_info 0
		.amdhsa_system_vgpr_workitem_id 0
		.amdhsa_next_free_vgpr 90
		.amdhsa_next_free_sgpr 64
		.amdhsa_accum_offset 92
		.amdhsa_reserve_vcc 1
		.amdhsa_float_round_mode_32 0
		.amdhsa_float_round_mode_16_64 0
		.amdhsa_float_denorm_mode_32 3
		.amdhsa_float_denorm_mode_16_64 3
		.amdhsa_dx10_clamp 1
		.amdhsa_ieee_mode 1
		.amdhsa_fp16_overflow 0
		.amdhsa_tg_split 0
		.amdhsa_exception_fp_ieee_invalid_op 0
		.amdhsa_exception_fp_denorm_src 0
		.amdhsa_exception_fp_ieee_div_zero 0
		.amdhsa_exception_fp_ieee_overflow 0
		.amdhsa_exception_fp_ieee_underflow 0
		.amdhsa_exception_fp_ieee_inexact 0
		.amdhsa_exception_int_div_zero 0
	.end_amdhsa_kernel
	.section	.text._ZN7rocprim17ROCPRIM_400000_NS6detail17trampoline_kernelINS0_14default_configENS1_33run_length_encode_config_selectorIljNS0_4plusIjEEEEZZNS1_33reduce_by_key_impl_wrapped_configILNS1_25lookback_scan_determinismE0ES3_S7_PKlNS0_17constant_iteratorIjlEEPlSE_SE_S6_NS0_8equal_toIlEEEE10hipError_tPvRmT2_T3_mT4_T5_T6_T7_T8_P12ihipStream_tbENKUlT_T0_E_clISt17integral_constantIbLb1EESX_IbLb0EEEEDaST_SU_EUlST_E_NS1_11comp_targetILNS1_3genE5ELNS1_11target_archE942ELNS1_3gpuE9ELNS1_3repE0EEENS1_30default_config_static_selectorELNS0_4arch9wavefront6targetE1EEEvT1_,"axG",@progbits,_ZN7rocprim17ROCPRIM_400000_NS6detail17trampoline_kernelINS0_14default_configENS1_33run_length_encode_config_selectorIljNS0_4plusIjEEEEZZNS1_33reduce_by_key_impl_wrapped_configILNS1_25lookback_scan_determinismE0ES3_S7_PKlNS0_17constant_iteratorIjlEEPlSE_SE_S6_NS0_8equal_toIlEEEE10hipError_tPvRmT2_T3_mT4_T5_T6_T7_T8_P12ihipStream_tbENKUlT_T0_E_clISt17integral_constantIbLb1EESX_IbLb0EEEEDaST_SU_EUlST_E_NS1_11comp_targetILNS1_3genE5ELNS1_11target_archE942ELNS1_3gpuE9ELNS1_3repE0EEENS1_30default_config_static_selectorELNS0_4arch9wavefront6targetE1EEEvT1_,comdat
.Lfunc_end530:
	.size	_ZN7rocprim17ROCPRIM_400000_NS6detail17trampoline_kernelINS0_14default_configENS1_33run_length_encode_config_selectorIljNS0_4plusIjEEEEZZNS1_33reduce_by_key_impl_wrapped_configILNS1_25lookback_scan_determinismE0ES3_S7_PKlNS0_17constant_iteratorIjlEEPlSE_SE_S6_NS0_8equal_toIlEEEE10hipError_tPvRmT2_T3_mT4_T5_T6_T7_T8_P12ihipStream_tbENKUlT_T0_E_clISt17integral_constantIbLb1EESX_IbLb0EEEEDaST_SU_EUlST_E_NS1_11comp_targetILNS1_3genE5ELNS1_11target_archE942ELNS1_3gpuE9ELNS1_3repE0EEENS1_30default_config_static_selectorELNS0_4arch9wavefront6targetE1EEEvT1_, .Lfunc_end530-_ZN7rocprim17ROCPRIM_400000_NS6detail17trampoline_kernelINS0_14default_configENS1_33run_length_encode_config_selectorIljNS0_4plusIjEEEEZZNS1_33reduce_by_key_impl_wrapped_configILNS1_25lookback_scan_determinismE0ES3_S7_PKlNS0_17constant_iteratorIjlEEPlSE_SE_S6_NS0_8equal_toIlEEEE10hipError_tPvRmT2_T3_mT4_T5_T6_T7_T8_P12ihipStream_tbENKUlT_T0_E_clISt17integral_constantIbLb1EESX_IbLb0EEEEDaST_SU_EUlST_E_NS1_11comp_targetILNS1_3genE5ELNS1_11target_archE942ELNS1_3gpuE9ELNS1_3repE0EEENS1_30default_config_static_selectorELNS0_4arch9wavefront6targetE1EEEvT1_
                                        ; -- End function
	.section	.AMDGPU.csdata,"",@progbits
; Kernel info:
; codeLenInByte = 14112
; NumSgprs: 70
; NumVgprs: 90
; NumAgprs: 0
; TotalNumVgprs: 90
; ScratchSize: 0
; MemoryBound: 0
; FloatMode: 240
; IeeeMode: 1
; LDSByteSize: 61440 bytes/workgroup (compile time only)
; SGPRBlocks: 8
; VGPRBlocks: 11
; NumSGPRsForWavesPerEU: 70
; NumVGPRsForWavesPerEU: 90
; AccumOffset: 92
; Occupancy: 2
; WaveLimiterHint : 1
; COMPUTE_PGM_RSRC2:SCRATCH_EN: 0
; COMPUTE_PGM_RSRC2:USER_SGPR: 2
; COMPUTE_PGM_RSRC2:TRAP_HANDLER: 0
; COMPUTE_PGM_RSRC2:TGID_X_EN: 1
; COMPUTE_PGM_RSRC2:TGID_Y_EN: 0
; COMPUTE_PGM_RSRC2:TGID_Z_EN: 0
; COMPUTE_PGM_RSRC2:TIDIG_COMP_CNT: 0
; COMPUTE_PGM_RSRC3_GFX90A:ACCUM_OFFSET: 22
; COMPUTE_PGM_RSRC3_GFX90A:TG_SPLIT: 0
	.section	.text._ZN7rocprim17ROCPRIM_400000_NS6detail17trampoline_kernelINS0_14default_configENS1_33run_length_encode_config_selectorIljNS0_4plusIjEEEEZZNS1_33reduce_by_key_impl_wrapped_configILNS1_25lookback_scan_determinismE0ES3_S7_PKlNS0_17constant_iteratorIjlEEPlSE_SE_S6_NS0_8equal_toIlEEEE10hipError_tPvRmT2_T3_mT4_T5_T6_T7_T8_P12ihipStream_tbENKUlT_T0_E_clISt17integral_constantIbLb1EESX_IbLb0EEEEDaST_SU_EUlST_E_NS1_11comp_targetILNS1_3genE4ELNS1_11target_archE910ELNS1_3gpuE8ELNS1_3repE0EEENS1_30default_config_static_selectorELNS0_4arch9wavefront6targetE1EEEvT1_,"axG",@progbits,_ZN7rocprim17ROCPRIM_400000_NS6detail17trampoline_kernelINS0_14default_configENS1_33run_length_encode_config_selectorIljNS0_4plusIjEEEEZZNS1_33reduce_by_key_impl_wrapped_configILNS1_25lookback_scan_determinismE0ES3_S7_PKlNS0_17constant_iteratorIjlEEPlSE_SE_S6_NS0_8equal_toIlEEEE10hipError_tPvRmT2_T3_mT4_T5_T6_T7_T8_P12ihipStream_tbENKUlT_T0_E_clISt17integral_constantIbLb1EESX_IbLb0EEEEDaST_SU_EUlST_E_NS1_11comp_targetILNS1_3genE4ELNS1_11target_archE910ELNS1_3gpuE8ELNS1_3repE0EEENS1_30default_config_static_selectorELNS0_4arch9wavefront6targetE1EEEvT1_,comdat
	.protected	_ZN7rocprim17ROCPRIM_400000_NS6detail17trampoline_kernelINS0_14default_configENS1_33run_length_encode_config_selectorIljNS0_4plusIjEEEEZZNS1_33reduce_by_key_impl_wrapped_configILNS1_25lookback_scan_determinismE0ES3_S7_PKlNS0_17constant_iteratorIjlEEPlSE_SE_S6_NS0_8equal_toIlEEEE10hipError_tPvRmT2_T3_mT4_T5_T6_T7_T8_P12ihipStream_tbENKUlT_T0_E_clISt17integral_constantIbLb1EESX_IbLb0EEEEDaST_SU_EUlST_E_NS1_11comp_targetILNS1_3genE4ELNS1_11target_archE910ELNS1_3gpuE8ELNS1_3repE0EEENS1_30default_config_static_selectorELNS0_4arch9wavefront6targetE1EEEvT1_ ; -- Begin function _ZN7rocprim17ROCPRIM_400000_NS6detail17trampoline_kernelINS0_14default_configENS1_33run_length_encode_config_selectorIljNS0_4plusIjEEEEZZNS1_33reduce_by_key_impl_wrapped_configILNS1_25lookback_scan_determinismE0ES3_S7_PKlNS0_17constant_iteratorIjlEEPlSE_SE_S6_NS0_8equal_toIlEEEE10hipError_tPvRmT2_T3_mT4_T5_T6_T7_T8_P12ihipStream_tbENKUlT_T0_E_clISt17integral_constantIbLb1EESX_IbLb0EEEEDaST_SU_EUlST_E_NS1_11comp_targetILNS1_3genE4ELNS1_11target_archE910ELNS1_3gpuE8ELNS1_3repE0EEENS1_30default_config_static_selectorELNS0_4arch9wavefront6targetE1EEEvT1_
	.globl	_ZN7rocprim17ROCPRIM_400000_NS6detail17trampoline_kernelINS0_14default_configENS1_33run_length_encode_config_selectorIljNS0_4plusIjEEEEZZNS1_33reduce_by_key_impl_wrapped_configILNS1_25lookback_scan_determinismE0ES3_S7_PKlNS0_17constant_iteratorIjlEEPlSE_SE_S6_NS0_8equal_toIlEEEE10hipError_tPvRmT2_T3_mT4_T5_T6_T7_T8_P12ihipStream_tbENKUlT_T0_E_clISt17integral_constantIbLb1EESX_IbLb0EEEEDaST_SU_EUlST_E_NS1_11comp_targetILNS1_3genE4ELNS1_11target_archE910ELNS1_3gpuE8ELNS1_3repE0EEENS1_30default_config_static_selectorELNS0_4arch9wavefront6targetE1EEEvT1_
	.p2align	8
	.type	_ZN7rocprim17ROCPRIM_400000_NS6detail17trampoline_kernelINS0_14default_configENS1_33run_length_encode_config_selectorIljNS0_4plusIjEEEEZZNS1_33reduce_by_key_impl_wrapped_configILNS1_25lookback_scan_determinismE0ES3_S7_PKlNS0_17constant_iteratorIjlEEPlSE_SE_S6_NS0_8equal_toIlEEEE10hipError_tPvRmT2_T3_mT4_T5_T6_T7_T8_P12ihipStream_tbENKUlT_T0_E_clISt17integral_constantIbLb1EESX_IbLb0EEEEDaST_SU_EUlST_E_NS1_11comp_targetILNS1_3genE4ELNS1_11target_archE910ELNS1_3gpuE8ELNS1_3repE0EEENS1_30default_config_static_selectorELNS0_4arch9wavefront6targetE1EEEvT1_,@function
_ZN7rocprim17ROCPRIM_400000_NS6detail17trampoline_kernelINS0_14default_configENS1_33run_length_encode_config_selectorIljNS0_4plusIjEEEEZZNS1_33reduce_by_key_impl_wrapped_configILNS1_25lookback_scan_determinismE0ES3_S7_PKlNS0_17constant_iteratorIjlEEPlSE_SE_S6_NS0_8equal_toIlEEEE10hipError_tPvRmT2_T3_mT4_T5_T6_T7_T8_P12ihipStream_tbENKUlT_T0_E_clISt17integral_constantIbLb1EESX_IbLb0EEEEDaST_SU_EUlST_E_NS1_11comp_targetILNS1_3genE4ELNS1_11target_archE910ELNS1_3gpuE8ELNS1_3repE0EEENS1_30default_config_static_selectorELNS0_4arch9wavefront6targetE1EEEvT1_: ; @_ZN7rocprim17ROCPRIM_400000_NS6detail17trampoline_kernelINS0_14default_configENS1_33run_length_encode_config_selectorIljNS0_4plusIjEEEEZZNS1_33reduce_by_key_impl_wrapped_configILNS1_25lookback_scan_determinismE0ES3_S7_PKlNS0_17constant_iteratorIjlEEPlSE_SE_S6_NS0_8equal_toIlEEEE10hipError_tPvRmT2_T3_mT4_T5_T6_T7_T8_P12ihipStream_tbENKUlT_T0_E_clISt17integral_constantIbLb1EESX_IbLb0EEEEDaST_SU_EUlST_E_NS1_11comp_targetILNS1_3genE4ELNS1_11target_archE910ELNS1_3gpuE8ELNS1_3repE0EEENS1_30default_config_static_selectorELNS0_4arch9wavefront6targetE1EEEvT1_
; %bb.0:
	.section	.rodata,"a",@progbits
	.p2align	6, 0x0
	.amdhsa_kernel _ZN7rocprim17ROCPRIM_400000_NS6detail17trampoline_kernelINS0_14default_configENS1_33run_length_encode_config_selectorIljNS0_4plusIjEEEEZZNS1_33reduce_by_key_impl_wrapped_configILNS1_25lookback_scan_determinismE0ES3_S7_PKlNS0_17constant_iteratorIjlEEPlSE_SE_S6_NS0_8equal_toIlEEEE10hipError_tPvRmT2_T3_mT4_T5_T6_T7_T8_P12ihipStream_tbENKUlT_T0_E_clISt17integral_constantIbLb1EESX_IbLb0EEEEDaST_SU_EUlST_E_NS1_11comp_targetILNS1_3genE4ELNS1_11target_archE910ELNS1_3gpuE8ELNS1_3repE0EEENS1_30default_config_static_selectorELNS0_4arch9wavefront6targetE1EEEvT1_
		.amdhsa_group_segment_fixed_size 0
		.amdhsa_private_segment_fixed_size 0
		.amdhsa_kernarg_size 128
		.amdhsa_user_sgpr_count 2
		.amdhsa_user_sgpr_dispatch_ptr 0
		.amdhsa_user_sgpr_queue_ptr 0
		.amdhsa_user_sgpr_kernarg_segment_ptr 1
		.amdhsa_user_sgpr_dispatch_id 0
		.amdhsa_user_sgpr_kernarg_preload_length 0
		.amdhsa_user_sgpr_kernarg_preload_offset 0
		.amdhsa_user_sgpr_private_segment_size 0
		.amdhsa_uses_dynamic_stack 0
		.amdhsa_enable_private_segment 0
		.amdhsa_system_sgpr_workgroup_id_x 1
		.amdhsa_system_sgpr_workgroup_id_y 0
		.amdhsa_system_sgpr_workgroup_id_z 0
		.amdhsa_system_sgpr_workgroup_info 0
		.amdhsa_system_vgpr_workitem_id 0
		.amdhsa_next_free_vgpr 1
		.amdhsa_next_free_sgpr 0
		.amdhsa_accum_offset 4
		.amdhsa_reserve_vcc 0
		.amdhsa_float_round_mode_32 0
		.amdhsa_float_round_mode_16_64 0
		.amdhsa_float_denorm_mode_32 3
		.amdhsa_float_denorm_mode_16_64 3
		.amdhsa_dx10_clamp 1
		.amdhsa_ieee_mode 1
		.amdhsa_fp16_overflow 0
		.amdhsa_tg_split 0
		.amdhsa_exception_fp_ieee_invalid_op 0
		.amdhsa_exception_fp_denorm_src 0
		.amdhsa_exception_fp_ieee_div_zero 0
		.amdhsa_exception_fp_ieee_overflow 0
		.amdhsa_exception_fp_ieee_underflow 0
		.amdhsa_exception_fp_ieee_inexact 0
		.amdhsa_exception_int_div_zero 0
	.end_amdhsa_kernel
	.section	.text._ZN7rocprim17ROCPRIM_400000_NS6detail17trampoline_kernelINS0_14default_configENS1_33run_length_encode_config_selectorIljNS0_4plusIjEEEEZZNS1_33reduce_by_key_impl_wrapped_configILNS1_25lookback_scan_determinismE0ES3_S7_PKlNS0_17constant_iteratorIjlEEPlSE_SE_S6_NS0_8equal_toIlEEEE10hipError_tPvRmT2_T3_mT4_T5_T6_T7_T8_P12ihipStream_tbENKUlT_T0_E_clISt17integral_constantIbLb1EESX_IbLb0EEEEDaST_SU_EUlST_E_NS1_11comp_targetILNS1_3genE4ELNS1_11target_archE910ELNS1_3gpuE8ELNS1_3repE0EEENS1_30default_config_static_selectorELNS0_4arch9wavefront6targetE1EEEvT1_,"axG",@progbits,_ZN7rocprim17ROCPRIM_400000_NS6detail17trampoline_kernelINS0_14default_configENS1_33run_length_encode_config_selectorIljNS0_4plusIjEEEEZZNS1_33reduce_by_key_impl_wrapped_configILNS1_25lookback_scan_determinismE0ES3_S7_PKlNS0_17constant_iteratorIjlEEPlSE_SE_S6_NS0_8equal_toIlEEEE10hipError_tPvRmT2_T3_mT4_T5_T6_T7_T8_P12ihipStream_tbENKUlT_T0_E_clISt17integral_constantIbLb1EESX_IbLb0EEEEDaST_SU_EUlST_E_NS1_11comp_targetILNS1_3genE4ELNS1_11target_archE910ELNS1_3gpuE8ELNS1_3repE0EEENS1_30default_config_static_selectorELNS0_4arch9wavefront6targetE1EEEvT1_,comdat
.Lfunc_end531:
	.size	_ZN7rocprim17ROCPRIM_400000_NS6detail17trampoline_kernelINS0_14default_configENS1_33run_length_encode_config_selectorIljNS0_4plusIjEEEEZZNS1_33reduce_by_key_impl_wrapped_configILNS1_25lookback_scan_determinismE0ES3_S7_PKlNS0_17constant_iteratorIjlEEPlSE_SE_S6_NS0_8equal_toIlEEEE10hipError_tPvRmT2_T3_mT4_T5_T6_T7_T8_P12ihipStream_tbENKUlT_T0_E_clISt17integral_constantIbLb1EESX_IbLb0EEEEDaST_SU_EUlST_E_NS1_11comp_targetILNS1_3genE4ELNS1_11target_archE910ELNS1_3gpuE8ELNS1_3repE0EEENS1_30default_config_static_selectorELNS0_4arch9wavefront6targetE1EEEvT1_, .Lfunc_end531-_ZN7rocprim17ROCPRIM_400000_NS6detail17trampoline_kernelINS0_14default_configENS1_33run_length_encode_config_selectorIljNS0_4plusIjEEEEZZNS1_33reduce_by_key_impl_wrapped_configILNS1_25lookback_scan_determinismE0ES3_S7_PKlNS0_17constant_iteratorIjlEEPlSE_SE_S6_NS0_8equal_toIlEEEE10hipError_tPvRmT2_T3_mT4_T5_T6_T7_T8_P12ihipStream_tbENKUlT_T0_E_clISt17integral_constantIbLb1EESX_IbLb0EEEEDaST_SU_EUlST_E_NS1_11comp_targetILNS1_3genE4ELNS1_11target_archE910ELNS1_3gpuE8ELNS1_3repE0EEENS1_30default_config_static_selectorELNS0_4arch9wavefront6targetE1EEEvT1_
                                        ; -- End function
	.section	.AMDGPU.csdata,"",@progbits
; Kernel info:
; codeLenInByte = 0
; NumSgprs: 6
; NumVgprs: 0
; NumAgprs: 0
; TotalNumVgprs: 0
; ScratchSize: 0
; MemoryBound: 0
; FloatMode: 240
; IeeeMode: 1
; LDSByteSize: 0 bytes/workgroup (compile time only)
; SGPRBlocks: 0
; VGPRBlocks: 0
; NumSGPRsForWavesPerEU: 6
; NumVGPRsForWavesPerEU: 1
; AccumOffset: 4
; Occupancy: 8
; WaveLimiterHint : 0
; COMPUTE_PGM_RSRC2:SCRATCH_EN: 0
; COMPUTE_PGM_RSRC2:USER_SGPR: 2
; COMPUTE_PGM_RSRC2:TRAP_HANDLER: 0
; COMPUTE_PGM_RSRC2:TGID_X_EN: 1
; COMPUTE_PGM_RSRC2:TGID_Y_EN: 0
; COMPUTE_PGM_RSRC2:TGID_Z_EN: 0
; COMPUTE_PGM_RSRC2:TIDIG_COMP_CNT: 0
; COMPUTE_PGM_RSRC3_GFX90A:ACCUM_OFFSET: 0
; COMPUTE_PGM_RSRC3_GFX90A:TG_SPLIT: 0
	.section	.text._ZN7rocprim17ROCPRIM_400000_NS6detail17trampoline_kernelINS0_14default_configENS1_33run_length_encode_config_selectorIljNS0_4plusIjEEEEZZNS1_33reduce_by_key_impl_wrapped_configILNS1_25lookback_scan_determinismE0ES3_S7_PKlNS0_17constant_iteratorIjlEEPlSE_SE_S6_NS0_8equal_toIlEEEE10hipError_tPvRmT2_T3_mT4_T5_T6_T7_T8_P12ihipStream_tbENKUlT_T0_E_clISt17integral_constantIbLb1EESX_IbLb0EEEEDaST_SU_EUlST_E_NS1_11comp_targetILNS1_3genE3ELNS1_11target_archE908ELNS1_3gpuE7ELNS1_3repE0EEENS1_30default_config_static_selectorELNS0_4arch9wavefront6targetE1EEEvT1_,"axG",@progbits,_ZN7rocprim17ROCPRIM_400000_NS6detail17trampoline_kernelINS0_14default_configENS1_33run_length_encode_config_selectorIljNS0_4plusIjEEEEZZNS1_33reduce_by_key_impl_wrapped_configILNS1_25lookback_scan_determinismE0ES3_S7_PKlNS0_17constant_iteratorIjlEEPlSE_SE_S6_NS0_8equal_toIlEEEE10hipError_tPvRmT2_T3_mT4_T5_T6_T7_T8_P12ihipStream_tbENKUlT_T0_E_clISt17integral_constantIbLb1EESX_IbLb0EEEEDaST_SU_EUlST_E_NS1_11comp_targetILNS1_3genE3ELNS1_11target_archE908ELNS1_3gpuE7ELNS1_3repE0EEENS1_30default_config_static_selectorELNS0_4arch9wavefront6targetE1EEEvT1_,comdat
	.protected	_ZN7rocprim17ROCPRIM_400000_NS6detail17trampoline_kernelINS0_14default_configENS1_33run_length_encode_config_selectorIljNS0_4plusIjEEEEZZNS1_33reduce_by_key_impl_wrapped_configILNS1_25lookback_scan_determinismE0ES3_S7_PKlNS0_17constant_iteratorIjlEEPlSE_SE_S6_NS0_8equal_toIlEEEE10hipError_tPvRmT2_T3_mT4_T5_T6_T7_T8_P12ihipStream_tbENKUlT_T0_E_clISt17integral_constantIbLb1EESX_IbLb0EEEEDaST_SU_EUlST_E_NS1_11comp_targetILNS1_3genE3ELNS1_11target_archE908ELNS1_3gpuE7ELNS1_3repE0EEENS1_30default_config_static_selectorELNS0_4arch9wavefront6targetE1EEEvT1_ ; -- Begin function _ZN7rocprim17ROCPRIM_400000_NS6detail17trampoline_kernelINS0_14default_configENS1_33run_length_encode_config_selectorIljNS0_4plusIjEEEEZZNS1_33reduce_by_key_impl_wrapped_configILNS1_25lookback_scan_determinismE0ES3_S7_PKlNS0_17constant_iteratorIjlEEPlSE_SE_S6_NS0_8equal_toIlEEEE10hipError_tPvRmT2_T3_mT4_T5_T6_T7_T8_P12ihipStream_tbENKUlT_T0_E_clISt17integral_constantIbLb1EESX_IbLb0EEEEDaST_SU_EUlST_E_NS1_11comp_targetILNS1_3genE3ELNS1_11target_archE908ELNS1_3gpuE7ELNS1_3repE0EEENS1_30default_config_static_selectorELNS0_4arch9wavefront6targetE1EEEvT1_
	.globl	_ZN7rocprim17ROCPRIM_400000_NS6detail17trampoline_kernelINS0_14default_configENS1_33run_length_encode_config_selectorIljNS0_4plusIjEEEEZZNS1_33reduce_by_key_impl_wrapped_configILNS1_25lookback_scan_determinismE0ES3_S7_PKlNS0_17constant_iteratorIjlEEPlSE_SE_S6_NS0_8equal_toIlEEEE10hipError_tPvRmT2_T3_mT4_T5_T6_T7_T8_P12ihipStream_tbENKUlT_T0_E_clISt17integral_constantIbLb1EESX_IbLb0EEEEDaST_SU_EUlST_E_NS1_11comp_targetILNS1_3genE3ELNS1_11target_archE908ELNS1_3gpuE7ELNS1_3repE0EEENS1_30default_config_static_selectorELNS0_4arch9wavefront6targetE1EEEvT1_
	.p2align	8
	.type	_ZN7rocprim17ROCPRIM_400000_NS6detail17trampoline_kernelINS0_14default_configENS1_33run_length_encode_config_selectorIljNS0_4plusIjEEEEZZNS1_33reduce_by_key_impl_wrapped_configILNS1_25lookback_scan_determinismE0ES3_S7_PKlNS0_17constant_iteratorIjlEEPlSE_SE_S6_NS0_8equal_toIlEEEE10hipError_tPvRmT2_T3_mT4_T5_T6_T7_T8_P12ihipStream_tbENKUlT_T0_E_clISt17integral_constantIbLb1EESX_IbLb0EEEEDaST_SU_EUlST_E_NS1_11comp_targetILNS1_3genE3ELNS1_11target_archE908ELNS1_3gpuE7ELNS1_3repE0EEENS1_30default_config_static_selectorELNS0_4arch9wavefront6targetE1EEEvT1_,@function
_ZN7rocprim17ROCPRIM_400000_NS6detail17trampoline_kernelINS0_14default_configENS1_33run_length_encode_config_selectorIljNS0_4plusIjEEEEZZNS1_33reduce_by_key_impl_wrapped_configILNS1_25lookback_scan_determinismE0ES3_S7_PKlNS0_17constant_iteratorIjlEEPlSE_SE_S6_NS0_8equal_toIlEEEE10hipError_tPvRmT2_T3_mT4_T5_T6_T7_T8_P12ihipStream_tbENKUlT_T0_E_clISt17integral_constantIbLb1EESX_IbLb0EEEEDaST_SU_EUlST_E_NS1_11comp_targetILNS1_3genE3ELNS1_11target_archE908ELNS1_3gpuE7ELNS1_3repE0EEENS1_30default_config_static_selectorELNS0_4arch9wavefront6targetE1EEEvT1_: ; @_ZN7rocprim17ROCPRIM_400000_NS6detail17trampoline_kernelINS0_14default_configENS1_33run_length_encode_config_selectorIljNS0_4plusIjEEEEZZNS1_33reduce_by_key_impl_wrapped_configILNS1_25lookback_scan_determinismE0ES3_S7_PKlNS0_17constant_iteratorIjlEEPlSE_SE_S6_NS0_8equal_toIlEEEE10hipError_tPvRmT2_T3_mT4_T5_T6_T7_T8_P12ihipStream_tbENKUlT_T0_E_clISt17integral_constantIbLb1EESX_IbLb0EEEEDaST_SU_EUlST_E_NS1_11comp_targetILNS1_3genE3ELNS1_11target_archE908ELNS1_3gpuE7ELNS1_3repE0EEENS1_30default_config_static_selectorELNS0_4arch9wavefront6targetE1EEEvT1_
; %bb.0:
	.section	.rodata,"a",@progbits
	.p2align	6, 0x0
	.amdhsa_kernel _ZN7rocprim17ROCPRIM_400000_NS6detail17trampoline_kernelINS0_14default_configENS1_33run_length_encode_config_selectorIljNS0_4plusIjEEEEZZNS1_33reduce_by_key_impl_wrapped_configILNS1_25lookback_scan_determinismE0ES3_S7_PKlNS0_17constant_iteratorIjlEEPlSE_SE_S6_NS0_8equal_toIlEEEE10hipError_tPvRmT2_T3_mT4_T5_T6_T7_T8_P12ihipStream_tbENKUlT_T0_E_clISt17integral_constantIbLb1EESX_IbLb0EEEEDaST_SU_EUlST_E_NS1_11comp_targetILNS1_3genE3ELNS1_11target_archE908ELNS1_3gpuE7ELNS1_3repE0EEENS1_30default_config_static_selectorELNS0_4arch9wavefront6targetE1EEEvT1_
		.amdhsa_group_segment_fixed_size 0
		.amdhsa_private_segment_fixed_size 0
		.amdhsa_kernarg_size 128
		.amdhsa_user_sgpr_count 2
		.amdhsa_user_sgpr_dispatch_ptr 0
		.amdhsa_user_sgpr_queue_ptr 0
		.amdhsa_user_sgpr_kernarg_segment_ptr 1
		.amdhsa_user_sgpr_dispatch_id 0
		.amdhsa_user_sgpr_kernarg_preload_length 0
		.amdhsa_user_sgpr_kernarg_preload_offset 0
		.amdhsa_user_sgpr_private_segment_size 0
		.amdhsa_uses_dynamic_stack 0
		.amdhsa_enable_private_segment 0
		.amdhsa_system_sgpr_workgroup_id_x 1
		.amdhsa_system_sgpr_workgroup_id_y 0
		.amdhsa_system_sgpr_workgroup_id_z 0
		.amdhsa_system_sgpr_workgroup_info 0
		.amdhsa_system_vgpr_workitem_id 0
		.amdhsa_next_free_vgpr 1
		.amdhsa_next_free_sgpr 0
		.amdhsa_accum_offset 4
		.amdhsa_reserve_vcc 0
		.amdhsa_float_round_mode_32 0
		.amdhsa_float_round_mode_16_64 0
		.amdhsa_float_denorm_mode_32 3
		.amdhsa_float_denorm_mode_16_64 3
		.amdhsa_dx10_clamp 1
		.amdhsa_ieee_mode 1
		.amdhsa_fp16_overflow 0
		.amdhsa_tg_split 0
		.amdhsa_exception_fp_ieee_invalid_op 0
		.amdhsa_exception_fp_denorm_src 0
		.amdhsa_exception_fp_ieee_div_zero 0
		.amdhsa_exception_fp_ieee_overflow 0
		.amdhsa_exception_fp_ieee_underflow 0
		.amdhsa_exception_fp_ieee_inexact 0
		.amdhsa_exception_int_div_zero 0
	.end_amdhsa_kernel
	.section	.text._ZN7rocprim17ROCPRIM_400000_NS6detail17trampoline_kernelINS0_14default_configENS1_33run_length_encode_config_selectorIljNS0_4plusIjEEEEZZNS1_33reduce_by_key_impl_wrapped_configILNS1_25lookback_scan_determinismE0ES3_S7_PKlNS0_17constant_iteratorIjlEEPlSE_SE_S6_NS0_8equal_toIlEEEE10hipError_tPvRmT2_T3_mT4_T5_T6_T7_T8_P12ihipStream_tbENKUlT_T0_E_clISt17integral_constantIbLb1EESX_IbLb0EEEEDaST_SU_EUlST_E_NS1_11comp_targetILNS1_3genE3ELNS1_11target_archE908ELNS1_3gpuE7ELNS1_3repE0EEENS1_30default_config_static_selectorELNS0_4arch9wavefront6targetE1EEEvT1_,"axG",@progbits,_ZN7rocprim17ROCPRIM_400000_NS6detail17trampoline_kernelINS0_14default_configENS1_33run_length_encode_config_selectorIljNS0_4plusIjEEEEZZNS1_33reduce_by_key_impl_wrapped_configILNS1_25lookback_scan_determinismE0ES3_S7_PKlNS0_17constant_iteratorIjlEEPlSE_SE_S6_NS0_8equal_toIlEEEE10hipError_tPvRmT2_T3_mT4_T5_T6_T7_T8_P12ihipStream_tbENKUlT_T0_E_clISt17integral_constantIbLb1EESX_IbLb0EEEEDaST_SU_EUlST_E_NS1_11comp_targetILNS1_3genE3ELNS1_11target_archE908ELNS1_3gpuE7ELNS1_3repE0EEENS1_30default_config_static_selectorELNS0_4arch9wavefront6targetE1EEEvT1_,comdat
.Lfunc_end532:
	.size	_ZN7rocprim17ROCPRIM_400000_NS6detail17trampoline_kernelINS0_14default_configENS1_33run_length_encode_config_selectorIljNS0_4plusIjEEEEZZNS1_33reduce_by_key_impl_wrapped_configILNS1_25lookback_scan_determinismE0ES3_S7_PKlNS0_17constant_iteratorIjlEEPlSE_SE_S6_NS0_8equal_toIlEEEE10hipError_tPvRmT2_T3_mT4_T5_T6_T7_T8_P12ihipStream_tbENKUlT_T0_E_clISt17integral_constantIbLb1EESX_IbLb0EEEEDaST_SU_EUlST_E_NS1_11comp_targetILNS1_3genE3ELNS1_11target_archE908ELNS1_3gpuE7ELNS1_3repE0EEENS1_30default_config_static_selectorELNS0_4arch9wavefront6targetE1EEEvT1_, .Lfunc_end532-_ZN7rocprim17ROCPRIM_400000_NS6detail17trampoline_kernelINS0_14default_configENS1_33run_length_encode_config_selectorIljNS0_4plusIjEEEEZZNS1_33reduce_by_key_impl_wrapped_configILNS1_25lookback_scan_determinismE0ES3_S7_PKlNS0_17constant_iteratorIjlEEPlSE_SE_S6_NS0_8equal_toIlEEEE10hipError_tPvRmT2_T3_mT4_T5_T6_T7_T8_P12ihipStream_tbENKUlT_T0_E_clISt17integral_constantIbLb1EESX_IbLb0EEEEDaST_SU_EUlST_E_NS1_11comp_targetILNS1_3genE3ELNS1_11target_archE908ELNS1_3gpuE7ELNS1_3repE0EEENS1_30default_config_static_selectorELNS0_4arch9wavefront6targetE1EEEvT1_
                                        ; -- End function
	.section	.AMDGPU.csdata,"",@progbits
; Kernel info:
; codeLenInByte = 0
; NumSgprs: 6
; NumVgprs: 0
; NumAgprs: 0
; TotalNumVgprs: 0
; ScratchSize: 0
; MemoryBound: 0
; FloatMode: 240
; IeeeMode: 1
; LDSByteSize: 0 bytes/workgroup (compile time only)
; SGPRBlocks: 0
; VGPRBlocks: 0
; NumSGPRsForWavesPerEU: 6
; NumVGPRsForWavesPerEU: 1
; AccumOffset: 4
; Occupancy: 8
; WaveLimiterHint : 0
; COMPUTE_PGM_RSRC2:SCRATCH_EN: 0
; COMPUTE_PGM_RSRC2:USER_SGPR: 2
; COMPUTE_PGM_RSRC2:TRAP_HANDLER: 0
; COMPUTE_PGM_RSRC2:TGID_X_EN: 1
; COMPUTE_PGM_RSRC2:TGID_Y_EN: 0
; COMPUTE_PGM_RSRC2:TGID_Z_EN: 0
; COMPUTE_PGM_RSRC2:TIDIG_COMP_CNT: 0
; COMPUTE_PGM_RSRC3_GFX90A:ACCUM_OFFSET: 0
; COMPUTE_PGM_RSRC3_GFX90A:TG_SPLIT: 0
	.section	.text._ZN7rocprim17ROCPRIM_400000_NS6detail17trampoline_kernelINS0_14default_configENS1_33run_length_encode_config_selectorIljNS0_4plusIjEEEEZZNS1_33reduce_by_key_impl_wrapped_configILNS1_25lookback_scan_determinismE0ES3_S7_PKlNS0_17constant_iteratorIjlEEPlSE_SE_S6_NS0_8equal_toIlEEEE10hipError_tPvRmT2_T3_mT4_T5_T6_T7_T8_P12ihipStream_tbENKUlT_T0_E_clISt17integral_constantIbLb1EESX_IbLb0EEEEDaST_SU_EUlST_E_NS1_11comp_targetILNS1_3genE2ELNS1_11target_archE906ELNS1_3gpuE6ELNS1_3repE0EEENS1_30default_config_static_selectorELNS0_4arch9wavefront6targetE1EEEvT1_,"axG",@progbits,_ZN7rocprim17ROCPRIM_400000_NS6detail17trampoline_kernelINS0_14default_configENS1_33run_length_encode_config_selectorIljNS0_4plusIjEEEEZZNS1_33reduce_by_key_impl_wrapped_configILNS1_25lookback_scan_determinismE0ES3_S7_PKlNS0_17constant_iteratorIjlEEPlSE_SE_S6_NS0_8equal_toIlEEEE10hipError_tPvRmT2_T3_mT4_T5_T6_T7_T8_P12ihipStream_tbENKUlT_T0_E_clISt17integral_constantIbLb1EESX_IbLb0EEEEDaST_SU_EUlST_E_NS1_11comp_targetILNS1_3genE2ELNS1_11target_archE906ELNS1_3gpuE6ELNS1_3repE0EEENS1_30default_config_static_selectorELNS0_4arch9wavefront6targetE1EEEvT1_,comdat
	.protected	_ZN7rocprim17ROCPRIM_400000_NS6detail17trampoline_kernelINS0_14default_configENS1_33run_length_encode_config_selectorIljNS0_4plusIjEEEEZZNS1_33reduce_by_key_impl_wrapped_configILNS1_25lookback_scan_determinismE0ES3_S7_PKlNS0_17constant_iteratorIjlEEPlSE_SE_S6_NS0_8equal_toIlEEEE10hipError_tPvRmT2_T3_mT4_T5_T6_T7_T8_P12ihipStream_tbENKUlT_T0_E_clISt17integral_constantIbLb1EESX_IbLb0EEEEDaST_SU_EUlST_E_NS1_11comp_targetILNS1_3genE2ELNS1_11target_archE906ELNS1_3gpuE6ELNS1_3repE0EEENS1_30default_config_static_selectorELNS0_4arch9wavefront6targetE1EEEvT1_ ; -- Begin function _ZN7rocprim17ROCPRIM_400000_NS6detail17trampoline_kernelINS0_14default_configENS1_33run_length_encode_config_selectorIljNS0_4plusIjEEEEZZNS1_33reduce_by_key_impl_wrapped_configILNS1_25lookback_scan_determinismE0ES3_S7_PKlNS0_17constant_iteratorIjlEEPlSE_SE_S6_NS0_8equal_toIlEEEE10hipError_tPvRmT2_T3_mT4_T5_T6_T7_T8_P12ihipStream_tbENKUlT_T0_E_clISt17integral_constantIbLb1EESX_IbLb0EEEEDaST_SU_EUlST_E_NS1_11comp_targetILNS1_3genE2ELNS1_11target_archE906ELNS1_3gpuE6ELNS1_3repE0EEENS1_30default_config_static_selectorELNS0_4arch9wavefront6targetE1EEEvT1_
	.globl	_ZN7rocprim17ROCPRIM_400000_NS6detail17trampoline_kernelINS0_14default_configENS1_33run_length_encode_config_selectorIljNS0_4plusIjEEEEZZNS1_33reduce_by_key_impl_wrapped_configILNS1_25lookback_scan_determinismE0ES3_S7_PKlNS0_17constant_iteratorIjlEEPlSE_SE_S6_NS0_8equal_toIlEEEE10hipError_tPvRmT2_T3_mT4_T5_T6_T7_T8_P12ihipStream_tbENKUlT_T0_E_clISt17integral_constantIbLb1EESX_IbLb0EEEEDaST_SU_EUlST_E_NS1_11comp_targetILNS1_3genE2ELNS1_11target_archE906ELNS1_3gpuE6ELNS1_3repE0EEENS1_30default_config_static_selectorELNS0_4arch9wavefront6targetE1EEEvT1_
	.p2align	8
	.type	_ZN7rocprim17ROCPRIM_400000_NS6detail17trampoline_kernelINS0_14default_configENS1_33run_length_encode_config_selectorIljNS0_4plusIjEEEEZZNS1_33reduce_by_key_impl_wrapped_configILNS1_25lookback_scan_determinismE0ES3_S7_PKlNS0_17constant_iteratorIjlEEPlSE_SE_S6_NS0_8equal_toIlEEEE10hipError_tPvRmT2_T3_mT4_T5_T6_T7_T8_P12ihipStream_tbENKUlT_T0_E_clISt17integral_constantIbLb1EESX_IbLb0EEEEDaST_SU_EUlST_E_NS1_11comp_targetILNS1_3genE2ELNS1_11target_archE906ELNS1_3gpuE6ELNS1_3repE0EEENS1_30default_config_static_selectorELNS0_4arch9wavefront6targetE1EEEvT1_,@function
_ZN7rocprim17ROCPRIM_400000_NS6detail17trampoline_kernelINS0_14default_configENS1_33run_length_encode_config_selectorIljNS0_4plusIjEEEEZZNS1_33reduce_by_key_impl_wrapped_configILNS1_25lookback_scan_determinismE0ES3_S7_PKlNS0_17constant_iteratorIjlEEPlSE_SE_S6_NS0_8equal_toIlEEEE10hipError_tPvRmT2_T3_mT4_T5_T6_T7_T8_P12ihipStream_tbENKUlT_T0_E_clISt17integral_constantIbLb1EESX_IbLb0EEEEDaST_SU_EUlST_E_NS1_11comp_targetILNS1_3genE2ELNS1_11target_archE906ELNS1_3gpuE6ELNS1_3repE0EEENS1_30default_config_static_selectorELNS0_4arch9wavefront6targetE1EEEvT1_: ; @_ZN7rocprim17ROCPRIM_400000_NS6detail17trampoline_kernelINS0_14default_configENS1_33run_length_encode_config_selectorIljNS0_4plusIjEEEEZZNS1_33reduce_by_key_impl_wrapped_configILNS1_25lookback_scan_determinismE0ES3_S7_PKlNS0_17constant_iteratorIjlEEPlSE_SE_S6_NS0_8equal_toIlEEEE10hipError_tPvRmT2_T3_mT4_T5_T6_T7_T8_P12ihipStream_tbENKUlT_T0_E_clISt17integral_constantIbLb1EESX_IbLb0EEEEDaST_SU_EUlST_E_NS1_11comp_targetILNS1_3genE2ELNS1_11target_archE906ELNS1_3gpuE6ELNS1_3repE0EEENS1_30default_config_static_selectorELNS0_4arch9wavefront6targetE1EEEvT1_
; %bb.0:
	.section	.rodata,"a",@progbits
	.p2align	6, 0x0
	.amdhsa_kernel _ZN7rocprim17ROCPRIM_400000_NS6detail17trampoline_kernelINS0_14default_configENS1_33run_length_encode_config_selectorIljNS0_4plusIjEEEEZZNS1_33reduce_by_key_impl_wrapped_configILNS1_25lookback_scan_determinismE0ES3_S7_PKlNS0_17constant_iteratorIjlEEPlSE_SE_S6_NS0_8equal_toIlEEEE10hipError_tPvRmT2_T3_mT4_T5_T6_T7_T8_P12ihipStream_tbENKUlT_T0_E_clISt17integral_constantIbLb1EESX_IbLb0EEEEDaST_SU_EUlST_E_NS1_11comp_targetILNS1_3genE2ELNS1_11target_archE906ELNS1_3gpuE6ELNS1_3repE0EEENS1_30default_config_static_selectorELNS0_4arch9wavefront6targetE1EEEvT1_
		.amdhsa_group_segment_fixed_size 0
		.amdhsa_private_segment_fixed_size 0
		.amdhsa_kernarg_size 128
		.amdhsa_user_sgpr_count 2
		.amdhsa_user_sgpr_dispatch_ptr 0
		.amdhsa_user_sgpr_queue_ptr 0
		.amdhsa_user_sgpr_kernarg_segment_ptr 1
		.amdhsa_user_sgpr_dispatch_id 0
		.amdhsa_user_sgpr_kernarg_preload_length 0
		.amdhsa_user_sgpr_kernarg_preload_offset 0
		.amdhsa_user_sgpr_private_segment_size 0
		.amdhsa_uses_dynamic_stack 0
		.amdhsa_enable_private_segment 0
		.amdhsa_system_sgpr_workgroup_id_x 1
		.amdhsa_system_sgpr_workgroup_id_y 0
		.amdhsa_system_sgpr_workgroup_id_z 0
		.amdhsa_system_sgpr_workgroup_info 0
		.amdhsa_system_vgpr_workitem_id 0
		.amdhsa_next_free_vgpr 1
		.amdhsa_next_free_sgpr 0
		.amdhsa_accum_offset 4
		.amdhsa_reserve_vcc 0
		.amdhsa_float_round_mode_32 0
		.amdhsa_float_round_mode_16_64 0
		.amdhsa_float_denorm_mode_32 3
		.amdhsa_float_denorm_mode_16_64 3
		.amdhsa_dx10_clamp 1
		.amdhsa_ieee_mode 1
		.amdhsa_fp16_overflow 0
		.amdhsa_tg_split 0
		.amdhsa_exception_fp_ieee_invalid_op 0
		.amdhsa_exception_fp_denorm_src 0
		.amdhsa_exception_fp_ieee_div_zero 0
		.amdhsa_exception_fp_ieee_overflow 0
		.amdhsa_exception_fp_ieee_underflow 0
		.amdhsa_exception_fp_ieee_inexact 0
		.amdhsa_exception_int_div_zero 0
	.end_amdhsa_kernel
	.section	.text._ZN7rocprim17ROCPRIM_400000_NS6detail17trampoline_kernelINS0_14default_configENS1_33run_length_encode_config_selectorIljNS0_4plusIjEEEEZZNS1_33reduce_by_key_impl_wrapped_configILNS1_25lookback_scan_determinismE0ES3_S7_PKlNS0_17constant_iteratorIjlEEPlSE_SE_S6_NS0_8equal_toIlEEEE10hipError_tPvRmT2_T3_mT4_T5_T6_T7_T8_P12ihipStream_tbENKUlT_T0_E_clISt17integral_constantIbLb1EESX_IbLb0EEEEDaST_SU_EUlST_E_NS1_11comp_targetILNS1_3genE2ELNS1_11target_archE906ELNS1_3gpuE6ELNS1_3repE0EEENS1_30default_config_static_selectorELNS0_4arch9wavefront6targetE1EEEvT1_,"axG",@progbits,_ZN7rocprim17ROCPRIM_400000_NS6detail17trampoline_kernelINS0_14default_configENS1_33run_length_encode_config_selectorIljNS0_4plusIjEEEEZZNS1_33reduce_by_key_impl_wrapped_configILNS1_25lookback_scan_determinismE0ES3_S7_PKlNS0_17constant_iteratorIjlEEPlSE_SE_S6_NS0_8equal_toIlEEEE10hipError_tPvRmT2_T3_mT4_T5_T6_T7_T8_P12ihipStream_tbENKUlT_T0_E_clISt17integral_constantIbLb1EESX_IbLb0EEEEDaST_SU_EUlST_E_NS1_11comp_targetILNS1_3genE2ELNS1_11target_archE906ELNS1_3gpuE6ELNS1_3repE0EEENS1_30default_config_static_selectorELNS0_4arch9wavefront6targetE1EEEvT1_,comdat
.Lfunc_end533:
	.size	_ZN7rocprim17ROCPRIM_400000_NS6detail17trampoline_kernelINS0_14default_configENS1_33run_length_encode_config_selectorIljNS0_4plusIjEEEEZZNS1_33reduce_by_key_impl_wrapped_configILNS1_25lookback_scan_determinismE0ES3_S7_PKlNS0_17constant_iteratorIjlEEPlSE_SE_S6_NS0_8equal_toIlEEEE10hipError_tPvRmT2_T3_mT4_T5_T6_T7_T8_P12ihipStream_tbENKUlT_T0_E_clISt17integral_constantIbLb1EESX_IbLb0EEEEDaST_SU_EUlST_E_NS1_11comp_targetILNS1_3genE2ELNS1_11target_archE906ELNS1_3gpuE6ELNS1_3repE0EEENS1_30default_config_static_selectorELNS0_4arch9wavefront6targetE1EEEvT1_, .Lfunc_end533-_ZN7rocprim17ROCPRIM_400000_NS6detail17trampoline_kernelINS0_14default_configENS1_33run_length_encode_config_selectorIljNS0_4plusIjEEEEZZNS1_33reduce_by_key_impl_wrapped_configILNS1_25lookback_scan_determinismE0ES3_S7_PKlNS0_17constant_iteratorIjlEEPlSE_SE_S6_NS0_8equal_toIlEEEE10hipError_tPvRmT2_T3_mT4_T5_T6_T7_T8_P12ihipStream_tbENKUlT_T0_E_clISt17integral_constantIbLb1EESX_IbLb0EEEEDaST_SU_EUlST_E_NS1_11comp_targetILNS1_3genE2ELNS1_11target_archE906ELNS1_3gpuE6ELNS1_3repE0EEENS1_30default_config_static_selectorELNS0_4arch9wavefront6targetE1EEEvT1_
                                        ; -- End function
	.section	.AMDGPU.csdata,"",@progbits
; Kernel info:
; codeLenInByte = 0
; NumSgprs: 6
; NumVgprs: 0
; NumAgprs: 0
; TotalNumVgprs: 0
; ScratchSize: 0
; MemoryBound: 0
; FloatMode: 240
; IeeeMode: 1
; LDSByteSize: 0 bytes/workgroup (compile time only)
; SGPRBlocks: 0
; VGPRBlocks: 0
; NumSGPRsForWavesPerEU: 6
; NumVGPRsForWavesPerEU: 1
; AccumOffset: 4
; Occupancy: 8
; WaveLimiterHint : 0
; COMPUTE_PGM_RSRC2:SCRATCH_EN: 0
; COMPUTE_PGM_RSRC2:USER_SGPR: 2
; COMPUTE_PGM_RSRC2:TRAP_HANDLER: 0
; COMPUTE_PGM_RSRC2:TGID_X_EN: 1
; COMPUTE_PGM_RSRC2:TGID_Y_EN: 0
; COMPUTE_PGM_RSRC2:TGID_Z_EN: 0
; COMPUTE_PGM_RSRC2:TIDIG_COMP_CNT: 0
; COMPUTE_PGM_RSRC3_GFX90A:ACCUM_OFFSET: 0
; COMPUTE_PGM_RSRC3_GFX90A:TG_SPLIT: 0
	.section	.text._ZN7rocprim17ROCPRIM_400000_NS6detail17trampoline_kernelINS0_14default_configENS1_33run_length_encode_config_selectorIljNS0_4plusIjEEEEZZNS1_33reduce_by_key_impl_wrapped_configILNS1_25lookback_scan_determinismE0ES3_S7_PKlNS0_17constant_iteratorIjlEEPlSE_SE_S6_NS0_8equal_toIlEEEE10hipError_tPvRmT2_T3_mT4_T5_T6_T7_T8_P12ihipStream_tbENKUlT_T0_E_clISt17integral_constantIbLb1EESX_IbLb0EEEEDaST_SU_EUlST_E_NS1_11comp_targetILNS1_3genE10ELNS1_11target_archE1201ELNS1_3gpuE5ELNS1_3repE0EEENS1_30default_config_static_selectorELNS0_4arch9wavefront6targetE1EEEvT1_,"axG",@progbits,_ZN7rocprim17ROCPRIM_400000_NS6detail17trampoline_kernelINS0_14default_configENS1_33run_length_encode_config_selectorIljNS0_4plusIjEEEEZZNS1_33reduce_by_key_impl_wrapped_configILNS1_25lookback_scan_determinismE0ES3_S7_PKlNS0_17constant_iteratorIjlEEPlSE_SE_S6_NS0_8equal_toIlEEEE10hipError_tPvRmT2_T3_mT4_T5_T6_T7_T8_P12ihipStream_tbENKUlT_T0_E_clISt17integral_constantIbLb1EESX_IbLb0EEEEDaST_SU_EUlST_E_NS1_11comp_targetILNS1_3genE10ELNS1_11target_archE1201ELNS1_3gpuE5ELNS1_3repE0EEENS1_30default_config_static_selectorELNS0_4arch9wavefront6targetE1EEEvT1_,comdat
	.protected	_ZN7rocprim17ROCPRIM_400000_NS6detail17trampoline_kernelINS0_14default_configENS1_33run_length_encode_config_selectorIljNS0_4plusIjEEEEZZNS1_33reduce_by_key_impl_wrapped_configILNS1_25lookback_scan_determinismE0ES3_S7_PKlNS0_17constant_iteratorIjlEEPlSE_SE_S6_NS0_8equal_toIlEEEE10hipError_tPvRmT2_T3_mT4_T5_T6_T7_T8_P12ihipStream_tbENKUlT_T0_E_clISt17integral_constantIbLb1EESX_IbLb0EEEEDaST_SU_EUlST_E_NS1_11comp_targetILNS1_3genE10ELNS1_11target_archE1201ELNS1_3gpuE5ELNS1_3repE0EEENS1_30default_config_static_selectorELNS0_4arch9wavefront6targetE1EEEvT1_ ; -- Begin function _ZN7rocprim17ROCPRIM_400000_NS6detail17trampoline_kernelINS0_14default_configENS1_33run_length_encode_config_selectorIljNS0_4plusIjEEEEZZNS1_33reduce_by_key_impl_wrapped_configILNS1_25lookback_scan_determinismE0ES3_S7_PKlNS0_17constant_iteratorIjlEEPlSE_SE_S6_NS0_8equal_toIlEEEE10hipError_tPvRmT2_T3_mT4_T5_T6_T7_T8_P12ihipStream_tbENKUlT_T0_E_clISt17integral_constantIbLb1EESX_IbLb0EEEEDaST_SU_EUlST_E_NS1_11comp_targetILNS1_3genE10ELNS1_11target_archE1201ELNS1_3gpuE5ELNS1_3repE0EEENS1_30default_config_static_selectorELNS0_4arch9wavefront6targetE1EEEvT1_
	.globl	_ZN7rocprim17ROCPRIM_400000_NS6detail17trampoline_kernelINS0_14default_configENS1_33run_length_encode_config_selectorIljNS0_4plusIjEEEEZZNS1_33reduce_by_key_impl_wrapped_configILNS1_25lookback_scan_determinismE0ES3_S7_PKlNS0_17constant_iteratorIjlEEPlSE_SE_S6_NS0_8equal_toIlEEEE10hipError_tPvRmT2_T3_mT4_T5_T6_T7_T8_P12ihipStream_tbENKUlT_T0_E_clISt17integral_constantIbLb1EESX_IbLb0EEEEDaST_SU_EUlST_E_NS1_11comp_targetILNS1_3genE10ELNS1_11target_archE1201ELNS1_3gpuE5ELNS1_3repE0EEENS1_30default_config_static_selectorELNS0_4arch9wavefront6targetE1EEEvT1_
	.p2align	8
	.type	_ZN7rocprim17ROCPRIM_400000_NS6detail17trampoline_kernelINS0_14default_configENS1_33run_length_encode_config_selectorIljNS0_4plusIjEEEEZZNS1_33reduce_by_key_impl_wrapped_configILNS1_25lookback_scan_determinismE0ES3_S7_PKlNS0_17constant_iteratorIjlEEPlSE_SE_S6_NS0_8equal_toIlEEEE10hipError_tPvRmT2_T3_mT4_T5_T6_T7_T8_P12ihipStream_tbENKUlT_T0_E_clISt17integral_constantIbLb1EESX_IbLb0EEEEDaST_SU_EUlST_E_NS1_11comp_targetILNS1_3genE10ELNS1_11target_archE1201ELNS1_3gpuE5ELNS1_3repE0EEENS1_30default_config_static_selectorELNS0_4arch9wavefront6targetE1EEEvT1_,@function
_ZN7rocprim17ROCPRIM_400000_NS6detail17trampoline_kernelINS0_14default_configENS1_33run_length_encode_config_selectorIljNS0_4plusIjEEEEZZNS1_33reduce_by_key_impl_wrapped_configILNS1_25lookback_scan_determinismE0ES3_S7_PKlNS0_17constant_iteratorIjlEEPlSE_SE_S6_NS0_8equal_toIlEEEE10hipError_tPvRmT2_T3_mT4_T5_T6_T7_T8_P12ihipStream_tbENKUlT_T0_E_clISt17integral_constantIbLb1EESX_IbLb0EEEEDaST_SU_EUlST_E_NS1_11comp_targetILNS1_3genE10ELNS1_11target_archE1201ELNS1_3gpuE5ELNS1_3repE0EEENS1_30default_config_static_selectorELNS0_4arch9wavefront6targetE1EEEvT1_: ; @_ZN7rocprim17ROCPRIM_400000_NS6detail17trampoline_kernelINS0_14default_configENS1_33run_length_encode_config_selectorIljNS0_4plusIjEEEEZZNS1_33reduce_by_key_impl_wrapped_configILNS1_25lookback_scan_determinismE0ES3_S7_PKlNS0_17constant_iteratorIjlEEPlSE_SE_S6_NS0_8equal_toIlEEEE10hipError_tPvRmT2_T3_mT4_T5_T6_T7_T8_P12ihipStream_tbENKUlT_T0_E_clISt17integral_constantIbLb1EESX_IbLb0EEEEDaST_SU_EUlST_E_NS1_11comp_targetILNS1_3genE10ELNS1_11target_archE1201ELNS1_3gpuE5ELNS1_3repE0EEENS1_30default_config_static_selectorELNS0_4arch9wavefront6targetE1EEEvT1_
; %bb.0:
	.section	.rodata,"a",@progbits
	.p2align	6, 0x0
	.amdhsa_kernel _ZN7rocprim17ROCPRIM_400000_NS6detail17trampoline_kernelINS0_14default_configENS1_33run_length_encode_config_selectorIljNS0_4plusIjEEEEZZNS1_33reduce_by_key_impl_wrapped_configILNS1_25lookback_scan_determinismE0ES3_S7_PKlNS0_17constant_iteratorIjlEEPlSE_SE_S6_NS0_8equal_toIlEEEE10hipError_tPvRmT2_T3_mT4_T5_T6_T7_T8_P12ihipStream_tbENKUlT_T0_E_clISt17integral_constantIbLb1EESX_IbLb0EEEEDaST_SU_EUlST_E_NS1_11comp_targetILNS1_3genE10ELNS1_11target_archE1201ELNS1_3gpuE5ELNS1_3repE0EEENS1_30default_config_static_selectorELNS0_4arch9wavefront6targetE1EEEvT1_
		.amdhsa_group_segment_fixed_size 0
		.amdhsa_private_segment_fixed_size 0
		.amdhsa_kernarg_size 128
		.amdhsa_user_sgpr_count 2
		.amdhsa_user_sgpr_dispatch_ptr 0
		.amdhsa_user_sgpr_queue_ptr 0
		.amdhsa_user_sgpr_kernarg_segment_ptr 1
		.amdhsa_user_sgpr_dispatch_id 0
		.amdhsa_user_sgpr_kernarg_preload_length 0
		.amdhsa_user_sgpr_kernarg_preload_offset 0
		.amdhsa_user_sgpr_private_segment_size 0
		.amdhsa_uses_dynamic_stack 0
		.amdhsa_enable_private_segment 0
		.amdhsa_system_sgpr_workgroup_id_x 1
		.amdhsa_system_sgpr_workgroup_id_y 0
		.amdhsa_system_sgpr_workgroup_id_z 0
		.amdhsa_system_sgpr_workgroup_info 0
		.amdhsa_system_vgpr_workitem_id 0
		.amdhsa_next_free_vgpr 1
		.amdhsa_next_free_sgpr 0
		.amdhsa_accum_offset 4
		.amdhsa_reserve_vcc 0
		.amdhsa_float_round_mode_32 0
		.amdhsa_float_round_mode_16_64 0
		.amdhsa_float_denorm_mode_32 3
		.amdhsa_float_denorm_mode_16_64 3
		.amdhsa_dx10_clamp 1
		.amdhsa_ieee_mode 1
		.amdhsa_fp16_overflow 0
		.amdhsa_tg_split 0
		.amdhsa_exception_fp_ieee_invalid_op 0
		.amdhsa_exception_fp_denorm_src 0
		.amdhsa_exception_fp_ieee_div_zero 0
		.amdhsa_exception_fp_ieee_overflow 0
		.amdhsa_exception_fp_ieee_underflow 0
		.amdhsa_exception_fp_ieee_inexact 0
		.amdhsa_exception_int_div_zero 0
	.end_amdhsa_kernel
	.section	.text._ZN7rocprim17ROCPRIM_400000_NS6detail17trampoline_kernelINS0_14default_configENS1_33run_length_encode_config_selectorIljNS0_4plusIjEEEEZZNS1_33reduce_by_key_impl_wrapped_configILNS1_25lookback_scan_determinismE0ES3_S7_PKlNS0_17constant_iteratorIjlEEPlSE_SE_S6_NS0_8equal_toIlEEEE10hipError_tPvRmT2_T3_mT4_T5_T6_T7_T8_P12ihipStream_tbENKUlT_T0_E_clISt17integral_constantIbLb1EESX_IbLb0EEEEDaST_SU_EUlST_E_NS1_11comp_targetILNS1_3genE10ELNS1_11target_archE1201ELNS1_3gpuE5ELNS1_3repE0EEENS1_30default_config_static_selectorELNS0_4arch9wavefront6targetE1EEEvT1_,"axG",@progbits,_ZN7rocprim17ROCPRIM_400000_NS6detail17trampoline_kernelINS0_14default_configENS1_33run_length_encode_config_selectorIljNS0_4plusIjEEEEZZNS1_33reduce_by_key_impl_wrapped_configILNS1_25lookback_scan_determinismE0ES3_S7_PKlNS0_17constant_iteratorIjlEEPlSE_SE_S6_NS0_8equal_toIlEEEE10hipError_tPvRmT2_T3_mT4_T5_T6_T7_T8_P12ihipStream_tbENKUlT_T0_E_clISt17integral_constantIbLb1EESX_IbLb0EEEEDaST_SU_EUlST_E_NS1_11comp_targetILNS1_3genE10ELNS1_11target_archE1201ELNS1_3gpuE5ELNS1_3repE0EEENS1_30default_config_static_selectorELNS0_4arch9wavefront6targetE1EEEvT1_,comdat
.Lfunc_end534:
	.size	_ZN7rocprim17ROCPRIM_400000_NS6detail17trampoline_kernelINS0_14default_configENS1_33run_length_encode_config_selectorIljNS0_4plusIjEEEEZZNS1_33reduce_by_key_impl_wrapped_configILNS1_25lookback_scan_determinismE0ES3_S7_PKlNS0_17constant_iteratorIjlEEPlSE_SE_S6_NS0_8equal_toIlEEEE10hipError_tPvRmT2_T3_mT4_T5_T6_T7_T8_P12ihipStream_tbENKUlT_T0_E_clISt17integral_constantIbLb1EESX_IbLb0EEEEDaST_SU_EUlST_E_NS1_11comp_targetILNS1_3genE10ELNS1_11target_archE1201ELNS1_3gpuE5ELNS1_3repE0EEENS1_30default_config_static_selectorELNS0_4arch9wavefront6targetE1EEEvT1_, .Lfunc_end534-_ZN7rocprim17ROCPRIM_400000_NS6detail17trampoline_kernelINS0_14default_configENS1_33run_length_encode_config_selectorIljNS0_4plusIjEEEEZZNS1_33reduce_by_key_impl_wrapped_configILNS1_25lookback_scan_determinismE0ES3_S7_PKlNS0_17constant_iteratorIjlEEPlSE_SE_S6_NS0_8equal_toIlEEEE10hipError_tPvRmT2_T3_mT4_T5_T6_T7_T8_P12ihipStream_tbENKUlT_T0_E_clISt17integral_constantIbLb1EESX_IbLb0EEEEDaST_SU_EUlST_E_NS1_11comp_targetILNS1_3genE10ELNS1_11target_archE1201ELNS1_3gpuE5ELNS1_3repE0EEENS1_30default_config_static_selectorELNS0_4arch9wavefront6targetE1EEEvT1_
                                        ; -- End function
	.section	.AMDGPU.csdata,"",@progbits
; Kernel info:
; codeLenInByte = 0
; NumSgprs: 6
; NumVgprs: 0
; NumAgprs: 0
; TotalNumVgprs: 0
; ScratchSize: 0
; MemoryBound: 0
; FloatMode: 240
; IeeeMode: 1
; LDSByteSize: 0 bytes/workgroup (compile time only)
; SGPRBlocks: 0
; VGPRBlocks: 0
; NumSGPRsForWavesPerEU: 6
; NumVGPRsForWavesPerEU: 1
; AccumOffset: 4
; Occupancy: 8
; WaveLimiterHint : 0
; COMPUTE_PGM_RSRC2:SCRATCH_EN: 0
; COMPUTE_PGM_RSRC2:USER_SGPR: 2
; COMPUTE_PGM_RSRC2:TRAP_HANDLER: 0
; COMPUTE_PGM_RSRC2:TGID_X_EN: 1
; COMPUTE_PGM_RSRC2:TGID_Y_EN: 0
; COMPUTE_PGM_RSRC2:TGID_Z_EN: 0
; COMPUTE_PGM_RSRC2:TIDIG_COMP_CNT: 0
; COMPUTE_PGM_RSRC3_GFX90A:ACCUM_OFFSET: 0
; COMPUTE_PGM_RSRC3_GFX90A:TG_SPLIT: 0
	.section	.text._ZN7rocprim17ROCPRIM_400000_NS6detail17trampoline_kernelINS0_14default_configENS1_33run_length_encode_config_selectorIljNS0_4plusIjEEEEZZNS1_33reduce_by_key_impl_wrapped_configILNS1_25lookback_scan_determinismE0ES3_S7_PKlNS0_17constant_iteratorIjlEEPlSE_SE_S6_NS0_8equal_toIlEEEE10hipError_tPvRmT2_T3_mT4_T5_T6_T7_T8_P12ihipStream_tbENKUlT_T0_E_clISt17integral_constantIbLb1EESX_IbLb0EEEEDaST_SU_EUlST_E_NS1_11comp_targetILNS1_3genE10ELNS1_11target_archE1200ELNS1_3gpuE4ELNS1_3repE0EEENS1_30default_config_static_selectorELNS0_4arch9wavefront6targetE1EEEvT1_,"axG",@progbits,_ZN7rocprim17ROCPRIM_400000_NS6detail17trampoline_kernelINS0_14default_configENS1_33run_length_encode_config_selectorIljNS0_4plusIjEEEEZZNS1_33reduce_by_key_impl_wrapped_configILNS1_25lookback_scan_determinismE0ES3_S7_PKlNS0_17constant_iteratorIjlEEPlSE_SE_S6_NS0_8equal_toIlEEEE10hipError_tPvRmT2_T3_mT4_T5_T6_T7_T8_P12ihipStream_tbENKUlT_T0_E_clISt17integral_constantIbLb1EESX_IbLb0EEEEDaST_SU_EUlST_E_NS1_11comp_targetILNS1_3genE10ELNS1_11target_archE1200ELNS1_3gpuE4ELNS1_3repE0EEENS1_30default_config_static_selectorELNS0_4arch9wavefront6targetE1EEEvT1_,comdat
	.protected	_ZN7rocprim17ROCPRIM_400000_NS6detail17trampoline_kernelINS0_14default_configENS1_33run_length_encode_config_selectorIljNS0_4plusIjEEEEZZNS1_33reduce_by_key_impl_wrapped_configILNS1_25lookback_scan_determinismE0ES3_S7_PKlNS0_17constant_iteratorIjlEEPlSE_SE_S6_NS0_8equal_toIlEEEE10hipError_tPvRmT2_T3_mT4_T5_T6_T7_T8_P12ihipStream_tbENKUlT_T0_E_clISt17integral_constantIbLb1EESX_IbLb0EEEEDaST_SU_EUlST_E_NS1_11comp_targetILNS1_3genE10ELNS1_11target_archE1200ELNS1_3gpuE4ELNS1_3repE0EEENS1_30default_config_static_selectorELNS0_4arch9wavefront6targetE1EEEvT1_ ; -- Begin function _ZN7rocprim17ROCPRIM_400000_NS6detail17trampoline_kernelINS0_14default_configENS1_33run_length_encode_config_selectorIljNS0_4plusIjEEEEZZNS1_33reduce_by_key_impl_wrapped_configILNS1_25lookback_scan_determinismE0ES3_S7_PKlNS0_17constant_iteratorIjlEEPlSE_SE_S6_NS0_8equal_toIlEEEE10hipError_tPvRmT2_T3_mT4_T5_T6_T7_T8_P12ihipStream_tbENKUlT_T0_E_clISt17integral_constantIbLb1EESX_IbLb0EEEEDaST_SU_EUlST_E_NS1_11comp_targetILNS1_3genE10ELNS1_11target_archE1200ELNS1_3gpuE4ELNS1_3repE0EEENS1_30default_config_static_selectorELNS0_4arch9wavefront6targetE1EEEvT1_
	.globl	_ZN7rocprim17ROCPRIM_400000_NS6detail17trampoline_kernelINS0_14default_configENS1_33run_length_encode_config_selectorIljNS0_4plusIjEEEEZZNS1_33reduce_by_key_impl_wrapped_configILNS1_25lookback_scan_determinismE0ES3_S7_PKlNS0_17constant_iteratorIjlEEPlSE_SE_S6_NS0_8equal_toIlEEEE10hipError_tPvRmT2_T3_mT4_T5_T6_T7_T8_P12ihipStream_tbENKUlT_T0_E_clISt17integral_constantIbLb1EESX_IbLb0EEEEDaST_SU_EUlST_E_NS1_11comp_targetILNS1_3genE10ELNS1_11target_archE1200ELNS1_3gpuE4ELNS1_3repE0EEENS1_30default_config_static_selectorELNS0_4arch9wavefront6targetE1EEEvT1_
	.p2align	8
	.type	_ZN7rocprim17ROCPRIM_400000_NS6detail17trampoline_kernelINS0_14default_configENS1_33run_length_encode_config_selectorIljNS0_4plusIjEEEEZZNS1_33reduce_by_key_impl_wrapped_configILNS1_25lookback_scan_determinismE0ES3_S7_PKlNS0_17constant_iteratorIjlEEPlSE_SE_S6_NS0_8equal_toIlEEEE10hipError_tPvRmT2_T3_mT4_T5_T6_T7_T8_P12ihipStream_tbENKUlT_T0_E_clISt17integral_constantIbLb1EESX_IbLb0EEEEDaST_SU_EUlST_E_NS1_11comp_targetILNS1_3genE10ELNS1_11target_archE1200ELNS1_3gpuE4ELNS1_3repE0EEENS1_30default_config_static_selectorELNS0_4arch9wavefront6targetE1EEEvT1_,@function
_ZN7rocprim17ROCPRIM_400000_NS6detail17trampoline_kernelINS0_14default_configENS1_33run_length_encode_config_selectorIljNS0_4plusIjEEEEZZNS1_33reduce_by_key_impl_wrapped_configILNS1_25lookback_scan_determinismE0ES3_S7_PKlNS0_17constant_iteratorIjlEEPlSE_SE_S6_NS0_8equal_toIlEEEE10hipError_tPvRmT2_T3_mT4_T5_T6_T7_T8_P12ihipStream_tbENKUlT_T0_E_clISt17integral_constantIbLb1EESX_IbLb0EEEEDaST_SU_EUlST_E_NS1_11comp_targetILNS1_3genE10ELNS1_11target_archE1200ELNS1_3gpuE4ELNS1_3repE0EEENS1_30default_config_static_selectorELNS0_4arch9wavefront6targetE1EEEvT1_: ; @_ZN7rocprim17ROCPRIM_400000_NS6detail17trampoline_kernelINS0_14default_configENS1_33run_length_encode_config_selectorIljNS0_4plusIjEEEEZZNS1_33reduce_by_key_impl_wrapped_configILNS1_25lookback_scan_determinismE0ES3_S7_PKlNS0_17constant_iteratorIjlEEPlSE_SE_S6_NS0_8equal_toIlEEEE10hipError_tPvRmT2_T3_mT4_T5_T6_T7_T8_P12ihipStream_tbENKUlT_T0_E_clISt17integral_constantIbLb1EESX_IbLb0EEEEDaST_SU_EUlST_E_NS1_11comp_targetILNS1_3genE10ELNS1_11target_archE1200ELNS1_3gpuE4ELNS1_3repE0EEENS1_30default_config_static_selectorELNS0_4arch9wavefront6targetE1EEEvT1_
; %bb.0:
	.section	.rodata,"a",@progbits
	.p2align	6, 0x0
	.amdhsa_kernel _ZN7rocprim17ROCPRIM_400000_NS6detail17trampoline_kernelINS0_14default_configENS1_33run_length_encode_config_selectorIljNS0_4plusIjEEEEZZNS1_33reduce_by_key_impl_wrapped_configILNS1_25lookback_scan_determinismE0ES3_S7_PKlNS0_17constant_iteratorIjlEEPlSE_SE_S6_NS0_8equal_toIlEEEE10hipError_tPvRmT2_T3_mT4_T5_T6_T7_T8_P12ihipStream_tbENKUlT_T0_E_clISt17integral_constantIbLb1EESX_IbLb0EEEEDaST_SU_EUlST_E_NS1_11comp_targetILNS1_3genE10ELNS1_11target_archE1200ELNS1_3gpuE4ELNS1_3repE0EEENS1_30default_config_static_selectorELNS0_4arch9wavefront6targetE1EEEvT1_
		.amdhsa_group_segment_fixed_size 0
		.amdhsa_private_segment_fixed_size 0
		.amdhsa_kernarg_size 128
		.amdhsa_user_sgpr_count 2
		.amdhsa_user_sgpr_dispatch_ptr 0
		.amdhsa_user_sgpr_queue_ptr 0
		.amdhsa_user_sgpr_kernarg_segment_ptr 1
		.amdhsa_user_sgpr_dispatch_id 0
		.amdhsa_user_sgpr_kernarg_preload_length 0
		.amdhsa_user_sgpr_kernarg_preload_offset 0
		.amdhsa_user_sgpr_private_segment_size 0
		.amdhsa_uses_dynamic_stack 0
		.amdhsa_enable_private_segment 0
		.amdhsa_system_sgpr_workgroup_id_x 1
		.amdhsa_system_sgpr_workgroup_id_y 0
		.amdhsa_system_sgpr_workgroup_id_z 0
		.amdhsa_system_sgpr_workgroup_info 0
		.amdhsa_system_vgpr_workitem_id 0
		.amdhsa_next_free_vgpr 1
		.amdhsa_next_free_sgpr 0
		.amdhsa_accum_offset 4
		.amdhsa_reserve_vcc 0
		.amdhsa_float_round_mode_32 0
		.amdhsa_float_round_mode_16_64 0
		.amdhsa_float_denorm_mode_32 3
		.amdhsa_float_denorm_mode_16_64 3
		.amdhsa_dx10_clamp 1
		.amdhsa_ieee_mode 1
		.amdhsa_fp16_overflow 0
		.amdhsa_tg_split 0
		.amdhsa_exception_fp_ieee_invalid_op 0
		.amdhsa_exception_fp_denorm_src 0
		.amdhsa_exception_fp_ieee_div_zero 0
		.amdhsa_exception_fp_ieee_overflow 0
		.amdhsa_exception_fp_ieee_underflow 0
		.amdhsa_exception_fp_ieee_inexact 0
		.amdhsa_exception_int_div_zero 0
	.end_amdhsa_kernel
	.section	.text._ZN7rocprim17ROCPRIM_400000_NS6detail17trampoline_kernelINS0_14default_configENS1_33run_length_encode_config_selectorIljNS0_4plusIjEEEEZZNS1_33reduce_by_key_impl_wrapped_configILNS1_25lookback_scan_determinismE0ES3_S7_PKlNS0_17constant_iteratorIjlEEPlSE_SE_S6_NS0_8equal_toIlEEEE10hipError_tPvRmT2_T3_mT4_T5_T6_T7_T8_P12ihipStream_tbENKUlT_T0_E_clISt17integral_constantIbLb1EESX_IbLb0EEEEDaST_SU_EUlST_E_NS1_11comp_targetILNS1_3genE10ELNS1_11target_archE1200ELNS1_3gpuE4ELNS1_3repE0EEENS1_30default_config_static_selectorELNS0_4arch9wavefront6targetE1EEEvT1_,"axG",@progbits,_ZN7rocprim17ROCPRIM_400000_NS6detail17trampoline_kernelINS0_14default_configENS1_33run_length_encode_config_selectorIljNS0_4plusIjEEEEZZNS1_33reduce_by_key_impl_wrapped_configILNS1_25lookback_scan_determinismE0ES3_S7_PKlNS0_17constant_iteratorIjlEEPlSE_SE_S6_NS0_8equal_toIlEEEE10hipError_tPvRmT2_T3_mT4_T5_T6_T7_T8_P12ihipStream_tbENKUlT_T0_E_clISt17integral_constantIbLb1EESX_IbLb0EEEEDaST_SU_EUlST_E_NS1_11comp_targetILNS1_3genE10ELNS1_11target_archE1200ELNS1_3gpuE4ELNS1_3repE0EEENS1_30default_config_static_selectorELNS0_4arch9wavefront6targetE1EEEvT1_,comdat
.Lfunc_end535:
	.size	_ZN7rocprim17ROCPRIM_400000_NS6detail17trampoline_kernelINS0_14default_configENS1_33run_length_encode_config_selectorIljNS0_4plusIjEEEEZZNS1_33reduce_by_key_impl_wrapped_configILNS1_25lookback_scan_determinismE0ES3_S7_PKlNS0_17constant_iteratorIjlEEPlSE_SE_S6_NS0_8equal_toIlEEEE10hipError_tPvRmT2_T3_mT4_T5_T6_T7_T8_P12ihipStream_tbENKUlT_T0_E_clISt17integral_constantIbLb1EESX_IbLb0EEEEDaST_SU_EUlST_E_NS1_11comp_targetILNS1_3genE10ELNS1_11target_archE1200ELNS1_3gpuE4ELNS1_3repE0EEENS1_30default_config_static_selectorELNS0_4arch9wavefront6targetE1EEEvT1_, .Lfunc_end535-_ZN7rocprim17ROCPRIM_400000_NS6detail17trampoline_kernelINS0_14default_configENS1_33run_length_encode_config_selectorIljNS0_4plusIjEEEEZZNS1_33reduce_by_key_impl_wrapped_configILNS1_25lookback_scan_determinismE0ES3_S7_PKlNS0_17constant_iteratorIjlEEPlSE_SE_S6_NS0_8equal_toIlEEEE10hipError_tPvRmT2_T3_mT4_T5_T6_T7_T8_P12ihipStream_tbENKUlT_T0_E_clISt17integral_constantIbLb1EESX_IbLb0EEEEDaST_SU_EUlST_E_NS1_11comp_targetILNS1_3genE10ELNS1_11target_archE1200ELNS1_3gpuE4ELNS1_3repE0EEENS1_30default_config_static_selectorELNS0_4arch9wavefront6targetE1EEEvT1_
                                        ; -- End function
	.section	.AMDGPU.csdata,"",@progbits
; Kernel info:
; codeLenInByte = 0
; NumSgprs: 6
; NumVgprs: 0
; NumAgprs: 0
; TotalNumVgprs: 0
; ScratchSize: 0
; MemoryBound: 0
; FloatMode: 240
; IeeeMode: 1
; LDSByteSize: 0 bytes/workgroup (compile time only)
; SGPRBlocks: 0
; VGPRBlocks: 0
; NumSGPRsForWavesPerEU: 6
; NumVGPRsForWavesPerEU: 1
; AccumOffset: 4
; Occupancy: 8
; WaveLimiterHint : 0
; COMPUTE_PGM_RSRC2:SCRATCH_EN: 0
; COMPUTE_PGM_RSRC2:USER_SGPR: 2
; COMPUTE_PGM_RSRC2:TRAP_HANDLER: 0
; COMPUTE_PGM_RSRC2:TGID_X_EN: 1
; COMPUTE_PGM_RSRC2:TGID_Y_EN: 0
; COMPUTE_PGM_RSRC2:TGID_Z_EN: 0
; COMPUTE_PGM_RSRC2:TIDIG_COMP_CNT: 0
; COMPUTE_PGM_RSRC3_GFX90A:ACCUM_OFFSET: 0
; COMPUTE_PGM_RSRC3_GFX90A:TG_SPLIT: 0
	.section	.text._ZN7rocprim17ROCPRIM_400000_NS6detail17trampoline_kernelINS0_14default_configENS1_33run_length_encode_config_selectorIljNS0_4plusIjEEEEZZNS1_33reduce_by_key_impl_wrapped_configILNS1_25lookback_scan_determinismE0ES3_S7_PKlNS0_17constant_iteratorIjlEEPlSE_SE_S6_NS0_8equal_toIlEEEE10hipError_tPvRmT2_T3_mT4_T5_T6_T7_T8_P12ihipStream_tbENKUlT_T0_E_clISt17integral_constantIbLb1EESX_IbLb0EEEEDaST_SU_EUlST_E_NS1_11comp_targetILNS1_3genE9ELNS1_11target_archE1100ELNS1_3gpuE3ELNS1_3repE0EEENS1_30default_config_static_selectorELNS0_4arch9wavefront6targetE1EEEvT1_,"axG",@progbits,_ZN7rocprim17ROCPRIM_400000_NS6detail17trampoline_kernelINS0_14default_configENS1_33run_length_encode_config_selectorIljNS0_4plusIjEEEEZZNS1_33reduce_by_key_impl_wrapped_configILNS1_25lookback_scan_determinismE0ES3_S7_PKlNS0_17constant_iteratorIjlEEPlSE_SE_S6_NS0_8equal_toIlEEEE10hipError_tPvRmT2_T3_mT4_T5_T6_T7_T8_P12ihipStream_tbENKUlT_T0_E_clISt17integral_constantIbLb1EESX_IbLb0EEEEDaST_SU_EUlST_E_NS1_11comp_targetILNS1_3genE9ELNS1_11target_archE1100ELNS1_3gpuE3ELNS1_3repE0EEENS1_30default_config_static_selectorELNS0_4arch9wavefront6targetE1EEEvT1_,comdat
	.protected	_ZN7rocprim17ROCPRIM_400000_NS6detail17trampoline_kernelINS0_14default_configENS1_33run_length_encode_config_selectorIljNS0_4plusIjEEEEZZNS1_33reduce_by_key_impl_wrapped_configILNS1_25lookback_scan_determinismE0ES3_S7_PKlNS0_17constant_iteratorIjlEEPlSE_SE_S6_NS0_8equal_toIlEEEE10hipError_tPvRmT2_T3_mT4_T5_T6_T7_T8_P12ihipStream_tbENKUlT_T0_E_clISt17integral_constantIbLb1EESX_IbLb0EEEEDaST_SU_EUlST_E_NS1_11comp_targetILNS1_3genE9ELNS1_11target_archE1100ELNS1_3gpuE3ELNS1_3repE0EEENS1_30default_config_static_selectorELNS0_4arch9wavefront6targetE1EEEvT1_ ; -- Begin function _ZN7rocprim17ROCPRIM_400000_NS6detail17trampoline_kernelINS0_14default_configENS1_33run_length_encode_config_selectorIljNS0_4plusIjEEEEZZNS1_33reduce_by_key_impl_wrapped_configILNS1_25lookback_scan_determinismE0ES3_S7_PKlNS0_17constant_iteratorIjlEEPlSE_SE_S6_NS0_8equal_toIlEEEE10hipError_tPvRmT2_T3_mT4_T5_T6_T7_T8_P12ihipStream_tbENKUlT_T0_E_clISt17integral_constantIbLb1EESX_IbLb0EEEEDaST_SU_EUlST_E_NS1_11comp_targetILNS1_3genE9ELNS1_11target_archE1100ELNS1_3gpuE3ELNS1_3repE0EEENS1_30default_config_static_selectorELNS0_4arch9wavefront6targetE1EEEvT1_
	.globl	_ZN7rocprim17ROCPRIM_400000_NS6detail17trampoline_kernelINS0_14default_configENS1_33run_length_encode_config_selectorIljNS0_4plusIjEEEEZZNS1_33reduce_by_key_impl_wrapped_configILNS1_25lookback_scan_determinismE0ES3_S7_PKlNS0_17constant_iteratorIjlEEPlSE_SE_S6_NS0_8equal_toIlEEEE10hipError_tPvRmT2_T3_mT4_T5_T6_T7_T8_P12ihipStream_tbENKUlT_T0_E_clISt17integral_constantIbLb1EESX_IbLb0EEEEDaST_SU_EUlST_E_NS1_11comp_targetILNS1_3genE9ELNS1_11target_archE1100ELNS1_3gpuE3ELNS1_3repE0EEENS1_30default_config_static_selectorELNS0_4arch9wavefront6targetE1EEEvT1_
	.p2align	8
	.type	_ZN7rocprim17ROCPRIM_400000_NS6detail17trampoline_kernelINS0_14default_configENS1_33run_length_encode_config_selectorIljNS0_4plusIjEEEEZZNS1_33reduce_by_key_impl_wrapped_configILNS1_25lookback_scan_determinismE0ES3_S7_PKlNS0_17constant_iteratorIjlEEPlSE_SE_S6_NS0_8equal_toIlEEEE10hipError_tPvRmT2_T3_mT4_T5_T6_T7_T8_P12ihipStream_tbENKUlT_T0_E_clISt17integral_constantIbLb1EESX_IbLb0EEEEDaST_SU_EUlST_E_NS1_11comp_targetILNS1_3genE9ELNS1_11target_archE1100ELNS1_3gpuE3ELNS1_3repE0EEENS1_30default_config_static_selectorELNS0_4arch9wavefront6targetE1EEEvT1_,@function
_ZN7rocprim17ROCPRIM_400000_NS6detail17trampoline_kernelINS0_14default_configENS1_33run_length_encode_config_selectorIljNS0_4plusIjEEEEZZNS1_33reduce_by_key_impl_wrapped_configILNS1_25lookback_scan_determinismE0ES3_S7_PKlNS0_17constant_iteratorIjlEEPlSE_SE_S6_NS0_8equal_toIlEEEE10hipError_tPvRmT2_T3_mT4_T5_T6_T7_T8_P12ihipStream_tbENKUlT_T0_E_clISt17integral_constantIbLb1EESX_IbLb0EEEEDaST_SU_EUlST_E_NS1_11comp_targetILNS1_3genE9ELNS1_11target_archE1100ELNS1_3gpuE3ELNS1_3repE0EEENS1_30default_config_static_selectorELNS0_4arch9wavefront6targetE1EEEvT1_: ; @_ZN7rocprim17ROCPRIM_400000_NS6detail17trampoline_kernelINS0_14default_configENS1_33run_length_encode_config_selectorIljNS0_4plusIjEEEEZZNS1_33reduce_by_key_impl_wrapped_configILNS1_25lookback_scan_determinismE0ES3_S7_PKlNS0_17constant_iteratorIjlEEPlSE_SE_S6_NS0_8equal_toIlEEEE10hipError_tPvRmT2_T3_mT4_T5_T6_T7_T8_P12ihipStream_tbENKUlT_T0_E_clISt17integral_constantIbLb1EESX_IbLb0EEEEDaST_SU_EUlST_E_NS1_11comp_targetILNS1_3genE9ELNS1_11target_archE1100ELNS1_3gpuE3ELNS1_3repE0EEENS1_30default_config_static_selectorELNS0_4arch9wavefront6targetE1EEEvT1_
; %bb.0:
	.section	.rodata,"a",@progbits
	.p2align	6, 0x0
	.amdhsa_kernel _ZN7rocprim17ROCPRIM_400000_NS6detail17trampoline_kernelINS0_14default_configENS1_33run_length_encode_config_selectorIljNS0_4plusIjEEEEZZNS1_33reduce_by_key_impl_wrapped_configILNS1_25lookback_scan_determinismE0ES3_S7_PKlNS0_17constant_iteratorIjlEEPlSE_SE_S6_NS0_8equal_toIlEEEE10hipError_tPvRmT2_T3_mT4_T5_T6_T7_T8_P12ihipStream_tbENKUlT_T0_E_clISt17integral_constantIbLb1EESX_IbLb0EEEEDaST_SU_EUlST_E_NS1_11comp_targetILNS1_3genE9ELNS1_11target_archE1100ELNS1_3gpuE3ELNS1_3repE0EEENS1_30default_config_static_selectorELNS0_4arch9wavefront6targetE1EEEvT1_
		.amdhsa_group_segment_fixed_size 0
		.amdhsa_private_segment_fixed_size 0
		.amdhsa_kernarg_size 128
		.amdhsa_user_sgpr_count 2
		.amdhsa_user_sgpr_dispatch_ptr 0
		.amdhsa_user_sgpr_queue_ptr 0
		.amdhsa_user_sgpr_kernarg_segment_ptr 1
		.amdhsa_user_sgpr_dispatch_id 0
		.amdhsa_user_sgpr_kernarg_preload_length 0
		.amdhsa_user_sgpr_kernarg_preload_offset 0
		.amdhsa_user_sgpr_private_segment_size 0
		.amdhsa_uses_dynamic_stack 0
		.amdhsa_enable_private_segment 0
		.amdhsa_system_sgpr_workgroup_id_x 1
		.amdhsa_system_sgpr_workgroup_id_y 0
		.amdhsa_system_sgpr_workgroup_id_z 0
		.amdhsa_system_sgpr_workgroup_info 0
		.amdhsa_system_vgpr_workitem_id 0
		.amdhsa_next_free_vgpr 1
		.amdhsa_next_free_sgpr 0
		.amdhsa_accum_offset 4
		.amdhsa_reserve_vcc 0
		.amdhsa_float_round_mode_32 0
		.amdhsa_float_round_mode_16_64 0
		.amdhsa_float_denorm_mode_32 3
		.amdhsa_float_denorm_mode_16_64 3
		.amdhsa_dx10_clamp 1
		.amdhsa_ieee_mode 1
		.amdhsa_fp16_overflow 0
		.amdhsa_tg_split 0
		.amdhsa_exception_fp_ieee_invalid_op 0
		.amdhsa_exception_fp_denorm_src 0
		.amdhsa_exception_fp_ieee_div_zero 0
		.amdhsa_exception_fp_ieee_overflow 0
		.amdhsa_exception_fp_ieee_underflow 0
		.amdhsa_exception_fp_ieee_inexact 0
		.amdhsa_exception_int_div_zero 0
	.end_amdhsa_kernel
	.section	.text._ZN7rocprim17ROCPRIM_400000_NS6detail17trampoline_kernelINS0_14default_configENS1_33run_length_encode_config_selectorIljNS0_4plusIjEEEEZZNS1_33reduce_by_key_impl_wrapped_configILNS1_25lookback_scan_determinismE0ES3_S7_PKlNS0_17constant_iteratorIjlEEPlSE_SE_S6_NS0_8equal_toIlEEEE10hipError_tPvRmT2_T3_mT4_T5_T6_T7_T8_P12ihipStream_tbENKUlT_T0_E_clISt17integral_constantIbLb1EESX_IbLb0EEEEDaST_SU_EUlST_E_NS1_11comp_targetILNS1_3genE9ELNS1_11target_archE1100ELNS1_3gpuE3ELNS1_3repE0EEENS1_30default_config_static_selectorELNS0_4arch9wavefront6targetE1EEEvT1_,"axG",@progbits,_ZN7rocprim17ROCPRIM_400000_NS6detail17trampoline_kernelINS0_14default_configENS1_33run_length_encode_config_selectorIljNS0_4plusIjEEEEZZNS1_33reduce_by_key_impl_wrapped_configILNS1_25lookback_scan_determinismE0ES3_S7_PKlNS0_17constant_iteratorIjlEEPlSE_SE_S6_NS0_8equal_toIlEEEE10hipError_tPvRmT2_T3_mT4_T5_T6_T7_T8_P12ihipStream_tbENKUlT_T0_E_clISt17integral_constantIbLb1EESX_IbLb0EEEEDaST_SU_EUlST_E_NS1_11comp_targetILNS1_3genE9ELNS1_11target_archE1100ELNS1_3gpuE3ELNS1_3repE0EEENS1_30default_config_static_selectorELNS0_4arch9wavefront6targetE1EEEvT1_,comdat
.Lfunc_end536:
	.size	_ZN7rocprim17ROCPRIM_400000_NS6detail17trampoline_kernelINS0_14default_configENS1_33run_length_encode_config_selectorIljNS0_4plusIjEEEEZZNS1_33reduce_by_key_impl_wrapped_configILNS1_25lookback_scan_determinismE0ES3_S7_PKlNS0_17constant_iteratorIjlEEPlSE_SE_S6_NS0_8equal_toIlEEEE10hipError_tPvRmT2_T3_mT4_T5_T6_T7_T8_P12ihipStream_tbENKUlT_T0_E_clISt17integral_constantIbLb1EESX_IbLb0EEEEDaST_SU_EUlST_E_NS1_11comp_targetILNS1_3genE9ELNS1_11target_archE1100ELNS1_3gpuE3ELNS1_3repE0EEENS1_30default_config_static_selectorELNS0_4arch9wavefront6targetE1EEEvT1_, .Lfunc_end536-_ZN7rocprim17ROCPRIM_400000_NS6detail17trampoline_kernelINS0_14default_configENS1_33run_length_encode_config_selectorIljNS0_4plusIjEEEEZZNS1_33reduce_by_key_impl_wrapped_configILNS1_25lookback_scan_determinismE0ES3_S7_PKlNS0_17constant_iteratorIjlEEPlSE_SE_S6_NS0_8equal_toIlEEEE10hipError_tPvRmT2_T3_mT4_T5_T6_T7_T8_P12ihipStream_tbENKUlT_T0_E_clISt17integral_constantIbLb1EESX_IbLb0EEEEDaST_SU_EUlST_E_NS1_11comp_targetILNS1_3genE9ELNS1_11target_archE1100ELNS1_3gpuE3ELNS1_3repE0EEENS1_30default_config_static_selectorELNS0_4arch9wavefront6targetE1EEEvT1_
                                        ; -- End function
	.section	.AMDGPU.csdata,"",@progbits
; Kernel info:
; codeLenInByte = 0
; NumSgprs: 6
; NumVgprs: 0
; NumAgprs: 0
; TotalNumVgprs: 0
; ScratchSize: 0
; MemoryBound: 0
; FloatMode: 240
; IeeeMode: 1
; LDSByteSize: 0 bytes/workgroup (compile time only)
; SGPRBlocks: 0
; VGPRBlocks: 0
; NumSGPRsForWavesPerEU: 6
; NumVGPRsForWavesPerEU: 1
; AccumOffset: 4
; Occupancy: 8
; WaveLimiterHint : 0
; COMPUTE_PGM_RSRC2:SCRATCH_EN: 0
; COMPUTE_PGM_RSRC2:USER_SGPR: 2
; COMPUTE_PGM_RSRC2:TRAP_HANDLER: 0
; COMPUTE_PGM_RSRC2:TGID_X_EN: 1
; COMPUTE_PGM_RSRC2:TGID_Y_EN: 0
; COMPUTE_PGM_RSRC2:TGID_Z_EN: 0
; COMPUTE_PGM_RSRC2:TIDIG_COMP_CNT: 0
; COMPUTE_PGM_RSRC3_GFX90A:ACCUM_OFFSET: 0
; COMPUTE_PGM_RSRC3_GFX90A:TG_SPLIT: 0
	.section	.text._ZN7rocprim17ROCPRIM_400000_NS6detail17trampoline_kernelINS0_14default_configENS1_33run_length_encode_config_selectorIljNS0_4plusIjEEEEZZNS1_33reduce_by_key_impl_wrapped_configILNS1_25lookback_scan_determinismE0ES3_S7_PKlNS0_17constant_iteratorIjlEEPlSE_SE_S6_NS0_8equal_toIlEEEE10hipError_tPvRmT2_T3_mT4_T5_T6_T7_T8_P12ihipStream_tbENKUlT_T0_E_clISt17integral_constantIbLb1EESX_IbLb0EEEEDaST_SU_EUlST_E_NS1_11comp_targetILNS1_3genE8ELNS1_11target_archE1030ELNS1_3gpuE2ELNS1_3repE0EEENS1_30default_config_static_selectorELNS0_4arch9wavefront6targetE1EEEvT1_,"axG",@progbits,_ZN7rocprim17ROCPRIM_400000_NS6detail17trampoline_kernelINS0_14default_configENS1_33run_length_encode_config_selectorIljNS0_4plusIjEEEEZZNS1_33reduce_by_key_impl_wrapped_configILNS1_25lookback_scan_determinismE0ES3_S7_PKlNS0_17constant_iteratorIjlEEPlSE_SE_S6_NS0_8equal_toIlEEEE10hipError_tPvRmT2_T3_mT4_T5_T6_T7_T8_P12ihipStream_tbENKUlT_T0_E_clISt17integral_constantIbLb1EESX_IbLb0EEEEDaST_SU_EUlST_E_NS1_11comp_targetILNS1_3genE8ELNS1_11target_archE1030ELNS1_3gpuE2ELNS1_3repE0EEENS1_30default_config_static_selectorELNS0_4arch9wavefront6targetE1EEEvT1_,comdat
	.protected	_ZN7rocprim17ROCPRIM_400000_NS6detail17trampoline_kernelINS0_14default_configENS1_33run_length_encode_config_selectorIljNS0_4plusIjEEEEZZNS1_33reduce_by_key_impl_wrapped_configILNS1_25lookback_scan_determinismE0ES3_S7_PKlNS0_17constant_iteratorIjlEEPlSE_SE_S6_NS0_8equal_toIlEEEE10hipError_tPvRmT2_T3_mT4_T5_T6_T7_T8_P12ihipStream_tbENKUlT_T0_E_clISt17integral_constantIbLb1EESX_IbLb0EEEEDaST_SU_EUlST_E_NS1_11comp_targetILNS1_3genE8ELNS1_11target_archE1030ELNS1_3gpuE2ELNS1_3repE0EEENS1_30default_config_static_selectorELNS0_4arch9wavefront6targetE1EEEvT1_ ; -- Begin function _ZN7rocprim17ROCPRIM_400000_NS6detail17trampoline_kernelINS0_14default_configENS1_33run_length_encode_config_selectorIljNS0_4plusIjEEEEZZNS1_33reduce_by_key_impl_wrapped_configILNS1_25lookback_scan_determinismE0ES3_S7_PKlNS0_17constant_iteratorIjlEEPlSE_SE_S6_NS0_8equal_toIlEEEE10hipError_tPvRmT2_T3_mT4_T5_T6_T7_T8_P12ihipStream_tbENKUlT_T0_E_clISt17integral_constantIbLb1EESX_IbLb0EEEEDaST_SU_EUlST_E_NS1_11comp_targetILNS1_3genE8ELNS1_11target_archE1030ELNS1_3gpuE2ELNS1_3repE0EEENS1_30default_config_static_selectorELNS0_4arch9wavefront6targetE1EEEvT1_
	.globl	_ZN7rocprim17ROCPRIM_400000_NS6detail17trampoline_kernelINS0_14default_configENS1_33run_length_encode_config_selectorIljNS0_4plusIjEEEEZZNS1_33reduce_by_key_impl_wrapped_configILNS1_25lookback_scan_determinismE0ES3_S7_PKlNS0_17constant_iteratorIjlEEPlSE_SE_S6_NS0_8equal_toIlEEEE10hipError_tPvRmT2_T3_mT4_T5_T6_T7_T8_P12ihipStream_tbENKUlT_T0_E_clISt17integral_constantIbLb1EESX_IbLb0EEEEDaST_SU_EUlST_E_NS1_11comp_targetILNS1_3genE8ELNS1_11target_archE1030ELNS1_3gpuE2ELNS1_3repE0EEENS1_30default_config_static_selectorELNS0_4arch9wavefront6targetE1EEEvT1_
	.p2align	8
	.type	_ZN7rocprim17ROCPRIM_400000_NS6detail17trampoline_kernelINS0_14default_configENS1_33run_length_encode_config_selectorIljNS0_4plusIjEEEEZZNS1_33reduce_by_key_impl_wrapped_configILNS1_25lookback_scan_determinismE0ES3_S7_PKlNS0_17constant_iteratorIjlEEPlSE_SE_S6_NS0_8equal_toIlEEEE10hipError_tPvRmT2_T3_mT4_T5_T6_T7_T8_P12ihipStream_tbENKUlT_T0_E_clISt17integral_constantIbLb1EESX_IbLb0EEEEDaST_SU_EUlST_E_NS1_11comp_targetILNS1_3genE8ELNS1_11target_archE1030ELNS1_3gpuE2ELNS1_3repE0EEENS1_30default_config_static_selectorELNS0_4arch9wavefront6targetE1EEEvT1_,@function
_ZN7rocprim17ROCPRIM_400000_NS6detail17trampoline_kernelINS0_14default_configENS1_33run_length_encode_config_selectorIljNS0_4plusIjEEEEZZNS1_33reduce_by_key_impl_wrapped_configILNS1_25lookback_scan_determinismE0ES3_S7_PKlNS0_17constant_iteratorIjlEEPlSE_SE_S6_NS0_8equal_toIlEEEE10hipError_tPvRmT2_T3_mT4_T5_T6_T7_T8_P12ihipStream_tbENKUlT_T0_E_clISt17integral_constantIbLb1EESX_IbLb0EEEEDaST_SU_EUlST_E_NS1_11comp_targetILNS1_3genE8ELNS1_11target_archE1030ELNS1_3gpuE2ELNS1_3repE0EEENS1_30default_config_static_selectorELNS0_4arch9wavefront6targetE1EEEvT1_: ; @_ZN7rocprim17ROCPRIM_400000_NS6detail17trampoline_kernelINS0_14default_configENS1_33run_length_encode_config_selectorIljNS0_4plusIjEEEEZZNS1_33reduce_by_key_impl_wrapped_configILNS1_25lookback_scan_determinismE0ES3_S7_PKlNS0_17constant_iteratorIjlEEPlSE_SE_S6_NS0_8equal_toIlEEEE10hipError_tPvRmT2_T3_mT4_T5_T6_T7_T8_P12ihipStream_tbENKUlT_T0_E_clISt17integral_constantIbLb1EESX_IbLb0EEEEDaST_SU_EUlST_E_NS1_11comp_targetILNS1_3genE8ELNS1_11target_archE1030ELNS1_3gpuE2ELNS1_3repE0EEENS1_30default_config_static_selectorELNS0_4arch9wavefront6targetE1EEEvT1_
; %bb.0:
	.section	.rodata,"a",@progbits
	.p2align	6, 0x0
	.amdhsa_kernel _ZN7rocprim17ROCPRIM_400000_NS6detail17trampoline_kernelINS0_14default_configENS1_33run_length_encode_config_selectorIljNS0_4plusIjEEEEZZNS1_33reduce_by_key_impl_wrapped_configILNS1_25lookback_scan_determinismE0ES3_S7_PKlNS0_17constant_iteratorIjlEEPlSE_SE_S6_NS0_8equal_toIlEEEE10hipError_tPvRmT2_T3_mT4_T5_T6_T7_T8_P12ihipStream_tbENKUlT_T0_E_clISt17integral_constantIbLb1EESX_IbLb0EEEEDaST_SU_EUlST_E_NS1_11comp_targetILNS1_3genE8ELNS1_11target_archE1030ELNS1_3gpuE2ELNS1_3repE0EEENS1_30default_config_static_selectorELNS0_4arch9wavefront6targetE1EEEvT1_
		.amdhsa_group_segment_fixed_size 0
		.amdhsa_private_segment_fixed_size 0
		.amdhsa_kernarg_size 128
		.amdhsa_user_sgpr_count 2
		.amdhsa_user_sgpr_dispatch_ptr 0
		.amdhsa_user_sgpr_queue_ptr 0
		.amdhsa_user_sgpr_kernarg_segment_ptr 1
		.amdhsa_user_sgpr_dispatch_id 0
		.amdhsa_user_sgpr_kernarg_preload_length 0
		.amdhsa_user_sgpr_kernarg_preload_offset 0
		.amdhsa_user_sgpr_private_segment_size 0
		.amdhsa_uses_dynamic_stack 0
		.amdhsa_enable_private_segment 0
		.amdhsa_system_sgpr_workgroup_id_x 1
		.amdhsa_system_sgpr_workgroup_id_y 0
		.amdhsa_system_sgpr_workgroup_id_z 0
		.amdhsa_system_sgpr_workgroup_info 0
		.amdhsa_system_vgpr_workitem_id 0
		.amdhsa_next_free_vgpr 1
		.amdhsa_next_free_sgpr 0
		.amdhsa_accum_offset 4
		.amdhsa_reserve_vcc 0
		.amdhsa_float_round_mode_32 0
		.amdhsa_float_round_mode_16_64 0
		.amdhsa_float_denorm_mode_32 3
		.amdhsa_float_denorm_mode_16_64 3
		.amdhsa_dx10_clamp 1
		.amdhsa_ieee_mode 1
		.amdhsa_fp16_overflow 0
		.amdhsa_tg_split 0
		.amdhsa_exception_fp_ieee_invalid_op 0
		.amdhsa_exception_fp_denorm_src 0
		.amdhsa_exception_fp_ieee_div_zero 0
		.amdhsa_exception_fp_ieee_overflow 0
		.amdhsa_exception_fp_ieee_underflow 0
		.amdhsa_exception_fp_ieee_inexact 0
		.amdhsa_exception_int_div_zero 0
	.end_amdhsa_kernel
	.section	.text._ZN7rocprim17ROCPRIM_400000_NS6detail17trampoline_kernelINS0_14default_configENS1_33run_length_encode_config_selectorIljNS0_4plusIjEEEEZZNS1_33reduce_by_key_impl_wrapped_configILNS1_25lookback_scan_determinismE0ES3_S7_PKlNS0_17constant_iteratorIjlEEPlSE_SE_S6_NS0_8equal_toIlEEEE10hipError_tPvRmT2_T3_mT4_T5_T6_T7_T8_P12ihipStream_tbENKUlT_T0_E_clISt17integral_constantIbLb1EESX_IbLb0EEEEDaST_SU_EUlST_E_NS1_11comp_targetILNS1_3genE8ELNS1_11target_archE1030ELNS1_3gpuE2ELNS1_3repE0EEENS1_30default_config_static_selectorELNS0_4arch9wavefront6targetE1EEEvT1_,"axG",@progbits,_ZN7rocprim17ROCPRIM_400000_NS6detail17trampoline_kernelINS0_14default_configENS1_33run_length_encode_config_selectorIljNS0_4plusIjEEEEZZNS1_33reduce_by_key_impl_wrapped_configILNS1_25lookback_scan_determinismE0ES3_S7_PKlNS0_17constant_iteratorIjlEEPlSE_SE_S6_NS0_8equal_toIlEEEE10hipError_tPvRmT2_T3_mT4_T5_T6_T7_T8_P12ihipStream_tbENKUlT_T0_E_clISt17integral_constantIbLb1EESX_IbLb0EEEEDaST_SU_EUlST_E_NS1_11comp_targetILNS1_3genE8ELNS1_11target_archE1030ELNS1_3gpuE2ELNS1_3repE0EEENS1_30default_config_static_selectorELNS0_4arch9wavefront6targetE1EEEvT1_,comdat
.Lfunc_end537:
	.size	_ZN7rocprim17ROCPRIM_400000_NS6detail17trampoline_kernelINS0_14default_configENS1_33run_length_encode_config_selectorIljNS0_4plusIjEEEEZZNS1_33reduce_by_key_impl_wrapped_configILNS1_25lookback_scan_determinismE0ES3_S7_PKlNS0_17constant_iteratorIjlEEPlSE_SE_S6_NS0_8equal_toIlEEEE10hipError_tPvRmT2_T3_mT4_T5_T6_T7_T8_P12ihipStream_tbENKUlT_T0_E_clISt17integral_constantIbLb1EESX_IbLb0EEEEDaST_SU_EUlST_E_NS1_11comp_targetILNS1_3genE8ELNS1_11target_archE1030ELNS1_3gpuE2ELNS1_3repE0EEENS1_30default_config_static_selectorELNS0_4arch9wavefront6targetE1EEEvT1_, .Lfunc_end537-_ZN7rocprim17ROCPRIM_400000_NS6detail17trampoline_kernelINS0_14default_configENS1_33run_length_encode_config_selectorIljNS0_4plusIjEEEEZZNS1_33reduce_by_key_impl_wrapped_configILNS1_25lookback_scan_determinismE0ES3_S7_PKlNS0_17constant_iteratorIjlEEPlSE_SE_S6_NS0_8equal_toIlEEEE10hipError_tPvRmT2_T3_mT4_T5_T6_T7_T8_P12ihipStream_tbENKUlT_T0_E_clISt17integral_constantIbLb1EESX_IbLb0EEEEDaST_SU_EUlST_E_NS1_11comp_targetILNS1_3genE8ELNS1_11target_archE1030ELNS1_3gpuE2ELNS1_3repE0EEENS1_30default_config_static_selectorELNS0_4arch9wavefront6targetE1EEEvT1_
                                        ; -- End function
	.section	.AMDGPU.csdata,"",@progbits
; Kernel info:
; codeLenInByte = 0
; NumSgprs: 6
; NumVgprs: 0
; NumAgprs: 0
; TotalNumVgprs: 0
; ScratchSize: 0
; MemoryBound: 0
; FloatMode: 240
; IeeeMode: 1
; LDSByteSize: 0 bytes/workgroup (compile time only)
; SGPRBlocks: 0
; VGPRBlocks: 0
; NumSGPRsForWavesPerEU: 6
; NumVGPRsForWavesPerEU: 1
; AccumOffset: 4
; Occupancy: 8
; WaveLimiterHint : 0
; COMPUTE_PGM_RSRC2:SCRATCH_EN: 0
; COMPUTE_PGM_RSRC2:USER_SGPR: 2
; COMPUTE_PGM_RSRC2:TRAP_HANDLER: 0
; COMPUTE_PGM_RSRC2:TGID_X_EN: 1
; COMPUTE_PGM_RSRC2:TGID_Y_EN: 0
; COMPUTE_PGM_RSRC2:TGID_Z_EN: 0
; COMPUTE_PGM_RSRC2:TIDIG_COMP_CNT: 0
; COMPUTE_PGM_RSRC3_GFX90A:ACCUM_OFFSET: 0
; COMPUTE_PGM_RSRC3_GFX90A:TG_SPLIT: 0
	.section	.text._ZN7rocprim17ROCPRIM_400000_NS6detail17trampoline_kernelINS0_14default_configENS1_33run_length_encode_config_selectorIljNS0_4plusIjEEEEZZNS1_33reduce_by_key_impl_wrapped_configILNS1_25lookback_scan_determinismE0ES3_S7_PKlNS0_17constant_iteratorIjlEEPlSE_SE_S6_NS0_8equal_toIlEEEE10hipError_tPvRmT2_T3_mT4_T5_T6_T7_T8_P12ihipStream_tbENKUlT_T0_E_clISt17integral_constantIbLb0EESX_IbLb1EEEEDaST_SU_EUlST_E_NS1_11comp_targetILNS1_3genE0ELNS1_11target_archE4294967295ELNS1_3gpuE0ELNS1_3repE0EEENS1_30default_config_static_selectorELNS0_4arch9wavefront6targetE1EEEvT1_,"axG",@progbits,_ZN7rocprim17ROCPRIM_400000_NS6detail17trampoline_kernelINS0_14default_configENS1_33run_length_encode_config_selectorIljNS0_4plusIjEEEEZZNS1_33reduce_by_key_impl_wrapped_configILNS1_25lookback_scan_determinismE0ES3_S7_PKlNS0_17constant_iteratorIjlEEPlSE_SE_S6_NS0_8equal_toIlEEEE10hipError_tPvRmT2_T3_mT4_T5_T6_T7_T8_P12ihipStream_tbENKUlT_T0_E_clISt17integral_constantIbLb0EESX_IbLb1EEEEDaST_SU_EUlST_E_NS1_11comp_targetILNS1_3genE0ELNS1_11target_archE4294967295ELNS1_3gpuE0ELNS1_3repE0EEENS1_30default_config_static_selectorELNS0_4arch9wavefront6targetE1EEEvT1_,comdat
	.protected	_ZN7rocprim17ROCPRIM_400000_NS6detail17trampoline_kernelINS0_14default_configENS1_33run_length_encode_config_selectorIljNS0_4plusIjEEEEZZNS1_33reduce_by_key_impl_wrapped_configILNS1_25lookback_scan_determinismE0ES3_S7_PKlNS0_17constant_iteratorIjlEEPlSE_SE_S6_NS0_8equal_toIlEEEE10hipError_tPvRmT2_T3_mT4_T5_T6_T7_T8_P12ihipStream_tbENKUlT_T0_E_clISt17integral_constantIbLb0EESX_IbLb1EEEEDaST_SU_EUlST_E_NS1_11comp_targetILNS1_3genE0ELNS1_11target_archE4294967295ELNS1_3gpuE0ELNS1_3repE0EEENS1_30default_config_static_selectorELNS0_4arch9wavefront6targetE1EEEvT1_ ; -- Begin function _ZN7rocprim17ROCPRIM_400000_NS6detail17trampoline_kernelINS0_14default_configENS1_33run_length_encode_config_selectorIljNS0_4plusIjEEEEZZNS1_33reduce_by_key_impl_wrapped_configILNS1_25lookback_scan_determinismE0ES3_S7_PKlNS0_17constant_iteratorIjlEEPlSE_SE_S6_NS0_8equal_toIlEEEE10hipError_tPvRmT2_T3_mT4_T5_T6_T7_T8_P12ihipStream_tbENKUlT_T0_E_clISt17integral_constantIbLb0EESX_IbLb1EEEEDaST_SU_EUlST_E_NS1_11comp_targetILNS1_3genE0ELNS1_11target_archE4294967295ELNS1_3gpuE0ELNS1_3repE0EEENS1_30default_config_static_selectorELNS0_4arch9wavefront6targetE1EEEvT1_
	.globl	_ZN7rocprim17ROCPRIM_400000_NS6detail17trampoline_kernelINS0_14default_configENS1_33run_length_encode_config_selectorIljNS0_4plusIjEEEEZZNS1_33reduce_by_key_impl_wrapped_configILNS1_25lookback_scan_determinismE0ES3_S7_PKlNS0_17constant_iteratorIjlEEPlSE_SE_S6_NS0_8equal_toIlEEEE10hipError_tPvRmT2_T3_mT4_T5_T6_T7_T8_P12ihipStream_tbENKUlT_T0_E_clISt17integral_constantIbLb0EESX_IbLb1EEEEDaST_SU_EUlST_E_NS1_11comp_targetILNS1_3genE0ELNS1_11target_archE4294967295ELNS1_3gpuE0ELNS1_3repE0EEENS1_30default_config_static_selectorELNS0_4arch9wavefront6targetE1EEEvT1_
	.p2align	8
	.type	_ZN7rocprim17ROCPRIM_400000_NS6detail17trampoline_kernelINS0_14default_configENS1_33run_length_encode_config_selectorIljNS0_4plusIjEEEEZZNS1_33reduce_by_key_impl_wrapped_configILNS1_25lookback_scan_determinismE0ES3_S7_PKlNS0_17constant_iteratorIjlEEPlSE_SE_S6_NS0_8equal_toIlEEEE10hipError_tPvRmT2_T3_mT4_T5_T6_T7_T8_P12ihipStream_tbENKUlT_T0_E_clISt17integral_constantIbLb0EESX_IbLb1EEEEDaST_SU_EUlST_E_NS1_11comp_targetILNS1_3genE0ELNS1_11target_archE4294967295ELNS1_3gpuE0ELNS1_3repE0EEENS1_30default_config_static_selectorELNS0_4arch9wavefront6targetE1EEEvT1_,@function
_ZN7rocprim17ROCPRIM_400000_NS6detail17trampoline_kernelINS0_14default_configENS1_33run_length_encode_config_selectorIljNS0_4plusIjEEEEZZNS1_33reduce_by_key_impl_wrapped_configILNS1_25lookback_scan_determinismE0ES3_S7_PKlNS0_17constant_iteratorIjlEEPlSE_SE_S6_NS0_8equal_toIlEEEE10hipError_tPvRmT2_T3_mT4_T5_T6_T7_T8_P12ihipStream_tbENKUlT_T0_E_clISt17integral_constantIbLb0EESX_IbLb1EEEEDaST_SU_EUlST_E_NS1_11comp_targetILNS1_3genE0ELNS1_11target_archE4294967295ELNS1_3gpuE0ELNS1_3repE0EEENS1_30default_config_static_selectorELNS0_4arch9wavefront6targetE1EEEvT1_: ; @_ZN7rocprim17ROCPRIM_400000_NS6detail17trampoline_kernelINS0_14default_configENS1_33run_length_encode_config_selectorIljNS0_4plusIjEEEEZZNS1_33reduce_by_key_impl_wrapped_configILNS1_25lookback_scan_determinismE0ES3_S7_PKlNS0_17constant_iteratorIjlEEPlSE_SE_S6_NS0_8equal_toIlEEEE10hipError_tPvRmT2_T3_mT4_T5_T6_T7_T8_P12ihipStream_tbENKUlT_T0_E_clISt17integral_constantIbLb0EESX_IbLb1EEEEDaST_SU_EUlST_E_NS1_11comp_targetILNS1_3genE0ELNS1_11target_archE4294967295ELNS1_3gpuE0ELNS1_3repE0EEENS1_30default_config_static_selectorELNS0_4arch9wavefront6targetE1EEEvT1_
; %bb.0:
	.section	.rodata,"a",@progbits
	.p2align	6, 0x0
	.amdhsa_kernel _ZN7rocprim17ROCPRIM_400000_NS6detail17trampoline_kernelINS0_14default_configENS1_33run_length_encode_config_selectorIljNS0_4plusIjEEEEZZNS1_33reduce_by_key_impl_wrapped_configILNS1_25lookback_scan_determinismE0ES3_S7_PKlNS0_17constant_iteratorIjlEEPlSE_SE_S6_NS0_8equal_toIlEEEE10hipError_tPvRmT2_T3_mT4_T5_T6_T7_T8_P12ihipStream_tbENKUlT_T0_E_clISt17integral_constantIbLb0EESX_IbLb1EEEEDaST_SU_EUlST_E_NS1_11comp_targetILNS1_3genE0ELNS1_11target_archE4294967295ELNS1_3gpuE0ELNS1_3repE0EEENS1_30default_config_static_selectorELNS0_4arch9wavefront6targetE1EEEvT1_
		.amdhsa_group_segment_fixed_size 0
		.amdhsa_private_segment_fixed_size 0
		.amdhsa_kernarg_size 128
		.amdhsa_user_sgpr_count 2
		.amdhsa_user_sgpr_dispatch_ptr 0
		.amdhsa_user_sgpr_queue_ptr 0
		.amdhsa_user_sgpr_kernarg_segment_ptr 1
		.amdhsa_user_sgpr_dispatch_id 0
		.amdhsa_user_sgpr_kernarg_preload_length 0
		.amdhsa_user_sgpr_kernarg_preload_offset 0
		.amdhsa_user_sgpr_private_segment_size 0
		.amdhsa_uses_dynamic_stack 0
		.amdhsa_enable_private_segment 0
		.amdhsa_system_sgpr_workgroup_id_x 1
		.amdhsa_system_sgpr_workgroup_id_y 0
		.amdhsa_system_sgpr_workgroup_id_z 0
		.amdhsa_system_sgpr_workgroup_info 0
		.amdhsa_system_vgpr_workitem_id 0
		.amdhsa_next_free_vgpr 1
		.amdhsa_next_free_sgpr 0
		.amdhsa_accum_offset 4
		.amdhsa_reserve_vcc 0
		.amdhsa_float_round_mode_32 0
		.amdhsa_float_round_mode_16_64 0
		.amdhsa_float_denorm_mode_32 3
		.amdhsa_float_denorm_mode_16_64 3
		.amdhsa_dx10_clamp 1
		.amdhsa_ieee_mode 1
		.amdhsa_fp16_overflow 0
		.amdhsa_tg_split 0
		.amdhsa_exception_fp_ieee_invalid_op 0
		.amdhsa_exception_fp_denorm_src 0
		.amdhsa_exception_fp_ieee_div_zero 0
		.amdhsa_exception_fp_ieee_overflow 0
		.amdhsa_exception_fp_ieee_underflow 0
		.amdhsa_exception_fp_ieee_inexact 0
		.amdhsa_exception_int_div_zero 0
	.end_amdhsa_kernel
	.section	.text._ZN7rocprim17ROCPRIM_400000_NS6detail17trampoline_kernelINS0_14default_configENS1_33run_length_encode_config_selectorIljNS0_4plusIjEEEEZZNS1_33reduce_by_key_impl_wrapped_configILNS1_25lookback_scan_determinismE0ES3_S7_PKlNS0_17constant_iteratorIjlEEPlSE_SE_S6_NS0_8equal_toIlEEEE10hipError_tPvRmT2_T3_mT4_T5_T6_T7_T8_P12ihipStream_tbENKUlT_T0_E_clISt17integral_constantIbLb0EESX_IbLb1EEEEDaST_SU_EUlST_E_NS1_11comp_targetILNS1_3genE0ELNS1_11target_archE4294967295ELNS1_3gpuE0ELNS1_3repE0EEENS1_30default_config_static_selectorELNS0_4arch9wavefront6targetE1EEEvT1_,"axG",@progbits,_ZN7rocprim17ROCPRIM_400000_NS6detail17trampoline_kernelINS0_14default_configENS1_33run_length_encode_config_selectorIljNS0_4plusIjEEEEZZNS1_33reduce_by_key_impl_wrapped_configILNS1_25lookback_scan_determinismE0ES3_S7_PKlNS0_17constant_iteratorIjlEEPlSE_SE_S6_NS0_8equal_toIlEEEE10hipError_tPvRmT2_T3_mT4_T5_T6_T7_T8_P12ihipStream_tbENKUlT_T0_E_clISt17integral_constantIbLb0EESX_IbLb1EEEEDaST_SU_EUlST_E_NS1_11comp_targetILNS1_3genE0ELNS1_11target_archE4294967295ELNS1_3gpuE0ELNS1_3repE0EEENS1_30default_config_static_selectorELNS0_4arch9wavefront6targetE1EEEvT1_,comdat
.Lfunc_end538:
	.size	_ZN7rocprim17ROCPRIM_400000_NS6detail17trampoline_kernelINS0_14default_configENS1_33run_length_encode_config_selectorIljNS0_4plusIjEEEEZZNS1_33reduce_by_key_impl_wrapped_configILNS1_25lookback_scan_determinismE0ES3_S7_PKlNS0_17constant_iteratorIjlEEPlSE_SE_S6_NS0_8equal_toIlEEEE10hipError_tPvRmT2_T3_mT4_T5_T6_T7_T8_P12ihipStream_tbENKUlT_T0_E_clISt17integral_constantIbLb0EESX_IbLb1EEEEDaST_SU_EUlST_E_NS1_11comp_targetILNS1_3genE0ELNS1_11target_archE4294967295ELNS1_3gpuE0ELNS1_3repE0EEENS1_30default_config_static_selectorELNS0_4arch9wavefront6targetE1EEEvT1_, .Lfunc_end538-_ZN7rocprim17ROCPRIM_400000_NS6detail17trampoline_kernelINS0_14default_configENS1_33run_length_encode_config_selectorIljNS0_4plusIjEEEEZZNS1_33reduce_by_key_impl_wrapped_configILNS1_25lookback_scan_determinismE0ES3_S7_PKlNS0_17constant_iteratorIjlEEPlSE_SE_S6_NS0_8equal_toIlEEEE10hipError_tPvRmT2_T3_mT4_T5_T6_T7_T8_P12ihipStream_tbENKUlT_T0_E_clISt17integral_constantIbLb0EESX_IbLb1EEEEDaST_SU_EUlST_E_NS1_11comp_targetILNS1_3genE0ELNS1_11target_archE4294967295ELNS1_3gpuE0ELNS1_3repE0EEENS1_30default_config_static_selectorELNS0_4arch9wavefront6targetE1EEEvT1_
                                        ; -- End function
	.section	.AMDGPU.csdata,"",@progbits
; Kernel info:
; codeLenInByte = 0
; NumSgprs: 6
; NumVgprs: 0
; NumAgprs: 0
; TotalNumVgprs: 0
; ScratchSize: 0
; MemoryBound: 0
; FloatMode: 240
; IeeeMode: 1
; LDSByteSize: 0 bytes/workgroup (compile time only)
; SGPRBlocks: 0
; VGPRBlocks: 0
; NumSGPRsForWavesPerEU: 6
; NumVGPRsForWavesPerEU: 1
; AccumOffset: 4
; Occupancy: 8
; WaveLimiterHint : 0
; COMPUTE_PGM_RSRC2:SCRATCH_EN: 0
; COMPUTE_PGM_RSRC2:USER_SGPR: 2
; COMPUTE_PGM_RSRC2:TRAP_HANDLER: 0
; COMPUTE_PGM_RSRC2:TGID_X_EN: 1
; COMPUTE_PGM_RSRC2:TGID_Y_EN: 0
; COMPUTE_PGM_RSRC2:TGID_Z_EN: 0
; COMPUTE_PGM_RSRC2:TIDIG_COMP_CNT: 0
; COMPUTE_PGM_RSRC3_GFX90A:ACCUM_OFFSET: 0
; COMPUTE_PGM_RSRC3_GFX90A:TG_SPLIT: 0
	.section	.text._ZN7rocprim17ROCPRIM_400000_NS6detail17trampoline_kernelINS0_14default_configENS1_33run_length_encode_config_selectorIljNS0_4plusIjEEEEZZNS1_33reduce_by_key_impl_wrapped_configILNS1_25lookback_scan_determinismE0ES3_S7_PKlNS0_17constant_iteratorIjlEEPlSE_SE_S6_NS0_8equal_toIlEEEE10hipError_tPvRmT2_T3_mT4_T5_T6_T7_T8_P12ihipStream_tbENKUlT_T0_E_clISt17integral_constantIbLb0EESX_IbLb1EEEEDaST_SU_EUlST_E_NS1_11comp_targetILNS1_3genE5ELNS1_11target_archE942ELNS1_3gpuE9ELNS1_3repE0EEENS1_30default_config_static_selectorELNS0_4arch9wavefront6targetE1EEEvT1_,"axG",@progbits,_ZN7rocprim17ROCPRIM_400000_NS6detail17trampoline_kernelINS0_14default_configENS1_33run_length_encode_config_selectorIljNS0_4plusIjEEEEZZNS1_33reduce_by_key_impl_wrapped_configILNS1_25lookback_scan_determinismE0ES3_S7_PKlNS0_17constant_iteratorIjlEEPlSE_SE_S6_NS0_8equal_toIlEEEE10hipError_tPvRmT2_T3_mT4_T5_T6_T7_T8_P12ihipStream_tbENKUlT_T0_E_clISt17integral_constantIbLb0EESX_IbLb1EEEEDaST_SU_EUlST_E_NS1_11comp_targetILNS1_3genE5ELNS1_11target_archE942ELNS1_3gpuE9ELNS1_3repE0EEENS1_30default_config_static_selectorELNS0_4arch9wavefront6targetE1EEEvT1_,comdat
	.protected	_ZN7rocprim17ROCPRIM_400000_NS6detail17trampoline_kernelINS0_14default_configENS1_33run_length_encode_config_selectorIljNS0_4plusIjEEEEZZNS1_33reduce_by_key_impl_wrapped_configILNS1_25lookback_scan_determinismE0ES3_S7_PKlNS0_17constant_iteratorIjlEEPlSE_SE_S6_NS0_8equal_toIlEEEE10hipError_tPvRmT2_T3_mT4_T5_T6_T7_T8_P12ihipStream_tbENKUlT_T0_E_clISt17integral_constantIbLb0EESX_IbLb1EEEEDaST_SU_EUlST_E_NS1_11comp_targetILNS1_3genE5ELNS1_11target_archE942ELNS1_3gpuE9ELNS1_3repE0EEENS1_30default_config_static_selectorELNS0_4arch9wavefront6targetE1EEEvT1_ ; -- Begin function _ZN7rocprim17ROCPRIM_400000_NS6detail17trampoline_kernelINS0_14default_configENS1_33run_length_encode_config_selectorIljNS0_4plusIjEEEEZZNS1_33reduce_by_key_impl_wrapped_configILNS1_25lookback_scan_determinismE0ES3_S7_PKlNS0_17constant_iteratorIjlEEPlSE_SE_S6_NS0_8equal_toIlEEEE10hipError_tPvRmT2_T3_mT4_T5_T6_T7_T8_P12ihipStream_tbENKUlT_T0_E_clISt17integral_constantIbLb0EESX_IbLb1EEEEDaST_SU_EUlST_E_NS1_11comp_targetILNS1_3genE5ELNS1_11target_archE942ELNS1_3gpuE9ELNS1_3repE0EEENS1_30default_config_static_selectorELNS0_4arch9wavefront6targetE1EEEvT1_
	.globl	_ZN7rocprim17ROCPRIM_400000_NS6detail17trampoline_kernelINS0_14default_configENS1_33run_length_encode_config_selectorIljNS0_4plusIjEEEEZZNS1_33reduce_by_key_impl_wrapped_configILNS1_25lookback_scan_determinismE0ES3_S7_PKlNS0_17constant_iteratorIjlEEPlSE_SE_S6_NS0_8equal_toIlEEEE10hipError_tPvRmT2_T3_mT4_T5_T6_T7_T8_P12ihipStream_tbENKUlT_T0_E_clISt17integral_constantIbLb0EESX_IbLb1EEEEDaST_SU_EUlST_E_NS1_11comp_targetILNS1_3genE5ELNS1_11target_archE942ELNS1_3gpuE9ELNS1_3repE0EEENS1_30default_config_static_selectorELNS0_4arch9wavefront6targetE1EEEvT1_
	.p2align	8
	.type	_ZN7rocprim17ROCPRIM_400000_NS6detail17trampoline_kernelINS0_14default_configENS1_33run_length_encode_config_selectorIljNS0_4plusIjEEEEZZNS1_33reduce_by_key_impl_wrapped_configILNS1_25lookback_scan_determinismE0ES3_S7_PKlNS0_17constant_iteratorIjlEEPlSE_SE_S6_NS0_8equal_toIlEEEE10hipError_tPvRmT2_T3_mT4_T5_T6_T7_T8_P12ihipStream_tbENKUlT_T0_E_clISt17integral_constantIbLb0EESX_IbLb1EEEEDaST_SU_EUlST_E_NS1_11comp_targetILNS1_3genE5ELNS1_11target_archE942ELNS1_3gpuE9ELNS1_3repE0EEENS1_30default_config_static_selectorELNS0_4arch9wavefront6targetE1EEEvT1_,@function
_ZN7rocprim17ROCPRIM_400000_NS6detail17trampoline_kernelINS0_14default_configENS1_33run_length_encode_config_selectorIljNS0_4plusIjEEEEZZNS1_33reduce_by_key_impl_wrapped_configILNS1_25lookback_scan_determinismE0ES3_S7_PKlNS0_17constant_iteratorIjlEEPlSE_SE_S6_NS0_8equal_toIlEEEE10hipError_tPvRmT2_T3_mT4_T5_T6_T7_T8_P12ihipStream_tbENKUlT_T0_E_clISt17integral_constantIbLb0EESX_IbLb1EEEEDaST_SU_EUlST_E_NS1_11comp_targetILNS1_3genE5ELNS1_11target_archE942ELNS1_3gpuE9ELNS1_3repE0EEENS1_30default_config_static_selectorELNS0_4arch9wavefront6targetE1EEEvT1_: ; @_ZN7rocprim17ROCPRIM_400000_NS6detail17trampoline_kernelINS0_14default_configENS1_33run_length_encode_config_selectorIljNS0_4plusIjEEEEZZNS1_33reduce_by_key_impl_wrapped_configILNS1_25lookback_scan_determinismE0ES3_S7_PKlNS0_17constant_iteratorIjlEEPlSE_SE_S6_NS0_8equal_toIlEEEE10hipError_tPvRmT2_T3_mT4_T5_T6_T7_T8_P12ihipStream_tbENKUlT_T0_E_clISt17integral_constantIbLb0EESX_IbLb1EEEEDaST_SU_EUlST_E_NS1_11comp_targetILNS1_3genE5ELNS1_11target_archE942ELNS1_3gpuE9ELNS1_3repE0EEENS1_30default_config_static_selectorELNS0_4arch9wavefront6targetE1EEEvT1_
; %bb.0:
	s_load_dword s10, s[0:1], 0x10
	s_load_dwordx4 s[44:47], s[0:1], 0x20
	s_load_dwordx2 s[48:49], s[0:1], 0x30
	s_load_dwordx2 s[50:51], s[0:1], 0x70
	s_load_dwordx4 s[28:31], s[0:1], 0x60
	s_load_dwordx8 s[36:43], s[0:1], 0x40
	v_cmp_ne_u32_e64 s[2:3], 0, v0
	v_cmp_eq_u32_e64 s[34:35], 0, v0
	s_and_saveexec_b64 s[4:5], s[34:35]
	s_cbranch_execz .LBB539_4
; %bb.1:
	s_mov_b64 s[8:9], exec
	v_mbcnt_lo_u32_b32 v1, s8, 0
	v_mbcnt_hi_u32_b32 v1, s9, v1
	v_cmp_eq_u32_e32 vcc, 0, v1
                                        ; implicit-def: $vgpr2
	s_and_saveexec_b64 s[6:7], vcc
	s_cbranch_execz .LBB539_3
; %bb.2:
	s_load_dwordx2 s[12:13], s[0:1], 0x78
	s_bcnt1_i32_b64 s8, s[8:9]
	v_mov_b32_e32 v2, 0
	v_mov_b32_e32 v3, s8
	s_waitcnt lgkmcnt(0)
	global_atomic_add v2, v2, v3, s[12:13] sc0
.LBB539_3:
	s_or_b64 exec, exec, s[6:7]
	s_waitcnt vmcnt(0)
	v_readfirstlane_b32 s6, v2
	v_mov_b32_e32 v2, 0
	s_nop 0
	v_add_u32_e32 v1, s6, v1
	ds_write_b32 v2, v1
.LBB539_4:
	s_or_b64 exec, exec, s[4:5]
	s_load_dwordx4 s[4:7], s[0:1], 0x0
	v_mov_b32_e32 v3, 0
	s_waitcnt lgkmcnt(0)
	s_barrier
	ds_read_b32 v1, v3
	s_mul_i32 s0, s40, s39
	s_mul_hi_u32 s1, s40, s38
	s_add_i32 s0, s1, s0
	s_mul_i32 s1, s41, s38
	s_add_i32 s8, s0, s1
	s_lshl_b64 s[0:1], s[6:7], 3
	s_add_u32 s0, s4, s0
	s_mul_i32 s9, s40, s38
	s_addc_u32 s1, s5, s1
	s_waitcnt lgkmcnt(0)
	v_readfirstlane_b32 s58, v1
	s_add_u32 s52, s9, s58
	s_movk_i32 s4, 0x1e00
	s_addc_u32 s53, s8, 0
	v_mul_lo_u32 v2, v1, s4
	s_add_u32 s4, s42, -1
	s_addc_u32 s5, s43, -1
	s_cmp_eq_u64 s[52:53], s[4:5]
	v_lshlrev_b64 v[4:5], 3, v[2:3]
	s_cselect_b64 s[40:41], -1, 0
	s_cmp_lg_u64 s[52:53], s[4:5]
	v_lshl_add_u64 v[48:49], s[0:1], 0, v[4:5]
	s_mov_b64 s[6:7], -1
	s_cselect_b64 s[0:1], -1, 0
	s_mul_i32 s33, s4, 0xffffe200
	s_and_b64 vcc, exec, s[40:41]
	s_barrier
	s_cbranch_vccnz .LBB539_6
; %bb.5:
	v_lshlrev_b32_e32 v2, 3, v0
	v_lshl_add_u64 v[4:5], v[48:49], 0, v[2:3]
	v_add_co_u32_e32 v8, vcc, 0x1000, v4
	v_readfirstlane_b32 s4, v48
	s_nop 0
	v_addc_co_u32_e32 v9, vcc, 0, v5, vcc
	v_add_co_u32_e32 v10, vcc, 0x2000, v4
	v_readfirstlane_b32 s5, v49
	s_nop 0
	v_addc_co_u32_e32 v11, vcc, 0, v5, vcc
	v_add_co_u32_e32 v12, vcc, 0x3000, v4
	s_nop 1
	v_addc_co_u32_e32 v13, vcc, 0, v5, vcc
	v_add_co_u32_e32 v14, vcc, 0x4000, v4
	global_load_dwordx2 v[6:7], v2, s[4:5]
	s_nop 0
	v_addc_co_u32_e32 v15, vcc, 0, v5, vcc
	global_load_dwordx2 v[16:17], v[8:9], off
	global_load_dwordx2 v[18:19], v[10:11], off
	;; [unrolled: 1-line block ×4, first 2 shown]
	v_add_co_u32_e32 v8, vcc, 0x5000, v4
	s_movk_i32 s4, 0x70
	s_nop 0
	v_addc_co_u32_e32 v9, vcc, 0, v5, vcc
	v_add_co_u32_e32 v10, vcc, 0x6000, v4
	v_mad_u32_u24 v1, v0, s4, v2
	s_nop 0
	v_addc_co_u32_e32 v11, vcc, 0, v5, vcc
	v_add_co_u32_e32 v12, vcc, 0x7000, v4
	s_mov_b64 s[4:5], -1
	s_nop 0
	v_addc_co_u32_e32 v13, vcc, 0, v5, vcc
	v_add_co_u32_e32 v14, vcc, 0x8000, v4
	s_nop 1
	v_addc_co_u32_e32 v15, vcc, 0, v5, vcc
	global_load_dwordx2 v[24:25], v[8:9], off
	global_load_dwordx2 v[26:27], v[10:11], off
	;; [unrolled: 1-line block ×4, first 2 shown]
	v_add_co_u32_e32 v8, vcc, 0x9000, v4
	s_nop 1
	v_addc_co_u32_e32 v9, vcc, 0, v5, vcc
	v_add_co_u32_e32 v10, vcc, 0xa000, v4
	s_nop 1
	v_addc_co_u32_e32 v11, vcc, 0, v5, vcc
	;; [unrolled: 3-line block ×4, first 2 shown]
	global_load_dwordx2 v[32:33], v[8:9], off
	global_load_dwordx2 v[34:35], v[10:11], off
	;; [unrolled: 1-line block ×4, first 2 shown]
	v_add_co_u32_e32 v8, vcc, 0xd000, v4
	s_nop 1
	v_addc_co_u32_e32 v9, vcc, 0, v5, vcc
	v_add_co_u32_e32 v4, vcc, 0xe000, v4
	global_load_dwordx2 v[8:9], v[8:9], off
	s_nop 0
	v_addc_co_u32_e32 v5, vcc, 0, v5, vcc
	global_load_dwordx2 v[4:5], v[4:5], off
	s_waitcnt vmcnt(13)
	ds_write2st64_b64 v2, v[6:7], v[16:17] offset1:8
	s_waitcnt vmcnt(11)
	ds_write2st64_b64 v2, v[18:19], v[20:21] offset0:16 offset1:24
	s_waitcnt vmcnt(9)
	ds_write2st64_b64 v2, v[22:23], v[24:25] offset0:32 offset1:40
	s_waitcnt vmcnt(7)
	ds_write2st64_b64 v2, v[26:27], v[28:29] offset0:48 offset1:56
	s_waitcnt vmcnt(5)
	ds_write2st64_b64 v2, v[30:31], v[32:33] offset0:64 offset1:72
	s_waitcnt vmcnt(3)
	ds_write2st64_b64 v2, v[34:35], v[36:37] offset0:80 offset1:88
	s_waitcnt vmcnt(1)
	ds_write2st64_b64 v2, v[38:39], v[8:9] offset0:96 offset1:104
	s_waitcnt vmcnt(0)
	ds_write_b64 v2, v[4:5] offset:57344
	s_waitcnt lgkmcnt(0)
	s_barrier
	ds_read2_b64 v[26:29], v1 offset1:1
	ds_read2_b64 v[22:25], v1 offset0:2 offset1:3
	ds_read2_b64 v[18:21], v1 offset0:4 offset1:5
	;; [unrolled: 1-line block ×6, first 2 shown]
	ds_read_b64 v[46:47], v1 offset:112
	s_waitcnt lgkmcnt(7)
	v_mov_b32_e32 v30, v26
	v_mov_b32_e32 v31, v27
	s_waitcnt lgkmcnt(6)
	v_mov_b32_e32 v32, v22
	v_mov_b32_e32 v33, v23
	;; [unrolled: 3-line block ×7, first 2 shown]
	s_add_i32 s33, s33, s28
	s_cbranch_execz .LBB539_7
	s_branch .LBB539_38
.LBB539_6:
	s_mov_b64 s[4:5], 0
                                        ; implicit-def: $vgpr46_vgpr47
                                        ; implicit-def: $vgpr6_vgpr7
                                        ; implicit-def: $vgpr2_vgpr3
                                        ; implicit-def: $vgpr10_vgpr11
                                        ; implicit-def: $vgpr14_vgpr15
                                        ; implicit-def: $vgpr18_vgpr19
                                        ; implicit-def: $vgpr22_vgpr23
                                        ; implicit-def: $vgpr26_vgpr27
                                        ; implicit-def: $vgpr38_vgpr39_vgpr40_vgpr41
                                        ; implicit-def: $vgpr34_vgpr35_vgpr36_vgpr37
                                        ; implicit-def: $vgpr30_vgpr31_vgpr32_vgpr33
                                        ; implicit-def: $vgpr42_vgpr43_vgpr44_vgpr45
	s_add_i32 s33, s33, s28
	s_andn2_b64 vcc, exec, s[6:7]
	s_cbranch_vccnz .LBB539_38
.LBB539_7:
	v_cmp_gt_u32_e32 vcc, s33, v0
                                        ; implicit-def: $vgpr2_vgpr3
	s_and_saveexec_b64 s[4:5], vcc
	s_cbranch_execz .LBB539_9
; %bb.8:
	v_lshlrev_b32_e32 v1, 3, v0
	v_readfirstlane_b32 s6, v48
	v_readfirstlane_b32 s7, v49
	s_nop 4
	global_load_dwordx2 v[2:3], v1, s[6:7]
.LBB539_9:
	s_or_b64 exec, exec, s[4:5]
	v_or_b32_e32 v1, 0x200, v0
	v_cmp_gt_u32_e32 vcc, s33, v1
                                        ; implicit-def: $vgpr4_vgpr5
	s_and_saveexec_b64 s[4:5], vcc
	s_cbranch_execz .LBB539_11
; %bb.10:
	v_lshlrev_b32_e32 v1, 3, v1
	v_readfirstlane_b32 s6, v48
	v_readfirstlane_b32 s7, v49
	s_nop 4
	global_load_dwordx2 v[4:5], v1, s[6:7]
.LBB539_11:
	s_or_b64 exec, exec, s[4:5]
	v_or_b32_e32 v1, 0x400, v0
	v_cmp_gt_u32_e32 vcc, s33, v1
                                        ; implicit-def: $vgpr6_vgpr7
	s_and_saveexec_b64 s[4:5], vcc
	s_cbranch_execz .LBB539_13
; %bb.12:
	v_lshlrev_b32_e32 v1, 3, v1
	v_readfirstlane_b32 s6, v48
	v_readfirstlane_b32 s7, v49
	s_nop 4
	global_load_dwordx2 v[6:7], v1, s[6:7]
.LBB539_13:
	s_or_b64 exec, exec, s[4:5]
	v_or_b32_e32 v1, 0x600, v0
	v_cmp_gt_u32_e32 vcc, s33, v1
                                        ; implicit-def: $vgpr8_vgpr9
	s_and_saveexec_b64 s[4:5], vcc
	s_cbranch_execz .LBB539_15
; %bb.14:
	v_lshlrev_b32_e32 v1, 3, v1
	v_readfirstlane_b32 s6, v48
	v_readfirstlane_b32 s7, v49
	s_nop 4
	global_load_dwordx2 v[8:9], v1, s[6:7]
.LBB539_15:
	s_or_b64 exec, exec, s[4:5]
	v_or_b32_e32 v1, 0x800, v0
	v_cmp_gt_u32_e32 vcc, s33, v1
                                        ; implicit-def: $vgpr10_vgpr11
	s_and_saveexec_b64 s[4:5], vcc
	s_cbranch_execz .LBB539_17
; %bb.16:
	v_lshlrev_b32_e32 v1, 3, v1
	v_readfirstlane_b32 s6, v48
	v_readfirstlane_b32 s7, v49
	s_nop 4
	global_load_dwordx2 v[10:11], v1, s[6:7]
.LBB539_17:
	s_or_b64 exec, exec, s[4:5]
	v_or_b32_e32 v1, 0xa00, v0
	v_cmp_gt_u32_e32 vcc, s33, v1
                                        ; implicit-def: $vgpr12_vgpr13
	s_and_saveexec_b64 s[4:5], vcc
	s_cbranch_execz .LBB539_19
; %bb.18:
	v_lshlrev_b32_e32 v1, 3, v1
	v_readfirstlane_b32 s6, v48
	v_readfirstlane_b32 s7, v49
	s_nop 4
	global_load_dwordx2 v[12:13], v1, s[6:7]
.LBB539_19:
	s_or_b64 exec, exec, s[4:5]
	v_or_b32_e32 v1, 0xc00, v0
	v_cmp_gt_u32_e32 vcc, s33, v1
                                        ; implicit-def: $vgpr14_vgpr15
	s_and_saveexec_b64 s[4:5], vcc
	s_cbranch_execz .LBB539_21
; %bb.20:
	v_lshlrev_b32_e32 v1, 3, v1
	v_readfirstlane_b32 s6, v48
	v_readfirstlane_b32 s7, v49
	s_nop 4
	global_load_dwordx2 v[14:15], v1, s[6:7]
.LBB539_21:
	s_or_b64 exec, exec, s[4:5]
	v_or_b32_e32 v1, 0xe00, v0
	v_cmp_gt_u32_e32 vcc, s33, v1
                                        ; implicit-def: $vgpr16_vgpr17
	s_and_saveexec_b64 s[4:5], vcc
	s_cbranch_execz .LBB539_23
; %bb.22:
	v_lshlrev_b32_e32 v1, 3, v1
	v_readfirstlane_b32 s6, v48
	v_readfirstlane_b32 s7, v49
	s_nop 4
	global_load_dwordx2 v[16:17], v1, s[6:7]
.LBB539_23:
	s_or_b64 exec, exec, s[4:5]
	v_or_b32_e32 v1, 0x1000, v0
	v_cmp_gt_u32_e32 vcc, s33, v1
                                        ; implicit-def: $vgpr18_vgpr19
	s_and_saveexec_b64 s[4:5], vcc
	s_cbranch_execz .LBB539_25
; %bb.24:
	v_lshlrev_b32_e32 v1, 3, v1
	v_readfirstlane_b32 s6, v48
	v_readfirstlane_b32 s7, v49
	s_nop 4
	global_load_dwordx2 v[18:19], v1, s[6:7]
.LBB539_25:
	s_or_b64 exec, exec, s[4:5]
	v_or_b32_e32 v1, 0x1200, v0
	v_cmp_gt_u32_e32 vcc, s33, v1
                                        ; implicit-def: $vgpr20_vgpr21
	s_and_saveexec_b64 s[4:5], vcc
	s_cbranch_execz .LBB539_27
; %bb.26:
	v_lshlrev_b32_e32 v1, 3, v1
	v_readfirstlane_b32 s6, v48
	v_readfirstlane_b32 s7, v49
	s_nop 4
	global_load_dwordx2 v[20:21], v1, s[6:7]
.LBB539_27:
	s_or_b64 exec, exec, s[4:5]
	v_or_b32_e32 v1, 0x1400, v0
	v_cmp_gt_u32_e32 vcc, s33, v1
                                        ; implicit-def: $vgpr22_vgpr23
	s_and_saveexec_b64 s[4:5], vcc
	s_cbranch_execz .LBB539_29
; %bb.28:
	v_lshlrev_b32_e32 v1, 3, v1
	v_readfirstlane_b32 s6, v48
	v_readfirstlane_b32 s7, v49
	s_nop 4
	global_load_dwordx2 v[22:23], v1, s[6:7]
.LBB539_29:
	s_or_b64 exec, exec, s[4:5]
	v_or_b32_e32 v1, 0x1600, v0
	v_cmp_gt_u32_e32 vcc, s33, v1
                                        ; implicit-def: $vgpr24_vgpr25
	s_and_saveexec_b64 s[4:5], vcc
	s_cbranch_execz .LBB539_31
; %bb.30:
	v_lshlrev_b32_e32 v1, 3, v1
	v_readfirstlane_b32 s6, v48
	v_readfirstlane_b32 s7, v49
	s_nop 4
	global_load_dwordx2 v[24:25], v1, s[6:7]
.LBB539_31:
	s_or_b64 exec, exec, s[4:5]
	v_or_b32_e32 v1, 0x1800, v0
	v_cmp_gt_u32_e32 vcc, s33, v1
                                        ; implicit-def: $vgpr26_vgpr27
	s_and_saveexec_b64 s[4:5], vcc
	s_cbranch_execz .LBB539_33
; %bb.32:
	v_lshlrev_b32_e32 v1, 3, v1
	v_readfirstlane_b32 s6, v48
	v_readfirstlane_b32 s7, v49
	s_nop 4
	global_load_dwordx2 v[26:27], v1, s[6:7]
.LBB539_33:
	s_or_b64 exec, exec, s[4:5]
	v_or_b32_e32 v1, 0x1a00, v0
	v_cmp_gt_u32_e32 vcc, s33, v1
                                        ; implicit-def: $vgpr28_vgpr29
	s_and_saveexec_b64 s[4:5], vcc
	s_cbranch_execz .LBB539_35
; %bb.34:
	v_lshlrev_b32_e32 v1, 3, v1
	v_readfirstlane_b32 s6, v48
	v_readfirstlane_b32 s7, v49
	s_nop 4
	global_load_dwordx2 v[28:29], v1, s[6:7]
.LBB539_35:
	s_or_b64 exec, exec, s[4:5]
	v_or_b32_e32 v1, 0x1c00, v0
	v_cmp_gt_u32_e32 vcc, s33, v1
                                        ; implicit-def: $vgpr30_vgpr31
	s_and_saveexec_b64 s[4:5], vcc
	s_cbranch_execz .LBB539_37
; %bb.36:
	v_lshlrev_b32_e32 v1, 3, v1
	v_readfirstlane_b32 s6, v48
	v_readfirstlane_b32 s7, v49
	s_nop 4
	global_load_dwordx2 v[30:31], v1, s[6:7]
.LBB539_37:
	s_or_b64 exec, exec, s[4:5]
	v_lshlrev_b32_e32 v1, 3, v0
	s_movk_i32 s4, 0x70
	s_waitcnt vmcnt(0)
	ds_write2st64_b64 v1, v[2:3], v[4:5] offset1:8
	ds_write2st64_b64 v1, v[6:7], v[8:9] offset0:16 offset1:24
	ds_write2st64_b64 v1, v[10:11], v[12:13] offset0:32 offset1:40
	;; [unrolled: 1-line block ×6, first 2 shown]
	ds_write_b64 v1, v[30:31] offset:57344
	v_mad_u32_u24 v1, v0, s4, v1
	s_waitcnt lgkmcnt(0)
	s_barrier
	ds_read2_b64 v[26:29], v1 offset1:1
	ds_read2_b64 v[22:25], v1 offset0:2 offset1:3
	ds_read2_b64 v[18:21], v1 offset0:4 offset1:5
	;; [unrolled: 1-line block ×6, first 2 shown]
	ds_read_b64 v[46:47], v1 offset:112
	v_mad_u32_u24 v30, v0, 15, 14
	v_cmp_gt_u32_e64 s[4:5], s33, v30
	s_waitcnt lgkmcnt(7)
	v_mov_b32_e32 v30, v26
	v_mov_b32_e32 v31, v27
	s_waitcnt lgkmcnt(6)
	v_mov_b32_e32 v32, v22
	v_mov_b32_e32 v33, v23
	s_waitcnt lgkmcnt(5)
	v_mov_b32_e32 v34, v18
	v_mov_b32_e32 v35, v19
	s_waitcnt lgkmcnt(4)
	v_mov_b32_e32 v36, v14
	v_mov_b32_e32 v37, v15
	s_waitcnt lgkmcnt(3)
	v_mov_b32_e32 v38, v10
	v_mov_b32_e32 v39, v11
	s_waitcnt lgkmcnt(2)
	v_mov_b32_e32 v40, v2
	v_mov_b32_e32 v41, v3
	s_waitcnt lgkmcnt(1)
	v_mov_b32_e32 v42, v6
	v_mov_b32_e32 v43, v7
.LBB539_38:
	v_mov_b32_e32 v68, s10
                                        ; implicit-def: $vgpr69
	s_and_saveexec_b64 s[6:7], s[4:5]
; %bb.39:
	v_mov_b32_e32 v69, s10
; %bb.40:
	s_or_b64 exec, exec, s[6:7]
	s_cmp_eq_u64 s[52:53], 0
	s_cselect_b64 s[42:43], -1, 0
	s_cmp_lg_u64 s[52:53], 0
	s_mov_b64 s[54:55], 0
	s_cselect_b64 s[56:57], -1, 0
	s_and_b64 vcc, exec, s[0:1]
	s_waitcnt lgkmcnt(0)
	s_barrier
	s_cbranch_vccz .LBB539_46
; %bb.41:
	s_and_b64 vcc, exec, s[56:57]
	s_cbranch_vccz .LBB539_47
; %bb.42:
	global_load_dwordx2 v[44:45], v[48:49], off offset:-8
	v_lshlrev_b32_e32 v1, 3, v0
	v_cmp_ne_u64_e32 vcc, v[8:9], v[46:47]
	v_cmp_ne_u64_e64 s[0:1], v[6:7], v[8:9]
	v_cmp_ne_u64_e64 s[4:5], v[4:5], v[6:7]
	;; [unrolled: 1-line block ×13, first 2 shown]
	ds_write_b64 v1, v[46:47]
	s_waitcnt lgkmcnt(0)
	s_barrier
	s_and_saveexec_b64 s[54:55], s[2:3]
	s_cbranch_execz .LBB539_44
; %bb.43:
	v_add_u32_e32 v1, -8, v1
	s_waitcnt vmcnt(0)
	ds_read_b64 v[44:45], v1
.LBB539_44:
	s_or_b64 exec, exec, s[54:55]
	v_cndmask_b32_e64 v1, 0, 1, vcc
	v_cndmask_b32_e64 v72, 0, 1, s[0:1]
	v_cndmask_b32_e64 v73, 0, 1, s[4:5]
	;; [unrolled: 1-line block ×13, first 2 shown]
	s_waitcnt vmcnt(0) lgkmcnt(0)
	v_cmp_ne_u64_e64 s[0:1], v[44:45], v[26:27]
	s_mov_b64 s[54:55], -1
.LBB539_45:
                                        ; implicit-def: $sgpr6
	s_branch .LBB539_59
.LBB539_46:
                                        ; implicit-def: $sgpr0_sgpr1
                                        ; implicit-def: $vgpr1
                                        ; implicit-def: $vgpr72
                                        ; implicit-def: $vgpr73
                                        ; implicit-def: $vgpr74
                                        ; implicit-def: $vgpr75
                                        ; implicit-def: $vgpr76
                                        ; implicit-def: $vgpr77
                                        ; implicit-def: $vgpr78
                                        ; implicit-def: $vgpr79
                                        ; implicit-def: $vgpr80
                                        ; implicit-def: $vgpr81
                                        ; implicit-def: $vgpr82
                                        ; implicit-def: $vgpr83
                                        ; implicit-def: $vgpr84
                                        ; implicit-def: $sgpr6
	s_cbranch_execnz .LBB539_51
	s_branch .LBB539_59
.LBB539_47:
                                        ; implicit-def: $sgpr0_sgpr1
                                        ; implicit-def: $vgpr1
                                        ; implicit-def: $vgpr72
                                        ; implicit-def: $vgpr73
                                        ; implicit-def: $vgpr74
                                        ; implicit-def: $vgpr75
                                        ; implicit-def: $vgpr76
                                        ; implicit-def: $vgpr77
                                        ; implicit-def: $vgpr78
                                        ; implicit-def: $vgpr79
                                        ; implicit-def: $vgpr80
                                        ; implicit-def: $vgpr81
                                        ; implicit-def: $vgpr82
                                        ; implicit-def: $vgpr83
                                        ; implicit-def: $vgpr84
	s_cbranch_execz .LBB539_45
; %bb.48:
	v_cmp_ne_u64_e32 vcc, v[28:29], v[30:31]
	v_lshlrev_b32_e32 v44, 3, v0
	ds_write_b64 v44, v[46:47]
	v_cndmask_b32_e64 v84, 0, 1, vcc
	v_cmp_ne_u64_e32 vcc, v[28:29], v[32:33]
	s_waitcnt lgkmcnt(0)
	s_barrier
	v_cndmask_b32_e64 v83, 0, 1, vcc
	v_cmp_ne_u64_e32 vcc, v[32:33], v[24:25]
	s_waitcnt lgkmcnt(0)
                                        ; implicit-def: $sgpr0_sgpr1
	s_nop 0
	v_cndmask_b32_e64 v82, 0, 1, vcc
	v_cmp_ne_u64_e32 vcc, v[34:35], v[24:25]
	s_nop 1
	v_cndmask_b32_e64 v81, 0, 1, vcc
	v_cmp_ne_u64_e32 vcc, v[20:21], v[34:35]
	s_nop 1
	v_cndmask_b32_e64 v80, 0, 1, vcc
	v_cmp_ne_u64_e32 vcc, v[20:21], v[36:37]
	s_nop 1
	v_cndmask_b32_e64 v79, 0, 1, vcc
	v_cmp_ne_u64_e32 vcc, v[36:37], v[16:17]
	s_nop 1
	v_cndmask_b32_e64 v78, 0, 1, vcc
	v_cmp_ne_u64_e32 vcc, v[38:39], v[16:17]
	s_nop 1
	v_cndmask_b32_e64 v77, 0, 1, vcc
	v_cmp_ne_u64_e32 vcc, v[12:13], v[38:39]
	s_nop 1
	v_cndmask_b32_e64 v76, 0, 1, vcc
	v_cmp_ne_u64_e32 vcc, v[12:13], v[40:41]
	s_nop 1
	v_cndmask_b32_e64 v75, 0, 1, vcc
	v_cmp_ne_u64_e32 vcc, v[40:41], v[4:5]
	s_nop 1
	v_cndmask_b32_e64 v74, 0, 1, vcc
	v_cmp_ne_u64_e32 vcc, v[42:43], v[4:5]
	s_nop 1
	v_cndmask_b32_e64 v73, 0, 1, vcc
	v_cmp_ne_u64_e32 vcc, v[8:9], v[42:43]
	s_nop 1
	v_cndmask_b32_e64 v72, 0, 1, vcc
	v_cmp_ne_u64_e32 vcc, v[8:9], v[46:47]
	s_nop 1
	v_cndmask_b32_e64 v1, 0, 1, vcc
	s_and_saveexec_b64 s[4:5], s[2:3]
	s_xor_b64 s[4:5], exec, s[4:5]
	s_cbranch_execz .LBB539_50
; %bb.49:
	v_add_u32_e32 v30, -8, v44
	ds_read_b64 v[30:31], v30
	s_or_b64 s[54:55], s[54:55], exec
	s_waitcnt lgkmcnt(0)
	v_cmp_ne_u64_e32 vcc, v[30:31], v[26:27]
	s_and_b64 s[0:1], vcc, exec
.LBB539_50:
	s_or_b64 exec, exec, s[4:5]
	s_mov_b32 s6, 1
	s_branch .LBB539_59
.LBB539_51:
	s_mul_hi_u32 s1, s52, 0xffffe200
	s_mul_i32 s0, s53, 0xffffe200
	s_sub_i32 s1, s1, s52
	s_add_i32 s1, s1, s0
	s_mul_i32 s0, s52, 0xffffe200
	s_add_u32 s52, s0, s28
	s_addc_u32 s53, s1, s29
	s_and_b64 vcc, exec, s[56:57]
	v_cmp_ne_u64_e64 s[28:29], v[8:9], v[46:47]
	v_cmp_ne_u64_e64 s[0:1], v[6:7], v[8:9]
	;; [unrolled: 1-line block ×14, first 2 shown]
	v_mad_u32_u24 v30, v0, 15, 14
	v_mad_u32_u24 v60, v0, 15, 13
	;; [unrolled: 1-line block ×14, first 2 shown]
	s_cbranch_vccz .LBB539_56
; %bb.52:
	global_load_dwordx2 v[48:49], v[48:49], off offset:-8
	v_mov_b32_e32 v31, 0
	v_cmp_gt_u64_e32 vcc, s[52:53], v[30:31]
	v_mov_b32_e32 v61, v31
	s_and_b64 s[28:29], vcc, s[28:29]
	v_cmp_gt_u64_e32 vcc, s[52:53], v[60:61]
	v_mov_b32_e32 v59, v31
	s_and_b64 s[0:1], vcc, s[0:1]
	;; [unrolled: 3-line block ×13, first 2 shown]
	v_cmp_gt_u64_e32 vcc, s[52:53], v[32:33]
	v_lshlrev_b32_e32 v1, 3, v0
	v_mul_u32_u24_e32 v62, 15, v0
	s_and_b64 s[4:5], vcc, s[4:5]
	ds_write_b64 v1, v[46:47]
	s_waitcnt lgkmcnt(0)
	s_barrier
	s_and_saveexec_b64 s[54:55], s[2:3]
	s_cbranch_execz .LBB539_54
; %bb.53:
	v_add_u32_e32 v1, -8, v1
	s_waitcnt vmcnt(0)
	ds_read_b64 v[48:49], v1
.LBB539_54:
	s_or_b64 exec, exec, s[54:55]
	v_mov_b32_e32 v63, v31
	v_cndmask_b32_e64 v72, 0, 1, s[0:1]
	v_cmp_gt_u64_e32 vcc, s[52:53], v[62:63]
	s_waitcnt vmcnt(0) lgkmcnt(0)
	v_cmp_ne_u64_e64 s[0:1], v[48:49], v[26:27]
	v_cndmask_b32_e64 v1, 0, 1, s[28:29]
	v_cndmask_b32_e64 v73, 0, 1, s[26:27]
	;; [unrolled: 1-line block ×13, first 2 shown]
	s_and_b64 s[0:1], vcc, s[0:1]
	s_mov_b64 s[54:55], -1
.LBB539_55:
                                        ; implicit-def: $sgpr6
	v_mov_b32_e32 v85, s6
	s_and_saveexec_b64 s[2:3], s[54:55]
	s_cbranch_execnz .LBB539_60
	s_branch .LBB539_61
.LBB539_56:
                                        ; implicit-def: $sgpr0_sgpr1
                                        ; implicit-def: $vgpr1
                                        ; implicit-def: $vgpr72
                                        ; implicit-def: $vgpr73
                                        ; implicit-def: $vgpr74
                                        ; implicit-def: $vgpr75
                                        ; implicit-def: $vgpr76
                                        ; implicit-def: $vgpr77
                                        ; implicit-def: $vgpr78
                                        ; implicit-def: $vgpr79
                                        ; implicit-def: $vgpr80
                                        ; implicit-def: $vgpr81
                                        ; implicit-def: $vgpr82
                                        ; implicit-def: $vgpr83
                                        ; implicit-def: $vgpr84
	s_cbranch_execz .LBB539_55
; %bb.57:
	v_mov_b32_e32 v31, 0
	v_cmp_gt_u64_e32 vcc, s[52:53], v[30:31]
	v_cmp_ne_u64_e64 s[0:1], v[8:9], v[46:47]
	s_and_b64 s[0:1], vcc, s[0:1]
	v_mov_b32_e32 v61, v31
	v_cndmask_b32_e64 v1, 0, 1, s[0:1]
	v_cmp_gt_u64_e32 vcc, s[52:53], v[60:61]
	v_cmp_ne_u64_e64 s[0:1], v[6:7], v[8:9]
	s_and_b64 s[0:1], vcc, s[0:1]
	v_mov_b32_e32 v59, v31
	v_cndmask_b32_e64 v72, 0, 1, s[0:1]
	;; [unrolled: 5-line block ×13, first 2 shown]
	v_cmp_gt_u64_e32 vcc, s[52:53], v[32:33]
	v_cmp_ne_u64_e64 s[0:1], v[26:27], v[28:29]
	s_and_b64 s[0:1], vcc, s[0:1]
	v_lshlrev_b32_e32 v48, 3, v0
	s_mov_b32 s6, 1
	v_cndmask_b32_e64 v84, 0, 1, s[0:1]
	ds_write_b64 v48, v[46:47]
	s_waitcnt lgkmcnt(0)
	s_barrier
	s_waitcnt lgkmcnt(0)
                                        ; implicit-def: $sgpr0_sgpr1
	s_and_saveexec_b64 s[4:5], s[2:3]
	s_cbranch_execz .LBB539_140
; %bb.58:
	v_add_u32_e32 v30, -8, v48
	ds_read_b64 v[32:33], v30
	v_mul_u32_u24_e32 v30, 15, v0
	v_cmp_gt_u64_e32 vcc, s[52:53], v[30:31]
	s_or_b64 s[54:55], s[54:55], exec
	s_waitcnt lgkmcnt(0)
	v_cmp_ne_u64_e64 s[0:1], v[32:33], v[26:27]
	s_and_b64 s[0:1], vcc, s[0:1]
	s_and_b64 s[0:1], s[0:1], exec
	s_or_b64 exec, exec, s[4:5]
.LBB539_59:
	v_mov_b32_e32 v85, s6
	s_and_saveexec_b64 s[2:3], s[54:55]
.LBB539_60:
	v_cndmask_b32_e64 v85, 0, 1, s[0:1]
.LBB539_61:
	s_or_b64 exec, exec, s[2:3]
	s_cmp_eq_u64 s[38:39], 0
	v_add3_u32 v30, v84, v85, v83
	s_cselect_b64 s[38:39], -1, 0
	s_cmp_lg_u32 s58, 0
	v_cmp_eq_u32_e64 s[26:27], 0, v84
	v_cmp_eq_u32_e64 s[24:25], 0, v83
	v_cmp_eq_u32_e64 s[22:23], 0, v82
	v_add3_u32 v87, v30, v82, v81
	v_cmp_eq_u32_e64 s[20:21], 0, v81
	v_cmp_eq_u32_e64 s[18:19], 0, v80
	v_cmp_eq_u32_e64 s[16:17], 0, v79
	v_cmp_eq_u32_e64 s[14:15], 0, v78
	v_cmp_eq_u32_e64 s[12:13], 0, v77
	v_cmp_eq_u32_e64 s[10:11], 0, v76
	v_cmp_eq_u32_e64 s[8:9], 0, v75
	v_cmp_eq_u32_e64 s[6:7], 0, v74
	v_cmp_eq_u32_e64 s[4:5], 0, v73
	v_cmp_eq_u32_e64 s[2:3], 0, v72
	v_cmp_eq_u32_e32 vcc, 0, v1
	v_mbcnt_lo_u32_b32 v86, -1, 0
	v_lshrrev_b32_e32 v70, 6, v0
	v_or_b32_e32 v71, 63, v0
	s_cbranch_scc0 .LBB539_88
; %bb.62:
	v_cndmask_b32_e64 v30, 0, v68, s[26:27]
	v_add_u32_e32 v30, v30, v68
	v_cndmask_b32_e64 v30, 0, v30, s[24:25]
	v_add_u32_e32 v30, v30, v68
	;; [unrolled: 2-line block ×11, first 2 shown]
	v_cndmask_b32_e64 v30, 0, v30, s[4:5]
	v_add3_u32 v31, v87, v80, v79
	v_add_u32_e32 v30, v30, v68
	v_add3_u32 v31, v31, v78, v77
	v_cndmask_b32_e64 v30, 0, v30, s[2:3]
	v_add3_u32 v31, v31, v76, v75
	v_add_u32_e32 v30, v30, v68
	v_add3_u32 v31, v31, v74, v73
	v_cndmask_b32_e32 v30, 0, v30, vcc
	v_add3_u32 v31, v31, v72, v1
	v_add_u32_e32 v30, v30, v69
	v_mbcnt_hi_u32_b32 v39, -1, v86
	v_and_b32_e32 v32, 15, v39
	v_mov_b32_dpp v34, v30 row_shr:1 row_mask:0xf bank_mask:0xf
	v_cmp_eq_u32_e32 vcc, 0, v31
	v_mov_b32_dpp v33, v31 row_shr:1 row_mask:0xf bank_mask:0xf
	v_cmp_lt_u32_e64 s[0:1], 1, v32
	v_cndmask_b32_e32 v34, 0, v34, vcc
	v_cmp_eq_u32_e32 vcc, 0, v32
	s_nop 1
	v_cndmask_b32_e64 v33, v33, 0, vcc
	v_add_u32_e32 v31, v33, v31
	v_cndmask_b32_e64 v33, v34, 0, vcc
	v_add_u32_e32 v30, v33, v30
	v_cmp_eq_u32_e32 vcc, 0, v31
	v_mov_b32_dpp v33, v31 row_shr:2 row_mask:0xf bank_mask:0xf
	v_mov_b32_dpp v34, v30 row_shr:2 row_mask:0xf bank_mask:0xf
	v_cndmask_b32_e64 v33, 0, v33, s[0:1]
	s_and_b64 vcc, s[0:1], vcc
	v_cndmask_b32_e32 v34, 0, v34, vcc
	v_add_u32_e32 v31, v31, v33
	v_add_u32_e32 v30, v34, v30
	v_cmp_eq_u32_e32 vcc, 0, v31
	v_mov_b32_dpp v33, v31 row_shr:4 row_mask:0xf bank_mask:0xf
	v_cmp_lt_u32_e64 s[0:1], 3, v32
	v_mov_b32_dpp v34, v30 row_shr:4 row_mask:0xf bank_mask:0xf
	s_and_b64 vcc, s[0:1], vcc
	v_cndmask_b32_e64 v33, 0, v33, s[0:1]
	v_cndmask_b32_e32 v34, 0, v34, vcc
	v_add_u32_e32 v31, v33, v31
	v_add_u32_e32 v30, v30, v34
	v_cmp_eq_u32_e32 vcc, 0, v31
	v_cmp_lt_u32_e64 s[0:1], 7, v32
	v_mov_b32_dpp v33, v31 row_shr:8 row_mask:0xf bank_mask:0xf
	v_mov_b32_dpp v34, v30 row_shr:8 row_mask:0xf bank_mask:0xf
	s_and_b64 vcc, s[0:1], vcc
	v_cndmask_b32_e64 v32, 0, v33, s[0:1]
	v_cndmask_b32_e32 v33, 0, v34, vcc
	v_add_u32_e32 v30, v33, v30
	v_add_u32_e32 v31, v32, v31
	v_bfe_i32 v34, v39, 4, 1
	v_mov_b32_dpp v33, v30 row_bcast:15 row_mask:0xf bank_mask:0xf
	v_mov_b32_dpp v32, v31 row_bcast:15 row_mask:0xf bank_mask:0xf
	v_cmp_eq_u32_e32 vcc, 0, v31
	v_and_b32_e32 v32, v34, v32
	v_add_u32_e32 v31, v32, v31
	v_cndmask_b32_e32 v33, 0, v33, vcc
	v_and_b32_e32 v32, v34, v33
	v_add_u32_e32 v32, v32, v30
	v_mov_b32_dpp v30, v31 row_bcast:31 row_mask:0xf bank_mask:0xf
	v_cmp_eq_u32_e32 vcc, 0, v31
	v_cmp_lt_u32_e64 s[0:1], 31, v39
	v_mov_b32_dpp v33, v32 row_bcast:31 row_mask:0xf bank_mask:0xf
	s_and_b64 vcc, s[0:1], vcc
	v_cndmask_b32_e64 v30, 0, v30, s[0:1]
	v_add_u32_e32 v30, v30, v31
	v_cndmask_b32_e32 v31, 0, v33, vcc
	v_add_u32_e32 v31, v31, v32
	v_cmp_eq_u32_e32 vcc, v71, v0
	v_lshlrev_b32_e32 v32, 3, v70
	s_and_saveexec_b64 s[0:1], vcc
	s_cbranch_execz .LBB539_64
; %bb.63:
	ds_write_b64 v32, v[30:31] offset:8208
.LBB539_64:
	s_or_b64 exec, exec, s[0:1]
	v_cmp_gt_u32_e32 vcc, 8, v0
	s_waitcnt lgkmcnt(0)
	s_barrier
	s_and_saveexec_b64 s[28:29], vcc
	s_cbranch_execz .LBB539_66
; %bb.65:
	v_lshlrev_b32_e32 v33, 3, v0
	ds_read_b64 v[34:35], v33 offset:8208
	v_and_b32_e32 v36, 7, v39
	v_cmp_lt_u32_e64 s[0:1], 1, v36
	s_waitcnt lgkmcnt(0)
	v_mov_b32_dpp v38, v35 row_shr:1 row_mask:0xf bank_mask:0xf
	v_cmp_eq_u32_e32 vcc, 0, v34
	v_mov_b32_dpp v37, v34 row_shr:1 row_mask:0xf bank_mask:0xf
	s_nop 0
	v_cndmask_b32_e32 v38, 0, v38, vcc
	v_cmp_eq_u32_e32 vcc, 0, v36
	s_nop 1
	v_cndmask_b32_e64 v37, v37, 0, vcc
	v_add_u32_e32 v34, v37, v34
	v_cndmask_b32_e64 v37, v38, 0, vcc
	v_add_u32_e32 v35, v37, v35
	v_cmp_eq_u32_e32 vcc, 0, v34
	v_mov_b32_dpp v37, v34 row_shr:2 row_mask:0xf bank_mask:0xf
	v_mov_b32_dpp v38, v35 row_shr:2 row_mask:0xf bank_mask:0xf
	v_cndmask_b32_e64 v37, 0, v37, s[0:1]
	s_and_b64 vcc, s[0:1], vcc
	v_cndmask_b32_e32 v38, 0, v38, vcc
	v_add_u32_e32 v34, v37, v34
	v_add_u32_e32 v35, v38, v35
	v_cmp_eq_u32_e32 vcc, 0, v34
	v_mov_b32_dpp v37, v34 row_shr:4 row_mask:0xf bank_mask:0xf
	v_cmp_lt_u32_e64 s[0:1], 3, v36
	v_mov_b32_dpp v38, v35 row_shr:4 row_mask:0xf bank_mask:0xf
	s_and_b64 vcc, s[0:1], vcc
	v_cndmask_b32_e64 v36, 0, v37, s[0:1]
	v_add_u32_e32 v34, v36, v34
	v_cndmask_b32_e32 v36, 0, v38, vcc
	v_add_u32_e32 v35, v36, v35
	ds_write_b64 v33, v[34:35] offset:8208
.LBB539_66:
	s_or_b64 exec, exec, s[28:29]
	v_cmp_gt_u32_e32 vcc, 64, v0
	v_cmp_lt_u32_e64 s[0:1], 63, v0
	v_mov_b32_e32 v36, 0
	v_mov_b32_e32 v37, 0
	s_waitcnt lgkmcnt(0)
	s_barrier
	s_and_saveexec_b64 s[28:29], s[0:1]
	s_cbranch_execz .LBB539_68
; %bb.67:
	ds_read_b64 v[36:37], v32 offset:8200
	v_cmp_eq_u32_e64 s[0:1], 0, v30
	s_waitcnt lgkmcnt(0)
	v_add_u32_e32 v32, v36, v30
	v_cndmask_b32_e64 v30, 0, v37, s[0:1]
	v_add_u32_e32 v31, v30, v31
	v_mov_b32_e32 v30, v32
.LBB539_68:
	s_or_b64 exec, exec, s[28:29]
	v_add_u32_e32 v32, -1, v39
	v_and_b32_e32 v33, 64, v39
	v_cmp_lt_i32_e64 s[0:1], v32, v33
	v_cmp_eq_u32_e64 s[28:29], 0, v39
	s_nop 0
	v_cndmask_b32_e64 v32, v32, v39, s[0:1]
	v_lshlrev_b32_e32 v32, 2, v32
	ds_bpermute_b32 v44, v32, v30
	ds_bpermute_b32 v45, v32, v31
	s_and_saveexec_b64 s[52:53], vcc
	s_cbranch_execz .LBB539_87
; %bb.69:
	v_mov_b32_e32 v35, 0
	ds_read_b64 v[30:31], v35 offset:8264
	s_waitcnt lgkmcnt(0)
	v_readfirstlane_b32 s56, v30
	v_readfirstlane_b32 s57, v31
	s_and_saveexec_b64 s[0:1], s[28:29]
	s_cbranch_execz .LBB539_71
; %bb.70:
	s_add_i32 s54, s58, 64
	s_mov_b32 s55, 0
	s_lshl_b64 s[60:61], s[54:55], 4
	s_add_u32 s60, s36, s60
	s_addc_u32 s61, s37, s61
	s_and_b32 s63, s57, 0xff000000
	s_mov_b32 s62, s55
	s_and_b32 s65, s57, 0xff0000
	s_mov_b32 s64, s55
	s_or_b64 s[62:63], s[64:65], s[62:63]
	s_and_b32 s65, s57, 0xff00
	s_or_b64 s[62:63], s[62:63], s[64:65]
	s_and_b32 s65, s57, 0xff
	s_or_b64 s[54:55], s[62:63], s[64:65]
	v_mov_b32_e32 v32, s56
	v_mov_b32_e32 v33, s55
	;; [unrolled: 1-line block ×3, first 2 shown]
	v_mov_b64_e32 v[30:31], s[60:61]
	;;#ASMSTART
	global_store_dwordx4 v[30:31], v[32:35] off sc1	
s_waitcnt vmcnt(0)
	;;#ASMEND
.LBB539_71:
	s_or_b64 exec, exec, s[0:1]
	v_xad_u32 v38, v39, -1, s58
	v_add_u32_e32 v34, 64, v38
	v_lshl_add_u64 v[40:41], v[34:35], 4, s[36:37]
	;;#ASMSTART
	global_load_dwordx4 v[30:33], v[40:41] off sc1	
s_waitcnt vmcnt(0)
	;;#ASMEND
	s_nop 0
	v_and_b32_e32 v33, 0xff, v31
	v_and_b32_e32 v34, 0xff00, v31
	v_or3_b32 v30, v30, 0, 0
	v_and_b32_e32 v42, 0xff000000, v31
	v_or3_b32 v33, 0, v33, v34
	v_and_b32_e32 v31, 0xff0000, v31
	v_or3_b32 v31, v33, v31, v42
	v_or3_b32 v30, v30, 0, 0
	v_cmp_eq_u16_sdwa s[54:55], v32, v35 src0_sel:BYTE_0 src1_sel:DWORD
	s_and_saveexec_b64 s[0:1], s[54:55]
	s_cbranch_execz .LBB539_75
; %bb.72:
	s_mov_b64 s[54:55], 0
	v_mov_b32_e32 v34, 0
.LBB539_73:                             ; =>This Inner Loop Header: Depth=1
	;;#ASMSTART
	global_load_dwordx4 v[30:33], v[40:41] off sc1	
s_waitcnt vmcnt(0)
	;;#ASMEND
	s_nop 0
	v_cmp_ne_u16_sdwa s[60:61], v32, v34 src0_sel:BYTE_0 src1_sel:DWORD
	s_or_b64 s[54:55], s[60:61], s[54:55]
	s_andn2_b64 exec, exec, s[54:55]
	s_cbranch_execnz .LBB539_73
; %bb.74:
	s_or_b64 exec, exec, s[54:55]
.LBB539_75:
	s_or_b64 exec, exec, s[0:1]
	v_mov_b32_e32 v48, 2
	v_cmp_eq_u16_sdwa s[0:1], v32, v48 src0_sel:BYTE_0 src1_sel:DWORD
	v_lshlrev_b64 v[40:41], v39, -1
	v_and_b32_e32 v49, 63, v39
	v_and_b32_e32 v33, s1, v41
	v_or_b32_e32 v33, 0x80000000, v33
	v_cmp_ne_u32_e32 vcc, 63, v49
	v_and_b32_e32 v34, s0, v40
	v_ffbl_b32_e32 v33, v33
	v_addc_co_u32_e32 v35, vcc, 0, v39, vcc
	v_add_u32_e32 v33, 32, v33
	v_ffbl_b32_e32 v34, v34
	v_lshlrev_b32_e32 v50, 2, v35
	v_min_u32_e32 v33, v34, v33
	ds_bpermute_b32 v34, v50, v31
	v_cmp_eq_u32_e32 vcc, 0, v30
	v_cmp_lt_u32_e64 s[0:1], v49, v33
	ds_bpermute_b32 v35, v50, v30
	s_and_b64 vcc, s[0:1], vcc
	s_waitcnt lgkmcnt(1)
	v_cndmask_b32_e32 v34, 0, v34, vcc
	v_cmp_gt_u32_e32 vcc, 62, v49
	v_add_u32_e32 v31, v34, v31
	s_waitcnt lgkmcnt(0)
	v_cndmask_b32_e64 v35, 0, v35, s[0:1]
	v_cndmask_b32_e64 v34, 0, 1, vcc
	v_lshlrev_b32_e32 v34, 1, v34
	v_add_lshl_u32 v51, v34, v39, 2
	ds_bpermute_b32 v34, v51, v31
	v_add_u32_e32 v30, v35, v30
	ds_bpermute_b32 v35, v51, v30
	v_add_u32_e32 v52, 2, v49
	v_cmp_eq_u32_e32 vcc, 0, v30
	v_add_u32_e32 v54, 4, v49
	v_add_u32_e32 v56, 8, v49
	s_waitcnt lgkmcnt(1)
	v_cndmask_b32_e32 v34, 0, v34, vcc
	v_cmp_gt_u32_e32 vcc, v52, v33
	v_add_u32_e32 v58, 16, v49
	v_add_u32_e32 v60, 32, v49
	v_cndmask_b32_e64 v34, v34, 0, vcc
	v_add_u32_e32 v31, v34, v31
	s_waitcnt lgkmcnt(0)
	v_cndmask_b32_e64 v34, v35, 0, vcc
	v_cmp_gt_u32_e32 vcc, 60, v49
	v_add_u32_e32 v30, v30, v34
	s_nop 0
	v_cndmask_b32_e64 v35, 0, 1, vcc
	v_lshlrev_b32_e32 v35, 2, v35
	v_add_lshl_u32 v53, v35, v39, 2
	ds_bpermute_b32 v35, v53, v31
	ds_bpermute_b32 v34, v53, v30
	v_cmp_eq_u32_e32 vcc, 0, v30
	s_waitcnt lgkmcnt(1)
	s_nop 0
	v_cndmask_b32_e32 v35, 0, v35, vcc
	v_cmp_gt_u32_e32 vcc, v54, v33
	s_nop 1
	v_cndmask_b32_e64 v35, v35, 0, vcc
	s_waitcnt lgkmcnt(0)
	v_cndmask_b32_e64 v34, v34, 0, vcc
	v_cmp_gt_u32_e32 vcc, 56, v49
	v_add_u32_e32 v31, v31, v35
	v_add_u32_e32 v30, v30, v34
	v_cndmask_b32_e64 v35, 0, 1, vcc
	v_lshlrev_b32_e32 v35, 3, v35
	v_add_lshl_u32 v55, v35, v39, 2
	ds_bpermute_b32 v35, v55, v31
	ds_bpermute_b32 v34, v55, v30
	v_cmp_eq_u32_e32 vcc, 0, v30
	s_waitcnt lgkmcnt(1)
	s_nop 0
	v_cndmask_b32_e32 v35, 0, v35, vcc
	v_cmp_gt_u32_e32 vcc, v56, v33
	s_nop 1
	v_cndmask_b32_e64 v35, v35, 0, vcc
	s_waitcnt lgkmcnt(0)
	v_cndmask_b32_e64 v34, v34, 0, vcc
	v_cmp_gt_u32_e32 vcc, 48, v49
	v_add_u32_e32 v31, v31, v35
	v_add_u32_e32 v30, v30, v34
	;; [unrolled: 17-line block ×3, first 2 shown]
	v_cndmask_b32_e64 v35, 0, 1, vcc
	v_lshlrev_b32_e32 v35, 5, v35
	v_add_lshl_u32 v59, v35, v39, 2
	ds_bpermute_b32 v35, v59, v31
	ds_bpermute_b32 v34, v59, v30
	v_cmp_eq_u32_e32 vcc, 0, v30
	v_mov_b32_e32 v39, 0
	s_waitcnt lgkmcnt(1)
	v_cndmask_b32_e32 v35, 0, v35, vcc
	v_cmp_gt_u32_e32 vcc, v60, v33
	s_nop 1
	v_cndmask_b32_e64 v33, v35, 0, vcc
	v_add_u32_e32 v31, v33, v31
	s_waitcnt lgkmcnt(0)
	v_cndmask_b32_e64 v33, v34, 0, vcc
	v_add_u32_e32 v30, v33, v30
	s_branch .LBB539_77
.LBB539_76:                             ;   in Loop: Header=BB539_77 Depth=1
	s_or_b64 exec, exec, s[0:1]
	v_cmp_eq_u16_sdwa s[0:1], v32, v48 src0_sel:BYTE_0 src1_sel:DWORD
	v_cmp_eq_u32_e32 vcc, 0, v30
	ds_bpermute_b32 v43, v50, v30
	v_and_b32_e32 v33, s1, v41
	v_or_b32_e32 v33, 0x80000000, v33
	v_and_b32_e32 v42, s0, v40
	v_ffbl_b32_e32 v33, v33
	v_add_u32_e32 v33, 32, v33
	v_ffbl_b32_e32 v42, v42
	v_min_u32_e32 v33, v42, v33
	ds_bpermute_b32 v42, v50, v31
	v_cmp_lt_u32_e64 s[0:1], v49, v33
	s_and_b64 vcc, s[0:1], vcc
	v_subrev_u32_e32 v38, 64, v38
	s_waitcnt lgkmcnt(1)
	v_cndmask_b32_e64 v43, 0, v43, s[0:1]
	s_waitcnt lgkmcnt(0)
	v_cndmask_b32_e32 v42, 0, v42, vcc
	v_add_u32_e32 v31, v42, v31
	ds_bpermute_b32 v42, v51, v31
	v_add_u32_e32 v30, v43, v30
	v_cmp_eq_u32_e32 vcc, 0, v30
	ds_bpermute_b32 v43, v51, v30
	s_waitcnt lgkmcnt(1)
	v_cndmask_b32_e32 v42, 0, v42, vcc
	v_cmp_gt_u32_e32 vcc, v52, v33
	s_nop 1
	v_cndmask_b32_e64 v42, v42, 0, vcc
	v_add_u32_e32 v31, v42, v31
	ds_bpermute_b32 v42, v53, v31
	s_waitcnt lgkmcnt(1)
	v_cndmask_b32_e64 v43, v43, 0, vcc
	v_add_u32_e32 v30, v30, v43
	v_cmp_eq_u32_e32 vcc, 0, v30
	ds_bpermute_b32 v43, v53, v30
	s_waitcnt lgkmcnt(1)
	v_cndmask_b32_e32 v42, 0, v42, vcc
	v_cmp_gt_u32_e32 vcc, v54, v33
	s_nop 1
	v_cndmask_b32_e64 v42, v42, 0, vcc
	v_add_u32_e32 v31, v31, v42
	ds_bpermute_b32 v42, v55, v31
	s_waitcnt lgkmcnt(1)
	v_cndmask_b32_e64 v43, v43, 0, vcc
	v_add_u32_e32 v30, v30, v43
	ds_bpermute_b32 v43, v55, v30
	v_cmp_eq_u32_e32 vcc, 0, v30
	s_waitcnt lgkmcnt(1)
	s_nop 0
	v_cndmask_b32_e32 v42, 0, v42, vcc
	v_cmp_gt_u32_e32 vcc, v56, v33
	s_nop 1
	v_cndmask_b32_e64 v42, v42, 0, vcc
	v_add_u32_e32 v31, v31, v42
	ds_bpermute_b32 v42, v57, v31
	s_waitcnt lgkmcnt(1)
	v_cndmask_b32_e64 v43, v43, 0, vcc
	v_add_u32_e32 v30, v30, v43
	ds_bpermute_b32 v43, v57, v30
	v_cmp_eq_u32_e32 vcc, 0, v30
	s_waitcnt lgkmcnt(1)
	s_nop 0
	;; [unrolled: 13-line block ×3, first 2 shown]
	v_cndmask_b32_e32 v42, 0, v42, vcc
	v_cmp_gt_u32_e32 vcc, v60, v33
	s_nop 1
	v_cndmask_b32_e64 v33, v42, 0, vcc
	v_add_u32_e32 v31, v33, v31
	s_waitcnt lgkmcnt(0)
	v_cndmask_b32_e64 v33, v43, 0, vcc
	v_cmp_eq_u32_e32 vcc, 0, v34
	v_add3_u32 v30, v30, v34, v33
	s_nop 0
	v_cndmask_b32_e32 v31, 0, v31, vcc
	v_add_u32_e32 v31, v31, v35
.LBB539_77:                             ; =>This Loop Header: Depth=1
                                        ;     Child Loop BB539_80 Depth 2
	v_cmp_ne_u16_sdwa s[0:1], v32, v48 src0_sel:BYTE_0 src1_sel:DWORD
	v_mov_b32_e32 v35, v31
	v_mov_b32_e32 v34, v30
	v_cndmask_b32_e64 v31, 0, 1, s[0:1]
	;;#ASMSTART
	;;#ASMEND
	s_nop 0
	v_cmp_ne_u32_e32 vcc, 0, v31
	s_cmp_lg_u64 vcc, exec
	s_cbranch_scc1 .LBB539_82
; %bb.78:                               ;   in Loop: Header=BB539_77 Depth=1
	v_lshl_add_u64 v[42:43], v[38:39], 4, s[36:37]
	;;#ASMSTART
	global_load_dwordx4 v[30:33], v[42:43] off sc1	
s_waitcnt vmcnt(0)
	;;#ASMEND
	s_nop 0
	v_and_b32_e32 v33, 0xff, v31
	v_and_b32_e32 v61, 0xff00, v31
	v_or3_b32 v30, v30, 0, 0
	v_and_b32_e32 v62, 0xff000000, v31
	v_or3_b32 v33, 0, v33, v61
	;; [unrolled: 2-line block ×3, first 2 shown]
	v_or3_b32 v30, v30, 0, 0
	v_cmp_eq_u16_sdwa s[54:55], v32, v39 src0_sel:BYTE_0 src1_sel:DWORD
	s_and_saveexec_b64 s[0:1], s[54:55]
	s_cbranch_execz .LBB539_76
; %bb.79:                               ;   in Loop: Header=BB539_77 Depth=1
	s_mov_b64 s[54:55], 0
.LBB539_80:                             ;   Parent Loop BB539_77 Depth=1
                                        ; =>  This Inner Loop Header: Depth=2
	;;#ASMSTART
	global_load_dwordx4 v[30:33], v[42:43] off sc1	
s_waitcnt vmcnt(0)
	;;#ASMEND
	s_nop 0
	v_cmp_ne_u16_sdwa s[60:61], v32, v39 src0_sel:BYTE_0 src1_sel:DWORD
	s_or_b64 s[54:55], s[60:61], s[54:55]
	s_andn2_b64 exec, exec, s[54:55]
	s_cbranch_execnz .LBB539_80
; %bb.81:                               ;   in Loop: Header=BB539_77 Depth=1
	s_or_b64 exec, exec, s[54:55]
	s_branch .LBB539_76
.LBB539_82:                             ;   in Loop: Header=BB539_77 Depth=1
                                        ; implicit-def: $vgpr31
                                        ; implicit-def: $vgpr30
                                        ; implicit-def: $vgpr32
	s_cbranch_execz .LBB539_77
; %bb.83:
	s_and_saveexec_b64 s[0:1], s[28:29]
	s_cbranch_execz .LBB539_85
; %bb.84:
	s_cmp_eq_u32 s56, 0
	s_cselect_b64 vcc, -1, 0
	s_mov_b32 s55, 0
	v_cndmask_b32_e32 v30, 0, v35, vcc
	s_add_i32 s54, s58, 64
	v_add_u32_e32 v30, s57, v30
	s_lshl_b64 s[54:55], s[54:55], 4
	s_add_u32 s54, s36, s54
	v_and_b32_e32 v31, 0xff000000, v30
	v_and_b32_e32 v32, 0xff0000, v30
	s_addc_u32 s55, s37, s55
	v_or_b32_e32 v31, v32, v31
	v_and_b32_e32 v32, 0xff00, v30
	v_and_b32_e32 v30, 0xff, v30
	v_add_u32_e32 v38, s56, v34
	v_mov_b32_e32 v41, 0
	v_or3_b32 v39, v31, v32, v30
	v_mov_b32_e32 v40, 2
	v_mov_b64_e32 v[30:31], s[54:55]
	;;#ASMSTART
	global_store_dwordx4 v[30:31], v[38:41] off sc1	
s_waitcnt vmcnt(0)
	;;#ASMEND
	v_mov_b32_e32 v32, s56
	v_mov_b32_e32 v33, s57
	ds_write_b128 v41, v[32:35] offset:8192
.LBB539_85:
	s_or_b64 exec, exec, s[0:1]
	s_and_b64 exec, exec, s[34:35]
	s_cbranch_execz .LBB539_87
; %bb.86:
	v_mov_b32_e32 v30, 0
	ds_write_b64 v30, v[34:35] offset:8264
.LBB539_87:
	s_or_b64 exec, exec, s[52:53]
	v_mov_b32_e32 v32, 0
	s_waitcnt lgkmcnt(0)
	s_barrier
	ds_read_b64 v[30:31], v32 offset:8264
	v_cndmask_b32_e64 v34, v44, v36, s[28:29]
	v_cmp_eq_u32_e32 vcc, 0, v34
	v_cndmask_b32_e64 v33, v45, v37, s[28:29]
	s_waitcnt lgkmcnt(0)
	v_cndmask_b32_e32 v35, 0, v31, vcc
	v_add_u32_e32 v33, v35, v33
	v_cndmask_b32_e64 v67, v33, v31, s[34:35]
	v_cndmask_b32_e64 v31, v34, 0, s[34:35]
	v_cmp_eq_u32_e32 vcc, 0, v85
	v_add_u32_e32 v66, v30, v31
	v_add_u32_e32 v64, v66, v85
	v_cndmask_b32_e32 v30, 0, v67, vcc
	v_add_u32_e32 v65, v30, v68
	v_cndmask_b32_e64 v30, 0, v65, s[26:27]
	v_add_u32_e32 v63, v30, v68
	v_cndmask_b32_e64 v30, 0, v63, s[24:25]
	;; [unrolled: 2-line block ×8, first 2 shown]
	v_add_u32_e32 v49, v30, v68
	v_add_u32_e32 v62, v64, v84
	v_cndmask_b32_e64 v30, 0, v49, s[10:11]
	v_add_u32_e32 v60, v62, v83
	v_add_u32_e32 v45, v30, v68
	v_add_u32_e32 v58, v60, v82
	v_cndmask_b32_e64 v30, 0, v45, s[8:9]
	v_add_u32_e32 v56, v58, v81
	;; [unrolled: 4-line block ×3, first 2 shown]
	v_add_u32_e32 v41, v30, v68
	s_barrier
	ds_read_b128 v[30:33], v32 offset:8192
	v_add_u32_e32 v50, v52, v78
	v_add_u32_e32 v48, v50, v77
	;; [unrolled: 1-line block ×4, first 2 shown]
	v_cndmask_b32_e64 v34, 0, v41, s[4:5]
	v_add_u32_e32 v40, v42, v74
	v_add_u32_e32 v37, v34, v68
	s_waitcnt lgkmcnt(0)
	v_cmp_eq_u32_e32 vcc, 0, v30
	v_add_u32_e32 v36, v40, v73
	v_cndmask_b32_e64 v34, 0, v37, s[2:3]
	v_cndmask_b32_e32 v33, 0, v33, vcc
	v_add_u32_e32 v38, v36, v72
	v_add_u32_e32 v39, v34, v68
	;; [unrolled: 1-line block ×3, first 2 shown]
	s_branch .LBB539_100
.LBB539_88:
                                        ; implicit-def: $vgpr30
                                        ; implicit-def: $vgpr34
                                        ; implicit-def: $vgpr38_vgpr39
                                        ; implicit-def: $vgpr36_vgpr37
                                        ; implicit-def: $vgpr40_vgpr41
                                        ; implicit-def: $vgpr42_vgpr43
                                        ; implicit-def: $vgpr66_vgpr67
                                        ; implicit-def: $vgpr64_vgpr65
                                        ; implicit-def: $vgpr62_vgpr63
                                        ; implicit-def: $vgpr60_vgpr61
                                        ; implicit-def: $vgpr58_vgpr59
                                        ; implicit-def: $vgpr56_vgpr57
                                        ; implicit-def: $vgpr54_vgpr55
                                        ; implicit-def: $vgpr52_vgpr53
                                        ; implicit-def: $vgpr50_vgpr51
                                        ; implicit-def: $vgpr48_vgpr49
                                        ; implicit-def: $vgpr44_vgpr45
	s_cbranch_execz .LBB539_100
; %bb.89:
	s_and_b64 s[0:1], s[38:39], exec
	s_cselect_b32 s1, 0, s51
	s_cselect_b32 s0, 0, s50
	s_cmp_eq_u64 s[0:1], 0
	v_mov_b32_e32 v34, v68
	s_cbranch_scc1 .LBB539_91
; %bb.90:
	v_mov_b32_e32 v30, 0
	global_load_dword v34, v30, s[0:1]
.LBB539_91:
	v_cmp_eq_u32_e64 s[2:3], 0, v84
	v_cmp_eq_u32_e64 s[4:5], 0, v83
	v_cmp_eq_u32_e64 s[6:7], 0, v82
	v_cndmask_b32_e64 v30, 0, v68, s[2:3]
	v_add_u32_e32 v30, v30, v68
	v_cndmask_b32_e64 v30, 0, v30, s[4:5]
	v_add_u32_e32 v30, v30, v68
	v_cndmask_b32_e64 v30, 0, v30, s[6:7]
	v_add_u32_e32 v30, v30, v68
	v_cmp_eq_u32_e64 s[8:9], 0, v81
	v_cmp_eq_u32_e64 s[10:11], 0, v80
	v_cmp_eq_u32_e64 s[12:13], 0, v79
	v_cndmask_b32_e64 v30, 0, v30, s[8:9]
	v_add_u32_e32 v30, v30, v68
	v_cndmask_b32_e64 v30, 0, v30, s[10:11]
	v_add_u32_e32 v30, v30, v68
	v_cndmask_b32_e64 v30, 0, v30, s[12:13]
	v_add_u32_e32 v30, v30, v68
	;; [unrolled: 9-line block ×3, first 2 shown]
	v_cmp_eq_u32_e64 s[20:21], 0, v75
	v_cmp_eq_u32_e64 s[22:23], 0, v74
	;; [unrolled: 1-line block ×3, first 2 shown]
	v_cndmask_b32_e64 v30, 0, v30, s[20:21]
	v_add_u32_e32 v30, v30, v68
	v_cndmask_b32_e64 v30, 0, v30, s[22:23]
	v_add_u32_e32 v30, v30, v68
	v_cndmask_b32_e64 v30, 0, v30, s[24:25]
	v_add3_u32 v31, v87, v80, v79
	v_add_u32_e32 v30, v30, v68
	v_cmp_eq_u32_e32 vcc, 0, v72
	v_add3_u32 v31, v31, v78, v77
	v_add3_u32 v31, v31, v76, v75
	v_cndmask_b32_e32 v30, 0, v30, vcc
	v_add_u32_e32 v30, v30, v68
	v_cmp_eq_u32_e64 s[0:1], 0, v1
	v_add3_u32 v31, v31, v74, v73
	v_add3_u32 v31, v31, v72, v1
	v_cndmask_b32_e64 v30, 0, v30, s[0:1]
	v_add_u32_e32 v30, v30, v69
	v_mbcnt_hi_u32_b32 v35, -1, v86
	v_and_b32_e32 v32, 15, v35
	v_mov_b32_dpp v36, v30 row_shr:1 row_mask:0xf bank_mask:0xf
	v_cmp_eq_u32_e64 s[0:1], 0, v31
	v_mov_b32_dpp v33, v31 row_shr:1 row_mask:0xf bank_mask:0xf
	v_cmp_lt_u32_e64 s[26:27], 1, v32
	v_cndmask_b32_e64 v36, 0, v36, s[0:1]
	v_cmp_eq_u32_e64 s[0:1], 0, v32
	s_nop 1
	v_cndmask_b32_e64 v33, v33, 0, s[0:1]
	v_add_u32_e32 v31, v33, v31
	v_cndmask_b32_e64 v33, v36, 0, s[0:1]
	v_add_u32_e32 v30, v33, v30
	v_cmp_eq_u32_e64 s[0:1], 0, v31
	v_mov_b32_dpp v33, v31 row_shr:2 row_mask:0xf bank_mask:0xf
	v_mov_b32_dpp v36, v30 row_shr:2 row_mask:0xf bank_mask:0xf
	v_cndmask_b32_e64 v33, 0, v33, s[26:27]
	s_and_b64 s[0:1], s[26:27], s[0:1]
	v_cndmask_b32_e64 v36, 0, v36, s[0:1]
	v_add_u32_e32 v31, v31, v33
	v_add_u32_e32 v30, v36, v30
	v_cmp_eq_u32_e64 s[0:1], 0, v31
	v_mov_b32_dpp v33, v31 row_shr:4 row_mask:0xf bank_mask:0xf
	v_cmp_lt_u32_e64 s[26:27], 3, v32
	v_mov_b32_dpp v36, v30 row_shr:4 row_mask:0xf bank_mask:0xf
	s_and_b64 s[0:1], s[26:27], s[0:1]
	v_cndmask_b32_e64 v33, 0, v33, s[26:27]
	v_cndmask_b32_e64 v36, 0, v36, s[0:1]
	v_add_u32_e32 v31, v33, v31
	v_add_u32_e32 v30, v30, v36
	v_cmp_eq_u32_e64 s[0:1], 0, v31
	v_cmp_lt_u32_e64 s[26:27], 7, v32
	v_mov_b32_dpp v33, v31 row_shr:8 row_mask:0xf bank_mask:0xf
	v_mov_b32_dpp v36, v30 row_shr:8 row_mask:0xf bank_mask:0xf
	s_and_b64 s[0:1], s[26:27], s[0:1]
	v_cndmask_b32_e64 v32, 0, v33, s[26:27]
	v_cndmask_b32_e64 v33, 0, v36, s[0:1]
	v_add_u32_e32 v30, v33, v30
	v_add_u32_e32 v31, v32, v31
	v_bfe_i32 v36, v35, 4, 1
	v_mov_b32_dpp v33, v30 row_bcast:15 row_mask:0xf bank_mask:0xf
	v_mov_b32_dpp v32, v31 row_bcast:15 row_mask:0xf bank_mask:0xf
	v_cmp_eq_u32_e64 s[0:1], 0, v31
	v_and_b32_e32 v32, v36, v32
	v_add_u32_e32 v31, v32, v31
	v_cndmask_b32_e64 v33, 0, v33, s[0:1]
	v_and_b32_e32 v32, v36, v33
	v_add_u32_e32 v32, v32, v30
	v_mov_b32_dpp v30, v31 row_bcast:31 row_mask:0xf bank_mask:0xf
	v_cmp_eq_u32_e64 s[0:1], 0, v31
	v_cmp_lt_u32_e64 s[26:27], 31, v35
	v_mov_b32_dpp v33, v32 row_bcast:31 row_mask:0xf bank_mask:0xf
	s_and_b64 s[0:1], s[26:27], s[0:1]
	v_cndmask_b32_e64 v30, 0, v30, s[26:27]
	v_add_u32_e32 v30, v30, v31
	v_cndmask_b32_e64 v31, 0, v33, s[0:1]
	v_add_u32_e32 v31, v31, v32
	v_cmp_eq_u32_e64 s[0:1], v71, v0
	v_lshlrev_b32_e32 v33, 3, v70
	s_and_saveexec_b64 s[26:27], s[0:1]
	s_cbranch_execz .LBB539_93
; %bb.92:
	ds_write_b64 v33, v[30:31] offset:8208
.LBB539_93:
	s_or_b64 exec, exec, s[26:27]
	v_cmp_gt_u32_e64 s[0:1], 8, v0
	s_waitcnt lgkmcnt(0)
	s_barrier
	s_and_saveexec_b64 s[28:29], s[0:1]
	s_cbranch_execz .LBB539_95
; %bb.94:
	v_lshlrev_b32_e32 v32, 3, v0
	ds_read_b64 v[36:37], v32 offset:8208
	v_and_b32_e32 v38, 7, v35
	v_cmp_lt_u32_e64 s[26:27], 1, v38
	s_waitcnt lgkmcnt(0)
	v_mov_b32_dpp v40, v37 row_shr:1 row_mask:0xf bank_mask:0xf
	v_cmp_eq_u32_e64 s[0:1], 0, v36
	v_mov_b32_dpp v39, v36 row_shr:1 row_mask:0xf bank_mask:0xf
	s_nop 0
	v_cndmask_b32_e64 v40, 0, v40, s[0:1]
	v_cmp_eq_u32_e64 s[0:1], 0, v38
	s_nop 1
	v_cndmask_b32_e64 v39, v39, 0, s[0:1]
	v_add_u32_e32 v36, v39, v36
	v_cndmask_b32_e64 v39, v40, 0, s[0:1]
	v_add_u32_e32 v37, v39, v37
	v_cmp_eq_u32_e64 s[0:1], 0, v36
	v_mov_b32_dpp v39, v36 row_shr:2 row_mask:0xf bank_mask:0xf
	v_mov_b32_dpp v40, v37 row_shr:2 row_mask:0xf bank_mask:0xf
	v_cndmask_b32_e64 v39, 0, v39, s[26:27]
	s_and_b64 s[0:1], s[26:27], s[0:1]
	v_cndmask_b32_e64 v40, 0, v40, s[0:1]
	v_add_u32_e32 v36, v39, v36
	v_add_u32_e32 v37, v40, v37
	v_cmp_eq_u32_e64 s[0:1], 0, v36
	v_mov_b32_dpp v39, v36 row_shr:4 row_mask:0xf bank_mask:0xf
	v_cmp_lt_u32_e64 s[26:27], 3, v38
	v_mov_b32_dpp v40, v37 row_shr:4 row_mask:0xf bank_mask:0xf
	s_and_b64 s[0:1], s[26:27], s[0:1]
	v_cndmask_b32_e64 v38, 0, v39, s[26:27]
	v_add_u32_e32 v36, v38, v36
	v_cndmask_b32_e64 v38, 0, v40, s[0:1]
	v_add_u32_e32 v37, v38, v37
	ds_write_b64 v32, v[36:37] offset:8208
.LBB539_95:
	s_or_b64 exec, exec, s[28:29]
	v_cmp_lt_u32_e64 s[0:1], 63, v0
	v_mov_b32_e32 v37, 0
	v_mov_b32_e32 v32, 0
	s_waitcnt vmcnt(0)
	v_mov_b32_e32 v36, v34
	s_waitcnt lgkmcnt(0)
	s_barrier
	s_and_saveexec_b64 s[26:27], s[0:1]
	s_cbranch_execz .LBB539_97
; %bb.96:
	ds_read_b64 v[32:33], v33 offset:8200
	s_waitcnt lgkmcnt(0)
	v_cmp_eq_u32_e64 s[0:1], 0, v32
	s_nop 1
	v_cndmask_b32_e64 v36, 0, v34, s[0:1]
	v_add_u32_e32 v36, v36, v33
.LBB539_97:
	s_or_b64 exec, exec, s[26:27]
	v_cmp_eq_u32_e64 s[0:1], 0, v30
	v_add_u32_e32 v33, v32, v30
	v_and_b32_e32 v38, 64, v35
	v_cndmask_b32_e64 v30, 0, v36, s[0:1]
	v_add_u32_e32 v30, v30, v31
	v_add_u32_e32 v31, -1, v35
	v_cmp_lt_i32_e64 s[0:1], v31, v38
	s_nop 1
	v_cndmask_b32_e64 v31, v31, v35, s[0:1]
	v_lshlrev_b32_e32 v31, 2, v31
	ds_bpermute_b32 v30, v31, v30
	ds_bpermute_b32 v33, v31, v33
	v_cmp_eq_u32_e64 s[0:1], 0, v35
	s_waitcnt lgkmcnt(1)
	s_nop 0
	v_cndmask_b32_e64 v30, v30, v36, s[0:1]
	s_waitcnt lgkmcnt(0)
	v_cndmask_b32_e64 v31, v33, v32, s[0:1]
	v_cndmask_b32_e64 v67, v30, v34, s[34:35]
	v_cmp_eq_u32_e64 s[0:1], 0, v85
	v_cndmask_b32_e64 v66, v31, 0, s[34:35]
	v_add_u32_e32 v64, v66, v85
	v_cndmask_b32_e64 v30, 0, v67, s[0:1]
	v_add_u32_e32 v65, v30, v68
	;; [unrolled: 2-line block ×10, first 2 shown]
	v_add_u32_e32 v62, v64, v84
	v_cndmask_b32_e64 v30, 0, v49, s[18:19]
	v_add_u32_e32 v60, v62, v83
	v_add_u32_e32 v45, v30, v68
	v_add_u32_e32 v58, v60, v82
	v_cndmask_b32_e64 v30, 0, v45, s[20:21]
	v_add_u32_e32 v56, v58, v81
	v_add_u32_e32 v43, v30, v68
	v_add_u32_e32 v54, v56, v80
	v_cndmask_b32_e64 v30, 0, v43, s[22:23]
	v_add_u32_e32 v52, v54, v79
	v_add_u32_e32 v41, v30, v68
	ds_read_b64 v[30:31], v37 offset:8264
	v_add_u32_e32 v50, v52, v78
	v_add_u32_e32 v48, v50, v77
	;; [unrolled: 1-line block ×3, first 2 shown]
	v_cndmask_b32_e64 v32, 0, v41, s[24:25]
	v_add_u32_e32 v42, v44, v75
	v_add_u32_e32 v37, v32, v68
	;; [unrolled: 1-line block ×3, first 2 shown]
	v_cndmask_b32_e32 v32, 0, v37, vcc
	s_waitcnt lgkmcnt(0)
	v_cmp_eq_u32_e32 vcc, 0, v30
	v_add_u32_e32 v36, v40, v73
	v_add_u32_e32 v39, v32, v68
	v_cndmask_b32_e32 v32, 0, v34, vcc
	v_add_u32_e32 v38, v36, v72
	v_add_u32_e32 v34, v32, v31
	s_and_saveexec_b64 s[0:1], s[34:35]
	s_cbranch_execz .LBB539_99
; %bb.98:
	s_add_u32 s2, s36, 0x400
	v_and_b32_e32 v31, 0xff000000, v34
	v_and_b32_e32 v32, 0xff0000, v34
	s_addc_u32 s3, s37, 0
	v_or_b32_e32 v31, v32, v31
	v_and_b32_e32 v32, 0xff00, v34
	v_and_b32_e32 v35, 0xff, v34
	v_mov_b32_e32 v33, 0
	v_or3_b32 v31, v31, v32, v35
	v_mov_b32_e32 v32, 2
	v_mov_b64_e32 v[68:69], s[2:3]
	;;#ASMSTART
	global_store_dwordx4 v[68:69], v[30:33] off sc1	
s_waitcnt vmcnt(0)
	;;#ASMEND
.LBB539_99:
	s_or_b64 exec, exec, s[0:1]
	v_mov_b32_e32 v32, 0
.LBB539_100:
	s_and_b64 s[0:1], s[38:39], exec
	s_cselect_b32 s1, 0, s31
	s_cselect_b32 s0, 0, s30
	s_cmp_eq_u64 s[0:1], 0
	v_mov_b64_e32 v[68:69], 0
	s_barrier
	s_cbranch_scc1 .LBB539_102
; %bb.101:
	v_mov_b32_e32 v31, 0
	global_load_dwordx2 v[68:69], v31, s[0:1]
.LBB539_102:
	v_cmp_eq_u32_e32 vcc, 0, v85
	s_movk_i32 s0, 0x200
	v_mov_b32_e32 v33, 0
	v_cndmask_b32_e64 v31, 1, 2, vcc
	v_cmp_eq_u32_e32 vcc, 0, v84
	v_cmp_ne_u32_e64 s[30:31], 0, v85
	v_cmp_ne_u32_e64 s[28:29], 0, v84
	v_cndmask_b32_e64 v35, 1, 2, vcc
	v_cmp_eq_u32_e32 vcc, 0, v83
	v_and_b32_e32 v31, v35, v31
	v_cmp_ne_u32_e64 s[26:27], 0, v83
	v_cndmask_b32_e64 v35, 1, 2, vcc
	v_cmp_eq_u32_e32 vcc, 0, v82
	v_and_b32_e32 v31, v31, v35
	v_cmp_ne_u32_e64 s[24:25], 0, v82
	v_cndmask_b32_e64 v35, 1, 2, vcc
	v_cmp_eq_u32_e32 vcc, 0, v81
	v_and_b32_e32 v31, v31, v35
	v_cmp_ne_u32_e64 s[22:23], 0, v81
	v_cndmask_b32_e64 v35, 1, 2, vcc
	v_cmp_eq_u32_e32 vcc, 0, v80
	v_and_b32_e32 v31, v31, v35
	v_cmp_ne_u32_e64 s[20:21], 0, v80
	v_cndmask_b32_e64 v35, 1, 2, vcc
	v_cmp_eq_u32_e32 vcc, 0, v79
	v_and_b32_e32 v31, v31, v35
	v_cmp_ne_u32_e64 s[18:19], 0, v79
	v_cndmask_b32_e64 v35, 1, 2, vcc
	v_cmp_eq_u32_e32 vcc, 0, v78
	v_and_b32_e32 v31, v31, v35
	v_cmp_ne_u32_e64 s[16:17], 0, v78
	v_cndmask_b32_e64 v35, 1, 2, vcc
	v_cmp_eq_u32_e32 vcc, 0, v77
	v_and_b32_e32 v31, v31, v35
	v_cmp_ne_u32_e64 s[14:15], 0, v77
	v_cndmask_b32_e64 v35, 1, 2, vcc
	v_cmp_eq_u32_e32 vcc, 0, v76
	v_and_b32_e32 v31, v31, v35
	v_cmp_ne_u32_e64 s[12:13], 0, v76
	v_cndmask_b32_e64 v35, 1, 2, vcc
	v_cmp_eq_u32_e32 vcc, 0, v75
	v_and_b32_e32 v31, v31, v35
	v_cmp_ne_u32_e64 s[10:11], 0, v75
	v_cndmask_b32_e64 v35, 1, 2, vcc
	v_cmp_eq_u32_e32 vcc, 0, v74
	v_and_b32_e32 v31, v31, v35
	v_cmp_ne_u32_e64 s[8:9], 0, v74
	v_cndmask_b32_e64 v35, 1, 2, vcc
	v_cmp_eq_u32_e32 vcc, 0, v73
	v_and_b32_e32 v31, v31, v35
	v_cmp_ne_u32_e64 s[6:7], 0, v73
	v_cndmask_b32_e64 v35, 1, 2, vcc
	v_cmp_eq_u32_e32 vcc, 0, v72
	v_and_b32_e32 v31, v31, v35
	v_cmp_ne_u32_e64 s[4:5], 0, v72
	v_cndmask_b32_e64 v35, 1, 2, vcc
	v_cmp_eq_u32_e32 vcc, 0, v1
	v_and_b32_e32 v31, v31, v35
	v_cmp_ne_u32_e64 s[2:3], 0, v1
	v_cndmask_b32_e64 v35, 1, 2, vcc
	v_and_b32_e32 v31, v31, v35
	v_cmp_gt_u32_e32 vcc, s0, v30
	s_mov_b64 s[36:37], -1
	v_cmp_gt_i16_e64 s[0:1], 2, v31
	s_cbranch_vccz .LBB539_109
; %bb.103:
	s_and_saveexec_b64 s[36:37], s[0:1]
	s_cbranch_execz .LBB539_108
; %bb.104:
	s_waitcnt vmcnt(0)
	v_lshlrev_b64 v[70:71], 3, v[68:69]
	v_lshl_add_u64 v[70:71], s[44:45], 0, v[70:71]
	v_lshlrev_b64 v[86:87], 3, v[32:33]
	v_lshl_add_u64 v[70:71], v[70:71], 0, v[86:87]
	v_cmp_ne_u16_e32 vcc, 1, v31
	s_mov_b64 s[38:39], 0
	s_and_saveexec_b64 s[0:1], vcc
	s_xor_b64 s[0:1], exec, s[0:1]
	s_cbranch_execnz .LBB539_141
; %bb.105:
	s_andn2_saveexec_b64 s[0:1], s[0:1]
	s_cbranch_execnz .LBB539_157
.LBB539_106:
	s_or_b64 exec, exec, s[0:1]
	s_and_b64 exec, exec, s[38:39]
	s_cbranch_execz .LBB539_108
.LBB539_107:
	v_sub_u32_e32 v86, v38, v32
	v_mov_b32_e32 v87, 0
	v_lshl_add_u64 v[70:71], v[86:87], 3, v[70:71]
	global_store_dwordx2 v[70:71], v[46:47], off
.LBB539_108:
	s_or_b64 exec, exec, s[36:37]
	s_mov_b64 s[36:37], 0
.LBB539_109:
	s_and_b64 vcc, exec, s[36:37]
	s_cbranch_vccz .LBB539_119
; %bb.110:
	v_cmp_gt_i16_e32 vcc, 2, v31
	s_and_saveexec_b64 s[0:1], vcc
	s_cbranch_execz .LBB539_115
; %bb.111:
	v_cmp_ne_u16_e32 vcc, 1, v31
	s_mov_b64 s[38:39], 0
	s_and_saveexec_b64 s[36:37], vcc
	s_xor_b64 s[36:37], exec, s[36:37]
	s_cbranch_execnz .LBB539_158
; %bb.112:
	s_andn2_saveexec_b64 s[2:3], s[36:37]
	s_cbranch_execnz .LBB539_174
.LBB539_113:
	s_or_b64 exec, exec, s[2:3]
	s_and_b64 exec, exec, s[38:39]
	s_cbranch_execz .LBB539_115
.LBB539_114:
	v_sub_u32_e32 v2, v38, v32
	v_lshlrev_b32_e32 v2, 3, v2
	ds_write_b64 v2, v[46:47]
.LBB539_115:
	s_or_b64 exec, exec, s[0:1]
	v_cmp_lt_u32_e32 vcc, v0, v30
	s_waitcnt lgkmcnt(0)
	s_barrier
	s_and_saveexec_b64 s[0:1], vcc
	s_cbranch_execz .LBB539_118
; %bb.116:
	s_waitcnt vmcnt(0)
	v_lshlrev_b64 v[4:5], 3, v[68:69]
	v_lshlrev_b64 v[6:7], 3, v[32:33]
	v_lshl_add_u64 v[4:5], v[4:5], 0, v[6:7]
	v_lshlrev_b32_e32 v2, 3, v0
	v_mov_b32_e32 v3, 0
	v_lshl_add_u64 v[4:5], s[44:45], 0, v[4:5]
	v_lshl_add_u64 v[4:5], v[4:5], 0, v[2:3]
	s_mov_b64 s[2:3], 0
	s_mov_b64 s[4:5], 0x1000
	v_mov_b32_e32 v3, v0
.LBB539_117:                            ; =>This Inner Loop Header: Depth=1
	ds_read_b64 v[6:7], v2
	v_add_u32_e32 v3, 0x200, v3
	v_cmp_ge_u32_e32 vcc, v3, v30
	v_add_u32_e32 v2, 0x1000, v2
	s_or_b64 s[2:3], vcc, s[2:3]
	s_waitcnt lgkmcnt(0)
	global_store_dwordx2 v[4:5], v[6:7], off
	v_lshl_add_u64 v[4:5], v[4:5], 0, s[4:5]
	s_andn2_b64 exec, exec, s[2:3]
	s_cbranch_execnz .LBB539_117
.LBB539_118:
	s_or_b64 exec, exec, s[0:1]
.LBB539_119:
	s_cmpk_lg_i32 s33, 0x1e00
	s_cselect_b64 s[0:1], -1, 0
	v_cndmask_b32_e64 v10, 0, 1, s[42:43]
	s_and_b64 s[0:1], s[0:1], s[40:41]
	v_sub_u32_e32 v2, v30, v10
	v_cndmask_b32_e64 v3, 0, 1, s[0:1]
	s_and_b64 s[0:1], s[34:35], s[42:43]
	v_add_u32_e32 v12, v2, v3
	v_cndmask_b32_e64 v2, v85, 0, s[0:1]
	s_mul_hi_u32 s0, s33, 0x88888889
	s_lshr_b32 s0, s0, 3
	v_mad_i32_i24 v3, v0, -15, s33
	v_cmp_eq_u32_e32 vcc, s0, v0
	v_cmp_ne_u32_e64 s[0:1], 0, v3
	s_and_b64 vcc, vcc, s[40:41]
	s_mov_b32 s2, 0
	v_cndmask_b32_e64 v4, 1, v2, s[0:1]
	v_cmp_ne_u32_e64 s[0:1], 1, v3
	v_cndmask_b32_e32 v27, v2, v4, vcc
	s_movk_i32 s30, 0x200
	v_cndmask_b32_e64 v5, 1, v84, s[0:1]
	v_cmp_ne_u32_e64 s[0:1], 2, v3
	v_cndmask_b32_e32 v26, v84, v5, vcc
	s_waitcnt vmcnt(0)
	v_lshlrev_b64 v[4:5], 3, v[68:69]
	v_cndmask_b32_e64 v6, 1, v83, s[0:1]
	v_cmp_ne_u32_e64 s[0:1], 3, v3
	v_cndmask_b32_e32 v25, v83, v6, vcc
	s_mov_b64 s[34:35], -1
	v_cndmask_b32_e64 v7, 1, v82, s[0:1]
	v_cmp_ne_u32_e64 s[0:1], 4, v3
	v_cndmask_b32_e32 v24, v82, v7, vcc
	v_lshlrev_b64 v[6:7], 3, v[32:33]
	v_cndmask_b32_e64 v8, 1, v81, s[0:1]
	v_cmp_ne_u32_e64 s[0:1], 5, v3
	v_cndmask_b32_e32 v23, v81, v8, vcc
	v_cmp_ne_u32_e64 s[28:29], 0, v27
	v_cndmask_b32_e64 v9, 1, v80, s[0:1]
	v_cmp_ne_u32_e64 s[0:1], 6, v3
	v_cndmask_b32_e32 v22, v80, v9, vcc
	v_cmp_ne_u32_e64 s[26:27], 0, v26
	v_cndmask_b32_e64 v11, 1, v79, s[0:1]
	v_cmp_ne_u32_e64 s[0:1], 7, v3
	v_cndmask_b32_e32 v21, v79, v11, vcc
	v_mov_b32_e32 v11, s2
	v_cndmask_b32_e64 v13, 1, v78, s[0:1]
	v_cmp_ne_u32_e64 s[0:1], 8, v3
	v_cndmask_b32_e32 v13, v78, v13, vcc
	v_lshl_add_u64 v[8:9], v[10:11], 0, -1
	v_cndmask_b32_e64 v14, 1, v77, s[0:1]
	v_cmp_ne_u32_e64 s[0:1], 9, v3
	v_cndmask_b32_e32 v14, v77, v14, vcc
	v_cmp_ne_u32_e64 s[14:15], 0, v13
	v_cndmask_b32_e64 v15, 1, v76, s[0:1]
	v_cmp_ne_u32_e64 s[0:1], 10, v3
	v_cndmask_b32_e32 v15, v76, v15, vcc
	v_cmp_ne_u32_e64 s[24:25], 0, v25
	;; [unrolled: 4-line block ×6, first 2 shown]
	v_cndmask_b32_e64 v3, 1, v1, s[0:1]
	v_cndmask_b32_e32 v20, v1, v3, vcc
	v_cmp_eq_u32_e32 vcc, 0, v27
	v_add_u32_e32 v1, v32, v10
	v_lshl_add_u64 v[2:3], s[46:47], 0, v[4:5]
	v_cndmask_b32_e64 v10, 1, 2, vcc
	v_cmp_eq_u32_e32 vcc, 0, v26
	v_lshl_add_u64 v[2:3], v[2:3], 0, v[6:7]
	v_cmp_ne_u32_e64 s[12:13], 0, v14
	v_cndmask_b32_e64 v11, 1, 2, vcc
	v_cmp_eq_u32_e32 vcc, 0, v25
	v_and_b32_e32 v10, v11, v10
	v_cmp_ne_u32_e64 s[10:11], 0, v15
	v_cndmask_b32_e64 v11, 1, 2, vcc
	v_cmp_eq_u32_e32 vcc, 0, v24
	v_and_b32_e32 v10, v10, v11
	v_cmp_ne_u32_e64 s[8:9], 0, v16
	v_cndmask_b32_e64 v11, 1, 2, vcc
	v_cmp_eq_u32_e32 vcc, 0, v23
	v_and_b32_e32 v10, v10, v11
	v_cmp_ne_u32_e64 s[6:7], 0, v17
	v_cndmask_b32_e64 v11, 1, 2, vcc
	v_cmp_eq_u32_e32 vcc, 0, v22
	v_and_b32_e32 v10, v10, v11
	v_cmp_ne_u32_e64 s[4:5], 0, v18
	v_cndmask_b32_e64 v11, 1, 2, vcc
	v_cmp_eq_u32_e32 vcc, 0, v21
	v_and_b32_e32 v10, v10, v11
	v_cmp_ne_u32_e64 s[2:3], 0, v19
	v_cndmask_b32_e64 v11, 1, 2, vcc
	v_cmp_eq_u32_e32 vcc, 0, v13
	v_and_b32_e32 v10, v10, v11
	v_cmp_ne_u32_e64 s[0:1], 0, v20
	v_cndmask_b32_e64 v11, 1, 2, vcc
	v_cmp_eq_u32_e32 vcc, 0, v14
	v_and_b32_e32 v10, v10, v11
	s_nop 0
	v_cndmask_b32_e64 v11, 1, 2, vcc
	v_cmp_eq_u32_e32 vcc, 0, v15
	v_and_b32_e32 v10, v10, v11
	s_barrier
	v_cndmask_b32_e64 v11, 1, 2, vcc
	v_cmp_eq_u32_e32 vcc, 0, v16
	v_and_b32_e32 v10, v10, v11
	s_nop 0
	v_cndmask_b32_e64 v11, 1, 2, vcc
	v_cmp_eq_u32_e32 vcc, 0, v17
	v_and_b32_e32 v10, v10, v11
	s_nop 0
	v_cndmask_b32_e64 v11, 1, 2, vcc
	v_cmp_eq_u32_e32 vcc, 0, v18
	v_and_b32_e32 v10, v10, v11
	s_nop 0
	v_cndmask_b32_e64 v11, 1, 2, vcc
	v_cmp_eq_u32_e32 vcc, 0, v19
	v_and_b32_e32 v10, v10, v11
	s_nop 0
	v_cndmask_b32_e64 v11, 1, 2, vcc
	v_cmp_eq_u32_e32 vcc, 0, v20
	v_and_b32_e32 v10, v10, v11
	s_nop 0
	v_cndmask_b32_e64 v11, 1, 2, vcc
	v_and_b32_e32 v13, v10, v11
	v_cmp_gt_u32_e32 vcc, s30, v12
	v_cmp_gt_i16_e64 s[30:31], 2, v13
	s_cbranch_vccz .LBB539_126
; %bb.120:
	s_and_saveexec_b64 s[34:35], s[30:31]
	s_cbranch_execz .LBB539_125
; %bb.121:
	v_lshlrev_b64 v[10:11], 3, v[8:9]
	v_lshl_add_u64 v[10:11], v[2:3], 0, v[10:11]
	v_cmp_ne_u16_e32 vcc, 1, v13
	s_mov_b64 s[36:37], 0
	s_and_saveexec_b64 s[30:31], vcc
	s_xor_b64 s[30:31], exec, s[30:31]
	s_cbranch_execnz .LBB539_175
; %bb.122:
	s_andn2_saveexec_b64 s[30:31], s[30:31]
	s_cbranch_execnz .LBB539_191
.LBB539_123:
	s_or_b64 exec, exec, s[30:31]
	s_and_b64 exec, exec, s[36:37]
	s_cbranch_execz .LBB539_125
.LBB539_124:
	v_mov_b32_e32 v15, 0
	v_sub_u32_e32 v16, v38, v1
	v_mov_b32_e32 v17, v15
	v_mov_b32_e32 v14, v39
	v_lshl_add_u64 v[10:11], v[16:17], 3, v[10:11]
	global_store_dwordx2 v[10:11], v[14:15], off
.LBB539_125:
	s_or_b64 exec, exec, s[34:35]
	s_mov_b64 s[34:35], 0
.LBB539_126:
	s_and_b64 vcc, exec, s[34:35]
	s_cbranch_vccz .LBB539_136
; %bb.127:
	v_cmp_gt_i16_e32 vcc, 2, v13
	s_and_saveexec_b64 s[30:31], vcc
	s_cbranch_execz .LBB539_132
; %bb.128:
	v_cmp_ne_u16_e32 vcc, 1, v13
	s_mov_b64 s[36:37], 0
	s_and_saveexec_b64 s[34:35], vcc
	s_xor_b64 s[34:35], exec, s[34:35]
	s_cbranch_execnz .LBB539_192
; %bb.129:
	s_andn2_saveexec_b64 s[0:1], s[34:35]
	s_cbranch_execnz .LBB539_208
.LBB539_130:
	s_or_b64 exec, exec, s[0:1]
	s_and_b64 exec, exec, s[36:37]
	s_cbranch_execz .LBB539_132
.LBB539_131:
	v_sub_u32_e32 v1, v38, v1
	v_lshlrev_b32_e32 v1, 2, v1
	ds_write_b32 v1, v39
.LBB539_132:
	s_or_b64 exec, exec, s[30:31]
	v_cmp_lt_u32_e32 vcc, v0, v12
	s_waitcnt lgkmcnt(0)
	s_barrier
	s_and_saveexec_b64 s[0:1], vcc
	s_cbranch_execz .LBB539_135
; %bb.133:
	v_lshlrev_b64 v[8:9], 3, v[8:9]
	v_lshl_add_u64 v[4:5], v[4:5], 0, v[8:9]
	v_lshl_add_u64 v[6:7], v[4:5], 0, v[6:7]
	v_lshlrev_b32_e32 v4, 3, v0
	v_mov_b32_e32 v5, 0
	v_lshl_add_u64 v[6:7], s[46:47], 0, v[6:7]
	v_lshlrev_b32_e32 v1, 2, v0
	v_lshl_add_u64 v[6:7], v[6:7], 0, v[4:5]
	s_mov_b64 s[2:3], 0
	s_mov_b64 s[4:5], 0x1000
	v_mov_b32_e32 v8, v0
.LBB539_134:                            ; =>This Inner Loop Header: Depth=1
	ds_read_b32 v4, v1
	v_add_u32_e32 v8, 0x200, v8
	v_cmp_ge_u32_e32 vcc, v8, v12
	v_add_u32_e32 v1, 0x800, v1
	s_or_b64 s[2:3], vcc, s[2:3]
	s_waitcnt lgkmcnt(0)
	global_store_dwordx2 v[6:7], v[4:5], off
	v_lshl_add_u64 v[6:7], v[6:7], 0, s[4:5]
	s_andn2_b64 exec, exec, s[2:3]
	s_cbranch_execnz .LBB539_134
.LBB539_135:
	s_or_b64 exec, exec, s[0:1]
.LBB539_136:
	s_movk_i32 s0, 0x1ff
	v_cmp_eq_u32_e32 vcc, s0, v0
	s_and_b64 s[0:1], vcc, s[40:41]
	s_and_saveexec_b64 s[2:3], s[0:1]
	s_cbranch_execz .LBB539_139
; %bb.137:
	v_mov_b32_e32 v31, 0
	v_lshl_add_u64 v[0:1], v[30:31], 0, v[32:33]
	v_lshl_add_u64 v[0:1], v[0:1], 0, v[68:69]
	s_cmpk_lg_i32 s33, 0x1e00
	global_store_dwordx2 v31, v[0:1], s[48:49]
	s_cbranch_scc1 .LBB539_139
; %bb.138:
	v_lshlrev_b64 v[0:1], 3, v[30:31]
	v_mov_b32_e32 v35, v31
	v_lshl_add_u64 v[0:1], v[2:3], 0, v[0:1]
	global_store_dwordx2 v[0:1], v[34:35], off offset:-8
.LBB539_139:
	s_endpgm
.LBB539_140:
	s_or_b64 exec, exec, s[4:5]
	v_mov_b32_e32 v85, s6
	s_and_saveexec_b64 s[2:3], s[54:55]
	s_cbranch_execnz .LBB539_60
	s_branch .LBB539_61
.LBB539_141:
	s_and_saveexec_b64 s[38:39], s[30:31]
	s_cbranch_execnz .LBB539_209
; %bb.142:
	s_or_b64 exec, exec, s[38:39]
	s_and_saveexec_b64 s[38:39], s[28:29]
	s_cbranch_execnz .LBB539_210
.LBB539_143:
	s_or_b64 exec, exec, s[38:39]
	s_and_saveexec_b64 s[38:39], s[26:27]
	s_cbranch_execnz .LBB539_211
.LBB539_144:
	s_or_b64 exec, exec, s[38:39]
	s_and_saveexec_b64 s[38:39], s[24:25]
	s_cbranch_execnz .LBB539_212
.LBB539_145:
	s_or_b64 exec, exec, s[38:39]
	s_and_saveexec_b64 s[38:39], s[22:23]
	s_cbranch_execnz .LBB539_213
.LBB539_146:
	s_or_b64 exec, exec, s[38:39]
	s_and_saveexec_b64 s[38:39], s[20:21]
	s_cbranch_execnz .LBB539_214
.LBB539_147:
	s_or_b64 exec, exec, s[38:39]
	s_and_saveexec_b64 s[38:39], s[18:19]
	s_cbranch_execnz .LBB539_215
.LBB539_148:
	s_or_b64 exec, exec, s[38:39]
	s_and_saveexec_b64 s[38:39], s[16:17]
	s_cbranch_execnz .LBB539_216
.LBB539_149:
	s_or_b64 exec, exec, s[38:39]
	s_and_saveexec_b64 s[38:39], s[14:15]
	s_cbranch_execnz .LBB539_217
.LBB539_150:
	s_or_b64 exec, exec, s[38:39]
	s_and_saveexec_b64 s[38:39], s[12:13]
	s_cbranch_execnz .LBB539_218
.LBB539_151:
	s_or_b64 exec, exec, s[38:39]
	s_and_saveexec_b64 s[38:39], s[10:11]
	s_cbranch_execnz .LBB539_219
.LBB539_152:
	s_or_b64 exec, exec, s[38:39]
	s_and_saveexec_b64 s[38:39], s[8:9]
	s_cbranch_execnz .LBB539_220
.LBB539_153:
	s_or_b64 exec, exec, s[38:39]
	s_and_saveexec_b64 s[38:39], s[6:7]
	s_cbranch_execnz .LBB539_221
.LBB539_154:
	s_or_b64 exec, exec, s[38:39]
	s_and_saveexec_b64 s[38:39], s[4:5]
	s_cbranch_execz .LBB539_156
.LBB539_155:
	v_sub_u32_e32 v86, v36, v32
	v_mov_b32_e32 v87, 0
	v_lshl_add_u64 v[86:87], v[86:87], 3, v[70:71]
	global_store_dwordx2 v[86:87], v[8:9], off
.LBB539_156:
	s_or_b64 exec, exec, s[38:39]
	s_and_b64 s[38:39], s[2:3], exec
	s_andn2_saveexec_b64 s[0:1], s[0:1]
	s_cbranch_execz .LBB539_106
.LBB539_157:
	v_sub_u32_e32 v86, v66, v32
	v_mov_b32_e32 v87, 0
	v_lshl_add_u64 v[88:89], v[86:87], 3, v[70:71]
	v_sub_u32_e32 v86, v64, v32
	global_store_dwordx2 v[88:89], v[26:27], off
	v_lshl_add_u64 v[88:89], v[86:87], 3, v[70:71]
	v_sub_u32_e32 v86, v62, v32
	global_store_dwordx2 v[88:89], v[28:29], off
	;; [unrolled: 3-line block ×12, first 2 shown]
	v_lshl_add_u64 v[88:89], v[86:87], 3, v[70:71]
	v_sub_u32_e32 v86, v36, v32
	v_lshl_add_u64 v[86:87], v[86:87], 3, v[70:71]
	s_or_b64 s[38:39], s[38:39], exec
	global_store_dwordx2 v[88:89], v[6:7], off
	global_store_dwordx2 v[86:87], v[8:9], off
	s_or_b64 exec, exec, s[0:1]
	s_and_b64 exec, exec, s[38:39]
	s_cbranch_execnz .LBB539_107
	s_branch .LBB539_108
.LBB539_158:
	s_and_saveexec_b64 s[38:39], s[30:31]
	s_cbranch_execnz .LBB539_222
; %bb.159:
	s_or_b64 exec, exec, s[38:39]
	s_and_saveexec_b64 s[30:31], s[28:29]
	s_cbranch_execnz .LBB539_223
.LBB539_160:
	s_or_b64 exec, exec, s[30:31]
	s_and_saveexec_b64 s[28:29], s[26:27]
	s_cbranch_execnz .LBB539_224
.LBB539_161:
	s_or_b64 exec, exec, s[28:29]
	s_and_saveexec_b64 s[26:27], s[24:25]
	s_cbranch_execnz .LBB539_225
.LBB539_162:
	s_or_b64 exec, exec, s[26:27]
	s_and_saveexec_b64 s[24:25], s[22:23]
	s_cbranch_execnz .LBB539_226
.LBB539_163:
	s_or_b64 exec, exec, s[24:25]
	s_and_saveexec_b64 s[22:23], s[20:21]
	s_cbranch_execnz .LBB539_227
.LBB539_164:
	s_or_b64 exec, exec, s[22:23]
	s_and_saveexec_b64 s[20:21], s[18:19]
	s_cbranch_execnz .LBB539_228
.LBB539_165:
	s_or_b64 exec, exec, s[20:21]
	s_and_saveexec_b64 s[18:19], s[16:17]
	s_cbranch_execnz .LBB539_229
.LBB539_166:
	s_or_b64 exec, exec, s[18:19]
	s_and_saveexec_b64 s[16:17], s[14:15]
	s_cbranch_execnz .LBB539_230
.LBB539_167:
	s_or_b64 exec, exec, s[16:17]
	s_and_saveexec_b64 s[14:15], s[12:13]
	s_cbranch_execnz .LBB539_231
.LBB539_168:
	s_or_b64 exec, exec, s[14:15]
	s_and_saveexec_b64 s[12:13], s[10:11]
	s_cbranch_execnz .LBB539_232
.LBB539_169:
	s_or_b64 exec, exec, s[12:13]
	s_and_saveexec_b64 s[10:11], s[8:9]
	s_cbranch_execnz .LBB539_233
.LBB539_170:
	s_or_b64 exec, exec, s[10:11]
	s_and_saveexec_b64 s[8:9], s[6:7]
	s_cbranch_execnz .LBB539_234
.LBB539_171:
	s_or_b64 exec, exec, s[8:9]
	s_and_saveexec_b64 s[6:7], s[4:5]
	s_cbranch_execz .LBB539_173
.LBB539_172:
	v_sub_u32_e32 v2, v36, v32
	v_lshlrev_b32_e32 v2, 3, v2
	ds_write_b64 v2, v[8:9]
.LBB539_173:
	s_or_b64 exec, exec, s[6:7]
	s_and_b64 s[38:39], s[2:3], exec
                                        ; implicit-def: $vgpr8_vgpr9
                                        ; implicit-def: $vgpr4_vgpr5
                                        ; implicit-def: $vgpr12_vgpr13
                                        ; implicit-def: $vgpr16_vgpr17
                                        ; implicit-def: $vgpr20_vgpr21
                                        ; implicit-def: $vgpr24_vgpr25
                                        ; implicit-def: $vgpr28_vgpr29
	s_andn2_saveexec_b64 s[2:3], s[36:37]
	s_cbranch_execz .LBB539_113
.LBB539_174:
	v_sub_u32_e32 v31, v66, v32
	v_lshlrev_b32_e32 v31, 3, v31
	ds_write_b64 v31, v[26:27]
	v_sub_u32_e32 v26, v64, v32
	v_lshlrev_b32_e32 v26, 3, v26
	ds_write_b64 v26, v[28:29]
	;; [unrolled: 3-line block ×13, first 2 shown]
	v_sub_u32_e32 v2, v36, v32
	v_lshlrev_b32_e32 v2, 3, v2
	s_or_b64 s[38:39], s[38:39], exec
	ds_write_b64 v2, v[8:9]
	s_or_b64 exec, exec, s[2:3]
	s_and_b64 exec, exec, s[38:39]
	s_cbranch_execnz .LBB539_114
	s_branch .LBB539_115
.LBB539_175:
	s_and_saveexec_b64 s[36:37], s[28:29]
	s_cbranch_execnz .LBB539_235
; %bb.176:
	s_or_b64 exec, exec, s[36:37]
	s_and_saveexec_b64 s[36:37], s[26:27]
	s_cbranch_execnz .LBB539_236
.LBB539_177:
	s_or_b64 exec, exec, s[36:37]
	s_and_saveexec_b64 s[36:37], s[24:25]
	s_cbranch_execnz .LBB539_237
.LBB539_178:
	s_or_b64 exec, exec, s[36:37]
	s_and_saveexec_b64 s[36:37], s[22:23]
	s_cbranch_execnz .LBB539_238
.LBB539_179:
	s_or_b64 exec, exec, s[36:37]
	s_and_saveexec_b64 s[36:37], s[20:21]
	s_cbranch_execnz .LBB539_239
.LBB539_180:
	s_or_b64 exec, exec, s[36:37]
	s_and_saveexec_b64 s[36:37], s[18:19]
	s_cbranch_execnz .LBB539_240
.LBB539_181:
	s_or_b64 exec, exec, s[36:37]
	s_and_saveexec_b64 s[36:37], s[16:17]
	s_cbranch_execnz .LBB539_241
.LBB539_182:
	s_or_b64 exec, exec, s[36:37]
	s_and_saveexec_b64 s[36:37], s[14:15]
	s_cbranch_execnz .LBB539_242
.LBB539_183:
	s_or_b64 exec, exec, s[36:37]
	s_and_saveexec_b64 s[36:37], s[12:13]
	s_cbranch_execnz .LBB539_243
.LBB539_184:
	s_or_b64 exec, exec, s[36:37]
	s_and_saveexec_b64 s[36:37], s[10:11]
	s_cbranch_execnz .LBB539_244
.LBB539_185:
	s_or_b64 exec, exec, s[36:37]
	s_and_saveexec_b64 s[36:37], s[8:9]
	s_cbranch_execnz .LBB539_245
.LBB539_186:
	s_or_b64 exec, exec, s[36:37]
	s_and_saveexec_b64 s[36:37], s[6:7]
	s_cbranch_execnz .LBB539_246
.LBB539_187:
	s_or_b64 exec, exec, s[36:37]
	s_and_saveexec_b64 s[36:37], s[4:5]
	s_cbranch_execnz .LBB539_247
.LBB539_188:
	s_or_b64 exec, exec, s[36:37]
	s_and_saveexec_b64 s[36:37], s[2:3]
	s_cbranch_execz .LBB539_190
.LBB539_189:
	v_sub_u32_e32 v14, v36, v1
	v_mov_b32_e32 v15, 0
	v_lshl_add_u64 v[16:17], v[14:15], 3, v[10:11]
	v_mov_b32_e32 v14, v37
	global_store_dwordx2 v[16:17], v[14:15], off
.LBB539_190:
	s_or_b64 exec, exec, s[36:37]
	s_and_b64 s[36:37], s[0:1], exec
	s_andn2_saveexec_b64 s[30:31], s[30:31]
	s_cbranch_execz .LBB539_123
.LBB539_191:
	v_mov_b32_e32 v15, 0
	v_sub_u32_e32 v16, v66, v1
	v_mov_b32_e32 v17, v15
	v_mov_b32_e32 v14, v67
	v_lshl_add_u64 v[16:17], v[16:17], 3, v[10:11]
	global_store_dwordx2 v[16:17], v[14:15], off
	v_sub_u32_e32 v16, v64, v1
	v_mov_b32_e32 v17, v15
	v_mov_b32_e32 v14, v65
	v_lshl_add_u64 v[16:17], v[16:17], 3, v[10:11]
	global_store_dwordx2 v[16:17], v[14:15], off
	;; [unrolled: 5-line block ×13, first 2 shown]
	v_sub_u32_e32 v16, v36, v1
	v_mov_b32_e32 v17, v15
	v_mov_b32_e32 v14, v37
	v_lshl_add_u64 v[16:17], v[16:17], 3, v[10:11]
	s_or_b64 s[36:37], s[36:37], exec
	global_store_dwordx2 v[16:17], v[14:15], off
	s_or_b64 exec, exec, s[30:31]
	s_and_b64 exec, exec, s[36:37]
	s_cbranch_execnz .LBB539_124
	s_branch .LBB539_125
.LBB539_192:
	s_and_saveexec_b64 s[36:37], s[28:29]
	s_cbranch_execnz .LBB539_248
; %bb.193:
	s_or_b64 exec, exec, s[36:37]
	s_and_saveexec_b64 s[28:29], s[26:27]
	s_cbranch_execnz .LBB539_249
.LBB539_194:
	s_or_b64 exec, exec, s[28:29]
	s_and_saveexec_b64 s[26:27], s[24:25]
	s_cbranch_execnz .LBB539_250
.LBB539_195:
	s_or_b64 exec, exec, s[26:27]
	s_and_saveexec_b64 s[24:25], s[22:23]
	s_cbranch_execnz .LBB539_251
.LBB539_196:
	s_or_b64 exec, exec, s[24:25]
	s_and_saveexec_b64 s[22:23], s[20:21]
	s_cbranch_execnz .LBB539_252
.LBB539_197:
	s_or_b64 exec, exec, s[22:23]
	s_and_saveexec_b64 s[20:21], s[18:19]
	s_cbranch_execnz .LBB539_253
.LBB539_198:
	s_or_b64 exec, exec, s[20:21]
	s_and_saveexec_b64 s[18:19], s[16:17]
	s_cbranch_execnz .LBB539_254
.LBB539_199:
	s_or_b64 exec, exec, s[18:19]
	s_and_saveexec_b64 s[16:17], s[14:15]
	s_cbranch_execnz .LBB539_255
.LBB539_200:
	s_or_b64 exec, exec, s[16:17]
	s_and_saveexec_b64 s[14:15], s[12:13]
	s_cbranch_execnz .LBB539_256
.LBB539_201:
	s_or_b64 exec, exec, s[14:15]
	s_and_saveexec_b64 s[12:13], s[10:11]
	s_cbranch_execnz .LBB539_257
.LBB539_202:
	s_or_b64 exec, exec, s[12:13]
	s_and_saveexec_b64 s[10:11], s[8:9]
	s_cbranch_execnz .LBB539_258
.LBB539_203:
	s_or_b64 exec, exec, s[10:11]
	s_and_saveexec_b64 s[8:9], s[6:7]
	s_cbranch_execnz .LBB539_259
.LBB539_204:
	s_or_b64 exec, exec, s[8:9]
	s_and_saveexec_b64 s[6:7], s[4:5]
	s_cbranch_execnz .LBB539_260
.LBB539_205:
	s_or_b64 exec, exec, s[6:7]
	s_and_saveexec_b64 s[4:5], s[2:3]
	s_cbranch_execz .LBB539_207
.LBB539_206:
	v_sub_u32_e32 v10, v36, v1
	v_lshlrev_b32_e32 v10, 2, v10
	ds_write_b32 v10, v37
.LBB539_207:
	s_or_b64 exec, exec, s[4:5]
	s_and_b64 s[36:37], s[0:1], exec
                                        ; implicit-def: $vgpr36_vgpr37
                                        ; implicit-def: $vgpr40_vgpr41
                                        ; implicit-def: $vgpr42_vgpr43
                                        ; implicit-def: $vgpr66_vgpr67
                                        ; implicit-def: $vgpr64_vgpr65
                                        ; implicit-def: $vgpr62_vgpr63
                                        ; implicit-def: $vgpr60_vgpr61
                                        ; implicit-def: $vgpr58_vgpr59
                                        ; implicit-def: $vgpr56_vgpr57
                                        ; implicit-def: $vgpr54_vgpr55
                                        ; implicit-def: $vgpr52_vgpr53
                                        ; implicit-def: $vgpr50_vgpr51
                                        ; implicit-def: $vgpr48_vgpr49
                                        ; implicit-def: $vgpr44_vgpr45
	s_andn2_saveexec_b64 s[0:1], s[34:35]
	s_cbranch_execz .LBB539_130
.LBB539_208:
	v_sub_u32_e32 v10, v66, v1
	v_lshlrev_b32_e32 v10, 2, v10
	ds_write_b32 v10, v67
	v_sub_u32_e32 v10, v64, v1
	v_lshlrev_b32_e32 v10, 2, v10
	ds_write_b32 v10, v65
	;; [unrolled: 3-line block ×13, first 2 shown]
	v_sub_u32_e32 v10, v36, v1
	v_lshlrev_b32_e32 v10, 2, v10
	s_or_b64 s[36:37], s[36:37], exec
	ds_write_b32 v10, v37
	s_or_b64 exec, exec, s[0:1]
	s_and_b64 exec, exec, s[36:37]
	s_cbranch_execnz .LBB539_131
	s_branch .LBB539_132
.LBB539_209:
	v_sub_u32_e32 v86, v66, v32
	v_mov_b32_e32 v87, 0
	v_lshl_add_u64 v[86:87], v[86:87], 3, v[70:71]
	global_store_dwordx2 v[86:87], v[26:27], off
	s_or_b64 exec, exec, s[38:39]
	s_and_saveexec_b64 s[38:39], s[28:29]
	s_cbranch_execz .LBB539_143
.LBB539_210:
	v_sub_u32_e32 v86, v64, v32
	v_mov_b32_e32 v87, 0
	v_lshl_add_u64 v[86:87], v[86:87], 3, v[70:71]
	global_store_dwordx2 v[86:87], v[28:29], off
	s_or_b64 exec, exec, s[38:39]
	s_and_saveexec_b64 s[38:39], s[26:27]
	s_cbranch_execz .LBB539_144
.LBB539_211:
	v_sub_u32_e32 v86, v62, v32
	v_mov_b32_e32 v87, 0
	v_lshl_add_u64 v[86:87], v[86:87], 3, v[70:71]
	global_store_dwordx2 v[86:87], v[22:23], off
	s_or_b64 exec, exec, s[38:39]
	s_and_saveexec_b64 s[38:39], s[24:25]
	s_cbranch_execz .LBB539_145
.LBB539_212:
	v_sub_u32_e32 v86, v60, v32
	v_mov_b32_e32 v87, 0
	v_lshl_add_u64 v[86:87], v[86:87], 3, v[70:71]
	global_store_dwordx2 v[86:87], v[24:25], off
	s_or_b64 exec, exec, s[38:39]
	s_and_saveexec_b64 s[38:39], s[22:23]
	s_cbranch_execz .LBB539_146
.LBB539_213:
	v_sub_u32_e32 v86, v58, v32
	v_mov_b32_e32 v87, 0
	v_lshl_add_u64 v[86:87], v[86:87], 3, v[70:71]
	global_store_dwordx2 v[86:87], v[18:19], off
	s_or_b64 exec, exec, s[38:39]
	s_and_saveexec_b64 s[38:39], s[20:21]
	s_cbranch_execz .LBB539_147
.LBB539_214:
	v_sub_u32_e32 v86, v56, v32
	v_mov_b32_e32 v87, 0
	v_lshl_add_u64 v[86:87], v[86:87], 3, v[70:71]
	global_store_dwordx2 v[86:87], v[20:21], off
	s_or_b64 exec, exec, s[38:39]
	s_and_saveexec_b64 s[38:39], s[18:19]
	s_cbranch_execz .LBB539_148
.LBB539_215:
	v_sub_u32_e32 v86, v54, v32
	v_mov_b32_e32 v87, 0
	v_lshl_add_u64 v[86:87], v[86:87], 3, v[70:71]
	global_store_dwordx2 v[86:87], v[14:15], off
	s_or_b64 exec, exec, s[38:39]
	s_and_saveexec_b64 s[38:39], s[16:17]
	s_cbranch_execz .LBB539_149
.LBB539_216:
	v_sub_u32_e32 v86, v52, v32
	v_mov_b32_e32 v87, 0
	v_lshl_add_u64 v[86:87], v[86:87], 3, v[70:71]
	global_store_dwordx2 v[86:87], v[16:17], off
	s_or_b64 exec, exec, s[38:39]
	s_and_saveexec_b64 s[38:39], s[14:15]
	s_cbranch_execz .LBB539_150
.LBB539_217:
	v_sub_u32_e32 v86, v50, v32
	v_mov_b32_e32 v87, 0
	v_lshl_add_u64 v[86:87], v[86:87], 3, v[70:71]
	global_store_dwordx2 v[86:87], v[10:11], off
	s_or_b64 exec, exec, s[38:39]
	s_and_saveexec_b64 s[38:39], s[12:13]
	s_cbranch_execz .LBB539_151
.LBB539_218:
	v_sub_u32_e32 v86, v48, v32
	v_mov_b32_e32 v87, 0
	v_lshl_add_u64 v[86:87], v[86:87], 3, v[70:71]
	global_store_dwordx2 v[86:87], v[12:13], off
	s_or_b64 exec, exec, s[38:39]
	s_and_saveexec_b64 s[38:39], s[10:11]
	s_cbranch_execz .LBB539_152
.LBB539_219:
	v_sub_u32_e32 v86, v44, v32
	v_mov_b32_e32 v87, 0
	v_lshl_add_u64 v[86:87], v[86:87], 3, v[70:71]
	global_store_dwordx2 v[86:87], v[2:3], off
	s_or_b64 exec, exec, s[38:39]
	s_and_saveexec_b64 s[38:39], s[8:9]
	s_cbranch_execz .LBB539_153
.LBB539_220:
	v_sub_u32_e32 v86, v42, v32
	v_mov_b32_e32 v87, 0
	v_lshl_add_u64 v[86:87], v[86:87], 3, v[70:71]
	global_store_dwordx2 v[86:87], v[4:5], off
	s_or_b64 exec, exec, s[38:39]
	s_and_saveexec_b64 s[38:39], s[6:7]
	s_cbranch_execz .LBB539_154
.LBB539_221:
	v_sub_u32_e32 v86, v40, v32
	v_mov_b32_e32 v87, 0
	v_lshl_add_u64 v[86:87], v[86:87], 3, v[70:71]
	global_store_dwordx2 v[86:87], v[6:7], off
	s_or_b64 exec, exec, s[38:39]
	s_and_saveexec_b64 s[38:39], s[4:5]
	s_cbranch_execnz .LBB539_155
	s_branch .LBB539_156
.LBB539_222:
	v_sub_u32_e32 v31, v66, v32
	v_lshlrev_b32_e32 v31, 3, v31
	ds_write_b64 v31, v[26:27]
	s_or_b64 exec, exec, s[38:39]
	s_and_saveexec_b64 s[30:31], s[28:29]
	s_cbranch_execz .LBB539_160
.LBB539_223:
	v_sub_u32_e32 v26, v64, v32
	v_lshlrev_b32_e32 v26, 3, v26
	ds_write_b64 v26, v[28:29]
	s_or_b64 exec, exec, s[30:31]
	s_and_saveexec_b64 s[28:29], s[26:27]
	s_cbranch_execz .LBB539_161
.LBB539_224:
	v_sub_u32_e32 v26, v62, v32
	v_lshlrev_b32_e32 v26, 3, v26
	ds_write_b64 v26, v[22:23]
	s_or_b64 exec, exec, s[28:29]
	s_and_saveexec_b64 s[26:27], s[24:25]
	s_cbranch_execz .LBB539_162
.LBB539_225:
	v_sub_u32_e32 v22, v60, v32
	v_lshlrev_b32_e32 v22, 3, v22
	ds_write_b64 v22, v[24:25]
	s_or_b64 exec, exec, s[26:27]
	s_and_saveexec_b64 s[24:25], s[22:23]
	s_cbranch_execz .LBB539_163
.LBB539_226:
	v_sub_u32_e32 v22, v58, v32
	v_lshlrev_b32_e32 v22, 3, v22
	ds_write_b64 v22, v[18:19]
	s_or_b64 exec, exec, s[24:25]
	s_and_saveexec_b64 s[22:23], s[20:21]
	s_cbranch_execz .LBB539_164
.LBB539_227:
	v_sub_u32_e32 v18, v56, v32
	v_lshlrev_b32_e32 v18, 3, v18
	ds_write_b64 v18, v[20:21]
	s_or_b64 exec, exec, s[22:23]
	s_and_saveexec_b64 s[20:21], s[18:19]
	s_cbranch_execz .LBB539_165
.LBB539_228:
	v_sub_u32_e32 v18, v54, v32
	v_lshlrev_b32_e32 v18, 3, v18
	ds_write_b64 v18, v[14:15]
	s_or_b64 exec, exec, s[20:21]
	s_and_saveexec_b64 s[18:19], s[16:17]
	s_cbranch_execz .LBB539_166
.LBB539_229:
	v_sub_u32_e32 v14, v52, v32
	v_lshlrev_b32_e32 v14, 3, v14
	ds_write_b64 v14, v[16:17]
	s_or_b64 exec, exec, s[18:19]
	s_and_saveexec_b64 s[16:17], s[14:15]
	s_cbranch_execz .LBB539_167
.LBB539_230:
	v_sub_u32_e32 v14, v50, v32
	v_lshlrev_b32_e32 v14, 3, v14
	ds_write_b64 v14, v[10:11]
	s_or_b64 exec, exec, s[16:17]
	s_and_saveexec_b64 s[14:15], s[12:13]
	s_cbranch_execz .LBB539_168
.LBB539_231:
	v_sub_u32_e32 v10, v48, v32
	v_lshlrev_b32_e32 v10, 3, v10
	ds_write_b64 v10, v[12:13]
	s_or_b64 exec, exec, s[14:15]
	s_and_saveexec_b64 s[12:13], s[10:11]
	s_cbranch_execz .LBB539_169
.LBB539_232:
	v_sub_u32_e32 v10, v44, v32
	v_lshlrev_b32_e32 v10, 3, v10
	ds_write_b64 v10, v[2:3]
	s_or_b64 exec, exec, s[12:13]
	s_and_saveexec_b64 s[10:11], s[8:9]
	s_cbranch_execz .LBB539_170
.LBB539_233:
	v_sub_u32_e32 v2, v42, v32
	v_lshlrev_b32_e32 v2, 3, v2
	ds_write_b64 v2, v[4:5]
	s_or_b64 exec, exec, s[10:11]
	s_and_saveexec_b64 s[8:9], s[6:7]
	s_cbranch_execz .LBB539_171
.LBB539_234:
	v_sub_u32_e32 v2, v40, v32
	v_lshlrev_b32_e32 v2, 3, v2
	ds_write_b64 v2, v[6:7]
	s_or_b64 exec, exec, s[8:9]
	s_and_saveexec_b64 s[6:7], s[4:5]
	s_cbranch_execnz .LBB539_172
	s_branch .LBB539_173
.LBB539_235:
	v_sub_u32_e32 v14, v66, v1
	v_mov_b32_e32 v15, 0
	v_lshl_add_u64 v[16:17], v[14:15], 3, v[10:11]
	v_mov_b32_e32 v14, v67
	global_store_dwordx2 v[16:17], v[14:15], off
	s_or_b64 exec, exec, s[36:37]
	s_and_saveexec_b64 s[36:37], s[26:27]
	s_cbranch_execz .LBB539_177
.LBB539_236:
	v_sub_u32_e32 v14, v64, v1
	v_mov_b32_e32 v15, 0
	v_lshl_add_u64 v[16:17], v[14:15], 3, v[10:11]
	v_mov_b32_e32 v14, v65
	global_store_dwordx2 v[16:17], v[14:15], off
	s_or_b64 exec, exec, s[36:37]
	s_and_saveexec_b64 s[36:37], s[24:25]
	s_cbranch_execz .LBB539_178
.LBB539_237:
	v_sub_u32_e32 v14, v62, v1
	v_mov_b32_e32 v15, 0
	v_lshl_add_u64 v[16:17], v[14:15], 3, v[10:11]
	v_mov_b32_e32 v14, v63
	global_store_dwordx2 v[16:17], v[14:15], off
	s_or_b64 exec, exec, s[36:37]
	s_and_saveexec_b64 s[36:37], s[22:23]
	s_cbranch_execz .LBB539_179
.LBB539_238:
	v_sub_u32_e32 v14, v60, v1
	v_mov_b32_e32 v15, 0
	v_lshl_add_u64 v[16:17], v[14:15], 3, v[10:11]
	v_mov_b32_e32 v14, v61
	global_store_dwordx2 v[16:17], v[14:15], off
	s_or_b64 exec, exec, s[36:37]
	s_and_saveexec_b64 s[36:37], s[20:21]
	s_cbranch_execz .LBB539_180
.LBB539_239:
	v_sub_u32_e32 v14, v58, v1
	v_mov_b32_e32 v15, 0
	v_lshl_add_u64 v[16:17], v[14:15], 3, v[10:11]
	v_mov_b32_e32 v14, v59
	global_store_dwordx2 v[16:17], v[14:15], off
	s_or_b64 exec, exec, s[36:37]
	s_and_saveexec_b64 s[36:37], s[18:19]
	s_cbranch_execz .LBB539_181
.LBB539_240:
	v_sub_u32_e32 v14, v56, v1
	v_mov_b32_e32 v15, 0
	v_lshl_add_u64 v[16:17], v[14:15], 3, v[10:11]
	v_mov_b32_e32 v14, v57
	global_store_dwordx2 v[16:17], v[14:15], off
	s_or_b64 exec, exec, s[36:37]
	s_and_saveexec_b64 s[36:37], s[16:17]
	s_cbranch_execz .LBB539_182
.LBB539_241:
	v_sub_u32_e32 v14, v54, v1
	v_mov_b32_e32 v15, 0
	v_lshl_add_u64 v[16:17], v[14:15], 3, v[10:11]
	v_mov_b32_e32 v14, v55
	global_store_dwordx2 v[16:17], v[14:15], off
	s_or_b64 exec, exec, s[36:37]
	s_and_saveexec_b64 s[36:37], s[14:15]
	s_cbranch_execz .LBB539_183
.LBB539_242:
	v_sub_u32_e32 v14, v52, v1
	v_mov_b32_e32 v15, 0
	v_lshl_add_u64 v[16:17], v[14:15], 3, v[10:11]
	v_mov_b32_e32 v14, v53
	global_store_dwordx2 v[16:17], v[14:15], off
	s_or_b64 exec, exec, s[36:37]
	s_and_saveexec_b64 s[36:37], s[12:13]
	s_cbranch_execz .LBB539_184
.LBB539_243:
	v_sub_u32_e32 v14, v50, v1
	v_mov_b32_e32 v15, 0
	v_lshl_add_u64 v[16:17], v[14:15], 3, v[10:11]
	v_mov_b32_e32 v14, v51
	global_store_dwordx2 v[16:17], v[14:15], off
	s_or_b64 exec, exec, s[36:37]
	s_and_saveexec_b64 s[36:37], s[10:11]
	s_cbranch_execz .LBB539_185
.LBB539_244:
	v_sub_u32_e32 v14, v48, v1
	v_mov_b32_e32 v15, 0
	v_lshl_add_u64 v[16:17], v[14:15], 3, v[10:11]
	v_mov_b32_e32 v14, v49
	global_store_dwordx2 v[16:17], v[14:15], off
	s_or_b64 exec, exec, s[36:37]
	s_and_saveexec_b64 s[36:37], s[8:9]
	s_cbranch_execz .LBB539_186
.LBB539_245:
	v_sub_u32_e32 v14, v44, v1
	v_mov_b32_e32 v15, 0
	v_lshl_add_u64 v[16:17], v[14:15], 3, v[10:11]
	v_mov_b32_e32 v14, v45
	global_store_dwordx2 v[16:17], v[14:15], off
	s_or_b64 exec, exec, s[36:37]
	s_and_saveexec_b64 s[36:37], s[6:7]
	s_cbranch_execz .LBB539_187
.LBB539_246:
	v_sub_u32_e32 v14, v42, v1
	v_mov_b32_e32 v15, 0
	v_lshl_add_u64 v[16:17], v[14:15], 3, v[10:11]
	v_mov_b32_e32 v14, v43
	global_store_dwordx2 v[16:17], v[14:15], off
	s_or_b64 exec, exec, s[36:37]
	s_and_saveexec_b64 s[36:37], s[4:5]
	s_cbranch_execz .LBB539_188
.LBB539_247:
	v_sub_u32_e32 v14, v40, v1
	v_mov_b32_e32 v15, 0
	v_lshl_add_u64 v[16:17], v[14:15], 3, v[10:11]
	v_mov_b32_e32 v14, v41
	global_store_dwordx2 v[16:17], v[14:15], off
	s_or_b64 exec, exec, s[36:37]
	s_and_saveexec_b64 s[36:37], s[2:3]
	s_cbranch_execnz .LBB539_189
	s_branch .LBB539_190
.LBB539_248:
	v_sub_u32_e32 v10, v66, v1
	v_lshlrev_b32_e32 v10, 2, v10
	ds_write_b32 v10, v67
	s_or_b64 exec, exec, s[36:37]
	s_and_saveexec_b64 s[28:29], s[26:27]
	s_cbranch_execz .LBB539_194
.LBB539_249:
	v_sub_u32_e32 v10, v64, v1
	v_lshlrev_b32_e32 v10, 2, v10
	ds_write_b32 v10, v65
	s_or_b64 exec, exec, s[28:29]
	s_and_saveexec_b64 s[26:27], s[24:25]
	s_cbranch_execz .LBB539_195
.LBB539_250:
	v_sub_u32_e32 v10, v62, v1
	v_lshlrev_b32_e32 v10, 2, v10
	ds_write_b32 v10, v63
	s_or_b64 exec, exec, s[26:27]
	s_and_saveexec_b64 s[24:25], s[22:23]
	s_cbranch_execz .LBB539_196
.LBB539_251:
	v_sub_u32_e32 v10, v60, v1
	v_lshlrev_b32_e32 v10, 2, v10
	ds_write_b32 v10, v61
	s_or_b64 exec, exec, s[24:25]
	s_and_saveexec_b64 s[22:23], s[20:21]
	s_cbranch_execz .LBB539_197
.LBB539_252:
	v_sub_u32_e32 v10, v58, v1
	v_lshlrev_b32_e32 v10, 2, v10
	ds_write_b32 v10, v59
	s_or_b64 exec, exec, s[22:23]
	s_and_saveexec_b64 s[20:21], s[18:19]
	s_cbranch_execz .LBB539_198
.LBB539_253:
	v_sub_u32_e32 v10, v56, v1
	v_lshlrev_b32_e32 v10, 2, v10
	ds_write_b32 v10, v57
	s_or_b64 exec, exec, s[20:21]
	s_and_saveexec_b64 s[18:19], s[16:17]
	s_cbranch_execz .LBB539_199
.LBB539_254:
	v_sub_u32_e32 v10, v54, v1
	v_lshlrev_b32_e32 v10, 2, v10
	ds_write_b32 v10, v55
	s_or_b64 exec, exec, s[18:19]
	s_and_saveexec_b64 s[16:17], s[14:15]
	s_cbranch_execz .LBB539_200
.LBB539_255:
	v_sub_u32_e32 v10, v52, v1
	v_lshlrev_b32_e32 v10, 2, v10
	ds_write_b32 v10, v53
	s_or_b64 exec, exec, s[16:17]
	s_and_saveexec_b64 s[14:15], s[12:13]
	s_cbranch_execz .LBB539_201
.LBB539_256:
	v_sub_u32_e32 v10, v50, v1
	v_lshlrev_b32_e32 v10, 2, v10
	ds_write_b32 v10, v51
	s_or_b64 exec, exec, s[14:15]
	s_and_saveexec_b64 s[12:13], s[10:11]
	s_cbranch_execz .LBB539_202
.LBB539_257:
	v_sub_u32_e32 v10, v48, v1
	v_lshlrev_b32_e32 v10, 2, v10
	ds_write_b32 v10, v49
	s_or_b64 exec, exec, s[12:13]
	s_and_saveexec_b64 s[10:11], s[8:9]
	s_cbranch_execz .LBB539_203
.LBB539_258:
	v_sub_u32_e32 v10, v44, v1
	v_lshlrev_b32_e32 v10, 2, v10
	ds_write_b32 v10, v45
	s_or_b64 exec, exec, s[10:11]
	s_and_saveexec_b64 s[8:9], s[6:7]
	s_cbranch_execz .LBB539_204
.LBB539_259:
	v_sub_u32_e32 v10, v42, v1
	v_lshlrev_b32_e32 v10, 2, v10
	ds_write_b32 v10, v43
	s_or_b64 exec, exec, s[8:9]
	s_and_saveexec_b64 s[6:7], s[4:5]
	s_cbranch_execz .LBB539_205
.LBB539_260:
	v_sub_u32_e32 v10, v40, v1
	v_lshlrev_b32_e32 v10, 2, v10
	ds_write_b32 v10, v41
	s_or_b64 exec, exec, s[6:7]
	s_and_saveexec_b64 s[4:5], s[2:3]
	s_cbranch_execnz .LBB539_206
	s_branch .LBB539_207
	.section	.rodata,"a",@progbits
	.p2align	6, 0x0
	.amdhsa_kernel _ZN7rocprim17ROCPRIM_400000_NS6detail17trampoline_kernelINS0_14default_configENS1_33run_length_encode_config_selectorIljNS0_4plusIjEEEEZZNS1_33reduce_by_key_impl_wrapped_configILNS1_25lookback_scan_determinismE0ES3_S7_PKlNS0_17constant_iteratorIjlEEPlSE_SE_S6_NS0_8equal_toIlEEEE10hipError_tPvRmT2_T3_mT4_T5_T6_T7_T8_P12ihipStream_tbENKUlT_T0_E_clISt17integral_constantIbLb0EESX_IbLb1EEEEDaST_SU_EUlST_E_NS1_11comp_targetILNS1_3genE5ELNS1_11target_archE942ELNS1_3gpuE9ELNS1_3repE0EEENS1_30default_config_static_selectorELNS0_4arch9wavefront6targetE1EEEvT1_
		.amdhsa_group_segment_fixed_size 61440
		.amdhsa_private_segment_fixed_size 0
		.amdhsa_kernarg_size 128
		.amdhsa_user_sgpr_count 2
		.amdhsa_user_sgpr_dispatch_ptr 0
		.amdhsa_user_sgpr_queue_ptr 0
		.amdhsa_user_sgpr_kernarg_segment_ptr 1
		.amdhsa_user_sgpr_dispatch_id 0
		.amdhsa_user_sgpr_kernarg_preload_length 0
		.amdhsa_user_sgpr_kernarg_preload_offset 0
		.amdhsa_user_sgpr_private_segment_size 0
		.amdhsa_uses_dynamic_stack 0
		.amdhsa_enable_private_segment 0
		.amdhsa_system_sgpr_workgroup_id_x 1
		.amdhsa_system_sgpr_workgroup_id_y 0
		.amdhsa_system_sgpr_workgroup_id_z 0
		.amdhsa_system_sgpr_workgroup_info 0
		.amdhsa_system_vgpr_workitem_id 0
		.amdhsa_next_free_vgpr 90
		.amdhsa_next_free_sgpr 66
		.amdhsa_accum_offset 92
		.amdhsa_reserve_vcc 1
		.amdhsa_float_round_mode_32 0
		.amdhsa_float_round_mode_16_64 0
		.amdhsa_float_denorm_mode_32 3
		.amdhsa_float_denorm_mode_16_64 3
		.amdhsa_dx10_clamp 1
		.amdhsa_ieee_mode 1
		.amdhsa_fp16_overflow 0
		.amdhsa_tg_split 0
		.amdhsa_exception_fp_ieee_invalid_op 0
		.amdhsa_exception_fp_denorm_src 0
		.amdhsa_exception_fp_ieee_div_zero 0
		.amdhsa_exception_fp_ieee_overflow 0
		.amdhsa_exception_fp_ieee_underflow 0
		.amdhsa_exception_fp_ieee_inexact 0
		.amdhsa_exception_int_div_zero 0
	.end_amdhsa_kernel
	.section	.text._ZN7rocprim17ROCPRIM_400000_NS6detail17trampoline_kernelINS0_14default_configENS1_33run_length_encode_config_selectorIljNS0_4plusIjEEEEZZNS1_33reduce_by_key_impl_wrapped_configILNS1_25lookback_scan_determinismE0ES3_S7_PKlNS0_17constant_iteratorIjlEEPlSE_SE_S6_NS0_8equal_toIlEEEE10hipError_tPvRmT2_T3_mT4_T5_T6_T7_T8_P12ihipStream_tbENKUlT_T0_E_clISt17integral_constantIbLb0EESX_IbLb1EEEEDaST_SU_EUlST_E_NS1_11comp_targetILNS1_3genE5ELNS1_11target_archE942ELNS1_3gpuE9ELNS1_3repE0EEENS1_30default_config_static_selectorELNS0_4arch9wavefront6targetE1EEEvT1_,"axG",@progbits,_ZN7rocprim17ROCPRIM_400000_NS6detail17trampoline_kernelINS0_14default_configENS1_33run_length_encode_config_selectorIljNS0_4plusIjEEEEZZNS1_33reduce_by_key_impl_wrapped_configILNS1_25lookback_scan_determinismE0ES3_S7_PKlNS0_17constant_iteratorIjlEEPlSE_SE_S6_NS0_8equal_toIlEEEE10hipError_tPvRmT2_T3_mT4_T5_T6_T7_T8_P12ihipStream_tbENKUlT_T0_E_clISt17integral_constantIbLb0EESX_IbLb1EEEEDaST_SU_EUlST_E_NS1_11comp_targetILNS1_3genE5ELNS1_11target_archE942ELNS1_3gpuE9ELNS1_3repE0EEENS1_30default_config_static_selectorELNS0_4arch9wavefront6targetE1EEEvT1_,comdat
.Lfunc_end539:
	.size	_ZN7rocprim17ROCPRIM_400000_NS6detail17trampoline_kernelINS0_14default_configENS1_33run_length_encode_config_selectorIljNS0_4plusIjEEEEZZNS1_33reduce_by_key_impl_wrapped_configILNS1_25lookback_scan_determinismE0ES3_S7_PKlNS0_17constant_iteratorIjlEEPlSE_SE_S6_NS0_8equal_toIlEEEE10hipError_tPvRmT2_T3_mT4_T5_T6_T7_T8_P12ihipStream_tbENKUlT_T0_E_clISt17integral_constantIbLb0EESX_IbLb1EEEEDaST_SU_EUlST_E_NS1_11comp_targetILNS1_3genE5ELNS1_11target_archE942ELNS1_3gpuE9ELNS1_3repE0EEENS1_30default_config_static_selectorELNS0_4arch9wavefront6targetE1EEEvT1_, .Lfunc_end539-_ZN7rocprim17ROCPRIM_400000_NS6detail17trampoline_kernelINS0_14default_configENS1_33run_length_encode_config_selectorIljNS0_4plusIjEEEEZZNS1_33reduce_by_key_impl_wrapped_configILNS1_25lookback_scan_determinismE0ES3_S7_PKlNS0_17constant_iteratorIjlEEPlSE_SE_S6_NS0_8equal_toIlEEEE10hipError_tPvRmT2_T3_mT4_T5_T6_T7_T8_P12ihipStream_tbENKUlT_T0_E_clISt17integral_constantIbLb0EESX_IbLb1EEEEDaST_SU_EUlST_E_NS1_11comp_targetILNS1_3genE5ELNS1_11target_archE942ELNS1_3gpuE9ELNS1_3repE0EEENS1_30default_config_static_selectorELNS0_4arch9wavefront6targetE1EEEvT1_
                                        ; -- End function
	.section	.AMDGPU.csdata,"",@progbits
; Kernel info:
; codeLenInByte = 14288
; NumSgprs: 72
; NumVgprs: 90
; NumAgprs: 0
; TotalNumVgprs: 90
; ScratchSize: 0
; MemoryBound: 0
; FloatMode: 240
; IeeeMode: 1
; LDSByteSize: 61440 bytes/workgroup (compile time only)
; SGPRBlocks: 8
; VGPRBlocks: 11
; NumSGPRsForWavesPerEU: 72
; NumVGPRsForWavesPerEU: 90
; AccumOffset: 92
; Occupancy: 2
; WaveLimiterHint : 1
; COMPUTE_PGM_RSRC2:SCRATCH_EN: 0
; COMPUTE_PGM_RSRC2:USER_SGPR: 2
; COMPUTE_PGM_RSRC2:TRAP_HANDLER: 0
; COMPUTE_PGM_RSRC2:TGID_X_EN: 1
; COMPUTE_PGM_RSRC2:TGID_Y_EN: 0
; COMPUTE_PGM_RSRC2:TGID_Z_EN: 0
; COMPUTE_PGM_RSRC2:TIDIG_COMP_CNT: 0
; COMPUTE_PGM_RSRC3_GFX90A:ACCUM_OFFSET: 22
; COMPUTE_PGM_RSRC3_GFX90A:TG_SPLIT: 0
	.section	.text._ZN7rocprim17ROCPRIM_400000_NS6detail17trampoline_kernelINS0_14default_configENS1_33run_length_encode_config_selectorIljNS0_4plusIjEEEEZZNS1_33reduce_by_key_impl_wrapped_configILNS1_25lookback_scan_determinismE0ES3_S7_PKlNS0_17constant_iteratorIjlEEPlSE_SE_S6_NS0_8equal_toIlEEEE10hipError_tPvRmT2_T3_mT4_T5_T6_T7_T8_P12ihipStream_tbENKUlT_T0_E_clISt17integral_constantIbLb0EESX_IbLb1EEEEDaST_SU_EUlST_E_NS1_11comp_targetILNS1_3genE4ELNS1_11target_archE910ELNS1_3gpuE8ELNS1_3repE0EEENS1_30default_config_static_selectorELNS0_4arch9wavefront6targetE1EEEvT1_,"axG",@progbits,_ZN7rocprim17ROCPRIM_400000_NS6detail17trampoline_kernelINS0_14default_configENS1_33run_length_encode_config_selectorIljNS0_4plusIjEEEEZZNS1_33reduce_by_key_impl_wrapped_configILNS1_25lookback_scan_determinismE0ES3_S7_PKlNS0_17constant_iteratorIjlEEPlSE_SE_S6_NS0_8equal_toIlEEEE10hipError_tPvRmT2_T3_mT4_T5_T6_T7_T8_P12ihipStream_tbENKUlT_T0_E_clISt17integral_constantIbLb0EESX_IbLb1EEEEDaST_SU_EUlST_E_NS1_11comp_targetILNS1_3genE4ELNS1_11target_archE910ELNS1_3gpuE8ELNS1_3repE0EEENS1_30default_config_static_selectorELNS0_4arch9wavefront6targetE1EEEvT1_,comdat
	.protected	_ZN7rocprim17ROCPRIM_400000_NS6detail17trampoline_kernelINS0_14default_configENS1_33run_length_encode_config_selectorIljNS0_4plusIjEEEEZZNS1_33reduce_by_key_impl_wrapped_configILNS1_25lookback_scan_determinismE0ES3_S7_PKlNS0_17constant_iteratorIjlEEPlSE_SE_S6_NS0_8equal_toIlEEEE10hipError_tPvRmT2_T3_mT4_T5_T6_T7_T8_P12ihipStream_tbENKUlT_T0_E_clISt17integral_constantIbLb0EESX_IbLb1EEEEDaST_SU_EUlST_E_NS1_11comp_targetILNS1_3genE4ELNS1_11target_archE910ELNS1_3gpuE8ELNS1_3repE0EEENS1_30default_config_static_selectorELNS0_4arch9wavefront6targetE1EEEvT1_ ; -- Begin function _ZN7rocprim17ROCPRIM_400000_NS6detail17trampoline_kernelINS0_14default_configENS1_33run_length_encode_config_selectorIljNS0_4plusIjEEEEZZNS1_33reduce_by_key_impl_wrapped_configILNS1_25lookback_scan_determinismE0ES3_S7_PKlNS0_17constant_iteratorIjlEEPlSE_SE_S6_NS0_8equal_toIlEEEE10hipError_tPvRmT2_T3_mT4_T5_T6_T7_T8_P12ihipStream_tbENKUlT_T0_E_clISt17integral_constantIbLb0EESX_IbLb1EEEEDaST_SU_EUlST_E_NS1_11comp_targetILNS1_3genE4ELNS1_11target_archE910ELNS1_3gpuE8ELNS1_3repE0EEENS1_30default_config_static_selectorELNS0_4arch9wavefront6targetE1EEEvT1_
	.globl	_ZN7rocprim17ROCPRIM_400000_NS6detail17trampoline_kernelINS0_14default_configENS1_33run_length_encode_config_selectorIljNS0_4plusIjEEEEZZNS1_33reduce_by_key_impl_wrapped_configILNS1_25lookback_scan_determinismE0ES3_S7_PKlNS0_17constant_iteratorIjlEEPlSE_SE_S6_NS0_8equal_toIlEEEE10hipError_tPvRmT2_T3_mT4_T5_T6_T7_T8_P12ihipStream_tbENKUlT_T0_E_clISt17integral_constantIbLb0EESX_IbLb1EEEEDaST_SU_EUlST_E_NS1_11comp_targetILNS1_3genE4ELNS1_11target_archE910ELNS1_3gpuE8ELNS1_3repE0EEENS1_30default_config_static_selectorELNS0_4arch9wavefront6targetE1EEEvT1_
	.p2align	8
	.type	_ZN7rocprim17ROCPRIM_400000_NS6detail17trampoline_kernelINS0_14default_configENS1_33run_length_encode_config_selectorIljNS0_4plusIjEEEEZZNS1_33reduce_by_key_impl_wrapped_configILNS1_25lookback_scan_determinismE0ES3_S7_PKlNS0_17constant_iteratorIjlEEPlSE_SE_S6_NS0_8equal_toIlEEEE10hipError_tPvRmT2_T3_mT4_T5_T6_T7_T8_P12ihipStream_tbENKUlT_T0_E_clISt17integral_constantIbLb0EESX_IbLb1EEEEDaST_SU_EUlST_E_NS1_11comp_targetILNS1_3genE4ELNS1_11target_archE910ELNS1_3gpuE8ELNS1_3repE0EEENS1_30default_config_static_selectorELNS0_4arch9wavefront6targetE1EEEvT1_,@function
_ZN7rocprim17ROCPRIM_400000_NS6detail17trampoline_kernelINS0_14default_configENS1_33run_length_encode_config_selectorIljNS0_4plusIjEEEEZZNS1_33reduce_by_key_impl_wrapped_configILNS1_25lookback_scan_determinismE0ES3_S7_PKlNS0_17constant_iteratorIjlEEPlSE_SE_S6_NS0_8equal_toIlEEEE10hipError_tPvRmT2_T3_mT4_T5_T6_T7_T8_P12ihipStream_tbENKUlT_T0_E_clISt17integral_constantIbLb0EESX_IbLb1EEEEDaST_SU_EUlST_E_NS1_11comp_targetILNS1_3genE4ELNS1_11target_archE910ELNS1_3gpuE8ELNS1_3repE0EEENS1_30default_config_static_selectorELNS0_4arch9wavefront6targetE1EEEvT1_: ; @_ZN7rocprim17ROCPRIM_400000_NS6detail17trampoline_kernelINS0_14default_configENS1_33run_length_encode_config_selectorIljNS0_4plusIjEEEEZZNS1_33reduce_by_key_impl_wrapped_configILNS1_25lookback_scan_determinismE0ES3_S7_PKlNS0_17constant_iteratorIjlEEPlSE_SE_S6_NS0_8equal_toIlEEEE10hipError_tPvRmT2_T3_mT4_T5_T6_T7_T8_P12ihipStream_tbENKUlT_T0_E_clISt17integral_constantIbLb0EESX_IbLb1EEEEDaST_SU_EUlST_E_NS1_11comp_targetILNS1_3genE4ELNS1_11target_archE910ELNS1_3gpuE8ELNS1_3repE0EEENS1_30default_config_static_selectorELNS0_4arch9wavefront6targetE1EEEvT1_
; %bb.0:
	.section	.rodata,"a",@progbits
	.p2align	6, 0x0
	.amdhsa_kernel _ZN7rocprim17ROCPRIM_400000_NS6detail17trampoline_kernelINS0_14default_configENS1_33run_length_encode_config_selectorIljNS0_4plusIjEEEEZZNS1_33reduce_by_key_impl_wrapped_configILNS1_25lookback_scan_determinismE0ES3_S7_PKlNS0_17constant_iteratorIjlEEPlSE_SE_S6_NS0_8equal_toIlEEEE10hipError_tPvRmT2_T3_mT4_T5_T6_T7_T8_P12ihipStream_tbENKUlT_T0_E_clISt17integral_constantIbLb0EESX_IbLb1EEEEDaST_SU_EUlST_E_NS1_11comp_targetILNS1_3genE4ELNS1_11target_archE910ELNS1_3gpuE8ELNS1_3repE0EEENS1_30default_config_static_selectorELNS0_4arch9wavefront6targetE1EEEvT1_
		.amdhsa_group_segment_fixed_size 0
		.amdhsa_private_segment_fixed_size 0
		.amdhsa_kernarg_size 128
		.amdhsa_user_sgpr_count 2
		.amdhsa_user_sgpr_dispatch_ptr 0
		.amdhsa_user_sgpr_queue_ptr 0
		.amdhsa_user_sgpr_kernarg_segment_ptr 1
		.amdhsa_user_sgpr_dispatch_id 0
		.amdhsa_user_sgpr_kernarg_preload_length 0
		.amdhsa_user_sgpr_kernarg_preload_offset 0
		.amdhsa_user_sgpr_private_segment_size 0
		.amdhsa_uses_dynamic_stack 0
		.amdhsa_enable_private_segment 0
		.amdhsa_system_sgpr_workgroup_id_x 1
		.amdhsa_system_sgpr_workgroup_id_y 0
		.amdhsa_system_sgpr_workgroup_id_z 0
		.amdhsa_system_sgpr_workgroup_info 0
		.amdhsa_system_vgpr_workitem_id 0
		.amdhsa_next_free_vgpr 1
		.amdhsa_next_free_sgpr 0
		.amdhsa_accum_offset 4
		.amdhsa_reserve_vcc 0
		.amdhsa_float_round_mode_32 0
		.amdhsa_float_round_mode_16_64 0
		.amdhsa_float_denorm_mode_32 3
		.amdhsa_float_denorm_mode_16_64 3
		.amdhsa_dx10_clamp 1
		.amdhsa_ieee_mode 1
		.amdhsa_fp16_overflow 0
		.amdhsa_tg_split 0
		.amdhsa_exception_fp_ieee_invalid_op 0
		.amdhsa_exception_fp_denorm_src 0
		.amdhsa_exception_fp_ieee_div_zero 0
		.amdhsa_exception_fp_ieee_overflow 0
		.amdhsa_exception_fp_ieee_underflow 0
		.amdhsa_exception_fp_ieee_inexact 0
		.amdhsa_exception_int_div_zero 0
	.end_amdhsa_kernel
	.section	.text._ZN7rocprim17ROCPRIM_400000_NS6detail17trampoline_kernelINS0_14default_configENS1_33run_length_encode_config_selectorIljNS0_4plusIjEEEEZZNS1_33reduce_by_key_impl_wrapped_configILNS1_25lookback_scan_determinismE0ES3_S7_PKlNS0_17constant_iteratorIjlEEPlSE_SE_S6_NS0_8equal_toIlEEEE10hipError_tPvRmT2_T3_mT4_T5_T6_T7_T8_P12ihipStream_tbENKUlT_T0_E_clISt17integral_constantIbLb0EESX_IbLb1EEEEDaST_SU_EUlST_E_NS1_11comp_targetILNS1_3genE4ELNS1_11target_archE910ELNS1_3gpuE8ELNS1_3repE0EEENS1_30default_config_static_selectorELNS0_4arch9wavefront6targetE1EEEvT1_,"axG",@progbits,_ZN7rocprim17ROCPRIM_400000_NS6detail17trampoline_kernelINS0_14default_configENS1_33run_length_encode_config_selectorIljNS0_4plusIjEEEEZZNS1_33reduce_by_key_impl_wrapped_configILNS1_25lookback_scan_determinismE0ES3_S7_PKlNS0_17constant_iteratorIjlEEPlSE_SE_S6_NS0_8equal_toIlEEEE10hipError_tPvRmT2_T3_mT4_T5_T6_T7_T8_P12ihipStream_tbENKUlT_T0_E_clISt17integral_constantIbLb0EESX_IbLb1EEEEDaST_SU_EUlST_E_NS1_11comp_targetILNS1_3genE4ELNS1_11target_archE910ELNS1_3gpuE8ELNS1_3repE0EEENS1_30default_config_static_selectorELNS0_4arch9wavefront6targetE1EEEvT1_,comdat
.Lfunc_end540:
	.size	_ZN7rocprim17ROCPRIM_400000_NS6detail17trampoline_kernelINS0_14default_configENS1_33run_length_encode_config_selectorIljNS0_4plusIjEEEEZZNS1_33reduce_by_key_impl_wrapped_configILNS1_25lookback_scan_determinismE0ES3_S7_PKlNS0_17constant_iteratorIjlEEPlSE_SE_S6_NS0_8equal_toIlEEEE10hipError_tPvRmT2_T3_mT4_T5_T6_T7_T8_P12ihipStream_tbENKUlT_T0_E_clISt17integral_constantIbLb0EESX_IbLb1EEEEDaST_SU_EUlST_E_NS1_11comp_targetILNS1_3genE4ELNS1_11target_archE910ELNS1_3gpuE8ELNS1_3repE0EEENS1_30default_config_static_selectorELNS0_4arch9wavefront6targetE1EEEvT1_, .Lfunc_end540-_ZN7rocprim17ROCPRIM_400000_NS6detail17trampoline_kernelINS0_14default_configENS1_33run_length_encode_config_selectorIljNS0_4plusIjEEEEZZNS1_33reduce_by_key_impl_wrapped_configILNS1_25lookback_scan_determinismE0ES3_S7_PKlNS0_17constant_iteratorIjlEEPlSE_SE_S6_NS0_8equal_toIlEEEE10hipError_tPvRmT2_T3_mT4_T5_T6_T7_T8_P12ihipStream_tbENKUlT_T0_E_clISt17integral_constantIbLb0EESX_IbLb1EEEEDaST_SU_EUlST_E_NS1_11comp_targetILNS1_3genE4ELNS1_11target_archE910ELNS1_3gpuE8ELNS1_3repE0EEENS1_30default_config_static_selectorELNS0_4arch9wavefront6targetE1EEEvT1_
                                        ; -- End function
	.section	.AMDGPU.csdata,"",@progbits
; Kernel info:
; codeLenInByte = 0
; NumSgprs: 6
; NumVgprs: 0
; NumAgprs: 0
; TotalNumVgprs: 0
; ScratchSize: 0
; MemoryBound: 0
; FloatMode: 240
; IeeeMode: 1
; LDSByteSize: 0 bytes/workgroup (compile time only)
; SGPRBlocks: 0
; VGPRBlocks: 0
; NumSGPRsForWavesPerEU: 6
; NumVGPRsForWavesPerEU: 1
; AccumOffset: 4
; Occupancy: 8
; WaveLimiterHint : 0
; COMPUTE_PGM_RSRC2:SCRATCH_EN: 0
; COMPUTE_PGM_RSRC2:USER_SGPR: 2
; COMPUTE_PGM_RSRC2:TRAP_HANDLER: 0
; COMPUTE_PGM_RSRC2:TGID_X_EN: 1
; COMPUTE_PGM_RSRC2:TGID_Y_EN: 0
; COMPUTE_PGM_RSRC2:TGID_Z_EN: 0
; COMPUTE_PGM_RSRC2:TIDIG_COMP_CNT: 0
; COMPUTE_PGM_RSRC3_GFX90A:ACCUM_OFFSET: 0
; COMPUTE_PGM_RSRC3_GFX90A:TG_SPLIT: 0
	.section	.text._ZN7rocprim17ROCPRIM_400000_NS6detail17trampoline_kernelINS0_14default_configENS1_33run_length_encode_config_selectorIljNS0_4plusIjEEEEZZNS1_33reduce_by_key_impl_wrapped_configILNS1_25lookback_scan_determinismE0ES3_S7_PKlNS0_17constant_iteratorIjlEEPlSE_SE_S6_NS0_8equal_toIlEEEE10hipError_tPvRmT2_T3_mT4_T5_T6_T7_T8_P12ihipStream_tbENKUlT_T0_E_clISt17integral_constantIbLb0EESX_IbLb1EEEEDaST_SU_EUlST_E_NS1_11comp_targetILNS1_3genE3ELNS1_11target_archE908ELNS1_3gpuE7ELNS1_3repE0EEENS1_30default_config_static_selectorELNS0_4arch9wavefront6targetE1EEEvT1_,"axG",@progbits,_ZN7rocprim17ROCPRIM_400000_NS6detail17trampoline_kernelINS0_14default_configENS1_33run_length_encode_config_selectorIljNS0_4plusIjEEEEZZNS1_33reduce_by_key_impl_wrapped_configILNS1_25lookback_scan_determinismE0ES3_S7_PKlNS0_17constant_iteratorIjlEEPlSE_SE_S6_NS0_8equal_toIlEEEE10hipError_tPvRmT2_T3_mT4_T5_T6_T7_T8_P12ihipStream_tbENKUlT_T0_E_clISt17integral_constantIbLb0EESX_IbLb1EEEEDaST_SU_EUlST_E_NS1_11comp_targetILNS1_3genE3ELNS1_11target_archE908ELNS1_3gpuE7ELNS1_3repE0EEENS1_30default_config_static_selectorELNS0_4arch9wavefront6targetE1EEEvT1_,comdat
	.protected	_ZN7rocprim17ROCPRIM_400000_NS6detail17trampoline_kernelINS0_14default_configENS1_33run_length_encode_config_selectorIljNS0_4plusIjEEEEZZNS1_33reduce_by_key_impl_wrapped_configILNS1_25lookback_scan_determinismE0ES3_S7_PKlNS0_17constant_iteratorIjlEEPlSE_SE_S6_NS0_8equal_toIlEEEE10hipError_tPvRmT2_T3_mT4_T5_T6_T7_T8_P12ihipStream_tbENKUlT_T0_E_clISt17integral_constantIbLb0EESX_IbLb1EEEEDaST_SU_EUlST_E_NS1_11comp_targetILNS1_3genE3ELNS1_11target_archE908ELNS1_3gpuE7ELNS1_3repE0EEENS1_30default_config_static_selectorELNS0_4arch9wavefront6targetE1EEEvT1_ ; -- Begin function _ZN7rocprim17ROCPRIM_400000_NS6detail17trampoline_kernelINS0_14default_configENS1_33run_length_encode_config_selectorIljNS0_4plusIjEEEEZZNS1_33reduce_by_key_impl_wrapped_configILNS1_25lookback_scan_determinismE0ES3_S7_PKlNS0_17constant_iteratorIjlEEPlSE_SE_S6_NS0_8equal_toIlEEEE10hipError_tPvRmT2_T3_mT4_T5_T6_T7_T8_P12ihipStream_tbENKUlT_T0_E_clISt17integral_constantIbLb0EESX_IbLb1EEEEDaST_SU_EUlST_E_NS1_11comp_targetILNS1_3genE3ELNS1_11target_archE908ELNS1_3gpuE7ELNS1_3repE0EEENS1_30default_config_static_selectorELNS0_4arch9wavefront6targetE1EEEvT1_
	.globl	_ZN7rocprim17ROCPRIM_400000_NS6detail17trampoline_kernelINS0_14default_configENS1_33run_length_encode_config_selectorIljNS0_4plusIjEEEEZZNS1_33reduce_by_key_impl_wrapped_configILNS1_25lookback_scan_determinismE0ES3_S7_PKlNS0_17constant_iteratorIjlEEPlSE_SE_S6_NS0_8equal_toIlEEEE10hipError_tPvRmT2_T3_mT4_T5_T6_T7_T8_P12ihipStream_tbENKUlT_T0_E_clISt17integral_constantIbLb0EESX_IbLb1EEEEDaST_SU_EUlST_E_NS1_11comp_targetILNS1_3genE3ELNS1_11target_archE908ELNS1_3gpuE7ELNS1_3repE0EEENS1_30default_config_static_selectorELNS0_4arch9wavefront6targetE1EEEvT1_
	.p2align	8
	.type	_ZN7rocprim17ROCPRIM_400000_NS6detail17trampoline_kernelINS0_14default_configENS1_33run_length_encode_config_selectorIljNS0_4plusIjEEEEZZNS1_33reduce_by_key_impl_wrapped_configILNS1_25lookback_scan_determinismE0ES3_S7_PKlNS0_17constant_iteratorIjlEEPlSE_SE_S6_NS0_8equal_toIlEEEE10hipError_tPvRmT2_T3_mT4_T5_T6_T7_T8_P12ihipStream_tbENKUlT_T0_E_clISt17integral_constantIbLb0EESX_IbLb1EEEEDaST_SU_EUlST_E_NS1_11comp_targetILNS1_3genE3ELNS1_11target_archE908ELNS1_3gpuE7ELNS1_3repE0EEENS1_30default_config_static_selectorELNS0_4arch9wavefront6targetE1EEEvT1_,@function
_ZN7rocprim17ROCPRIM_400000_NS6detail17trampoline_kernelINS0_14default_configENS1_33run_length_encode_config_selectorIljNS0_4plusIjEEEEZZNS1_33reduce_by_key_impl_wrapped_configILNS1_25lookback_scan_determinismE0ES3_S7_PKlNS0_17constant_iteratorIjlEEPlSE_SE_S6_NS0_8equal_toIlEEEE10hipError_tPvRmT2_T3_mT4_T5_T6_T7_T8_P12ihipStream_tbENKUlT_T0_E_clISt17integral_constantIbLb0EESX_IbLb1EEEEDaST_SU_EUlST_E_NS1_11comp_targetILNS1_3genE3ELNS1_11target_archE908ELNS1_3gpuE7ELNS1_3repE0EEENS1_30default_config_static_selectorELNS0_4arch9wavefront6targetE1EEEvT1_: ; @_ZN7rocprim17ROCPRIM_400000_NS6detail17trampoline_kernelINS0_14default_configENS1_33run_length_encode_config_selectorIljNS0_4plusIjEEEEZZNS1_33reduce_by_key_impl_wrapped_configILNS1_25lookback_scan_determinismE0ES3_S7_PKlNS0_17constant_iteratorIjlEEPlSE_SE_S6_NS0_8equal_toIlEEEE10hipError_tPvRmT2_T3_mT4_T5_T6_T7_T8_P12ihipStream_tbENKUlT_T0_E_clISt17integral_constantIbLb0EESX_IbLb1EEEEDaST_SU_EUlST_E_NS1_11comp_targetILNS1_3genE3ELNS1_11target_archE908ELNS1_3gpuE7ELNS1_3repE0EEENS1_30default_config_static_selectorELNS0_4arch9wavefront6targetE1EEEvT1_
; %bb.0:
	.section	.rodata,"a",@progbits
	.p2align	6, 0x0
	.amdhsa_kernel _ZN7rocprim17ROCPRIM_400000_NS6detail17trampoline_kernelINS0_14default_configENS1_33run_length_encode_config_selectorIljNS0_4plusIjEEEEZZNS1_33reduce_by_key_impl_wrapped_configILNS1_25lookback_scan_determinismE0ES3_S7_PKlNS0_17constant_iteratorIjlEEPlSE_SE_S6_NS0_8equal_toIlEEEE10hipError_tPvRmT2_T3_mT4_T5_T6_T7_T8_P12ihipStream_tbENKUlT_T0_E_clISt17integral_constantIbLb0EESX_IbLb1EEEEDaST_SU_EUlST_E_NS1_11comp_targetILNS1_3genE3ELNS1_11target_archE908ELNS1_3gpuE7ELNS1_3repE0EEENS1_30default_config_static_selectorELNS0_4arch9wavefront6targetE1EEEvT1_
		.amdhsa_group_segment_fixed_size 0
		.amdhsa_private_segment_fixed_size 0
		.amdhsa_kernarg_size 128
		.amdhsa_user_sgpr_count 2
		.amdhsa_user_sgpr_dispatch_ptr 0
		.amdhsa_user_sgpr_queue_ptr 0
		.amdhsa_user_sgpr_kernarg_segment_ptr 1
		.amdhsa_user_sgpr_dispatch_id 0
		.amdhsa_user_sgpr_kernarg_preload_length 0
		.amdhsa_user_sgpr_kernarg_preload_offset 0
		.amdhsa_user_sgpr_private_segment_size 0
		.amdhsa_uses_dynamic_stack 0
		.amdhsa_enable_private_segment 0
		.amdhsa_system_sgpr_workgroup_id_x 1
		.amdhsa_system_sgpr_workgroup_id_y 0
		.amdhsa_system_sgpr_workgroup_id_z 0
		.amdhsa_system_sgpr_workgroup_info 0
		.amdhsa_system_vgpr_workitem_id 0
		.amdhsa_next_free_vgpr 1
		.amdhsa_next_free_sgpr 0
		.amdhsa_accum_offset 4
		.amdhsa_reserve_vcc 0
		.amdhsa_float_round_mode_32 0
		.amdhsa_float_round_mode_16_64 0
		.amdhsa_float_denorm_mode_32 3
		.amdhsa_float_denorm_mode_16_64 3
		.amdhsa_dx10_clamp 1
		.amdhsa_ieee_mode 1
		.amdhsa_fp16_overflow 0
		.amdhsa_tg_split 0
		.amdhsa_exception_fp_ieee_invalid_op 0
		.amdhsa_exception_fp_denorm_src 0
		.amdhsa_exception_fp_ieee_div_zero 0
		.amdhsa_exception_fp_ieee_overflow 0
		.amdhsa_exception_fp_ieee_underflow 0
		.amdhsa_exception_fp_ieee_inexact 0
		.amdhsa_exception_int_div_zero 0
	.end_amdhsa_kernel
	.section	.text._ZN7rocprim17ROCPRIM_400000_NS6detail17trampoline_kernelINS0_14default_configENS1_33run_length_encode_config_selectorIljNS0_4plusIjEEEEZZNS1_33reduce_by_key_impl_wrapped_configILNS1_25lookback_scan_determinismE0ES3_S7_PKlNS0_17constant_iteratorIjlEEPlSE_SE_S6_NS0_8equal_toIlEEEE10hipError_tPvRmT2_T3_mT4_T5_T6_T7_T8_P12ihipStream_tbENKUlT_T0_E_clISt17integral_constantIbLb0EESX_IbLb1EEEEDaST_SU_EUlST_E_NS1_11comp_targetILNS1_3genE3ELNS1_11target_archE908ELNS1_3gpuE7ELNS1_3repE0EEENS1_30default_config_static_selectorELNS0_4arch9wavefront6targetE1EEEvT1_,"axG",@progbits,_ZN7rocprim17ROCPRIM_400000_NS6detail17trampoline_kernelINS0_14default_configENS1_33run_length_encode_config_selectorIljNS0_4plusIjEEEEZZNS1_33reduce_by_key_impl_wrapped_configILNS1_25lookback_scan_determinismE0ES3_S7_PKlNS0_17constant_iteratorIjlEEPlSE_SE_S6_NS0_8equal_toIlEEEE10hipError_tPvRmT2_T3_mT4_T5_T6_T7_T8_P12ihipStream_tbENKUlT_T0_E_clISt17integral_constantIbLb0EESX_IbLb1EEEEDaST_SU_EUlST_E_NS1_11comp_targetILNS1_3genE3ELNS1_11target_archE908ELNS1_3gpuE7ELNS1_3repE0EEENS1_30default_config_static_selectorELNS0_4arch9wavefront6targetE1EEEvT1_,comdat
.Lfunc_end541:
	.size	_ZN7rocprim17ROCPRIM_400000_NS6detail17trampoline_kernelINS0_14default_configENS1_33run_length_encode_config_selectorIljNS0_4plusIjEEEEZZNS1_33reduce_by_key_impl_wrapped_configILNS1_25lookback_scan_determinismE0ES3_S7_PKlNS0_17constant_iteratorIjlEEPlSE_SE_S6_NS0_8equal_toIlEEEE10hipError_tPvRmT2_T3_mT4_T5_T6_T7_T8_P12ihipStream_tbENKUlT_T0_E_clISt17integral_constantIbLb0EESX_IbLb1EEEEDaST_SU_EUlST_E_NS1_11comp_targetILNS1_3genE3ELNS1_11target_archE908ELNS1_3gpuE7ELNS1_3repE0EEENS1_30default_config_static_selectorELNS0_4arch9wavefront6targetE1EEEvT1_, .Lfunc_end541-_ZN7rocprim17ROCPRIM_400000_NS6detail17trampoline_kernelINS0_14default_configENS1_33run_length_encode_config_selectorIljNS0_4plusIjEEEEZZNS1_33reduce_by_key_impl_wrapped_configILNS1_25lookback_scan_determinismE0ES3_S7_PKlNS0_17constant_iteratorIjlEEPlSE_SE_S6_NS0_8equal_toIlEEEE10hipError_tPvRmT2_T3_mT4_T5_T6_T7_T8_P12ihipStream_tbENKUlT_T0_E_clISt17integral_constantIbLb0EESX_IbLb1EEEEDaST_SU_EUlST_E_NS1_11comp_targetILNS1_3genE3ELNS1_11target_archE908ELNS1_3gpuE7ELNS1_3repE0EEENS1_30default_config_static_selectorELNS0_4arch9wavefront6targetE1EEEvT1_
                                        ; -- End function
	.section	.AMDGPU.csdata,"",@progbits
; Kernel info:
; codeLenInByte = 0
; NumSgprs: 6
; NumVgprs: 0
; NumAgprs: 0
; TotalNumVgprs: 0
; ScratchSize: 0
; MemoryBound: 0
; FloatMode: 240
; IeeeMode: 1
; LDSByteSize: 0 bytes/workgroup (compile time only)
; SGPRBlocks: 0
; VGPRBlocks: 0
; NumSGPRsForWavesPerEU: 6
; NumVGPRsForWavesPerEU: 1
; AccumOffset: 4
; Occupancy: 8
; WaveLimiterHint : 0
; COMPUTE_PGM_RSRC2:SCRATCH_EN: 0
; COMPUTE_PGM_RSRC2:USER_SGPR: 2
; COMPUTE_PGM_RSRC2:TRAP_HANDLER: 0
; COMPUTE_PGM_RSRC2:TGID_X_EN: 1
; COMPUTE_PGM_RSRC2:TGID_Y_EN: 0
; COMPUTE_PGM_RSRC2:TGID_Z_EN: 0
; COMPUTE_PGM_RSRC2:TIDIG_COMP_CNT: 0
; COMPUTE_PGM_RSRC3_GFX90A:ACCUM_OFFSET: 0
; COMPUTE_PGM_RSRC3_GFX90A:TG_SPLIT: 0
	.section	.text._ZN7rocprim17ROCPRIM_400000_NS6detail17trampoline_kernelINS0_14default_configENS1_33run_length_encode_config_selectorIljNS0_4plusIjEEEEZZNS1_33reduce_by_key_impl_wrapped_configILNS1_25lookback_scan_determinismE0ES3_S7_PKlNS0_17constant_iteratorIjlEEPlSE_SE_S6_NS0_8equal_toIlEEEE10hipError_tPvRmT2_T3_mT4_T5_T6_T7_T8_P12ihipStream_tbENKUlT_T0_E_clISt17integral_constantIbLb0EESX_IbLb1EEEEDaST_SU_EUlST_E_NS1_11comp_targetILNS1_3genE2ELNS1_11target_archE906ELNS1_3gpuE6ELNS1_3repE0EEENS1_30default_config_static_selectorELNS0_4arch9wavefront6targetE1EEEvT1_,"axG",@progbits,_ZN7rocprim17ROCPRIM_400000_NS6detail17trampoline_kernelINS0_14default_configENS1_33run_length_encode_config_selectorIljNS0_4plusIjEEEEZZNS1_33reduce_by_key_impl_wrapped_configILNS1_25lookback_scan_determinismE0ES3_S7_PKlNS0_17constant_iteratorIjlEEPlSE_SE_S6_NS0_8equal_toIlEEEE10hipError_tPvRmT2_T3_mT4_T5_T6_T7_T8_P12ihipStream_tbENKUlT_T0_E_clISt17integral_constantIbLb0EESX_IbLb1EEEEDaST_SU_EUlST_E_NS1_11comp_targetILNS1_3genE2ELNS1_11target_archE906ELNS1_3gpuE6ELNS1_3repE0EEENS1_30default_config_static_selectorELNS0_4arch9wavefront6targetE1EEEvT1_,comdat
	.protected	_ZN7rocprim17ROCPRIM_400000_NS6detail17trampoline_kernelINS0_14default_configENS1_33run_length_encode_config_selectorIljNS0_4plusIjEEEEZZNS1_33reduce_by_key_impl_wrapped_configILNS1_25lookback_scan_determinismE0ES3_S7_PKlNS0_17constant_iteratorIjlEEPlSE_SE_S6_NS0_8equal_toIlEEEE10hipError_tPvRmT2_T3_mT4_T5_T6_T7_T8_P12ihipStream_tbENKUlT_T0_E_clISt17integral_constantIbLb0EESX_IbLb1EEEEDaST_SU_EUlST_E_NS1_11comp_targetILNS1_3genE2ELNS1_11target_archE906ELNS1_3gpuE6ELNS1_3repE0EEENS1_30default_config_static_selectorELNS0_4arch9wavefront6targetE1EEEvT1_ ; -- Begin function _ZN7rocprim17ROCPRIM_400000_NS6detail17trampoline_kernelINS0_14default_configENS1_33run_length_encode_config_selectorIljNS0_4plusIjEEEEZZNS1_33reduce_by_key_impl_wrapped_configILNS1_25lookback_scan_determinismE0ES3_S7_PKlNS0_17constant_iteratorIjlEEPlSE_SE_S6_NS0_8equal_toIlEEEE10hipError_tPvRmT2_T3_mT4_T5_T6_T7_T8_P12ihipStream_tbENKUlT_T0_E_clISt17integral_constantIbLb0EESX_IbLb1EEEEDaST_SU_EUlST_E_NS1_11comp_targetILNS1_3genE2ELNS1_11target_archE906ELNS1_3gpuE6ELNS1_3repE0EEENS1_30default_config_static_selectorELNS0_4arch9wavefront6targetE1EEEvT1_
	.globl	_ZN7rocprim17ROCPRIM_400000_NS6detail17trampoline_kernelINS0_14default_configENS1_33run_length_encode_config_selectorIljNS0_4plusIjEEEEZZNS1_33reduce_by_key_impl_wrapped_configILNS1_25lookback_scan_determinismE0ES3_S7_PKlNS0_17constant_iteratorIjlEEPlSE_SE_S6_NS0_8equal_toIlEEEE10hipError_tPvRmT2_T3_mT4_T5_T6_T7_T8_P12ihipStream_tbENKUlT_T0_E_clISt17integral_constantIbLb0EESX_IbLb1EEEEDaST_SU_EUlST_E_NS1_11comp_targetILNS1_3genE2ELNS1_11target_archE906ELNS1_3gpuE6ELNS1_3repE0EEENS1_30default_config_static_selectorELNS0_4arch9wavefront6targetE1EEEvT1_
	.p2align	8
	.type	_ZN7rocprim17ROCPRIM_400000_NS6detail17trampoline_kernelINS0_14default_configENS1_33run_length_encode_config_selectorIljNS0_4plusIjEEEEZZNS1_33reduce_by_key_impl_wrapped_configILNS1_25lookback_scan_determinismE0ES3_S7_PKlNS0_17constant_iteratorIjlEEPlSE_SE_S6_NS0_8equal_toIlEEEE10hipError_tPvRmT2_T3_mT4_T5_T6_T7_T8_P12ihipStream_tbENKUlT_T0_E_clISt17integral_constantIbLb0EESX_IbLb1EEEEDaST_SU_EUlST_E_NS1_11comp_targetILNS1_3genE2ELNS1_11target_archE906ELNS1_3gpuE6ELNS1_3repE0EEENS1_30default_config_static_selectorELNS0_4arch9wavefront6targetE1EEEvT1_,@function
_ZN7rocprim17ROCPRIM_400000_NS6detail17trampoline_kernelINS0_14default_configENS1_33run_length_encode_config_selectorIljNS0_4plusIjEEEEZZNS1_33reduce_by_key_impl_wrapped_configILNS1_25lookback_scan_determinismE0ES3_S7_PKlNS0_17constant_iteratorIjlEEPlSE_SE_S6_NS0_8equal_toIlEEEE10hipError_tPvRmT2_T3_mT4_T5_T6_T7_T8_P12ihipStream_tbENKUlT_T0_E_clISt17integral_constantIbLb0EESX_IbLb1EEEEDaST_SU_EUlST_E_NS1_11comp_targetILNS1_3genE2ELNS1_11target_archE906ELNS1_3gpuE6ELNS1_3repE0EEENS1_30default_config_static_selectorELNS0_4arch9wavefront6targetE1EEEvT1_: ; @_ZN7rocprim17ROCPRIM_400000_NS6detail17trampoline_kernelINS0_14default_configENS1_33run_length_encode_config_selectorIljNS0_4plusIjEEEEZZNS1_33reduce_by_key_impl_wrapped_configILNS1_25lookback_scan_determinismE0ES3_S7_PKlNS0_17constant_iteratorIjlEEPlSE_SE_S6_NS0_8equal_toIlEEEE10hipError_tPvRmT2_T3_mT4_T5_T6_T7_T8_P12ihipStream_tbENKUlT_T0_E_clISt17integral_constantIbLb0EESX_IbLb1EEEEDaST_SU_EUlST_E_NS1_11comp_targetILNS1_3genE2ELNS1_11target_archE906ELNS1_3gpuE6ELNS1_3repE0EEENS1_30default_config_static_selectorELNS0_4arch9wavefront6targetE1EEEvT1_
; %bb.0:
	.section	.rodata,"a",@progbits
	.p2align	6, 0x0
	.amdhsa_kernel _ZN7rocprim17ROCPRIM_400000_NS6detail17trampoline_kernelINS0_14default_configENS1_33run_length_encode_config_selectorIljNS0_4plusIjEEEEZZNS1_33reduce_by_key_impl_wrapped_configILNS1_25lookback_scan_determinismE0ES3_S7_PKlNS0_17constant_iteratorIjlEEPlSE_SE_S6_NS0_8equal_toIlEEEE10hipError_tPvRmT2_T3_mT4_T5_T6_T7_T8_P12ihipStream_tbENKUlT_T0_E_clISt17integral_constantIbLb0EESX_IbLb1EEEEDaST_SU_EUlST_E_NS1_11comp_targetILNS1_3genE2ELNS1_11target_archE906ELNS1_3gpuE6ELNS1_3repE0EEENS1_30default_config_static_selectorELNS0_4arch9wavefront6targetE1EEEvT1_
		.amdhsa_group_segment_fixed_size 0
		.amdhsa_private_segment_fixed_size 0
		.amdhsa_kernarg_size 128
		.amdhsa_user_sgpr_count 2
		.amdhsa_user_sgpr_dispatch_ptr 0
		.amdhsa_user_sgpr_queue_ptr 0
		.amdhsa_user_sgpr_kernarg_segment_ptr 1
		.amdhsa_user_sgpr_dispatch_id 0
		.amdhsa_user_sgpr_kernarg_preload_length 0
		.amdhsa_user_sgpr_kernarg_preload_offset 0
		.amdhsa_user_sgpr_private_segment_size 0
		.amdhsa_uses_dynamic_stack 0
		.amdhsa_enable_private_segment 0
		.amdhsa_system_sgpr_workgroup_id_x 1
		.amdhsa_system_sgpr_workgroup_id_y 0
		.amdhsa_system_sgpr_workgroup_id_z 0
		.amdhsa_system_sgpr_workgroup_info 0
		.amdhsa_system_vgpr_workitem_id 0
		.amdhsa_next_free_vgpr 1
		.amdhsa_next_free_sgpr 0
		.amdhsa_accum_offset 4
		.amdhsa_reserve_vcc 0
		.amdhsa_float_round_mode_32 0
		.amdhsa_float_round_mode_16_64 0
		.amdhsa_float_denorm_mode_32 3
		.amdhsa_float_denorm_mode_16_64 3
		.amdhsa_dx10_clamp 1
		.amdhsa_ieee_mode 1
		.amdhsa_fp16_overflow 0
		.amdhsa_tg_split 0
		.amdhsa_exception_fp_ieee_invalid_op 0
		.amdhsa_exception_fp_denorm_src 0
		.amdhsa_exception_fp_ieee_div_zero 0
		.amdhsa_exception_fp_ieee_overflow 0
		.amdhsa_exception_fp_ieee_underflow 0
		.amdhsa_exception_fp_ieee_inexact 0
		.amdhsa_exception_int_div_zero 0
	.end_amdhsa_kernel
	.section	.text._ZN7rocprim17ROCPRIM_400000_NS6detail17trampoline_kernelINS0_14default_configENS1_33run_length_encode_config_selectorIljNS0_4plusIjEEEEZZNS1_33reduce_by_key_impl_wrapped_configILNS1_25lookback_scan_determinismE0ES3_S7_PKlNS0_17constant_iteratorIjlEEPlSE_SE_S6_NS0_8equal_toIlEEEE10hipError_tPvRmT2_T3_mT4_T5_T6_T7_T8_P12ihipStream_tbENKUlT_T0_E_clISt17integral_constantIbLb0EESX_IbLb1EEEEDaST_SU_EUlST_E_NS1_11comp_targetILNS1_3genE2ELNS1_11target_archE906ELNS1_3gpuE6ELNS1_3repE0EEENS1_30default_config_static_selectorELNS0_4arch9wavefront6targetE1EEEvT1_,"axG",@progbits,_ZN7rocprim17ROCPRIM_400000_NS6detail17trampoline_kernelINS0_14default_configENS1_33run_length_encode_config_selectorIljNS0_4plusIjEEEEZZNS1_33reduce_by_key_impl_wrapped_configILNS1_25lookback_scan_determinismE0ES3_S7_PKlNS0_17constant_iteratorIjlEEPlSE_SE_S6_NS0_8equal_toIlEEEE10hipError_tPvRmT2_T3_mT4_T5_T6_T7_T8_P12ihipStream_tbENKUlT_T0_E_clISt17integral_constantIbLb0EESX_IbLb1EEEEDaST_SU_EUlST_E_NS1_11comp_targetILNS1_3genE2ELNS1_11target_archE906ELNS1_3gpuE6ELNS1_3repE0EEENS1_30default_config_static_selectorELNS0_4arch9wavefront6targetE1EEEvT1_,comdat
.Lfunc_end542:
	.size	_ZN7rocprim17ROCPRIM_400000_NS6detail17trampoline_kernelINS0_14default_configENS1_33run_length_encode_config_selectorIljNS0_4plusIjEEEEZZNS1_33reduce_by_key_impl_wrapped_configILNS1_25lookback_scan_determinismE0ES3_S7_PKlNS0_17constant_iteratorIjlEEPlSE_SE_S6_NS0_8equal_toIlEEEE10hipError_tPvRmT2_T3_mT4_T5_T6_T7_T8_P12ihipStream_tbENKUlT_T0_E_clISt17integral_constantIbLb0EESX_IbLb1EEEEDaST_SU_EUlST_E_NS1_11comp_targetILNS1_3genE2ELNS1_11target_archE906ELNS1_3gpuE6ELNS1_3repE0EEENS1_30default_config_static_selectorELNS0_4arch9wavefront6targetE1EEEvT1_, .Lfunc_end542-_ZN7rocprim17ROCPRIM_400000_NS6detail17trampoline_kernelINS0_14default_configENS1_33run_length_encode_config_selectorIljNS0_4plusIjEEEEZZNS1_33reduce_by_key_impl_wrapped_configILNS1_25lookback_scan_determinismE0ES3_S7_PKlNS0_17constant_iteratorIjlEEPlSE_SE_S6_NS0_8equal_toIlEEEE10hipError_tPvRmT2_T3_mT4_T5_T6_T7_T8_P12ihipStream_tbENKUlT_T0_E_clISt17integral_constantIbLb0EESX_IbLb1EEEEDaST_SU_EUlST_E_NS1_11comp_targetILNS1_3genE2ELNS1_11target_archE906ELNS1_3gpuE6ELNS1_3repE0EEENS1_30default_config_static_selectorELNS0_4arch9wavefront6targetE1EEEvT1_
                                        ; -- End function
	.section	.AMDGPU.csdata,"",@progbits
; Kernel info:
; codeLenInByte = 0
; NumSgprs: 6
; NumVgprs: 0
; NumAgprs: 0
; TotalNumVgprs: 0
; ScratchSize: 0
; MemoryBound: 0
; FloatMode: 240
; IeeeMode: 1
; LDSByteSize: 0 bytes/workgroup (compile time only)
; SGPRBlocks: 0
; VGPRBlocks: 0
; NumSGPRsForWavesPerEU: 6
; NumVGPRsForWavesPerEU: 1
; AccumOffset: 4
; Occupancy: 8
; WaveLimiterHint : 0
; COMPUTE_PGM_RSRC2:SCRATCH_EN: 0
; COMPUTE_PGM_RSRC2:USER_SGPR: 2
; COMPUTE_PGM_RSRC2:TRAP_HANDLER: 0
; COMPUTE_PGM_RSRC2:TGID_X_EN: 1
; COMPUTE_PGM_RSRC2:TGID_Y_EN: 0
; COMPUTE_PGM_RSRC2:TGID_Z_EN: 0
; COMPUTE_PGM_RSRC2:TIDIG_COMP_CNT: 0
; COMPUTE_PGM_RSRC3_GFX90A:ACCUM_OFFSET: 0
; COMPUTE_PGM_RSRC3_GFX90A:TG_SPLIT: 0
	.section	.text._ZN7rocprim17ROCPRIM_400000_NS6detail17trampoline_kernelINS0_14default_configENS1_33run_length_encode_config_selectorIljNS0_4plusIjEEEEZZNS1_33reduce_by_key_impl_wrapped_configILNS1_25lookback_scan_determinismE0ES3_S7_PKlNS0_17constant_iteratorIjlEEPlSE_SE_S6_NS0_8equal_toIlEEEE10hipError_tPvRmT2_T3_mT4_T5_T6_T7_T8_P12ihipStream_tbENKUlT_T0_E_clISt17integral_constantIbLb0EESX_IbLb1EEEEDaST_SU_EUlST_E_NS1_11comp_targetILNS1_3genE10ELNS1_11target_archE1201ELNS1_3gpuE5ELNS1_3repE0EEENS1_30default_config_static_selectorELNS0_4arch9wavefront6targetE1EEEvT1_,"axG",@progbits,_ZN7rocprim17ROCPRIM_400000_NS6detail17trampoline_kernelINS0_14default_configENS1_33run_length_encode_config_selectorIljNS0_4plusIjEEEEZZNS1_33reduce_by_key_impl_wrapped_configILNS1_25lookback_scan_determinismE0ES3_S7_PKlNS0_17constant_iteratorIjlEEPlSE_SE_S6_NS0_8equal_toIlEEEE10hipError_tPvRmT2_T3_mT4_T5_T6_T7_T8_P12ihipStream_tbENKUlT_T0_E_clISt17integral_constantIbLb0EESX_IbLb1EEEEDaST_SU_EUlST_E_NS1_11comp_targetILNS1_3genE10ELNS1_11target_archE1201ELNS1_3gpuE5ELNS1_3repE0EEENS1_30default_config_static_selectorELNS0_4arch9wavefront6targetE1EEEvT1_,comdat
	.protected	_ZN7rocprim17ROCPRIM_400000_NS6detail17trampoline_kernelINS0_14default_configENS1_33run_length_encode_config_selectorIljNS0_4plusIjEEEEZZNS1_33reduce_by_key_impl_wrapped_configILNS1_25lookback_scan_determinismE0ES3_S7_PKlNS0_17constant_iteratorIjlEEPlSE_SE_S6_NS0_8equal_toIlEEEE10hipError_tPvRmT2_T3_mT4_T5_T6_T7_T8_P12ihipStream_tbENKUlT_T0_E_clISt17integral_constantIbLb0EESX_IbLb1EEEEDaST_SU_EUlST_E_NS1_11comp_targetILNS1_3genE10ELNS1_11target_archE1201ELNS1_3gpuE5ELNS1_3repE0EEENS1_30default_config_static_selectorELNS0_4arch9wavefront6targetE1EEEvT1_ ; -- Begin function _ZN7rocprim17ROCPRIM_400000_NS6detail17trampoline_kernelINS0_14default_configENS1_33run_length_encode_config_selectorIljNS0_4plusIjEEEEZZNS1_33reduce_by_key_impl_wrapped_configILNS1_25lookback_scan_determinismE0ES3_S7_PKlNS0_17constant_iteratorIjlEEPlSE_SE_S6_NS0_8equal_toIlEEEE10hipError_tPvRmT2_T3_mT4_T5_T6_T7_T8_P12ihipStream_tbENKUlT_T0_E_clISt17integral_constantIbLb0EESX_IbLb1EEEEDaST_SU_EUlST_E_NS1_11comp_targetILNS1_3genE10ELNS1_11target_archE1201ELNS1_3gpuE5ELNS1_3repE0EEENS1_30default_config_static_selectorELNS0_4arch9wavefront6targetE1EEEvT1_
	.globl	_ZN7rocprim17ROCPRIM_400000_NS6detail17trampoline_kernelINS0_14default_configENS1_33run_length_encode_config_selectorIljNS0_4plusIjEEEEZZNS1_33reduce_by_key_impl_wrapped_configILNS1_25lookback_scan_determinismE0ES3_S7_PKlNS0_17constant_iteratorIjlEEPlSE_SE_S6_NS0_8equal_toIlEEEE10hipError_tPvRmT2_T3_mT4_T5_T6_T7_T8_P12ihipStream_tbENKUlT_T0_E_clISt17integral_constantIbLb0EESX_IbLb1EEEEDaST_SU_EUlST_E_NS1_11comp_targetILNS1_3genE10ELNS1_11target_archE1201ELNS1_3gpuE5ELNS1_3repE0EEENS1_30default_config_static_selectorELNS0_4arch9wavefront6targetE1EEEvT1_
	.p2align	8
	.type	_ZN7rocprim17ROCPRIM_400000_NS6detail17trampoline_kernelINS0_14default_configENS1_33run_length_encode_config_selectorIljNS0_4plusIjEEEEZZNS1_33reduce_by_key_impl_wrapped_configILNS1_25lookback_scan_determinismE0ES3_S7_PKlNS0_17constant_iteratorIjlEEPlSE_SE_S6_NS0_8equal_toIlEEEE10hipError_tPvRmT2_T3_mT4_T5_T6_T7_T8_P12ihipStream_tbENKUlT_T0_E_clISt17integral_constantIbLb0EESX_IbLb1EEEEDaST_SU_EUlST_E_NS1_11comp_targetILNS1_3genE10ELNS1_11target_archE1201ELNS1_3gpuE5ELNS1_3repE0EEENS1_30default_config_static_selectorELNS0_4arch9wavefront6targetE1EEEvT1_,@function
_ZN7rocprim17ROCPRIM_400000_NS6detail17trampoline_kernelINS0_14default_configENS1_33run_length_encode_config_selectorIljNS0_4plusIjEEEEZZNS1_33reduce_by_key_impl_wrapped_configILNS1_25lookback_scan_determinismE0ES3_S7_PKlNS0_17constant_iteratorIjlEEPlSE_SE_S6_NS0_8equal_toIlEEEE10hipError_tPvRmT2_T3_mT4_T5_T6_T7_T8_P12ihipStream_tbENKUlT_T0_E_clISt17integral_constantIbLb0EESX_IbLb1EEEEDaST_SU_EUlST_E_NS1_11comp_targetILNS1_3genE10ELNS1_11target_archE1201ELNS1_3gpuE5ELNS1_3repE0EEENS1_30default_config_static_selectorELNS0_4arch9wavefront6targetE1EEEvT1_: ; @_ZN7rocprim17ROCPRIM_400000_NS6detail17trampoline_kernelINS0_14default_configENS1_33run_length_encode_config_selectorIljNS0_4plusIjEEEEZZNS1_33reduce_by_key_impl_wrapped_configILNS1_25lookback_scan_determinismE0ES3_S7_PKlNS0_17constant_iteratorIjlEEPlSE_SE_S6_NS0_8equal_toIlEEEE10hipError_tPvRmT2_T3_mT4_T5_T6_T7_T8_P12ihipStream_tbENKUlT_T0_E_clISt17integral_constantIbLb0EESX_IbLb1EEEEDaST_SU_EUlST_E_NS1_11comp_targetILNS1_3genE10ELNS1_11target_archE1201ELNS1_3gpuE5ELNS1_3repE0EEENS1_30default_config_static_selectorELNS0_4arch9wavefront6targetE1EEEvT1_
; %bb.0:
	.section	.rodata,"a",@progbits
	.p2align	6, 0x0
	.amdhsa_kernel _ZN7rocprim17ROCPRIM_400000_NS6detail17trampoline_kernelINS0_14default_configENS1_33run_length_encode_config_selectorIljNS0_4plusIjEEEEZZNS1_33reduce_by_key_impl_wrapped_configILNS1_25lookback_scan_determinismE0ES3_S7_PKlNS0_17constant_iteratorIjlEEPlSE_SE_S6_NS0_8equal_toIlEEEE10hipError_tPvRmT2_T3_mT4_T5_T6_T7_T8_P12ihipStream_tbENKUlT_T0_E_clISt17integral_constantIbLb0EESX_IbLb1EEEEDaST_SU_EUlST_E_NS1_11comp_targetILNS1_3genE10ELNS1_11target_archE1201ELNS1_3gpuE5ELNS1_3repE0EEENS1_30default_config_static_selectorELNS0_4arch9wavefront6targetE1EEEvT1_
		.amdhsa_group_segment_fixed_size 0
		.amdhsa_private_segment_fixed_size 0
		.amdhsa_kernarg_size 128
		.amdhsa_user_sgpr_count 2
		.amdhsa_user_sgpr_dispatch_ptr 0
		.amdhsa_user_sgpr_queue_ptr 0
		.amdhsa_user_sgpr_kernarg_segment_ptr 1
		.amdhsa_user_sgpr_dispatch_id 0
		.amdhsa_user_sgpr_kernarg_preload_length 0
		.amdhsa_user_sgpr_kernarg_preload_offset 0
		.amdhsa_user_sgpr_private_segment_size 0
		.amdhsa_uses_dynamic_stack 0
		.amdhsa_enable_private_segment 0
		.amdhsa_system_sgpr_workgroup_id_x 1
		.amdhsa_system_sgpr_workgroup_id_y 0
		.amdhsa_system_sgpr_workgroup_id_z 0
		.amdhsa_system_sgpr_workgroup_info 0
		.amdhsa_system_vgpr_workitem_id 0
		.amdhsa_next_free_vgpr 1
		.amdhsa_next_free_sgpr 0
		.amdhsa_accum_offset 4
		.amdhsa_reserve_vcc 0
		.amdhsa_float_round_mode_32 0
		.amdhsa_float_round_mode_16_64 0
		.amdhsa_float_denorm_mode_32 3
		.amdhsa_float_denorm_mode_16_64 3
		.amdhsa_dx10_clamp 1
		.amdhsa_ieee_mode 1
		.amdhsa_fp16_overflow 0
		.amdhsa_tg_split 0
		.amdhsa_exception_fp_ieee_invalid_op 0
		.amdhsa_exception_fp_denorm_src 0
		.amdhsa_exception_fp_ieee_div_zero 0
		.amdhsa_exception_fp_ieee_overflow 0
		.amdhsa_exception_fp_ieee_underflow 0
		.amdhsa_exception_fp_ieee_inexact 0
		.amdhsa_exception_int_div_zero 0
	.end_amdhsa_kernel
	.section	.text._ZN7rocprim17ROCPRIM_400000_NS6detail17trampoline_kernelINS0_14default_configENS1_33run_length_encode_config_selectorIljNS0_4plusIjEEEEZZNS1_33reduce_by_key_impl_wrapped_configILNS1_25lookback_scan_determinismE0ES3_S7_PKlNS0_17constant_iteratorIjlEEPlSE_SE_S6_NS0_8equal_toIlEEEE10hipError_tPvRmT2_T3_mT4_T5_T6_T7_T8_P12ihipStream_tbENKUlT_T0_E_clISt17integral_constantIbLb0EESX_IbLb1EEEEDaST_SU_EUlST_E_NS1_11comp_targetILNS1_3genE10ELNS1_11target_archE1201ELNS1_3gpuE5ELNS1_3repE0EEENS1_30default_config_static_selectorELNS0_4arch9wavefront6targetE1EEEvT1_,"axG",@progbits,_ZN7rocprim17ROCPRIM_400000_NS6detail17trampoline_kernelINS0_14default_configENS1_33run_length_encode_config_selectorIljNS0_4plusIjEEEEZZNS1_33reduce_by_key_impl_wrapped_configILNS1_25lookback_scan_determinismE0ES3_S7_PKlNS0_17constant_iteratorIjlEEPlSE_SE_S6_NS0_8equal_toIlEEEE10hipError_tPvRmT2_T3_mT4_T5_T6_T7_T8_P12ihipStream_tbENKUlT_T0_E_clISt17integral_constantIbLb0EESX_IbLb1EEEEDaST_SU_EUlST_E_NS1_11comp_targetILNS1_3genE10ELNS1_11target_archE1201ELNS1_3gpuE5ELNS1_3repE0EEENS1_30default_config_static_selectorELNS0_4arch9wavefront6targetE1EEEvT1_,comdat
.Lfunc_end543:
	.size	_ZN7rocprim17ROCPRIM_400000_NS6detail17trampoline_kernelINS0_14default_configENS1_33run_length_encode_config_selectorIljNS0_4plusIjEEEEZZNS1_33reduce_by_key_impl_wrapped_configILNS1_25lookback_scan_determinismE0ES3_S7_PKlNS0_17constant_iteratorIjlEEPlSE_SE_S6_NS0_8equal_toIlEEEE10hipError_tPvRmT2_T3_mT4_T5_T6_T7_T8_P12ihipStream_tbENKUlT_T0_E_clISt17integral_constantIbLb0EESX_IbLb1EEEEDaST_SU_EUlST_E_NS1_11comp_targetILNS1_3genE10ELNS1_11target_archE1201ELNS1_3gpuE5ELNS1_3repE0EEENS1_30default_config_static_selectorELNS0_4arch9wavefront6targetE1EEEvT1_, .Lfunc_end543-_ZN7rocprim17ROCPRIM_400000_NS6detail17trampoline_kernelINS0_14default_configENS1_33run_length_encode_config_selectorIljNS0_4plusIjEEEEZZNS1_33reduce_by_key_impl_wrapped_configILNS1_25lookback_scan_determinismE0ES3_S7_PKlNS0_17constant_iteratorIjlEEPlSE_SE_S6_NS0_8equal_toIlEEEE10hipError_tPvRmT2_T3_mT4_T5_T6_T7_T8_P12ihipStream_tbENKUlT_T0_E_clISt17integral_constantIbLb0EESX_IbLb1EEEEDaST_SU_EUlST_E_NS1_11comp_targetILNS1_3genE10ELNS1_11target_archE1201ELNS1_3gpuE5ELNS1_3repE0EEENS1_30default_config_static_selectorELNS0_4arch9wavefront6targetE1EEEvT1_
                                        ; -- End function
	.section	.AMDGPU.csdata,"",@progbits
; Kernel info:
; codeLenInByte = 0
; NumSgprs: 6
; NumVgprs: 0
; NumAgprs: 0
; TotalNumVgprs: 0
; ScratchSize: 0
; MemoryBound: 0
; FloatMode: 240
; IeeeMode: 1
; LDSByteSize: 0 bytes/workgroup (compile time only)
; SGPRBlocks: 0
; VGPRBlocks: 0
; NumSGPRsForWavesPerEU: 6
; NumVGPRsForWavesPerEU: 1
; AccumOffset: 4
; Occupancy: 8
; WaveLimiterHint : 0
; COMPUTE_PGM_RSRC2:SCRATCH_EN: 0
; COMPUTE_PGM_RSRC2:USER_SGPR: 2
; COMPUTE_PGM_RSRC2:TRAP_HANDLER: 0
; COMPUTE_PGM_RSRC2:TGID_X_EN: 1
; COMPUTE_PGM_RSRC2:TGID_Y_EN: 0
; COMPUTE_PGM_RSRC2:TGID_Z_EN: 0
; COMPUTE_PGM_RSRC2:TIDIG_COMP_CNT: 0
; COMPUTE_PGM_RSRC3_GFX90A:ACCUM_OFFSET: 0
; COMPUTE_PGM_RSRC3_GFX90A:TG_SPLIT: 0
	.section	.text._ZN7rocprim17ROCPRIM_400000_NS6detail17trampoline_kernelINS0_14default_configENS1_33run_length_encode_config_selectorIljNS0_4plusIjEEEEZZNS1_33reduce_by_key_impl_wrapped_configILNS1_25lookback_scan_determinismE0ES3_S7_PKlNS0_17constant_iteratorIjlEEPlSE_SE_S6_NS0_8equal_toIlEEEE10hipError_tPvRmT2_T3_mT4_T5_T6_T7_T8_P12ihipStream_tbENKUlT_T0_E_clISt17integral_constantIbLb0EESX_IbLb1EEEEDaST_SU_EUlST_E_NS1_11comp_targetILNS1_3genE10ELNS1_11target_archE1200ELNS1_3gpuE4ELNS1_3repE0EEENS1_30default_config_static_selectorELNS0_4arch9wavefront6targetE1EEEvT1_,"axG",@progbits,_ZN7rocprim17ROCPRIM_400000_NS6detail17trampoline_kernelINS0_14default_configENS1_33run_length_encode_config_selectorIljNS0_4plusIjEEEEZZNS1_33reduce_by_key_impl_wrapped_configILNS1_25lookback_scan_determinismE0ES3_S7_PKlNS0_17constant_iteratorIjlEEPlSE_SE_S6_NS0_8equal_toIlEEEE10hipError_tPvRmT2_T3_mT4_T5_T6_T7_T8_P12ihipStream_tbENKUlT_T0_E_clISt17integral_constantIbLb0EESX_IbLb1EEEEDaST_SU_EUlST_E_NS1_11comp_targetILNS1_3genE10ELNS1_11target_archE1200ELNS1_3gpuE4ELNS1_3repE0EEENS1_30default_config_static_selectorELNS0_4arch9wavefront6targetE1EEEvT1_,comdat
	.protected	_ZN7rocprim17ROCPRIM_400000_NS6detail17trampoline_kernelINS0_14default_configENS1_33run_length_encode_config_selectorIljNS0_4plusIjEEEEZZNS1_33reduce_by_key_impl_wrapped_configILNS1_25lookback_scan_determinismE0ES3_S7_PKlNS0_17constant_iteratorIjlEEPlSE_SE_S6_NS0_8equal_toIlEEEE10hipError_tPvRmT2_T3_mT4_T5_T6_T7_T8_P12ihipStream_tbENKUlT_T0_E_clISt17integral_constantIbLb0EESX_IbLb1EEEEDaST_SU_EUlST_E_NS1_11comp_targetILNS1_3genE10ELNS1_11target_archE1200ELNS1_3gpuE4ELNS1_3repE0EEENS1_30default_config_static_selectorELNS0_4arch9wavefront6targetE1EEEvT1_ ; -- Begin function _ZN7rocprim17ROCPRIM_400000_NS6detail17trampoline_kernelINS0_14default_configENS1_33run_length_encode_config_selectorIljNS0_4plusIjEEEEZZNS1_33reduce_by_key_impl_wrapped_configILNS1_25lookback_scan_determinismE0ES3_S7_PKlNS0_17constant_iteratorIjlEEPlSE_SE_S6_NS0_8equal_toIlEEEE10hipError_tPvRmT2_T3_mT4_T5_T6_T7_T8_P12ihipStream_tbENKUlT_T0_E_clISt17integral_constantIbLb0EESX_IbLb1EEEEDaST_SU_EUlST_E_NS1_11comp_targetILNS1_3genE10ELNS1_11target_archE1200ELNS1_3gpuE4ELNS1_3repE0EEENS1_30default_config_static_selectorELNS0_4arch9wavefront6targetE1EEEvT1_
	.globl	_ZN7rocprim17ROCPRIM_400000_NS6detail17trampoline_kernelINS0_14default_configENS1_33run_length_encode_config_selectorIljNS0_4plusIjEEEEZZNS1_33reduce_by_key_impl_wrapped_configILNS1_25lookback_scan_determinismE0ES3_S7_PKlNS0_17constant_iteratorIjlEEPlSE_SE_S6_NS0_8equal_toIlEEEE10hipError_tPvRmT2_T3_mT4_T5_T6_T7_T8_P12ihipStream_tbENKUlT_T0_E_clISt17integral_constantIbLb0EESX_IbLb1EEEEDaST_SU_EUlST_E_NS1_11comp_targetILNS1_3genE10ELNS1_11target_archE1200ELNS1_3gpuE4ELNS1_3repE0EEENS1_30default_config_static_selectorELNS0_4arch9wavefront6targetE1EEEvT1_
	.p2align	8
	.type	_ZN7rocprim17ROCPRIM_400000_NS6detail17trampoline_kernelINS0_14default_configENS1_33run_length_encode_config_selectorIljNS0_4plusIjEEEEZZNS1_33reduce_by_key_impl_wrapped_configILNS1_25lookback_scan_determinismE0ES3_S7_PKlNS0_17constant_iteratorIjlEEPlSE_SE_S6_NS0_8equal_toIlEEEE10hipError_tPvRmT2_T3_mT4_T5_T6_T7_T8_P12ihipStream_tbENKUlT_T0_E_clISt17integral_constantIbLb0EESX_IbLb1EEEEDaST_SU_EUlST_E_NS1_11comp_targetILNS1_3genE10ELNS1_11target_archE1200ELNS1_3gpuE4ELNS1_3repE0EEENS1_30default_config_static_selectorELNS0_4arch9wavefront6targetE1EEEvT1_,@function
_ZN7rocprim17ROCPRIM_400000_NS6detail17trampoline_kernelINS0_14default_configENS1_33run_length_encode_config_selectorIljNS0_4plusIjEEEEZZNS1_33reduce_by_key_impl_wrapped_configILNS1_25lookback_scan_determinismE0ES3_S7_PKlNS0_17constant_iteratorIjlEEPlSE_SE_S6_NS0_8equal_toIlEEEE10hipError_tPvRmT2_T3_mT4_T5_T6_T7_T8_P12ihipStream_tbENKUlT_T0_E_clISt17integral_constantIbLb0EESX_IbLb1EEEEDaST_SU_EUlST_E_NS1_11comp_targetILNS1_3genE10ELNS1_11target_archE1200ELNS1_3gpuE4ELNS1_3repE0EEENS1_30default_config_static_selectorELNS0_4arch9wavefront6targetE1EEEvT1_: ; @_ZN7rocprim17ROCPRIM_400000_NS6detail17trampoline_kernelINS0_14default_configENS1_33run_length_encode_config_selectorIljNS0_4plusIjEEEEZZNS1_33reduce_by_key_impl_wrapped_configILNS1_25lookback_scan_determinismE0ES3_S7_PKlNS0_17constant_iteratorIjlEEPlSE_SE_S6_NS0_8equal_toIlEEEE10hipError_tPvRmT2_T3_mT4_T5_T6_T7_T8_P12ihipStream_tbENKUlT_T0_E_clISt17integral_constantIbLb0EESX_IbLb1EEEEDaST_SU_EUlST_E_NS1_11comp_targetILNS1_3genE10ELNS1_11target_archE1200ELNS1_3gpuE4ELNS1_3repE0EEENS1_30default_config_static_selectorELNS0_4arch9wavefront6targetE1EEEvT1_
; %bb.0:
	.section	.rodata,"a",@progbits
	.p2align	6, 0x0
	.amdhsa_kernel _ZN7rocprim17ROCPRIM_400000_NS6detail17trampoline_kernelINS0_14default_configENS1_33run_length_encode_config_selectorIljNS0_4plusIjEEEEZZNS1_33reduce_by_key_impl_wrapped_configILNS1_25lookback_scan_determinismE0ES3_S7_PKlNS0_17constant_iteratorIjlEEPlSE_SE_S6_NS0_8equal_toIlEEEE10hipError_tPvRmT2_T3_mT4_T5_T6_T7_T8_P12ihipStream_tbENKUlT_T0_E_clISt17integral_constantIbLb0EESX_IbLb1EEEEDaST_SU_EUlST_E_NS1_11comp_targetILNS1_3genE10ELNS1_11target_archE1200ELNS1_3gpuE4ELNS1_3repE0EEENS1_30default_config_static_selectorELNS0_4arch9wavefront6targetE1EEEvT1_
		.amdhsa_group_segment_fixed_size 0
		.amdhsa_private_segment_fixed_size 0
		.amdhsa_kernarg_size 128
		.amdhsa_user_sgpr_count 2
		.amdhsa_user_sgpr_dispatch_ptr 0
		.amdhsa_user_sgpr_queue_ptr 0
		.amdhsa_user_sgpr_kernarg_segment_ptr 1
		.amdhsa_user_sgpr_dispatch_id 0
		.amdhsa_user_sgpr_kernarg_preload_length 0
		.amdhsa_user_sgpr_kernarg_preload_offset 0
		.amdhsa_user_sgpr_private_segment_size 0
		.amdhsa_uses_dynamic_stack 0
		.amdhsa_enable_private_segment 0
		.amdhsa_system_sgpr_workgroup_id_x 1
		.amdhsa_system_sgpr_workgroup_id_y 0
		.amdhsa_system_sgpr_workgroup_id_z 0
		.amdhsa_system_sgpr_workgroup_info 0
		.amdhsa_system_vgpr_workitem_id 0
		.amdhsa_next_free_vgpr 1
		.amdhsa_next_free_sgpr 0
		.amdhsa_accum_offset 4
		.amdhsa_reserve_vcc 0
		.amdhsa_float_round_mode_32 0
		.amdhsa_float_round_mode_16_64 0
		.amdhsa_float_denorm_mode_32 3
		.amdhsa_float_denorm_mode_16_64 3
		.amdhsa_dx10_clamp 1
		.amdhsa_ieee_mode 1
		.amdhsa_fp16_overflow 0
		.amdhsa_tg_split 0
		.amdhsa_exception_fp_ieee_invalid_op 0
		.amdhsa_exception_fp_denorm_src 0
		.amdhsa_exception_fp_ieee_div_zero 0
		.amdhsa_exception_fp_ieee_overflow 0
		.amdhsa_exception_fp_ieee_underflow 0
		.amdhsa_exception_fp_ieee_inexact 0
		.amdhsa_exception_int_div_zero 0
	.end_amdhsa_kernel
	.section	.text._ZN7rocprim17ROCPRIM_400000_NS6detail17trampoline_kernelINS0_14default_configENS1_33run_length_encode_config_selectorIljNS0_4plusIjEEEEZZNS1_33reduce_by_key_impl_wrapped_configILNS1_25lookback_scan_determinismE0ES3_S7_PKlNS0_17constant_iteratorIjlEEPlSE_SE_S6_NS0_8equal_toIlEEEE10hipError_tPvRmT2_T3_mT4_T5_T6_T7_T8_P12ihipStream_tbENKUlT_T0_E_clISt17integral_constantIbLb0EESX_IbLb1EEEEDaST_SU_EUlST_E_NS1_11comp_targetILNS1_3genE10ELNS1_11target_archE1200ELNS1_3gpuE4ELNS1_3repE0EEENS1_30default_config_static_selectorELNS0_4arch9wavefront6targetE1EEEvT1_,"axG",@progbits,_ZN7rocprim17ROCPRIM_400000_NS6detail17trampoline_kernelINS0_14default_configENS1_33run_length_encode_config_selectorIljNS0_4plusIjEEEEZZNS1_33reduce_by_key_impl_wrapped_configILNS1_25lookback_scan_determinismE0ES3_S7_PKlNS0_17constant_iteratorIjlEEPlSE_SE_S6_NS0_8equal_toIlEEEE10hipError_tPvRmT2_T3_mT4_T5_T6_T7_T8_P12ihipStream_tbENKUlT_T0_E_clISt17integral_constantIbLb0EESX_IbLb1EEEEDaST_SU_EUlST_E_NS1_11comp_targetILNS1_3genE10ELNS1_11target_archE1200ELNS1_3gpuE4ELNS1_3repE0EEENS1_30default_config_static_selectorELNS0_4arch9wavefront6targetE1EEEvT1_,comdat
.Lfunc_end544:
	.size	_ZN7rocprim17ROCPRIM_400000_NS6detail17trampoline_kernelINS0_14default_configENS1_33run_length_encode_config_selectorIljNS0_4plusIjEEEEZZNS1_33reduce_by_key_impl_wrapped_configILNS1_25lookback_scan_determinismE0ES3_S7_PKlNS0_17constant_iteratorIjlEEPlSE_SE_S6_NS0_8equal_toIlEEEE10hipError_tPvRmT2_T3_mT4_T5_T6_T7_T8_P12ihipStream_tbENKUlT_T0_E_clISt17integral_constantIbLb0EESX_IbLb1EEEEDaST_SU_EUlST_E_NS1_11comp_targetILNS1_3genE10ELNS1_11target_archE1200ELNS1_3gpuE4ELNS1_3repE0EEENS1_30default_config_static_selectorELNS0_4arch9wavefront6targetE1EEEvT1_, .Lfunc_end544-_ZN7rocprim17ROCPRIM_400000_NS6detail17trampoline_kernelINS0_14default_configENS1_33run_length_encode_config_selectorIljNS0_4plusIjEEEEZZNS1_33reduce_by_key_impl_wrapped_configILNS1_25lookback_scan_determinismE0ES3_S7_PKlNS0_17constant_iteratorIjlEEPlSE_SE_S6_NS0_8equal_toIlEEEE10hipError_tPvRmT2_T3_mT4_T5_T6_T7_T8_P12ihipStream_tbENKUlT_T0_E_clISt17integral_constantIbLb0EESX_IbLb1EEEEDaST_SU_EUlST_E_NS1_11comp_targetILNS1_3genE10ELNS1_11target_archE1200ELNS1_3gpuE4ELNS1_3repE0EEENS1_30default_config_static_selectorELNS0_4arch9wavefront6targetE1EEEvT1_
                                        ; -- End function
	.section	.AMDGPU.csdata,"",@progbits
; Kernel info:
; codeLenInByte = 0
; NumSgprs: 6
; NumVgprs: 0
; NumAgprs: 0
; TotalNumVgprs: 0
; ScratchSize: 0
; MemoryBound: 0
; FloatMode: 240
; IeeeMode: 1
; LDSByteSize: 0 bytes/workgroup (compile time only)
; SGPRBlocks: 0
; VGPRBlocks: 0
; NumSGPRsForWavesPerEU: 6
; NumVGPRsForWavesPerEU: 1
; AccumOffset: 4
; Occupancy: 8
; WaveLimiterHint : 0
; COMPUTE_PGM_RSRC2:SCRATCH_EN: 0
; COMPUTE_PGM_RSRC2:USER_SGPR: 2
; COMPUTE_PGM_RSRC2:TRAP_HANDLER: 0
; COMPUTE_PGM_RSRC2:TGID_X_EN: 1
; COMPUTE_PGM_RSRC2:TGID_Y_EN: 0
; COMPUTE_PGM_RSRC2:TGID_Z_EN: 0
; COMPUTE_PGM_RSRC2:TIDIG_COMP_CNT: 0
; COMPUTE_PGM_RSRC3_GFX90A:ACCUM_OFFSET: 0
; COMPUTE_PGM_RSRC3_GFX90A:TG_SPLIT: 0
	.section	.text._ZN7rocprim17ROCPRIM_400000_NS6detail17trampoline_kernelINS0_14default_configENS1_33run_length_encode_config_selectorIljNS0_4plusIjEEEEZZNS1_33reduce_by_key_impl_wrapped_configILNS1_25lookback_scan_determinismE0ES3_S7_PKlNS0_17constant_iteratorIjlEEPlSE_SE_S6_NS0_8equal_toIlEEEE10hipError_tPvRmT2_T3_mT4_T5_T6_T7_T8_P12ihipStream_tbENKUlT_T0_E_clISt17integral_constantIbLb0EESX_IbLb1EEEEDaST_SU_EUlST_E_NS1_11comp_targetILNS1_3genE9ELNS1_11target_archE1100ELNS1_3gpuE3ELNS1_3repE0EEENS1_30default_config_static_selectorELNS0_4arch9wavefront6targetE1EEEvT1_,"axG",@progbits,_ZN7rocprim17ROCPRIM_400000_NS6detail17trampoline_kernelINS0_14default_configENS1_33run_length_encode_config_selectorIljNS0_4plusIjEEEEZZNS1_33reduce_by_key_impl_wrapped_configILNS1_25lookback_scan_determinismE0ES3_S7_PKlNS0_17constant_iteratorIjlEEPlSE_SE_S6_NS0_8equal_toIlEEEE10hipError_tPvRmT2_T3_mT4_T5_T6_T7_T8_P12ihipStream_tbENKUlT_T0_E_clISt17integral_constantIbLb0EESX_IbLb1EEEEDaST_SU_EUlST_E_NS1_11comp_targetILNS1_3genE9ELNS1_11target_archE1100ELNS1_3gpuE3ELNS1_3repE0EEENS1_30default_config_static_selectorELNS0_4arch9wavefront6targetE1EEEvT1_,comdat
	.protected	_ZN7rocprim17ROCPRIM_400000_NS6detail17trampoline_kernelINS0_14default_configENS1_33run_length_encode_config_selectorIljNS0_4plusIjEEEEZZNS1_33reduce_by_key_impl_wrapped_configILNS1_25lookback_scan_determinismE0ES3_S7_PKlNS0_17constant_iteratorIjlEEPlSE_SE_S6_NS0_8equal_toIlEEEE10hipError_tPvRmT2_T3_mT4_T5_T6_T7_T8_P12ihipStream_tbENKUlT_T0_E_clISt17integral_constantIbLb0EESX_IbLb1EEEEDaST_SU_EUlST_E_NS1_11comp_targetILNS1_3genE9ELNS1_11target_archE1100ELNS1_3gpuE3ELNS1_3repE0EEENS1_30default_config_static_selectorELNS0_4arch9wavefront6targetE1EEEvT1_ ; -- Begin function _ZN7rocprim17ROCPRIM_400000_NS6detail17trampoline_kernelINS0_14default_configENS1_33run_length_encode_config_selectorIljNS0_4plusIjEEEEZZNS1_33reduce_by_key_impl_wrapped_configILNS1_25lookback_scan_determinismE0ES3_S7_PKlNS0_17constant_iteratorIjlEEPlSE_SE_S6_NS0_8equal_toIlEEEE10hipError_tPvRmT2_T3_mT4_T5_T6_T7_T8_P12ihipStream_tbENKUlT_T0_E_clISt17integral_constantIbLb0EESX_IbLb1EEEEDaST_SU_EUlST_E_NS1_11comp_targetILNS1_3genE9ELNS1_11target_archE1100ELNS1_3gpuE3ELNS1_3repE0EEENS1_30default_config_static_selectorELNS0_4arch9wavefront6targetE1EEEvT1_
	.globl	_ZN7rocprim17ROCPRIM_400000_NS6detail17trampoline_kernelINS0_14default_configENS1_33run_length_encode_config_selectorIljNS0_4plusIjEEEEZZNS1_33reduce_by_key_impl_wrapped_configILNS1_25lookback_scan_determinismE0ES3_S7_PKlNS0_17constant_iteratorIjlEEPlSE_SE_S6_NS0_8equal_toIlEEEE10hipError_tPvRmT2_T3_mT4_T5_T6_T7_T8_P12ihipStream_tbENKUlT_T0_E_clISt17integral_constantIbLb0EESX_IbLb1EEEEDaST_SU_EUlST_E_NS1_11comp_targetILNS1_3genE9ELNS1_11target_archE1100ELNS1_3gpuE3ELNS1_3repE0EEENS1_30default_config_static_selectorELNS0_4arch9wavefront6targetE1EEEvT1_
	.p2align	8
	.type	_ZN7rocprim17ROCPRIM_400000_NS6detail17trampoline_kernelINS0_14default_configENS1_33run_length_encode_config_selectorIljNS0_4plusIjEEEEZZNS1_33reduce_by_key_impl_wrapped_configILNS1_25lookback_scan_determinismE0ES3_S7_PKlNS0_17constant_iteratorIjlEEPlSE_SE_S6_NS0_8equal_toIlEEEE10hipError_tPvRmT2_T3_mT4_T5_T6_T7_T8_P12ihipStream_tbENKUlT_T0_E_clISt17integral_constantIbLb0EESX_IbLb1EEEEDaST_SU_EUlST_E_NS1_11comp_targetILNS1_3genE9ELNS1_11target_archE1100ELNS1_3gpuE3ELNS1_3repE0EEENS1_30default_config_static_selectorELNS0_4arch9wavefront6targetE1EEEvT1_,@function
_ZN7rocprim17ROCPRIM_400000_NS6detail17trampoline_kernelINS0_14default_configENS1_33run_length_encode_config_selectorIljNS0_4plusIjEEEEZZNS1_33reduce_by_key_impl_wrapped_configILNS1_25lookback_scan_determinismE0ES3_S7_PKlNS0_17constant_iteratorIjlEEPlSE_SE_S6_NS0_8equal_toIlEEEE10hipError_tPvRmT2_T3_mT4_T5_T6_T7_T8_P12ihipStream_tbENKUlT_T0_E_clISt17integral_constantIbLb0EESX_IbLb1EEEEDaST_SU_EUlST_E_NS1_11comp_targetILNS1_3genE9ELNS1_11target_archE1100ELNS1_3gpuE3ELNS1_3repE0EEENS1_30default_config_static_selectorELNS0_4arch9wavefront6targetE1EEEvT1_: ; @_ZN7rocprim17ROCPRIM_400000_NS6detail17trampoline_kernelINS0_14default_configENS1_33run_length_encode_config_selectorIljNS0_4plusIjEEEEZZNS1_33reduce_by_key_impl_wrapped_configILNS1_25lookback_scan_determinismE0ES3_S7_PKlNS0_17constant_iteratorIjlEEPlSE_SE_S6_NS0_8equal_toIlEEEE10hipError_tPvRmT2_T3_mT4_T5_T6_T7_T8_P12ihipStream_tbENKUlT_T0_E_clISt17integral_constantIbLb0EESX_IbLb1EEEEDaST_SU_EUlST_E_NS1_11comp_targetILNS1_3genE9ELNS1_11target_archE1100ELNS1_3gpuE3ELNS1_3repE0EEENS1_30default_config_static_selectorELNS0_4arch9wavefront6targetE1EEEvT1_
; %bb.0:
	.section	.rodata,"a",@progbits
	.p2align	6, 0x0
	.amdhsa_kernel _ZN7rocprim17ROCPRIM_400000_NS6detail17trampoline_kernelINS0_14default_configENS1_33run_length_encode_config_selectorIljNS0_4plusIjEEEEZZNS1_33reduce_by_key_impl_wrapped_configILNS1_25lookback_scan_determinismE0ES3_S7_PKlNS0_17constant_iteratorIjlEEPlSE_SE_S6_NS0_8equal_toIlEEEE10hipError_tPvRmT2_T3_mT4_T5_T6_T7_T8_P12ihipStream_tbENKUlT_T0_E_clISt17integral_constantIbLb0EESX_IbLb1EEEEDaST_SU_EUlST_E_NS1_11comp_targetILNS1_3genE9ELNS1_11target_archE1100ELNS1_3gpuE3ELNS1_3repE0EEENS1_30default_config_static_selectorELNS0_4arch9wavefront6targetE1EEEvT1_
		.amdhsa_group_segment_fixed_size 0
		.amdhsa_private_segment_fixed_size 0
		.amdhsa_kernarg_size 128
		.amdhsa_user_sgpr_count 2
		.amdhsa_user_sgpr_dispatch_ptr 0
		.amdhsa_user_sgpr_queue_ptr 0
		.amdhsa_user_sgpr_kernarg_segment_ptr 1
		.amdhsa_user_sgpr_dispatch_id 0
		.amdhsa_user_sgpr_kernarg_preload_length 0
		.amdhsa_user_sgpr_kernarg_preload_offset 0
		.amdhsa_user_sgpr_private_segment_size 0
		.amdhsa_uses_dynamic_stack 0
		.amdhsa_enable_private_segment 0
		.amdhsa_system_sgpr_workgroup_id_x 1
		.amdhsa_system_sgpr_workgroup_id_y 0
		.amdhsa_system_sgpr_workgroup_id_z 0
		.amdhsa_system_sgpr_workgroup_info 0
		.amdhsa_system_vgpr_workitem_id 0
		.amdhsa_next_free_vgpr 1
		.amdhsa_next_free_sgpr 0
		.amdhsa_accum_offset 4
		.amdhsa_reserve_vcc 0
		.amdhsa_float_round_mode_32 0
		.amdhsa_float_round_mode_16_64 0
		.amdhsa_float_denorm_mode_32 3
		.amdhsa_float_denorm_mode_16_64 3
		.amdhsa_dx10_clamp 1
		.amdhsa_ieee_mode 1
		.amdhsa_fp16_overflow 0
		.amdhsa_tg_split 0
		.amdhsa_exception_fp_ieee_invalid_op 0
		.amdhsa_exception_fp_denorm_src 0
		.amdhsa_exception_fp_ieee_div_zero 0
		.amdhsa_exception_fp_ieee_overflow 0
		.amdhsa_exception_fp_ieee_underflow 0
		.amdhsa_exception_fp_ieee_inexact 0
		.amdhsa_exception_int_div_zero 0
	.end_amdhsa_kernel
	.section	.text._ZN7rocprim17ROCPRIM_400000_NS6detail17trampoline_kernelINS0_14default_configENS1_33run_length_encode_config_selectorIljNS0_4plusIjEEEEZZNS1_33reduce_by_key_impl_wrapped_configILNS1_25lookback_scan_determinismE0ES3_S7_PKlNS0_17constant_iteratorIjlEEPlSE_SE_S6_NS0_8equal_toIlEEEE10hipError_tPvRmT2_T3_mT4_T5_T6_T7_T8_P12ihipStream_tbENKUlT_T0_E_clISt17integral_constantIbLb0EESX_IbLb1EEEEDaST_SU_EUlST_E_NS1_11comp_targetILNS1_3genE9ELNS1_11target_archE1100ELNS1_3gpuE3ELNS1_3repE0EEENS1_30default_config_static_selectorELNS0_4arch9wavefront6targetE1EEEvT1_,"axG",@progbits,_ZN7rocprim17ROCPRIM_400000_NS6detail17trampoline_kernelINS0_14default_configENS1_33run_length_encode_config_selectorIljNS0_4plusIjEEEEZZNS1_33reduce_by_key_impl_wrapped_configILNS1_25lookback_scan_determinismE0ES3_S7_PKlNS0_17constant_iteratorIjlEEPlSE_SE_S6_NS0_8equal_toIlEEEE10hipError_tPvRmT2_T3_mT4_T5_T6_T7_T8_P12ihipStream_tbENKUlT_T0_E_clISt17integral_constantIbLb0EESX_IbLb1EEEEDaST_SU_EUlST_E_NS1_11comp_targetILNS1_3genE9ELNS1_11target_archE1100ELNS1_3gpuE3ELNS1_3repE0EEENS1_30default_config_static_selectorELNS0_4arch9wavefront6targetE1EEEvT1_,comdat
.Lfunc_end545:
	.size	_ZN7rocprim17ROCPRIM_400000_NS6detail17trampoline_kernelINS0_14default_configENS1_33run_length_encode_config_selectorIljNS0_4plusIjEEEEZZNS1_33reduce_by_key_impl_wrapped_configILNS1_25lookback_scan_determinismE0ES3_S7_PKlNS0_17constant_iteratorIjlEEPlSE_SE_S6_NS0_8equal_toIlEEEE10hipError_tPvRmT2_T3_mT4_T5_T6_T7_T8_P12ihipStream_tbENKUlT_T0_E_clISt17integral_constantIbLb0EESX_IbLb1EEEEDaST_SU_EUlST_E_NS1_11comp_targetILNS1_3genE9ELNS1_11target_archE1100ELNS1_3gpuE3ELNS1_3repE0EEENS1_30default_config_static_selectorELNS0_4arch9wavefront6targetE1EEEvT1_, .Lfunc_end545-_ZN7rocprim17ROCPRIM_400000_NS6detail17trampoline_kernelINS0_14default_configENS1_33run_length_encode_config_selectorIljNS0_4plusIjEEEEZZNS1_33reduce_by_key_impl_wrapped_configILNS1_25lookback_scan_determinismE0ES3_S7_PKlNS0_17constant_iteratorIjlEEPlSE_SE_S6_NS0_8equal_toIlEEEE10hipError_tPvRmT2_T3_mT4_T5_T6_T7_T8_P12ihipStream_tbENKUlT_T0_E_clISt17integral_constantIbLb0EESX_IbLb1EEEEDaST_SU_EUlST_E_NS1_11comp_targetILNS1_3genE9ELNS1_11target_archE1100ELNS1_3gpuE3ELNS1_3repE0EEENS1_30default_config_static_selectorELNS0_4arch9wavefront6targetE1EEEvT1_
                                        ; -- End function
	.section	.AMDGPU.csdata,"",@progbits
; Kernel info:
; codeLenInByte = 0
; NumSgprs: 6
; NumVgprs: 0
; NumAgprs: 0
; TotalNumVgprs: 0
; ScratchSize: 0
; MemoryBound: 0
; FloatMode: 240
; IeeeMode: 1
; LDSByteSize: 0 bytes/workgroup (compile time only)
; SGPRBlocks: 0
; VGPRBlocks: 0
; NumSGPRsForWavesPerEU: 6
; NumVGPRsForWavesPerEU: 1
; AccumOffset: 4
; Occupancy: 8
; WaveLimiterHint : 0
; COMPUTE_PGM_RSRC2:SCRATCH_EN: 0
; COMPUTE_PGM_RSRC2:USER_SGPR: 2
; COMPUTE_PGM_RSRC2:TRAP_HANDLER: 0
; COMPUTE_PGM_RSRC2:TGID_X_EN: 1
; COMPUTE_PGM_RSRC2:TGID_Y_EN: 0
; COMPUTE_PGM_RSRC2:TGID_Z_EN: 0
; COMPUTE_PGM_RSRC2:TIDIG_COMP_CNT: 0
; COMPUTE_PGM_RSRC3_GFX90A:ACCUM_OFFSET: 0
; COMPUTE_PGM_RSRC3_GFX90A:TG_SPLIT: 0
	.section	.text._ZN7rocprim17ROCPRIM_400000_NS6detail17trampoline_kernelINS0_14default_configENS1_33run_length_encode_config_selectorIljNS0_4plusIjEEEEZZNS1_33reduce_by_key_impl_wrapped_configILNS1_25lookback_scan_determinismE0ES3_S7_PKlNS0_17constant_iteratorIjlEEPlSE_SE_S6_NS0_8equal_toIlEEEE10hipError_tPvRmT2_T3_mT4_T5_T6_T7_T8_P12ihipStream_tbENKUlT_T0_E_clISt17integral_constantIbLb0EESX_IbLb1EEEEDaST_SU_EUlST_E_NS1_11comp_targetILNS1_3genE8ELNS1_11target_archE1030ELNS1_3gpuE2ELNS1_3repE0EEENS1_30default_config_static_selectorELNS0_4arch9wavefront6targetE1EEEvT1_,"axG",@progbits,_ZN7rocprim17ROCPRIM_400000_NS6detail17trampoline_kernelINS0_14default_configENS1_33run_length_encode_config_selectorIljNS0_4plusIjEEEEZZNS1_33reduce_by_key_impl_wrapped_configILNS1_25lookback_scan_determinismE0ES3_S7_PKlNS0_17constant_iteratorIjlEEPlSE_SE_S6_NS0_8equal_toIlEEEE10hipError_tPvRmT2_T3_mT4_T5_T6_T7_T8_P12ihipStream_tbENKUlT_T0_E_clISt17integral_constantIbLb0EESX_IbLb1EEEEDaST_SU_EUlST_E_NS1_11comp_targetILNS1_3genE8ELNS1_11target_archE1030ELNS1_3gpuE2ELNS1_3repE0EEENS1_30default_config_static_selectorELNS0_4arch9wavefront6targetE1EEEvT1_,comdat
	.protected	_ZN7rocprim17ROCPRIM_400000_NS6detail17trampoline_kernelINS0_14default_configENS1_33run_length_encode_config_selectorIljNS0_4plusIjEEEEZZNS1_33reduce_by_key_impl_wrapped_configILNS1_25lookback_scan_determinismE0ES3_S7_PKlNS0_17constant_iteratorIjlEEPlSE_SE_S6_NS0_8equal_toIlEEEE10hipError_tPvRmT2_T3_mT4_T5_T6_T7_T8_P12ihipStream_tbENKUlT_T0_E_clISt17integral_constantIbLb0EESX_IbLb1EEEEDaST_SU_EUlST_E_NS1_11comp_targetILNS1_3genE8ELNS1_11target_archE1030ELNS1_3gpuE2ELNS1_3repE0EEENS1_30default_config_static_selectorELNS0_4arch9wavefront6targetE1EEEvT1_ ; -- Begin function _ZN7rocprim17ROCPRIM_400000_NS6detail17trampoline_kernelINS0_14default_configENS1_33run_length_encode_config_selectorIljNS0_4plusIjEEEEZZNS1_33reduce_by_key_impl_wrapped_configILNS1_25lookback_scan_determinismE0ES3_S7_PKlNS0_17constant_iteratorIjlEEPlSE_SE_S6_NS0_8equal_toIlEEEE10hipError_tPvRmT2_T3_mT4_T5_T6_T7_T8_P12ihipStream_tbENKUlT_T0_E_clISt17integral_constantIbLb0EESX_IbLb1EEEEDaST_SU_EUlST_E_NS1_11comp_targetILNS1_3genE8ELNS1_11target_archE1030ELNS1_3gpuE2ELNS1_3repE0EEENS1_30default_config_static_selectorELNS0_4arch9wavefront6targetE1EEEvT1_
	.globl	_ZN7rocprim17ROCPRIM_400000_NS6detail17trampoline_kernelINS0_14default_configENS1_33run_length_encode_config_selectorIljNS0_4plusIjEEEEZZNS1_33reduce_by_key_impl_wrapped_configILNS1_25lookback_scan_determinismE0ES3_S7_PKlNS0_17constant_iteratorIjlEEPlSE_SE_S6_NS0_8equal_toIlEEEE10hipError_tPvRmT2_T3_mT4_T5_T6_T7_T8_P12ihipStream_tbENKUlT_T0_E_clISt17integral_constantIbLb0EESX_IbLb1EEEEDaST_SU_EUlST_E_NS1_11comp_targetILNS1_3genE8ELNS1_11target_archE1030ELNS1_3gpuE2ELNS1_3repE0EEENS1_30default_config_static_selectorELNS0_4arch9wavefront6targetE1EEEvT1_
	.p2align	8
	.type	_ZN7rocprim17ROCPRIM_400000_NS6detail17trampoline_kernelINS0_14default_configENS1_33run_length_encode_config_selectorIljNS0_4plusIjEEEEZZNS1_33reduce_by_key_impl_wrapped_configILNS1_25lookback_scan_determinismE0ES3_S7_PKlNS0_17constant_iteratorIjlEEPlSE_SE_S6_NS0_8equal_toIlEEEE10hipError_tPvRmT2_T3_mT4_T5_T6_T7_T8_P12ihipStream_tbENKUlT_T0_E_clISt17integral_constantIbLb0EESX_IbLb1EEEEDaST_SU_EUlST_E_NS1_11comp_targetILNS1_3genE8ELNS1_11target_archE1030ELNS1_3gpuE2ELNS1_3repE0EEENS1_30default_config_static_selectorELNS0_4arch9wavefront6targetE1EEEvT1_,@function
_ZN7rocprim17ROCPRIM_400000_NS6detail17trampoline_kernelINS0_14default_configENS1_33run_length_encode_config_selectorIljNS0_4plusIjEEEEZZNS1_33reduce_by_key_impl_wrapped_configILNS1_25lookback_scan_determinismE0ES3_S7_PKlNS0_17constant_iteratorIjlEEPlSE_SE_S6_NS0_8equal_toIlEEEE10hipError_tPvRmT2_T3_mT4_T5_T6_T7_T8_P12ihipStream_tbENKUlT_T0_E_clISt17integral_constantIbLb0EESX_IbLb1EEEEDaST_SU_EUlST_E_NS1_11comp_targetILNS1_3genE8ELNS1_11target_archE1030ELNS1_3gpuE2ELNS1_3repE0EEENS1_30default_config_static_selectorELNS0_4arch9wavefront6targetE1EEEvT1_: ; @_ZN7rocprim17ROCPRIM_400000_NS6detail17trampoline_kernelINS0_14default_configENS1_33run_length_encode_config_selectorIljNS0_4plusIjEEEEZZNS1_33reduce_by_key_impl_wrapped_configILNS1_25lookback_scan_determinismE0ES3_S7_PKlNS0_17constant_iteratorIjlEEPlSE_SE_S6_NS0_8equal_toIlEEEE10hipError_tPvRmT2_T3_mT4_T5_T6_T7_T8_P12ihipStream_tbENKUlT_T0_E_clISt17integral_constantIbLb0EESX_IbLb1EEEEDaST_SU_EUlST_E_NS1_11comp_targetILNS1_3genE8ELNS1_11target_archE1030ELNS1_3gpuE2ELNS1_3repE0EEENS1_30default_config_static_selectorELNS0_4arch9wavefront6targetE1EEEvT1_
; %bb.0:
	.section	.rodata,"a",@progbits
	.p2align	6, 0x0
	.amdhsa_kernel _ZN7rocprim17ROCPRIM_400000_NS6detail17trampoline_kernelINS0_14default_configENS1_33run_length_encode_config_selectorIljNS0_4plusIjEEEEZZNS1_33reduce_by_key_impl_wrapped_configILNS1_25lookback_scan_determinismE0ES3_S7_PKlNS0_17constant_iteratorIjlEEPlSE_SE_S6_NS0_8equal_toIlEEEE10hipError_tPvRmT2_T3_mT4_T5_T6_T7_T8_P12ihipStream_tbENKUlT_T0_E_clISt17integral_constantIbLb0EESX_IbLb1EEEEDaST_SU_EUlST_E_NS1_11comp_targetILNS1_3genE8ELNS1_11target_archE1030ELNS1_3gpuE2ELNS1_3repE0EEENS1_30default_config_static_selectorELNS0_4arch9wavefront6targetE1EEEvT1_
		.amdhsa_group_segment_fixed_size 0
		.amdhsa_private_segment_fixed_size 0
		.amdhsa_kernarg_size 128
		.amdhsa_user_sgpr_count 2
		.amdhsa_user_sgpr_dispatch_ptr 0
		.amdhsa_user_sgpr_queue_ptr 0
		.amdhsa_user_sgpr_kernarg_segment_ptr 1
		.amdhsa_user_sgpr_dispatch_id 0
		.amdhsa_user_sgpr_kernarg_preload_length 0
		.amdhsa_user_sgpr_kernarg_preload_offset 0
		.amdhsa_user_sgpr_private_segment_size 0
		.amdhsa_uses_dynamic_stack 0
		.amdhsa_enable_private_segment 0
		.amdhsa_system_sgpr_workgroup_id_x 1
		.amdhsa_system_sgpr_workgroup_id_y 0
		.amdhsa_system_sgpr_workgroup_id_z 0
		.amdhsa_system_sgpr_workgroup_info 0
		.amdhsa_system_vgpr_workitem_id 0
		.amdhsa_next_free_vgpr 1
		.amdhsa_next_free_sgpr 0
		.amdhsa_accum_offset 4
		.amdhsa_reserve_vcc 0
		.amdhsa_float_round_mode_32 0
		.amdhsa_float_round_mode_16_64 0
		.amdhsa_float_denorm_mode_32 3
		.amdhsa_float_denorm_mode_16_64 3
		.amdhsa_dx10_clamp 1
		.amdhsa_ieee_mode 1
		.amdhsa_fp16_overflow 0
		.amdhsa_tg_split 0
		.amdhsa_exception_fp_ieee_invalid_op 0
		.amdhsa_exception_fp_denorm_src 0
		.amdhsa_exception_fp_ieee_div_zero 0
		.amdhsa_exception_fp_ieee_overflow 0
		.amdhsa_exception_fp_ieee_underflow 0
		.amdhsa_exception_fp_ieee_inexact 0
		.amdhsa_exception_int_div_zero 0
	.end_amdhsa_kernel
	.section	.text._ZN7rocprim17ROCPRIM_400000_NS6detail17trampoline_kernelINS0_14default_configENS1_33run_length_encode_config_selectorIljNS0_4plusIjEEEEZZNS1_33reduce_by_key_impl_wrapped_configILNS1_25lookback_scan_determinismE0ES3_S7_PKlNS0_17constant_iteratorIjlEEPlSE_SE_S6_NS0_8equal_toIlEEEE10hipError_tPvRmT2_T3_mT4_T5_T6_T7_T8_P12ihipStream_tbENKUlT_T0_E_clISt17integral_constantIbLb0EESX_IbLb1EEEEDaST_SU_EUlST_E_NS1_11comp_targetILNS1_3genE8ELNS1_11target_archE1030ELNS1_3gpuE2ELNS1_3repE0EEENS1_30default_config_static_selectorELNS0_4arch9wavefront6targetE1EEEvT1_,"axG",@progbits,_ZN7rocprim17ROCPRIM_400000_NS6detail17trampoline_kernelINS0_14default_configENS1_33run_length_encode_config_selectorIljNS0_4plusIjEEEEZZNS1_33reduce_by_key_impl_wrapped_configILNS1_25lookback_scan_determinismE0ES3_S7_PKlNS0_17constant_iteratorIjlEEPlSE_SE_S6_NS0_8equal_toIlEEEE10hipError_tPvRmT2_T3_mT4_T5_T6_T7_T8_P12ihipStream_tbENKUlT_T0_E_clISt17integral_constantIbLb0EESX_IbLb1EEEEDaST_SU_EUlST_E_NS1_11comp_targetILNS1_3genE8ELNS1_11target_archE1030ELNS1_3gpuE2ELNS1_3repE0EEENS1_30default_config_static_selectorELNS0_4arch9wavefront6targetE1EEEvT1_,comdat
.Lfunc_end546:
	.size	_ZN7rocprim17ROCPRIM_400000_NS6detail17trampoline_kernelINS0_14default_configENS1_33run_length_encode_config_selectorIljNS0_4plusIjEEEEZZNS1_33reduce_by_key_impl_wrapped_configILNS1_25lookback_scan_determinismE0ES3_S7_PKlNS0_17constant_iteratorIjlEEPlSE_SE_S6_NS0_8equal_toIlEEEE10hipError_tPvRmT2_T3_mT4_T5_T6_T7_T8_P12ihipStream_tbENKUlT_T0_E_clISt17integral_constantIbLb0EESX_IbLb1EEEEDaST_SU_EUlST_E_NS1_11comp_targetILNS1_3genE8ELNS1_11target_archE1030ELNS1_3gpuE2ELNS1_3repE0EEENS1_30default_config_static_selectorELNS0_4arch9wavefront6targetE1EEEvT1_, .Lfunc_end546-_ZN7rocprim17ROCPRIM_400000_NS6detail17trampoline_kernelINS0_14default_configENS1_33run_length_encode_config_selectorIljNS0_4plusIjEEEEZZNS1_33reduce_by_key_impl_wrapped_configILNS1_25lookback_scan_determinismE0ES3_S7_PKlNS0_17constant_iteratorIjlEEPlSE_SE_S6_NS0_8equal_toIlEEEE10hipError_tPvRmT2_T3_mT4_T5_T6_T7_T8_P12ihipStream_tbENKUlT_T0_E_clISt17integral_constantIbLb0EESX_IbLb1EEEEDaST_SU_EUlST_E_NS1_11comp_targetILNS1_3genE8ELNS1_11target_archE1030ELNS1_3gpuE2ELNS1_3repE0EEENS1_30default_config_static_selectorELNS0_4arch9wavefront6targetE1EEEvT1_
                                        ; -- End function
	.section	.AMDGPU.csdata,"",@progbits
; Kernel info:
; codeLenInByte = 0
; NumSgprs: 6
; NumVgprs: 0
; NumAgprs: 0
; TotalNumVgprs: 0
; ScratchSize: 0
; MemoryBound: 0
; FloatMode: 240
; IeeeMode: 1
; LDSByteSize: 0 bytes/workgroup (compile time only)
; SGPRBlocks: 0
; VGPRBlocks: 0
; NumSGPRsForWavesPerEU: 6
; NumVGPRsForWavesPerEU: 1
; AccumOffset: 4
; Occupancy: 8
; WaveLimiterHint : 0
; COMPUTE_PGM_RSRC2:SCRATCH_EN: 0
; COMPUTE_PGM_RSRC2:USER_SGPR: 2
; COMPUTE_PGM_RSRC2:TRAP_HANDLER: 0
; COMPUTE_PGM_RSRC2:TGID_X_EN: 1
; COMPUTE_PGM_RSRC2:TGID_Y_EN: 0
; COMPUTE_PGM_RSRC2:TGID_Z_EN: 0
; COMPUTE_PGM_RSRC2:TIDIG_COMP_CNT: 0
; COMPUTE_PGM_RSRC3_GFX90A:ACCUM_OFFSET: 0
; COMPUTE_PGM_RSRC3_GFX90A:TG_SPLIT: 0
	.section	.text._ZN2at6native8internal12_GLOBAL__N_126adjacent_difference_kernelIPKsEEvlT_Pi,"axG",@progbits,_ZN2at6native8internal12_GLOBAL__N_126adjacent_difference_kernelIPKsEEvlT_Pi,comdat
	.globl	_ZN2at6native8internal12_GLOBAL__N_126adjacent_difference_kernelIPKsEEvlT_Pi ; -- Begin function _ZN2at6native8internal12_GLOBAL__N_126adjacent_difference_kernelIPKsEEvlT_Pi
	.p2align	8
	.type	_ZN2at6native8internal12_GLOBAL__N_126adjacent_difference_kernelIPKsEEvlT_Pi,@function
_ZN2at6native8internal12_GLOBAL__N_126adjacent_difference_kernelIPKsEEvlT_Pi: ; @_ZN2at6native8internal12_GLOBAL__N_126adjacent_difference_kernelIPKsEEvlT_Pi
; %bb.0:
	s_load_dword s3, s[0:1], 0x24
	s_load_dwordx4 s[4:7], s[0:1], 0x0
	s_add_u32 s10, s0, 24
	s_addc_u32 s11, s1, 0
	v_mov_b32_e32 v1, 0
	s_waitcnt lgkmcnt(0)
	s_and_b32 s12, s3, 0xffff
	v_mov_b32_e32 v2, s2
	v_mad_u64_u32 v[4:5], s[8:9], s12, v2, v[0:1]
	v_cmp_gt_i64_e32 vcc, s[4:5], v[4:5]
	s_and_saveexec_b64 s[8:9], vcc
	s_cbranch_execz .LBB547_5
; %bb.1:
	s_load_dword s13, s[10:11], 0x0
	s_load_dwordx2 s[8:9], s[0:1], 0x10
	s_mul_hi_u32 s1, s12, s2
	s_mul_i32 s0, s12, s2
	s_mov_b32 s3, 0
	s_waitcnt lgkmcnt(0)
	s_mul_i32 s2, s13, s12
	v_mov_b32_e32 v2, v1
	v_mov_b32_e32 v3, v4
	s_mov_b32 s10, s3
	s_mov_b32 s11, s2
	s_mov_b64 s[12:13], 0
	v_mov_b64_e32 v[4:5], v[0:1]
	s_branch .LBB547_3
.LBB547_2:                              ;   in Loop: Header=BB547_3 Depth=1
	s_or_b64 exec, exec, s[14:15]
	v_ashrrev_i64 v[6:7], 30, v[2:3]
	v_lshl_add_u64 v[6:7], s[8:9], 0, v[6:7]
	v_lshl_add_u64 v[4:5], v[4:5], 0, s[2:3]
	global_store_dword v[6:7], v0, off
	v_lshl_add_u64 v[6:7], s[0:1], 0, v[4:5]
	v_cmp_le_i64_e32 vcc, s[4:5], v[6:7]
	s_or_b64 s[12:13], vcc, s[12:13]
	v_lshl_add_u64 v[2:3], v[2:3], 0, s[10:11]
	s_andn2_b64 exec, exec, s[12:13]
	s_cbranch_execz .LBB547_5
.LBB547_3:                              ; =>This Inner Loop Header: Depth=1
	v_add_u32_e32 v0, s0, v4
	v_cmp_lt_i32_e32 vcc, 0, v0
	v_mov_b32_e32 v0, 0
	s_and_saveexec_b64 s[14:15], vcc
	s_cbranch_execz .LBB547_2
; %bb.4:                                ;   in Loop: Header=BB547_3 Depth=1
	v_add_u32_e32 v0, s0, v4
	v_lshlrev_b32_e32 v8, 1, v0
	v_add_u32_e32 v0, -1, v0
	v_lshl_add_u64 v[6:7], v[0:1], 1, s[6:7]
	global_load_ushort v0, v8, s[6:7]
	global_load_ushort v9, v[6:7], off
	s_waitcnt vmcnt(0)
	v_cmp_ne_u16_e32 vcc, v0, v9
	s_nop 1
	v_cndmask_b32_e64 v0, 0, 1, vcc
	s_branch .LBB547_2
.LBB547_5:
	s_endpgm
	.section	.rodata,"a",@progbits
	.p2align	6, 0x0
	.amdhsa_kernel _ZN2at6native8internal12_GLOBAL__N_126adjacent_difference_kernelIPKsEEvlT_Pi
		.amdhsa_group_segment_fixed_size 0
		.amdhsa_private_segment_fixed_size 0
		.amdhsa_kernarg_size 280
		.amdhsa_user_sgpr_count 2
		.amdhsa_user_sgpr_dispatch_ptr 0
		.amdhsa_user_sgpr_queue_ptr 0
		.amdhsa_user_sgpr_kernarg_segment_ptr 1
		.amdhsa_user_sgpr_dispatch_id 0
		.amdhsa_user_sgpr_kernarg_preload_length 0
		.amdhsa_user_sgpr_kernarg_preload_offset 0
		.amdhsa_user_sgpr_private_segment_size 0
		.amdhsa_uses_dynamic_stack 0
		.amdhsa_enable_private_segment 0
		.amdhsa_system_sgpr_workgroup_id_x 1
		.amdhsa_system_sgpr_workgroup_id_y 0
		.amdhsa_system_sgpr_workgroup_id_z 0
		.amdhsa_system_sgpr_workgroup_info 0
		.amdhsa_system_vgpr_workitem_id 0
		.amdhsa_next_free_vgpr 10
		.amdhsa_next_free_sgpr 16
		.amdhsa_accum_offset 12
		.amdhsa_reserve_vcc 1
		.amdhsa_float_round_mode_32 0
		.amdhsa_float_round_mode_16_64 0
		.amdhsa_float_denorm_mode_32 3
		.amdhsa_float_denorm_mode_16_64 3
		.amdhsa_dx10_clamp 1
		.amdhsa_ieee_mode 1
		.amdhsa_fp16_overflow 0
		.amdhsa_tg_split 0
		.amdhsa_exception_fp_ieee_invalid_op 0
		.amdhsa_exception_fp_denorm_src 0
		.amdhsa_exception_fp_ieee_div_zero 0
		.amdhsa_exception_fp_ieee_overflow 0
		.amdhsa_exception_fp_ieee_underflow 0
		.amdhsa_exception_fp_ieee_inexact 0
		.amdhsa_exception_int_div_zero 0
	.end_amdhsa_kernel
	.section	.text._ZN2at6native8internal12_GLOBAL__N_126adjacent_difference_kernelIPKsEEvlT_Pi,"axG",@progbits,_ZN2at6native8internal12_GLOBAL__N_126adjacent_difference_kernelIPKsEEvlT_Pi,comdat
.Lfunc_end547:
	.size	_ZN2at6native8internal12_GLOBAL__N_126adjacent_difference_kernelIPKsEEvlT_Pi, .Lfunc_end547-_ZN2at6native8internal12_GLOBAL__N_126adjacent_difference_kernelIPKsEEvlT_Pi
                                        ; -- End function
	.section	.AMDGPU.csdata,"",@progbits
; Kernel info:
; codeLenInByte = 280
; NumSgprs: 22
; NumVgprs: 10
; NumAgprs: 0
; TotalNumVgprs: 10
; ScratchSize: 0
; MemoryBound: 0
; FloatMode: 240
; IeeeMode: 1
; LDSByteSize: 0 bytes/workgroup (compile time only)
; SGPRBlocks: 2
; VGPRBlocks: 1
; NumSGPRsForWavesPerEU: 22
; NumVGPRsForWavesPerEU: 10
; AccumOffset: 12
; Occupancy: 8
; WaveLimiterHint : 0
; COMPUTE_PGM_RSRC2:SCRATCH_EN: 0
; COMPUTE_PGM_RSRC2:USER_SGPR: 2
; COMPUTE_PGM_RSRC2:TRAP_HANDLER: 0
; COMPUTE_PGM_RSRC2:TGID_X_EN: 1
; COMPUTE_PGM_RSRC2:TGID_Y_EN: 0
; COMPUTE_PGM_RSRC2:TGID_Z_EN: 0
; COMPUTE_PGM_RSRC2:TIDIG_COMP_CNT: 0
; COMPUTE_PGM_RSRC3_GFX90A:ACCUM_OFFSET: 2
; COMPUTE_PGM_RSRC3_GFX90A:TG_SPLIT: 0
	.section	.text._ZN7rocprim17ROCPRIM_400000_NS6detail17trampoline_kernelINS0_14default_configENS1_25partition_config_selectorILNS1_17partition_subalgoE8EsNS0_10empty_typeEbEEZZNS1_14partition_implILS5_8ELb0ES3_jPKsPS6_PKS6_NS0_5tupleIJPsS6_EEENSE_IJSB_SB_EEENS0_18inequality_wrapperIN6hipcub16HIPCUB_304000_NS8EqualityEEEPlJS6_EEE10hipError_tPvRmT3_T4_T5_T6_T7_T9_mT8_P12ihipStream_tbDpT10_ENKUlT_T0_E_clISt17integral_constantIbLb0EES17_EEDaS12_S13_EUlS12_E_NS1_11comp_targetILNS1_3genE0ELNS1_11target_archE4294967295ELNS1_3gpuE0ELNS1_3repE0EEENS1_30default_config_static_selectorELNS0_4arch9wavefront6targetE1EEEvT1_,"axG",@progbits,_ZN7rocprim17ROCPRIM_400000_NS6detail17trampoline_kernelINS0_14default_configENS1_25partition_config_selectorILNS1_17partition_subalgoE8EsNS0_10empty_typeEbEEZZNS1_14partition_implILS5_8ELb0ES3_jPKsPS6_PKS6_NS0_5tupleIJPsS6_EEENSE_IJSB_SB_EEENS0_18inequality_wrapperIN6hipcub16HIPCUB_304000_NS8EqualityEEEPlJS6_EEE10hipError_tPvRmT3_T4_T5_T6_T7_T9_mT8_P12ihipStream_tbDpT10_ENKUlT_T0_E_clISt17integral_constantIbLb0EES17_EEDaS12_S13_EUlS12_E_NS1_11comp_targetILNS1_3genE0ELNS1_11target_archE4294967295ELNS1_3gpuE0ELNS1_3repE0EEENS1_30default_config_static_selectorELNS0_4arch9wavefront6targetE1EEEvT1_,comdat
	.protected	_ZN7rocprim17ROCPRIM_400000_NS6detail17trampoline_kernelINS0_14default_configENS1_25partition_config_selectorILNS1_17partition_subalgoE8EsNS0_10empty_typeEbEEZZNS1_14partition_implILS5_8ELb0ES3_jPKsPS6_PKS6_NS0_5tupleIJPsS6_EEENSE_IJSB_SB_EEENS0_18inequality_wrapperIN6hipcub16HIPCUB_304000_NS8EqualityEEEPlJS6_EEE10hipError_tPvRmT3_T4_T5_T6_T7_T9_mT8_P12ihipStream_tbDpT10_ENKUlT_T0_E_clISt17integral_constantIbLb0EES17_EEDaS12_S13_EUlS12_E_NS1_11comp_targetILNS1_3genE0ELNS1_11target_archE4294967295ELNS1_3gpuE0ELNS1_3repE0EEENS1_30default_config_static_selectorELNS0_4arch9wavefront6targetE1EEEvT1_ ; -- Begin function _ZN7rocprim17ROCPRIM_400000_NS6detail17trampoline_kernelINS0_14default_configENS1_25partition_config_selectorILNS1_17partition_subalgoE8EsNS0_10empty_typeEbEEZZNS1_14partition_implILS5_8ELb0ES3_jPKsPS6_PKS6_NS0_5tupleIJPsS6_EEENSE_IJSB_SB_EEENS0_18inequality_wrapperIN6hipcub16HIPCUB_304000_NS8EqualityEEEPlJS6_EEE10hipError_tPvRmT3_T4_T5_T6_T7_T9_mT8_P12ihipStream_tbDpT10_ENKUlT_T0_E_clISt17integral_constantIbLb0EES17_EEDaS12_S13_EUlS12_E_NS1_11comp_targetILNS1_3genE0ELNS1_11target_archE4294967295ELNS1_3gpuE0ELNS1_3repE0EEENS1_30default_config_static_selectorELNS0_4arch9wavefront6targetE1EEEvT1_
	.globl	_ZN7rocprim17ROCPRIM_400000_NS6detail17trampoline_kernelINS0_14default_configENS1_25partition_config_selectorILNS1_17partition_subalgoE8EsNS0_10empty_typeEbEEZZNS1_14partition_implILS5_8ELb0ES3_jPKsPS6_PKS6_NS0_5tupleIJPsS6_EEENSE_IJSB_SB_EEENS0_18inequality_wrapperIN6hipcub16HIPCUB_304000_NS8EqualityEEEPlJS6_EEE10hipError_tPvRmT3_T4_T5_T6_T7_T9_mT8_P12ihipStream_tbDpT10_ENKUlT_T0_E_clISt17integral_constantIbLb0EES17_EEDaS12_S13_EUlS12_E_NS1_11comp_targetILNS1_3genE0ELNS1_11target_archE4294967295ELNS1_3gpuE0ELNS1_3repE0EEENS1_30default_config_static_selectorELNS0_4arch9wavefront6targetE1EEEvT1_
	.p2align	8
	.type	_ZN7rocprim17ROCPRIM_400000_NS6detail17trampoline_kernelINS0_14default_configENS1_25partition_config_selectorILNS1_17partition_subalgoE8EsNS0_10empty_typeEbEEZZNS1_14partition_implILS5_8ELb0ES3_jPKsPS6_PKS6_NS0_5tupleIJPsS6_EEENSE_IJSB_SB_EEENS0_18inequality_wrapperIN6hipcub16HIPCUB_304000_NS8EqualityEEEPlJS6_EEE10hipError_tPvRmT3_T4_T5_T6_T7_T9_mT8_P12ihipStream_tbDpT10_ENKUlT_T0_E_clISt17integral_constantIbLb0EES17_EEDaS12_S13_EUlS12_E_NS1_11comp_targetILNS1_3genE0ELNS1_11target_archE4294967295ELNS1_3gpuE0ELNS1_3repE0EEENS1_30default_config_static_selectorELNS0_4arch9wavefront6targetE1EEEvT1_,@function
_ZN7rocprim17ROCPRIM_400000_NS6detail17trampoline_kernelINS0_14default_configENS1_25partition_config_selectorILNS1_17partition_subalgoE8EsNS0_10empty_typeEbEEZZNS1_14partition_implILS5_8ELb0ES3_jPKsPS6_PKS6_NS0_5tupleIJPsS6_EEENSE_IJSB_SB_EEENS0_18inequality_wrapperIN6hipcub16HIPCUB_304000_NS8EqualityEEEPlJS6_EEE10hipError_tPvRmT3_T4_T5_T6_T7_T9_mT8_P12ihipStream_tbDpT10_ENKUlT_T0_E_clISt17integral_constantIbLb0EES17_EEDaS12_S13_EUlS12_E_NS1_11comp_targetILNS1_3genE0ELNS1_11target_archE4294967295ELNS1_3gpuE0ELNS1_3repE0EEENS1_30default_config_static_selectorELNS0_4arch9wavefront6targetE1EEEvT1_: ; @_ZN7rocprim17ROCPRIM_400000_NS6detail17trampoline_kernelINS0_14default_configENS1_25partition_config_selectorILNS1_17partition_subalgoE8EsNS0_10empty_typeEbEEZZNS1_14partition_implILS5_8ELb0ES3_jPKsPS6_PKS6_NS0_5tupleIJPsS6_EEENSE_IJSB_SB_EEENS0_18inequality_wrapperIN6hipcub16HIPCUB_304000_NS8EqualityEEEPlJS6_EEE10hipError_tPvRmT3_T4_T5_T6_T7_T9_mT8_P12ihipStream_tbDpT10_ENKUlT_T0_E_clISt17integral_constantIbLb0EES17_EEDaS12_S13_EUlS12_E_NS1_11comp_targetILNS1_3genE0ELNS1_11target_archE4294967295ELNS1_3gpuE0ELNS1_3repE0EEENS1_30default_config_static_selectorELNS0_4arch9wavefront6targetE1EEEvT1_
; %bb.0:
	.section	.rodata,"a",@progbits
	.p2align	6, 0x0
	.amdhsa_kernel _ZN7rocprim17ROCPRIM_400000_NS6detail17trampoline_kernelINS0_14default_configENS1_25partition_config_selectorILNS1_17partition_subalgoE8EsNS0_10empty_typeEbEEZZNS1_14partition_implILS5_8ELb0ES3_jPKsPS6_PKS6_NS0_5tupleIJPsS6_EEENSE_IJSB_SB_EEENS0_18inequality_wrapperIN6hipcub16HIPCUB_304000_NS8EqualityEEEPlJS6_EEE10hipError_tPvRmT3_T4_T5_T6_T7_T9_mT8_P12ihipStream_tbDpT10_ENKUlT_T0_E_clISt17integral_constantIbLb0EES17_EEDaS12_S13_EUlS12_E_NS1_11comp_targetILNS1_3genE0ELNS1_11target_archE4294967295ELNS1_3gpuE0ELNS1_3repE0EEENS1_30default_config_static_selectorELNS0_4arch9wavefront6targetE1EEEvT1_
		.amdhsa_group_segment_fixed_size 0
		.amdhsa_private_segment_fixed_size 0
		.amdhsa_kernarg_size 112
		.amdhsa_user_sgpr_count 2
		.amdhsa_user_sgpr_dispatch_ptr 0
		.amdhsa_user_sgpr_queue_ptr 0
		.amdhsa_user_sgpr_kernarg_segment_ptr 1
		.amdhsa_user_sgpr_dispatch_id 0
		.amdhsa_user_sgpr_kernarg_preload_length 0
		.amdhsa_user_sgpr_kernarg_preload_offset 0
		.amdhsa_user_sgpr_private_segment_size 0
		.amdhsa_uses_dynamic_stack 0
		.amdhsa_enable_private_segment 0
		.amdhsa_system_sgpr_workgroup_id_x 1
		.amdhsa_system_sgpr_workgroup_id_y 0
		.amdhsa_system_sgpr_workgroup_id_z 0
		.amdhsa_system_sgpr_workgroup_info 0
		.amdhsa_system_vgpr_workitem_id 0
		.amdhsa_next_free_vgpr 1
		.amdhsa_next_free_sgpr 0
		.amdhsa_accum_offset 4
		.amdhsa_reserve_vcc 0
		.amdhsa_float_round_mode_32 0
		.amdhsa_float_round_mode_16_64 0
		.amdhsa_float_denorm_mode_32 3
		.amdhsa_float_denorm_mode_16_64 3
		.amdhsa_dx10_clamp 1
		.amdhsa_ieee_mode 1
		.amdhsa_fp16_overflow 0
		.amdhsa_tg_split 0
		.amdhsa_exception_fp_ieee_invalid_op 0
		.amdhsa_exception_fp_denorm_src 0
		.amdhsa_exception_fp_ieee_div_zero 0
		.amdhsa_exception_fp_ieee_overflow 0
		.amdhsa_exception_fp_ieee_underflow 0
		.amdhsa_exception_fp_ieee_inexact 0
		.amdhsa_exception_int_div_zero 0
	.end_amdhsa_kernel
	.section	.text._ZN7rocprim17ROCPRIM_400000_NS6detail17trampoline_kernelINS0_14default_configENS1_25partition_config_selectorILNS1_17partition_subalgoE8EsNS0_10empty_typeEbEEZZNS1_14partition_implILS5_8ELb0ES3_jPKsPS6_PKS6_NS0_5tupleIJPsS6_EEENSE_IJSB_SB_EEENS0_18inequality_wrapperIN6hipcub16HIPCUB_304000_NS8EqualityEEEPlJS6_EEE10hipError_tPvRmT3_T4_T5_T6_T7_T9_mT8_P12ihipStream_tbDpT10_ENKUlT_T0_E_clISt17integral_constantIbLb0EES17_EEDaS12_S13_EUlS12_E_NS1_11comp_targetILNS1_3genE0ELNS1_11target_archE4294967295ELNS1_3gpuE0ELNS1_3repE0EEENS1_30default_config_static_selectorELNS0_4arch9wavefront6targetE1EEEvT1_,"axG",@progbits,_ZN7rocprim17ROCPRIM_400000_NS6detail17trampoline_kernelINS0_14default_configENS1_25partition_config_selectorILNS1_17partition_subalgoE8EsNS0_10empty_typeEbEEZZNS1_14partition_implILS5_8ELb0ES3_jPKsPS6_PKS6_NS0_5tupleIJPsS6_EEENSE_IJSB_SB_EEENS0_18inequality_wrapperIN6hipcub16HIPCUB_304000_NS8EqualityEEEPlJS6_EEE10hipError_tPvRmT3_T4_T5_T6_T7_T9_mT8_P12ihipStream_tbDpT10_ENKUlT_T0_E_clISt17integral_constantIbLb0EES17_EEDaS12_S13_EUlS12_E_NS1_11comp_targetILNS1_3genE0ELNS1_11target_archE4294967295ELNS1_3gpuE0ELNS1_3repE0EEENS1_30default_config_static_selectorELNS0_4arch9wavefront6targetE1EEEvT1_,comdat
.Lfunc_end548:
	.size	_ZN7rocprim17ROCPRIM_400000_NS6detail17trampoline_kernelINS0_14default_configENS1_25partition_config_selectorILNS1_17partition_subalgoE8EsNS0_10empty_typeEbEEZZNS1_14partition_implILS5_8ELb0ES3_jPKsPS6_PKS6_NS0_5tupleIJPsS6_EEENSE_IJSB_SB_EEENS0_18inequality_wrapperIN6hipcub16HIPCUB_304000_NS8EqualityEEEPlJS6_EEE10hipError_tPvRmT3_T4_T5_T6_T7_T9_mT8_P12ihipStream_tbDpT10_ENKUlT_T0_E_clISt17integral_constantIbLb0EES17_EEDaS12_S13_EUlS12_E_NS1_11comp_targetILNS1_3genE0ELNS1_11target_archE4294967295ELNS1_3gpuE0ELNS1_3repE0EEENS1_30default_config_static_selectorELNS0_4arch9wavefront6targetE1EEEvT1_, .Lfunc_end548-_ZN7rocprim17ROCPRIM_400000_NS6detail17trampoline_kernelINS0_14default_configENS1_25partition_config_selectorILNS1_17partition_subalgoE8EsNS0_10empty_typeEbEEZZNS1_14partition_implILS5_8ELb0ES3_jPKsPS6_PKS6_NS0_5tupleIJPsS6_EEENSE_IJSB_SB_EEENS0_18inequality_wrapperIN6hipcub16HIPCUB_304000_NS8EqualityEEEPlJS6_EEE10hipError_tPvRmT3_T4_T5_T6_T7_T9_mT8_P12ihipStream_tbDpT10_ENKUlT_T0_E_clISt17integral_constantIbLb0EES17_EEDaS12_S13_EUlS12_E_NS1_11comp_targetILNS1_3genE0ELNS1_11target_archE4294967295ELNS1_3gpuE0ELNS1_3repE0EEENS1_30default_config_static_selectorELNS0_4arch9wavefront6targetE1EEEvT1_
                                        ; -- End function
	.section	.AMDGPU.csdata,"",@progbits
; Kernel info:
; codeLenInByte = 0
; NumSgprs: 6
; NumVgprs: 0
; NumAgprs: 0
; TotalNumVgprs: 0
; ScratchSize: 0
; MemoryBound: 0
; FloatMode: 240
; IeeeMode: 1
; LDSByteSize: 0 bytes/workgroup (compile time only)
; SGPRBlocks: 0
; VGPRBlocks: 0
; NumSGPRsForWavesPerEU: 6
; NumVGPRsForWavesPerEU: 1
; AccumOffset: 4
; Occupancy: 8
; WaveLimiterHint : 0
; COMPUTE_PGM_RSRC2:SCRATCH_EN: 0
; COMPUTE_PGM_RSRC2:USER_SGPR: 2
; COMPUTE_PGM_RSRC2:TRAP_HANDLER: 0
; COMPUTE_PGM_RSRC2:TGID_X_EN: 1
; COMPUTE_PGM_RSRC2:TGID_Y_EN: 0
; COMPUTE_PGM_RSRC2:TGID_Z_EN: 0
; COMPUTE_PGM_RSRC2:TIDIG_COMP_CNT: 0
; COMPUTE_PGM_RSRC3_GFX90A:ACCUM_OFFSET: 0
; COMPUTE_PGM_RSRC3_GFX90A:TG_SPLIT: 0
	.section	.text._ZN7rocprim17ROCPRIM_400000_NS6detail17trampoline_kernelINS0_14default_configENS1_25partition_config_selectorILNS1_17partition_subalgoE8EsNS0_10empty_typeEbEEZZNS1_14partition_implILS5_8ELb0ES3_jPKsPS6_PKS6_NS0_5tupleIJPsS6_EEENSE_IJSB_SB_EEENS0_18inequality_wrapperIN6hipcub16HIPCUB_304000_NS8EqualityEEEPlJS6_EEE10hipError_tPvRmT3_T4_T5_T6_T7_T9_mT8_P12ihipStream_tbDpT10_ENKUlT_T0_E_clISt17integral_constantIbLb0EES17_EEDaS12_S13_EUlS12_E_NS1_11comp_targetILNS1_3genE5ELNS1_11target_archE942ELNS1_3gpuE9ELNS1_3repE0EEENS1_30default_config_static_selectorELNS0_4arch9wavefront6targetE1EEEvT1_,"axG",@progbits,_ZN7rocprim17ROCPRIM_400000_NS6detail17trampoline_kernelINS0_14default_configENS1_25partition_config_selectorILNS1_17partition_subalgoE8EsNS0_10empty_typeEbEEZZNS1_14partition_implILS5_8ELb0ES3_jPKsPS6_PKS6_NS0_5tupleIJPsS6_EEENSE_IJSB_SB_EEENS0_18inequality_wrapperIN6hipcub16HIPCUB_304000_NS8EqualityEEEPlJS6_EEE10hipError_tPvRmT3_T4_T5_T6_T7_T9_mT8_P12ihipStream_tbDpT10_ENKUlT_T0_E_clISt17integral_constantIbLb0EES17_EEDaS12_S13_EUlS12_E_NS1_11comp_targetILNS1_3genE5ELNS1_11target_archE942ELNS1_3gpuE9ELNS1_3repE0EEENS1_30default_config_static_selectorELNS0_4arch9wavefront6targetE1EEEvT1_,comdat
	.protected	_ZN7rocprim17ROCPRIM_400000_NS6detail17trampoline_kernelINS0_14default_configENS1_25partition_config_selectorILNS1_17partition_subalgoE8EsNS0_10empty_typeEbEEZZNS1_14partition_implILS5_8ELb0ES3_jPKsPS6_PKS6_NS0_5tupleIJPsS6_EEENSE_IJSB_SB_EEENS0_18inequality_wrapperIN6hipcub16HIPCUB_304000_NS8EqualityEEEPlJS6_EEE10hipError_tPvRmT3_T4_T5_T6_T7_T9_mT8_P12ihipStream_tbDpT10_ENKUlT_T0_E_clISt17integral_constantIbLb0EES17_EEDaS12_S13_EUlS12_E_NS1_11comp_targetILNS1_3genE5ELNS1_11target_archE942ELNS1_3gpuE9ELNS1_3repE0EEENS1_30default_config_static_selectorELNS0_4arch9wavefront6targetE1EEEvT1_ ; -- Begin function _ZN7rocprim17ROCPRIM_400000_NS6detail17trampoline_kernelINS0_14default_configENS1_25partition_config_selectorILNS1_17partition_subalgoE8EsNS0_10empty_typeEbEEZZNS1_14partition_implILS5_8ELb0ES3_jPKsPS6_PKS6_NS0_5tupleIJPsS6_EEENSE_IJSB_SB_EEENS0_18inequality_wrapperIN6hipcub16HIPCUB_304000_NS8EqualityEEEPlJS6_EEE10hipError_tPvRmT3_T4_T5_T6_T7_T9_mT8_P12ihipStream_tbDpT10_ENKUlT_T0_E_clISt17integral_constantIbLb0EES17_EEDaS12_S13_EUlS12_E_NS1_11comp_targetILNS1_3genE5ELNS1_11target_archE942ELNS1_3gpuE9ELNS1_3repE0EEENS1_30default_config_static_selectorELNS0_4arch9wavefront6targetE1EEEvT1_
	.globl	_ZN7rocprim17ROCPRIM_400000_NS6detail17trampoline_kernelINS0_14default_configENS1_25partition_config_selectorILNS1_17partition_subalgoE8EsNS0_10empty_typeEbEEZZNS1_14partition_implILS5_8ELb0ES3_jPKsPS6_PKS6_NS0_5tupleIJPsS6_EEENSE_IJSB_SB_EEENS0_18inequality_wrapperIN6hipcub16HIPCUB_304000_NS8EqualityEEEPlJS6_EEE10hipError_tPvRmT3_T4_T5_T6_T7_T9_mT8_P12ihipStream_tbDpT10_ENKUlT_T0_E_clISt17integral_constantIbLb0EES17_EEDaS12_S13_EUlS12_E_NS1_11comp_targetILNS1_3genE5ELNS1_11target_archE942ELNS1_3gpuE9ELNS1_3repE0EEENS1_30default_config_static_selectorELNS0_4arch9wavefront6targetE1EEEvT1_
	.p2align	8
	.type	_ZN7rocprim17ROCPRIM_400000_NS6detail17trampoline_kernelINS0_14default_configENS1_25partition_config_selectorILNS1_17partition_subalgoE8EsNS0_10empty_typeEbEEZZNS1_14partition_implILS5_8ELb0ES3_jPKsPS6_PKS6_NS0_5tupleIJPsS6_EEENSE_IJSB_SB_EEENS0_18inequality_wrapperIN6hipcub16HIPCUB_304000_NS8EqualityEEEPlJS6_EEE10hipError_tPvRmT3_T4_T5_T6_T7_T9_mT8_P12ihipStream_tbDpT10_ENKUlT_T0_E_clISt17integral_constantIbLb0EES17_EEDaS12_S13_EUlS12_E_NS1_11comp_targetILNS1_3genE5ELNS1_11target_archE942ELNS1_3gpuE9ELNS1_3repE0EEENS1_30default_config_static_selectorELNS0_4arch9wavefront6targetE1EEEvT1_,@function
_ZN7rocprim17ROCPRIM_400000_NS6detail17trampoline_kernelINS0_14default_configENS1_25partition_config_selectorILNS1_17partition_subalgoE8EsNS0_10empty_typeEbEEZZNS1_14partition_implILS5_8ELb0ES3_jPKsPS6_PKS6_NS0_5tupleIJPsS6_EEENSE_IJSB_SB_EEENS0_18inequality_wrapperIN6hipcub16HIPCUB_304000_NS8EqualityEEEPlJS6_EEE10hipError_tPvRmT3_T4_T5_T6_T7_T9_mT8_P12ihipStream_tbDpT10_ENKUlT_T0_E_clISt17integral_constantIbLb0EES17_EEDaS12_S13_EUlS12_E_NS1_11comp_targetILNS1_3genE5ELNS1_11target_archE942ELNS1_3gpuE9ELNS1_3repE0EEENS1_30default_config_static_selectorELNS0_4arch9wavefront6targetE1EEEvT1_: ; @_ZN7rocprim17ROCPRIM_400000_NS6detail17trampoline_kernelINS0_14default_configENS1_25partition_config_selectorILNS1_17partition_subalgoE8EsNS0_10empty_typeEbEEZZNS1_14partition_implILS5_8ELb0ES3_jPKsPS6_PKS6_NS0_5tupleIJPsS6_EEENSE_IJSB_SB_EEENS0_18inequality_wrapperIN6hipcub16HIPCUB_304000_NS8EqualityEEEPlJS6_EEE10hipError_tPvRmT3_T4_T5_T6_T7_T9_mT8_P12ihipStream_tbDpT10_ENKUlT_T0_E_clISt17integral_constantIbLb0EES17_EEDaS12_S13_EUlS12_E_NS1_11comp_targetILNS1_3genE5ELNS1_11target_archE942ELNS1_3gpuE9ELNS1_3repE0EEENS1_30default_config_static_selectorELNS0_4arch9wavefront6targetE1EEEvT1_
; %bb.0:
	s_load_dwordx2 s[8:9], s[0:1], 0x50
	s_load_dwordx4 s[4:7], s[0:1], 0x8
	s_load_dwordx4 s[64:67], s[0:1], 0x40
	s_load_dword s3, s[0:1], 0x68
	s_waitcnt lgkmcnt(0)
	v_mov_b32_e32 v3, s9
	s_lshl_b64 s[10:11], s[6:7], 1
	s_add_u32 s10, s4, s10
	s_mul_i32 s9, s3, 0x3c00
	s_addc_u32 s11, s5, s11
	s_add_i32 s12, s3, -1
	s_add_i32 s3, s9, s6
	s_sub_i32 s3, s8, s3
	v_mov_b32_e32 v2, s8
	s_add_u32 s8, s6, s9
	s_addc_u32 s9, s7, 0
	s_cmp_eq_u32 s2, s12
	s_load_dwordx2 s[66:67], s[66:67], 0x0
	v_cmp_ge_u64_e32 vcc, s[8:9], v[2:3]
	s_cselect_b64 s[68:69], -1, 0
	s_mul_i32 s4, s2, 0x3c00
	s_mov_b32 s5, 0
	s_and_b64 s[72:73], s[68:69], vcc
	s_xor_b64 s[70:71], s[72:73], -1
	s_lshl_b64 s[4:5], s[4:5], 1
	s_add_u32 s4, s10, s4
	s_mov_b64 s[8:9], -1
	s_addc_u32 s5, s11, s5
	s_and_b64 vcc, exec, s[70:71]
	s_cbranch_vccz .LBB549_2
; %bb.1:
	v_lshlrev_b32_e32 v2, 1, v0
	v_mov_b32_e32 v3, 0
	v_lshl_add_u64 v[4:5], s[4:5], 0, v[2:3]
	v_add_co_u32_e32 v6, vcc, 0x1000, v4
	global_load_ushort v1, v2, s[4:5]
	global_load_ushort v3, v2, s[4:5] offset:1024
	global_load_ushort v10, v2, s[4:5] offset:2048
	;; [unrolled: 1-line block ×3, first 2 shown]
	v_addc_co_u32_e32 v7, vcc, 0, v5, vcc
	v_add_co_u32_e32 v8, vcc, 0x2000, v4
	s_mov_b64 s[8:9], 0
	s_nop 0
	v_addc_co_u32_e32 v9, vcc, 0, v5, vcc
	global_load_ushort v12, v[6:7], off
	global_load_ushort v13, v[6:7], off offset:1024
	global_load_ushort v14, v[6:7], off offset:2048
	;; [unrolled: 1-line block ×3, first 2 shown]
	global_load_ushort v16, v[8:9], off
	global_load_ushort v17, v[8:9], off offset:1024
	global_load_ushort v18, v[8:9], off offset:2048
	;; [unrolled: 1-line block ×3, first 2 shown]
	v_add_co_u32_e32 v6, vcc, 0x3000, v4
	s_nop 1
	v_addc_co_u32_e32 v7, vcc, 0, v5, vcc
	v_add_co_u32_e32 v8, vcc, 0x4000, v4
	s_nop 1
	v_addc_co_u32_e32 v9, vcc, 0, v5, vcc
	global_load_ushort v20, v[6:7], off
	global_load_ushort v21, v[6:7], off offset:1024
	global_load_ushort v22, v[6:7], off offset:2048
	;; [unrolled: 1-line block ×3, first 2 shown]
	global_load_ushort v24, v[8:9], off
	global_load_ushort v25, v[8:9], off offset:1024
	global_load_ushort v26, v[8:9], off offset:2048
	;; [unrolled: 1-line block ×3, first 2 shown]
	v_add_co_u32_e32 v6, vcc, 0x5000, v4
	s_nop 1
	v_addc_co_u32_e32 v7, vcc, 0, v5, vcc
	v_add_co_u32_e32 v8, vcc, 0x6000, v4
	s_nop 1
	v_addc_co_u32_e32 v9, vcc, 0, v5, vcc
	v_add_co_u32_e32 v4, vcc, 0x7000, v4
	global_load_ushort v28, v[6:7], off
	global_load_ushort v29, v[6:7], off offset:1024
	global_load_ushort v30, v[6:7], off offset:2048
	;; [unrolled: 1-line block ×3, first 2 shown]
	global_load_ushort v32, v[8:9], off
	global_load_ushort v33, v[8:9], off offset:1024
	global_load_ushort v34, v[8:9], off offset:2048
	;; [unrolled: 1-line block ×3, first 2 shown]
	v_addc_co_u32_e32 v5, vcc, 0, v5, vcc
	global_load_ushort v6, v[4:5], off
	global_load_ushort v7, v[4:5], off offset:1024
	s_waitcnt vmcnt(29)
	ds_write_b16 v2, v1
	s_waitcnt vmcnt(28)
	ds_write_b16 v2, v3 offset:1024
	s_waitcnt vmcnt(27)
	ds_write_b16 v2, v10 offset:2048
	s_waitcnt vmcnt(26)
	ds_write_b16 v2, v11 offset:3072
	s_waitcnt vmcnt(25)
	ds_write_b16 v2, v12 offset:4096
	s_waitcnt vmcnt(24)
	ds_write_b16 v2, v13 offset:5120
	s_waitcnt vmcnt(23)
	ds_write_b16 v2, v14 offset:6144
	s_waitcnt vmcnt(22)
	ds_write_b16 v2, v15 offset:7168
	s_waitcnt vmcnt(21)
	ds_write_b16 v2, v16 offset:8192
	s_waitcnt vmcnt(20)
	ds_write_b16 v2, v17 offset:9216
	s_waitcnt vmcnt(19)
	ds_write_b16 v2, v18 offset:10240
	s_waitcnt vmcnt(18)
	ds_write_b16 v2, v19 offset:11264
	s_waitcnt vmcnt(17)
	ds_write_b16 v2, v20 offset:12288
	s_waitcnt vmcnt(16)
	ds_write_b16 v2, v21 offset:13312
	s_waitcnt vmcnt(15)
	ds_write_b16 v2, v22 offset:14336
	s_waitcnt vmcnt(14)
	ds_write_b16 v2, v23 offset:15360
	s_waitcnt vmcnt(13)
	ds_write_b16 v2, v24 offset:16384
	s_waitcnt vmcnt(12)
	ds_write_b16 v2, v25 offset:17408
	s_waitcnt vmcnt(11)
	ds_write_b16 v2, v26 offset:18432
	s_waitcnt vmcnt(10)
	ds_write_b16 v2, v27 offset:19456
	s_waitcnt vmcnt(9)
	ds_write_b16 v2, v28 offset:20480
	s_waitcnt vmcnt(8)
	ds_write_b16 v2, v29 offset:21504
	s_waitcnt vmcnt(7)
	ds_write_b16 v2, v30 offset:22528
	s_waitcnt vmcnt(6)
	ds_write_b16 v2, v31 offset:23552
	s_waitcnt vmcnt(5)
	ds_write_b16 v2, v32 offset:24576
	s_waitcnt vmcnt(4)
	ds_write_b16 v2, v33 offset:25600
	s_waitcnt vmcnt(3)
	ds_write_b16 v2, v34 offset:26624
	s_waitcnt vmcnt(2)
	ds_write_b16 v2, v35 offset:27648
	s_waitcnt vmcnt(1)
	ds_write_b16 v2, v6 offset:28672
	s_waitcnt vmcnt(0)
	ds_write_b16 v2, v7 offset:29696
	s_waitcnt lgkmcnt(0)
	s_barrier
.LBB549_2:
	s_andn2_b64 vcc, exec, s[8:9]
	s_addk_i32 s3, 0x3c00
	s_cbranch_vccnz .LBB549_64
; %bb.3:
	v_cmp_gt_u32_e32 vcc, s3, v0
                                        ; implicit-def: $vgpr1
	s_and_saveexec_b64 s[8:9], vcc
	s_cbranch_execz .LBB549_5
; %bb.4:
	v_lshlrev_b32_e32 v1, 1, v0
	global_load_ushort v1, v1, s[4:5]
.LBB549_5:
	s_or_b64 exec, exec, s[8:9]
	v_or_b32_e32 v2, 0x200, v0
	v_cmp_gt_u32_e32 vcc, s3, v2
                                        ; implicit-def: $vgpr2
	s_and_saveexec_b64 s[8:9], vcc
	s_cbranch_execz .LBB549_7
; %bb.6:
	v_lshlrev_b32_e32 v2, 1, v0
	global_load_ushort v2, v2, s[4:5] offset:1024
.LBB549_7:
	s_or_b64 exec, exec, s[8:9]
	v_or_b32_e32 v3, 0x400, v0
	v_cmp_gt_u32_e32 vcc, s3, v3
                                        ; implicit-def: $vgpr3
	s_and_saveexec_b64 s[8:9], vcc
	s_cbranch_execz .LBB549_9
; %bb.8:
	v_lshlrev_b32_e32 v3, 1, v0
	global_load_ushort v3, v3, s[4:5] offset:2048
.LBB549_9:
	s_or_b64 exec, exec, s[8:9]
	v_or_b32_e32 v4, 0x600, v0
	v_cmp_gt_u32_e32 vcc, s3, v4
                                        ; implicit-def: $vgpr4
	s_and_saveexec_b64 s[8:9], vcc
	s_cbranch_execz .LBB549_11
; %bb.10:
	v_lshlrev_b32_e32 v4, 1, v0
	global_load_ushort v4, v4, s[4:5] offset:3072
.LBB549_11:
	s_or_b64 exec, exec, s[8:9]
	v_or_b32_e32 v6, 0x800, v0
	v_cmp_gt_u32_e32 vcc, s3, v6
                                        ; implicit-def: $vgpr5
	s_and_saveexec_b64 s[8:9], vcc
	s_cbranch_execz .LBB549_13
; %bb.12:
	v_lshlrev_b32_e32 v5, 1, v6
	global_load_ushort v5, v5, s[4:5]
.LBB549_13:
	s_or_b64 exec, exec, s[8:9]
	v_or_b32_e32 v7, 0xa00, v0
	v_cmp_gt_u32_e32 vcc, s3, v7
                                        ; implicit-def: $vgpr6
	s_and_saveexec_b64 s[8:9], vcc
	s_cbranch_execz .LBB549_15
; %bb.14:
	v_lshlrev_b32_e32 v6, 1, v7
	global_load_ushort v6, v6, s[4:5]
.LBB549_15:
	s_or_b64 exec, exec, s[8:9]
	v_or_b32_e32 v8, 0xc00, v0
	v_cmp_gt_u32_e32 vcc, s3, v8
                                        ; implicit-def: $vgpr7
	s_and_saveexec_b64 s[8:9], vcc
	s_cbranch_execz .LBB549_17
; %bb.16:
	v_lshlrev_b32_e32 v7, 1, v8
	global_load_ushort v7, v7, s[4:5]
.LBB549_17:
	s_or_b64 exec, exec, s[8:9]
	v_or_b32_e32 v9, 0xe00, v0
	v_cmp_gt_u32_e32 vcc, s3, v9
                                        ; implicit-def: $vgpr8
	s_and_saveexec_b64 s[8:9], vcc
	s_cbranch_execz .LBB549_19
; %bb.18:
	v_lshlrev_b32_e32 v8, 1, v9
	global_load_ushort v8, v8, s[4:5]
.LBB549_19:
	s_or_b64 exec, exec, s[8:9]
	v_or_b32_e32 v10, 0x1000, v0
	v_cmp_gt_u32_e32 vcc, s3, v10
                                        ; implicit-def: $vgpr9
	s_and_saveexec_b64 s[8:9], vcc
	s_cbranch_execz .LBB549_21
; %bb.20:
	v_lshlrev_b32_e32 v9, 1, v10
	global_load_ushort v9, v9, s[4:5]
.LBB549_21:
	s_or_b64 exec, exec, s[8:9]
	v_or_b32_e32 v11, 0x1200, v0
	v_cmp_gt_u32_e32 vcc, s3, v11
                                        ; implicit-def: $vgpr10
	s_and_saveexec_b64 s[8:9], vcc
	s_cbranch_execz .LBB549_23
; %bb.22:
	v_lshlrev_b32_e32 v10, 1, v11
	global_load_ushort v10, v10, s[4:5]
.LBB549_23:
	s_or_b64 exec, exec, s[8:9]
	v_or_b32_e32 v12, 0x1400, v0
	v_cmp_gt_u32_e32 vcc, s3, v12
                                        ; implicit-def: $vgpr11
	s_and_saveexec_b64 s[8:9], vcc
	s_cbranch_execz .LBB549_25
; %bb.24:
	v_lshlrev_b32_e32 v11, 1, v12
	global_load_ushort v11, v11, s[4:5]
.LBB549_25:
	s_or_b64 exec, exec, s[8:9]
	v_or_b32_e32 v13, 0x1600, v0
	v_cmp_gt_u32_e32 vcc, s3, v13
                                        ; implicit-def: $vgpr12
	s_and_saveexec_b64 s[8:9], vcc
	s_cbranch_execz .LBB549_27
; %bb.26:
	v_lshlrev_b32_e32 v12, 1, v13
	global_load_ushort v12, v12, s[4:5]
.LBB549_27:
	s_or_b64 exec, exec, s[8:9]
	v_or_b32_e32 v14, 0x1800, v0
	v_cmp_gt_u32_e32 vcc, s3, v14
                                        ; implicit-def: $vgpr13
	s_and_saveexec_b64 s[8:9], vcc
	s_cbranch_execz .LBB549_29
; %bb.28:
	v_lshlrev_b32_e32 v13, 1, v14
	global_load_ushort v13, v13, s[4:5]
.LBB549_29:
	s_or_b64 exec, exec, s[8:9]
	v_or_b32_e32 v15, 0x1a00, v0
	v_cmp_gt_u32_e32 vcc, s3, v15
                                        ; implicit-def: $vgpr14
	s_and_saveexec_b64 s[8:9], vcc
	s_cbranch_execz .LBB549_31
; %bb.30:
	v_lshlrev_b32_e32 v14, 1, v15
	global_load_ushort v14, v14, s[4:5]
.LBB549_31:
	s_or_b64 exec, exec, s[8:9]
	v_or_b32_e32 v16, 0x1c00, v0
	v_cmp_gt_u32_e32 vcc, s3, v16
                                        ; implicit-def: $vgpr15
	s_and_saveexec_b64 s[8:9], vcc
	s_cbranch_execz .LBB549_33
; %bb.32:
	v_lshlrev_b32_e32 v15, 1, v16
	global_load_ushort v15, v15, s[4:5]
.LBB549_33:
	s_or_b64 exec, exec, s[8:9]
	v_or_b32_e32 v17, 0x1e00, v0
	v_cmp_gt_u32_e32 vcc, s3, v17
                                        ; implicit-def: $vgpr16
	s_and_saveexec_b64 s[8:9], vcc
	s_cbranch_execz .LBB549_35
; %bb.34:
	v_lshlrev_b32_e32 v16, 1, v17
	global_load_ushort v16, v16, s[4:5]
.LBB549_35:
	s_or_b64 exec, exec, s[8:9]
	v_or_b32_e32 v18, 0x2000, v0
	v_cmp_gt_u32_e32 vcc, s3, v18
                                        ; implicit-def: $vgpr17
	s_and_saveexec_b64 s[8:9], vcc
	s_cbranch_execz .LBB549_37
; %bb.36:
	v_lshlrev_b32_e32 v17, 1, v18
	global_load_ushort v17, v17, s[4:5]
.LBB549_37:
	s_or_b64 exec, exec, s[8:9]
	v_or_b32_e32 v19, 0x2200, v0
	v_cmp_gt_u32_e32 vcc, s3, v19
                                        ; implicit-def: $vgpr18
	s_and_saveexec_b64 s[8:9], vcc
	s_cbranch_execz .LBB549_39
; %bb.38:
	v_lshlrev_b32_e32 v18, 1, v19
	global_load_ushort v18, v18, s[4:5]
.LBB549_39:
	s_or_b64 exec, exec, s[8:9]
	v_or_b32_e32 v20, 0x2400, v0
	v_cmp_gt_u32_e32 vcc, s3, v20
                                        ; implicit-def: $vgpr19
	s_and_saveexec_b64 s[8:9], vcc
	s_cbranch_execz .LBB549_41
; %bb.40:
	v_lshlrev_b32_e32 v19, 1, v20
	global_load_ushort v19, v19, s[4:5]
.LBB549_41:
	s_or_b64 exec, exec, s[8:9]
	v_or_b32_e32 v21, 0x2600, v0
	v_cmp_gt_u32_e32 vcc, s3, v21
                                        ; implicit-def: $vgpr20
	s_and_saveexec_b64 s[8:9], vcc
	s_cbranch_execz .LBB549_43
; %bb.42:
	v_lshlrev_b32_e32 v20, 1, v21
	global_load_ushort v20, v20, s[4:5]
.LBB549_43:
	s_or_b64 exec, exec, s[8:9]
	v_or_b32_e32 v22, 0x2800, v0
	v_cmp_gt_u32_e32 vcc, s3, v22
                                        ; implicit-def: $vgpr21
	s_and_saveexec_b64 s[8:9], vcc
	s_cbranch_execz .LBB549_45
; %bb.44:
	v_lshlrev_b32_e32 v21, 1, v22
	global_load_ushort v21, v21, s[4:5]
.LBB549_45:
	s_or_b64 exec, exec, s[8:9]
	v_or_b32_e32 v23, 0x2a00, v0
	v_cmp_gt_u32_e32 vcc, s3, v23
                                        ; implicit-def: $vgpr22
	s_and_saveexec_b64 s[8:9], vcc
	s_cbranch_execz .LBB549_47
; %bb.46:
	v_lshlrev_b32_e32 v22, 1, v23
	global_load_ushort v22, v22, s[4:5]
.LBB549_47:
	s_or_b64 exec, exec, s[8:9]
	v_or_b32_e32 v24, 0x2c00, v0
	v_cmp_gt_u32_e32 vcc, s3, v24
                                        ; implicit-def: $vgpr23
	s_and_saveexec_b64 s[8:9], vcc
	s_cbranch_execz .LBB549_49
; %bb.48:
	v_lshlrev_b32_e32 v23, 1, v24
	global_load_ushort v23, v23, s[4:5]
.LBB549_49:
	s_or_b64 exec, exec, s[8:9]
	v_or_b32_e32 v25, 0x2e00, v0
	v_cmp_gt_u32_e32 vcc, s3, v25
                                        ; implicit-def: $vgpr24
	s_and_saveexec_b64 s[8:9], vcc
	s_cbranch_execz .LBB549_51
; %bb.50:
	v_lshlrev_b32_e32 v24, 1, v25
	global_load_ushort v24, v24, s[4:5]
.LBB549_51:
	s_or_b64 exec, exec, s[8:9]
	v_or_b32_e32 v26, 0x3000, v0
	v_cmp_gt_u32_e32 vcc, s3, v26
                                        ; implicit-def: $vgpr25
	s_and_saveexec_b64 s[8:9], vcc
	s_cbranch_execz .LBB549_53
; %bb.52:
	v_lshlrev_b32_e32 v25, 1, v26
	global_load_ushort v25, v25, s[4:5]
.LBB549_53:
	s_or_b64 exec, exec, s[8:9]
	v_or_b32_e32 v27, 0x3200, v0
	v_cmp_gt_u32_e32 vcc, s3, v27
                                        ; implicit-def: $vgpr26
	s_and_saveexec_b64 s[8:9], vcc
	s_cbranch_execz .LBB549_55
; %bb.54:
	v_lshlrev_b32_e32 v26, 1, v27
	global_load_ushort v26, v26, s[4:5]
.LBB549_55:
	s_or_b64 exec, exec, s[8:9]
	v_or_b32_e32 v28, 0x3400, v0
	v_cmp_gt_u32_e32 vcc, s3, v28
                                        ; implicit-def: $vgpr27
	s_and_saveexec_b64 s[8:9], vcc
	s_cbranch_execz .LBB549_57
; %bb.56:
	v_lshlrev_b32_e32 v27, 1, v28
	global_load_ushort v27, v27, s[4:5]
.LBB549_57:
	s_or_b64 exec, exec, s[8:9]
	v_or_b32_e32 v29, 0x3600, v0
	v_cmp_gt_u32_e32 vcc, s3, v29
                                        ; implicit-def: $vgpr28
	s_and_saveexec_b64 s[8:9], vcc
	s_cbranch_execz .LBB549_59
; %bb.58:
	v_lshlrev_b32_e32 v28, 1, v29
	global_load_ushort v28, v28, s[4:5]
.LBB549_59:
	s_or_b64 exec, exec, s[8:9]
	v_or_b32_e32 v30, 0x3800, v0
	v_cmp_gt_u32_e32 vcc, s3, v30
                                        ; implicit-def: $vgpr29
	s_and_saveexec_b64 s[8:9], vcc
	s_cbranch_execz .LBB549_61
; %bb.60:
	v_lshlrev_b32_e32 v29, 1, v30
	global_load_ushort v29, v29, s[4:5]
.LBB549_61:
	s_or_b64 exec, exec, s[8:9]
	v_or_b32_e32 v31, 0x3a00, v0
	v_cmp_gt_u32_e32 vcc, s3, v31
                                        ; implicit-def: $vgpr30
	s_and_saveexec_b64 s[8:9], vcc
	s_cbranch_execz .LBB549_63
; %bb.62:
	v_lshlrev_b32_e32 v30, 1, v31
	global_load_ushort v30, v30, s[4:5]
.LBB549_63:
	s_or_b64 exec, exec, s[8:9]
	v_lshlrev_b32_e32 v31, 1, v0
	s_waitcnt vmcnt(0)
	ds_write_b16 v31, v1
	ds_write_b16 v31, v2 offset:1024
	ds_write_b16 v31, v3 offset:2048
	;; [unrolled: 1-line block ×29, first 2 shown]
	s_waitcnt lgkmcnt(0)
	s_barrier
.LBB549_64:
	v_mul_u32_u24_e32 v23, 30, v0
	v_lshlrev_b32_e32 v46, 1, v23
	s_waitcnt lgkmcnt(0)
	ds_read_b32 v80, v46 offset:56
	ds_read2_b32 v[2:3], v46 offset0:12 offset1:13
	ds_read2_b32 v[4:5], v46 offset0:10 offset1:11
	;; [unrolled: 1-line block ×3, first 2 shown]
	ds_read2_b32 v[14:15], v46 offset1:1
	ds_read2_b32 v[12:13], v46 offset0:2 offset1:3
	ds_read2_b32 v[10:11], v46 offset0:4 offset1:5
	;; [unrolled: 1-line block ×3, first 2 shown]
	s_cmp_lg_u32 s2, 0
	s_cselect_b64 s[74:75], -1, 0
	s_cmp_lg_u64 s[6:7], 0
	s_cselect_b64 s[6:7], -1, 0
	s_or_b64 s[6:7], s[74:75], s[6:7]
	v_mad_u32_u24 v16, v0, 30, 29
	v_mad_u32_u24 v17, v0, 30, 28
	s_waitcnt lgkmcnt(7)
	v_lshrrev_b32_e32 v1, 16, v80
	v_mad_u32_u24 v18, v0, 30, 27
	s_waitcnt lgkmcnt(6)
	v_lshrrev_b32_e32 v82, 16, v2
	v_lshrrev_b32_e32 v81, 16, v3
	v_mad_u32_u24 v19, v0, 30, 26
	v_mad_u32_u24 v20, v0, 30, 25
	;; [unrolled: 1-line block ×4, first 2 shown]
	s_waitcnt lgkmcnt(5)
	v_lshrrev_b32_e32 v84, 16, v4
	v_lshrrev_b32_e32 v83, 16, v5
	v_mad_u32_u24 v24, v0, 30, 22
	s_waitcnt lgkmcnt(3)
	v_lshrrev_b32_e32 v100, 16, v14
	v_lshrrev_b32_e32 v98, 16, v15
	v_or_b32_e32 v45, 1, v23
	v_mad_u32_u24 v44, v0, 30, 2
	v_mad_u32_u24 v42, v0, 30, 3
	v_mad_u32_u24 v40, v0, 30, 4
	s_waitcnt lgkmcnt(2)
	v_lshrrev_b32_e32 v96, 16, v12
	v_lshrrev_b32_e32 v94, 16, v13
	v_mad_u32_u24 v43, v0, 30, 5
	v_mad_u32_u24 v41, v0, 30, 6
	v_mad_u32_u24 v38, v0, 30, 7
	v_mad_u32_u24 v36, v0, 30, 8
	s_waitcnt lgkmcnt(1)
	v_lshrrev_b32_e32 v92, 16, v10
	v_lshrrev_b32_e32 v90, 16, v11
	v_mad_u32_u24 v39, v0, 30, 9
	;; [unrolled: 7-line block ×3, first 2 shown]
	v_mad_u32_u24 v33, v0, 30, 14
	v_mad_u32_u24 v30, v0, 30, 15
	;; [unrolled: 1-line block ×3, first 2 shown]
	v_lshrrev_b32_e32 v86, 16, v6
	v_lshrrev_b32_e32 v85, 16, v7
	v_mad_u32_u24 v31, v0, 30, 17
	v_mad_u32_u24 v29, v0, 30, 18
	;; [unrolled: 1-line block ×5, first 2 shown]
	s_mov_b64 s[76:77], 0
	s_and_b64 vcc, exec, s[6:7]
	s_barrier
	s_cbranch_vccz .LBB549_69
; %bb.65:
	v_mov_b32_e32 v47, 0
	global_load_ushort v47, v47, s[4:5] offset:-2
	v_lshlrev_b32_e32 v48, 1, v0
	s_and_b64 vcc, exec, s[70:71]
	ds_write_b16 v48, v1
	s_cbranch_vccz .LBB549_71
; %bb.66:
	v_cmp_ne_u32_e32 vcc, 0, v0
	s_waitcnt vmcnt(0)
	v_mov_b32_e32 v49, v47
	s_waitcnt lgkmcnt(0)
	s_barrier
	s_and_saveexec_b64 s[4:5], vcc
	s_cbranch_execz .LBB549_68
; %bb.67:
	v_add_u32_e32 v49, -2, v48
	ds_read_u16 v49, v49
.LBB549_68:
	s_or_b64 exec, exec, s[4:5]
	v_cmp_ne_u16_e32 vcc, v80, v1
	s_waitcnt lgkmcnt(0)
	v_cmp_ne_u16_e64 s[4:5], v49, v14
	v_cndmask_b32_e64 v89, 0, 1, vcc
	v_cmp_ne_u16_e32 vcc, v81, v80
	s_nop 1
	v_cndmask_b32_e64 v91, 0, 1, vcc
	v_cmp_ne_u16_e32 vcc, v3, v81
	s_nop 1
	;; [unrolled: 3-line block ×28, first 2 shown]
	v_cndmask_b32_e64 v123, 0, 1, vcc
	s_branch .LBB549_75
.LBB549_69:
                                        ; implicit-def: $sgpr4_sgpr5
                                        ; implicit-def: $vgpr123
                                        ; implicit-def: $vgpr122
                                        ; implicit-def: $vgpr121
                                        ; implicit-def: $vgpr120
                                        ; implicit-def: $vgpr119
                                        ; implicit-def: $vgpr118
                                        ; implicit-def: $vgpr117
                                        ; implicit-def: $vgpr116
                                        ; implicit-def: $vgpr115
                                        ; implicit-def: $vgpr114
                                        ; implicit-def: $vgpr113
                                        ; implicit-def: $vgpr112
                                        ; implicit-def: $vgpr111
                                        ; implicit-def: $vgpr110
                                        ; implicit-def: $vgpr109
                                        ; implicit-def: $vgpr108
                                        ; implicit-def: $vgpr107
                                        ; implicit-def: $vgpr106
                                        ; implicit-def: $vgpr105
                                        ; implicit-def: $vgpr104
                                        ; implicit-def: $vgpr103
                                        ; implicit-def: $vgpr102
                                        ; implicit-def: $vgpr101
                                        ; implicit-def: $vgpr99
                                        ; implicit-def: $vgpr97
                                        ; implicit-def: $vgpr95
                                        ; implicit-def: $vgpr93
                                        ; implicit-def: $vgpr91
                                        ; implicit-def: $vgpr89
	s_branch .LBB549_76
.LBB549_70:
                                        ; implicit-def: $sgpr8
	s_branch .LBB549_84
.LBB549_71:
                                        ; implicit-def: $sgpr4_sgpr5
                                        ; implicit-def: $vgpr123
                                        ; implicit-def: $vgpr122
                                        ; implicit-def: $vgpr121
                                        ; implicit-def: $vgpr120
                                        ; implicit-def: $vgpr119
                                        ; implicit-def: $vgpr118
                                        ; implicit-def: $vgpr117
                                        ; implicit-def: $vgpr116
                                        ; implicit-def: $vgpr115
                                        ; implicit-def: $vgpr114
                                        ; implicit-def: $vgpr113
                                        ; implicit-def: $vgpr112
                                        ; implicit-def: $vgpr111
                                        ; implicit-def: $vgpr110
                                        ; implicit-def: $vgpr109
                                        ; implicit-def: $vgpr108
                                        ; implicit-def: $vgpr107
                                        ; implicit-def: $vgpr106
                                        ; implicit-def: $vgpr105
                                        ; implicit-def: $vgpr104
                                        ; implicit-def: $vgpr103
                                        ; implicit-def: $vgpr102
                                        ; implicit-def: $vgpr101
                                        ; implicit-def: $vgpr99
                                        ; implicit-def: $vgpr97
                                        ; implicit-def: $vgpr95
                                        ; implicit-def: $vgpr93
                                        ; implicit-def: $vgpr91
                                        ; implicit-def: $vgpr89
	s_cbranch_execz .LBB549_75
; %bb.72:
	v_cmp_ne_u32_e32 vcc, 0, v0
	s_waitcnt lgkmcnt(0)
	s_barrier
	s_and_saveexec_b64 s[4:5], vcc
	s_cbranch_execz .LBB549_74
; %bb.73:
	s_waitcnt vmcnt(0)
	v_add_u32_e32 v47, -2, v48
	ds_read_u16 v47, v47
.LBB549_74:
	s_or_b64 exec, exec, s[4:5]
	v_cmp_gt_u32_e32 vcc, s3, v16
	v_cmp_ne_u16_e64 s[4:5], v80, v1
	s_and_b64 s[4:5], vcc, s[4:5]
	v_cmp_gt_u32_e32 vcc, s3, v17
	v_cndmask_b32_e64 v89, 0, 1, s[4:5]
	v_cmp_ne_u16_e64 s[4:5], v81, v80
	s_and_b64 s[4:5], vcc, s[4:5]
	v_cmp_gt_u32_e32 vcc, s3, v18
	v_cndmask_b32_e64 v91, 0, 1, s[4:5]
	v_cmp_ne_u16_e64 s[4:5], v3, v81
	s_and_b64 s[4:5], vcc, s[4:5]
	v_cmp_gt_u32_e32 vcc, s3, v19
	v_cndmask_b32_e64 v93, 0, 1, s[4:5]
	v_cmp_ne_u16_e64 s[4:5], v82, v3
	s_and_b64 s[4:5], vcc, s[4:5]
	v_cmp_gt_u32_e32 vcc, s3, v20
	v_cndmask_b32_e64 v95, 0, 1, s[4:5]
	v_cmp_ne_u16_e64 s[4:5], v2, v82
	s_and_b64 s[4:5], vcc, s[4:5]
	v_cmp_gt_u32_e32 vcc, s3, v21
	v_cndmask_b32_e64 v97, 0, 1, s[4:5]
	v_cmp_ne_u16_e64 s[4:5], v83, v2
	s_and_b64 s[4:5], vcc, s[4:5]
	v_cmp_gt_u32_e32 vcc, s3, v22
	v_cndmask_b32_e64 v99, 0, 1, s[4:5]
	v_cmp_ne_u16_e64 s[4:5], v5, v83
	s_and_b64 s[4:5], vcc, s[4:5]
	v_cmp_gt_u32_e32 vcc, s3, v24
	v_cndmask_b32_e64 v101, 0, 1, s[4:5]
	v_cmp_ne_u16_e64 s[4:5], v84, v5
	s_and_b64 s[4:5], vcc, s[4:5]
	v_cmp_gt_u32_e32 vcc, s3, v25
	v_cndmask_b32_e64 v102, 0, 1, s[4:5]
	v_cmp_ne_u16_e64 s[4:5], v4, v84
	s_and_b64 s[4:5], vcc, s[4:5]
	v_cmp_gt_u32_e32 vcc, s3, v26
	v_cndmask_b32_e64 v103, 0, 1, s[4:5]
	v_cmp_ne_u16_e64 s[4:5], v85, v4
	s_and_b64 s[4:5], vcc, s[4:5]
	v_cmp_gt_u32_e32 vcc, s3, v27
	v_cndmask_b32_e64 v104, 0, 1, s[4:5]
	v_cmp_ne_u16_e64 s[4:5], v7, v85
	s_and_b64 s[4:5], vcc, s[4:5]
	v_cmp_gt_u32_e32 vcc, s3, v29
	v_cndmask_b32_e64 v105, 0, 1, s[4:5]
	v_cmp_ne_u16_e64 s[4:5], v86, v7
	s_and_b64 s[4:5], vcc, s[4:5]
	v_cmp_gt_u32_e32 vcc, s3, v31
	v_cndmask_b32_e64 v106, 0, 1, s[4:5]
	v_cmp_ne_u16_e64 s[4:5], v6, v86
	s_and_b64 s[4:5], vcc, s[4:5]
	v_cmp_gt_u32_e32 vcc, s3, v28
	v_cndmask_b32_e64 v107, 0, 1, s[4:5]
	v_cmp_ne_u16_e64 s[4:5], v87, v6
	s_and_b64 s[4:5], vcc, s[4:5]
	v_cmp_gt_u32_e32 vcc, s3, v30
	v_cndmask_b32_e64 v108, 0, 1, s[4:5]
	v_cmp_ne_u16_e64 s[4:5], v9, v87
	s_and_b64 s[4:5], vcc, s[4:5]
	v_cmp_gt_u32_e32 vcc, s3, v33
	v_cndmask_b32_e64 v109, 0, 1, s[4:5]
	v_cmp_ne_u16_e64 s[4:5], v88, v9
	s_and_b64 s[4:5], vcc, s[4:5]
	v_cmp_gt_u32_e32 vcc, s3, v35
	v_cndmask_b32_e64 v110, 0, 1, s[4:5]
	v_cmp_ne_u16_e64 s[4:5], v8, v88
	s_and_b64 s[4:5], vcc, s[4:5]
	v_cmp_gt_u32_e32 vcc, s3, v32
	v_cndmask_b32_e64 v111, 0, 1, s[4:5]
	v_cmp_ne_u16_e64 s[4:5], v90, v8
	s_and_b64 s[4:5], vcc, s[4:5]
	v_cmp_gt_u32_e32 vcc, s3, v34
	v_cndmask_b32_e64 v112, 0, 1, s[4:5]
	v_cmp_ne_u16_e64 s[4:5], v11, v90
	s_and_b64 s[4:5], vcc, s[4:5]
	v_cmp_gt_u32_e32 vcc, s3, v37
	v_cndmask_b32_e64 v113, 0, 1, s[4:5]
	v_cmp_ne_u16_e64 s[4:5], v92, v11
	s_and_b64 s[4:5], vcc, s[4:5]
	v_cmp_gt_u32_e32 vcc, s3, v39
	v_cndmask_b32_e64 v114, 0, 1, s[4:5]
	v_cmp_ne_u16_e64 s[4:5], v10, v92
	s_and_b64 s[4:5], vcc, s[4:5]
	v_cmp_gt_u32_e32 vcc, s3, v36
	v_cndmask_b32_e64 v115, 0, 1, s[4:5]
	v_cmp_ne_u16_e64 s[4:5], v94, v10
	s_and_b64 s[4:5], vcc, s[4:5]
	v_cmp_gt_u32_e32 vcc, s3, v38
	v_cndmask_b32_e64 v116, 0, 1, s[4:5]
	v_cmp_ne_u16_e64 s[4:5], v13, v94
	s_and_b64 s[4:5], vcc, s[4:5]
	v_cmp_gt_u32_e32 vcc, s3, v41
	v_cndmask_b32_e64 v117, 0, 1, s[4:5]
	v_cmp_ne_u16_e64 s[4:5], v96, v13
	s_and_b64 s[4:5], vcc, s[4:5]
	v_cmp_gt_u32_e32 vcc, s3, v43
	v_cndmask_b32_e64 v118, 0, 1, s[4:5]
	v_cmp_ne_u16_e64 s[4:5], v12, v96
	s_and_b64 s[4:5], vcc, s[4:5]
	v_cmp_gt_u32_e32 vcc, s3, v40
	v_cndmask_b32_e64 v119, 0, 1, s[4:5]
	v_cmp_ne_u16_e64 s[4:5], v98, v12
	s_and_b64 s[4:5], vcc, s[4:5]
	v_cmp_gt_u32_e32 vcc, s3, v42
	v_cndmask_b32_e64 v120, 0, 1, s[4:5]
	v_cmp_ne_u16_e64 s[4:5], v15, v98
	s_and_b64 s[4:5], vcc, s[4:5]
	v_cmp_gt_u32_e32 vcc, s3, v44
	v_cndmask_b32_e64 v121, 0, 1, s[4:5]
	v_cmp_ne_u16_e64 s[4:5], v100, v15
	s_and_b64 s[4:5], vcc, s[4:5]
	v_cmp_gt_u32_e32 vcc, s3, v45
	v_cndmask_b32_e64 v122, 0, 1, s[4:5]
	v_cmp_ne_u16_e64 s[4:5], v14, v100
	s_and_b64 s[4:5], vcc, s[4:5]
	v_cmp_gt_u32_e32 vcc, s3, v23
	v_cndmask_b32_e64 v123, 0, 1, s[4:5]
	s_waitcnt vmcnt(0) lgkmcnt(0)
	v_cmp_ne_u16_e64 s[4:5], v47, v14
	s_and_b64 s[4:5], vcc, s[4:5]
.LBB549_75:
	s_mov_b64 s[76:77], -1
	s_cbranch_execnz .LBB549_70
.LBB549_76:
	s_movk_i32 s4, 0xffc6
	v_mad_i32_i24 v46, v0, s4, v46
	s_and_b64 vcc, exec, s[70:71]
	v_cmp_ne_u16_e64 s[62:63], v80, v1
	v_cmp_ne_u16_e64 s[4:5], v81, v80
	;; [unrolled: 1-line block ×29, first 2 shown]
	ds_write_b16 v46, v1
	s_cbranch_vccz .LBB549_80
; %bb.77:
	v_cndmask_b32_e64 v89, 0, 1, s[62:63]
	v_cndmask_b32_e64 v91, 0, 1, s[4:5]
	;; [unrolled: 1-line block ×29, first 2 shown]
	v_cmp_ne_u32_e32 vcc, 0, v0
	s_waitcnt lgkmcnt(0)
	s_barrier
	s_waitcnt lgkmcnt(0)
                                        ; implicit-def: $sgpr4_sgpr5
	s_and_saveexec_b64 s[6:7], vcc
	s_xor_b64 s[6:7], exec, s[6:7]
	s_cbranch_execz .LBB549_79
; %bb.78:
	s_waitcnt vmcnt(0)
	v_add_u32_e32 v47, -2, v46
	ds_read_u16 v47, v47
	s_or_b64 s[76:77], s[76:77], exec
	s_waitcnt lgkmcnt(0)
	v_cmp_ne_u16_e32 vcc, v47, v14
	s_and_b64 s[4:5], vcc, exec
.LBB549_79:
	s_or_b64 exec, exec, s[6:7]
	s_mov_b32 s8, 1
	s_branch .LBB549_84
.LBB549_80:
                                        ; implicit-def: $sgpr4_sgpr5
                                        ; implicit-def: $vgpr123
                                        ; implicit-def: $vgpr122
                                        ; implicit-def: $vgpr121
                                        ; implicit-def: $vgpr120
                                        ; implicit-def: $vgpr119
                                        ; implicit-def: $vgpr118
                                        ; implicit-def: $vgpr117
                                        ; implicit-def: $vgpr116
                                        ; implicit-def: $vgpr115
                                        ; implicit-def: $vgpr114
                                        ; implicit-def: $vgpr113
                                        ; implicit-def: $vgpr112
                                        ; implicit-def: $vgpr111
                                        ; implicit-def: $vgpr110
                                        ; implicit-def: $vgpr109
                                        ; implicit-def: $vgpr108
                                        ; implicit-def: $vgpr107
                                        ; implicit-def: $vgpr106
                                        ; implicit-def: $vgpr105
                                        ; implicit-def: $vgpr104
                                        ; implicit-def: $vgpr103
                                        ; implicit-def: $vgpr102
                                        ; implicit-def: $vgpr101
                                        ; implicit-def: $vgpr99
                                        ; implicit-def: $vgpr97
                                        ; implicit-def: $vgpr95
                                        ; implicit-def: $vgpr93
                                        ; implicit-def: $vgpr91
                                        ; implicit-def: $vgpr89
                                        ; implicit-def: $sgpr8
	s_cbranch_execz .LBB549_84
; %bb.81:
	v_cmp_gt_u32_e32 vcc, s3, v16
	v_cmp_ne_u16_e64 s[4:5], v80, v1
	s_and_b64 s[4:5], vcc, s[4:5]
	v_cmp_gt_u32_e32 vcc, s3, v17
	v_cndmask_b32_e64 v89, 0, 1, s[4:5]
	v_cmp_ne_u16_e64 s[4:5], v81, v80
	s_and_b64 s[4:5], vcc, s[4:5]
	v_cmp_gt_u32_e32 vcc, s3, v18
	v_cndmask_b32_e64 v91, 0, 1, s[4:5]
	;; [unrolled: 4-line block ×28, first 2 shown]
	v_cmp_ne_u16_e64 s[4:5], v14, v100
	s_and_b64 s[4:5], vcc, s[4:5]
	v_cmp_ne_u32_e32 vcc, 0, v0
	v_cndmask_b32_e64 v123, 0, 1, s[4:5]
	s_waitcnt lgkmcnt(0)
	s_barrier
	s_waitcnt lgkmcnt(0)
                                        ; implicit-def: $sgpr4_sgpr5
	s_and_saveexec_b64 s[6:7], vcc
	s_cbranch_execz .LBB549_83
; %bb.82:
	v_add_u32_e32 v46, -2, v46
	ds_read_u16 v46, v46
	v_cmp_gt_u32_e32 vcc, s3, v23
	s_or_b64 s[76:77], s[76:77], exec
	s_waitcnt lgkmcnt(0)
	v_cmp_ne_u16_e64 s[4:5], v46, v14
	s_and_b64 s[4:5], vcc, s[4:5]
	s_and_b64 s[4:5], s[4:5], exec
.LBB549_83:
	s_or_b64 exec, exec, s[6:7]
	s_mov_b32 s8, 1
.LBB549_84:
	v_mov_b32_e32 v124, s8
	s_and_saveexec_b64 s[6:7], s[76:77]
; %bb.85:
	v_cndmask_b32_e64 v124, 0, 1, s[4:5]
; %bb.86:
	s_or_b64 exec, exec, s[6:7]
	s_load_dwordx2 s[20:21], s[0:1], 0x60
	s_andn2_b64 vcc, exec, s[72:73]
	s_cbranch_vccnz .LBB549_88
; %bb.87:
	v_cmp_gt_u32_e32 vcc, s3, v23
	s_nop 1
	v_cndmask_b32_e32 v124, 0, v124, vcc
	v_cmp_gt_u32_e32 vcc, s3, v45
	s_nop 1
	v_cndmask_b32_e32 v123, 0, v123, vcc
	;; [unrolled: 3-line block ×30, first 2 shown]
.LBB549_88:
	v_and_b32_e32 v61, 0xff, v95
	v_and_b32_e32 v63, 0xff, v93
	v_add_u32_sdwa v16, v91, v89 dst_sel:DWORD dst_unused:UNUSED_PAD src0_sel:BYTE_0 src1_sel:BYTE_0
	v_and_b32_e32 v57, 0xff, v99
	v_and_b32_e32 v59, 0xff, v97
	v_add3_u32 v16, v16, v63, v61
	v_and_b32_e32 v53, 0xff, v102
	v_and_b32_e32 v55, 0xff, v101
	v_add3_u32 v16, v16, v59, v57
	;; [unrolled: 3-line block ×3, first 2 shown]
	v_and_b32_e32 v45, 0xff, v106
	s_waitcnt vmcnt(0)
	v_and_b32_e32 v47, 0xff, v105
	v_add3_u32 v16, v16, v51, v49
	v_and_b32_e32 v42, 0xff, v108
	v_and_b32_e32 v43, 0xff, v107
	v_add3_u32 v16, v16, v47, v45
	v_and_b32_e32 v40, 0xff, v110
	;; [unrolled: 3-line block ×9, first 2 shown]
	v_and_b32_e32 v27, 0xff, v123
	v_add3_u32 v16, v16, v29, v28
	v_add3_u32 v48, v16, v27, v26
	v_mbcnt_lo_u32_b32 v16, -1, 0
	v_mbcnt_hi_u32_b32 v44, -1, v16
	v_and_b32_e32 v16, 15, v44
	v_cmp_eq_u32_e64 s[14:15], 0, v16
	v_cmp_lt_u32_e64 s[12:13], 1, v16
	v_cmp_lt_u32_e64 s[10:11], 3, v16
	;; [unrolled: 1-line block ×3, first 2 shown]
	v_and_b32_e32 v16, 16, v44
	v_cmp_eq_u32_e64 s[6:7], 0, v16
	v_or_b32_e32 v16, 63, v0
	v_cmp_lt_u32_e64 s[18:19], 31, v44
	v_lshrrev_b32_e32 v46, 6, v0
	v_cmp_eq_u32_e64 s[4:5], v16, v0
	s_and_b64 vcc, exec, s[74:75]
	s_waitcnt lgkmcnt(0)
	s_barrier
	s_cbranch_vccz .LBB549_115
; %bb.89:
	v_mov_b32_dpp v16, v48 row_shr:1 row_mask:0xf bank_mask:0xf
	v_cndmask_b32_e64 v16, v16, 0, s[14:15]
	v_add_u32_e32 v16, v16, v48
	s_nop 1
	v_mov_b32_dpp v17, v16 row_shr:2 row_mask:0xf bank_mask:0xf
	v_cndmask_b32_e64 v17, 0, v17, s[12:13]
	v_add_u32_e32 v16, v16, v17
	s_nop 1
	;; [unrolled: 4-line block ×4, first 2 shown]
	v_mov_b32_dpp v17, v16 row_bcast:15 row_mask:0xf bank_mask:0xf
	v_cndmask_b32_e64 v17, v17, 0, s[6:7]
	v_add_u32_e32 v16, v16, v17
	s_nop 1
	v_mov_b32_dpp v17, v16 row_bcast:31 row_mask:0xf bank_mask:0xf
	v_cndmask_b32_e64 v17, 0, v17, s[18:19]
	v_add_u32_e32 v16, v16, v17
	s_and_saveexec_b64 s[16:17], s[4:5]
	s_cbranch_execz .LBB549_91
; %bb.90:
	v_lshlrev_b32_e32 v17, 2, v46
	ds_write_b32 v17, v16
.LBB549_91:
	s_or_b64 exec, exec, s[16:17]
	v_cmp_gt_u32_e32 vcc, 8, v0
	s_waitcnt lgkmcnt(0)
	s_barrier
	s_and_saveexec_b64 s[16:17], vcc
	s_cbranch_execz .LBB549_93
; %bb.92:
	v_lshlrev_b32_e32 v17, 2, v0
	ds_read_b32 v18, v17
	v_and_b32_e32 v19, 7, v44
	v_cmp_ne_u32_e32 vcc, 0, v19
	s_waitcnt lgkmcnt(0)
	v_mov_b32_dpp v20, v18 row_shr:1 row_mask:0xf bank_mask:0xf
	v_cndmask_b32_e32 v20, 0, v20, vcc
	v_add_u32_e32 v18, v20, v18
	v_cmp_lt_u32_e32 vcc, 1, v19
	s_nop 0
	v_mov_b32_dpp v20, v18 row_shr:2 row_mask:0xf bank_mask:0xf
	v_cndmask_b32_e32 v20, 0, v20, vcc
	v_add_u32_e32 v18, v18, v20
	v_cmp_lt_u32_e32 vcc, 3, v19
	s_nop 0
	v_mov_b32_dpp v20, v18 row_shr:4 row_mask:0xf bank_mask:0xf
	v_cndmask_b32_e32 v19, 0, v20, vcc
	v_add_u32_e32 v18, v18, v19
	ds_write_b32 v17, v18
.LBB549_93:
	s_or_b64 exec, exec, s[16:17]
	v_cmp_gt_u32_e32 vcc, 64, v0
	v_cmp_lt_u32_e64 s[16:17], 63, v0
	s_waitcnt lgkmcnt(0)
	s_barrier
	s_waitcnt lgkmcnt(0)
                                        ; implicit-def: $vgpr50
	s_and_saveexec_b64 s[22:23], s[16:17]
	s_cbranch_execz .LBB549_95
; %bb.94:
	v_lshl_add_u32 v17, v46, 2, -4
	ds_read_b32 v50, v17
	s_waitcnt lgkmcnt(0)
	v_add_u32_e32 v16, v50, v16
.LBB549_95:
	s_or_b64 exec, exec, s[22:23]
	v_add_u32_e32 v17, -1, v44
	v_and_b32_e32 v18, 64, v44
	v_cmp_lt_i32_e64 s[16:17], v17, v18
	s_nop 1
	v_cndmask_b32_e64 v17, v17, v44, s[16:17]
	v_lshlrev_b32_e32 v17, 2, v17
	ds_bpermute_b32 v52, v17, v16
	v_cmp_eq_u32_e64 s[16:17], 0, v44
	s_and_saveexec_b64 s[22:23], vcc
	s_cbranch_execz .LBB549_114
; %bb.96:
	v_mov_b32_e32 v23, 0
	ds_read_b32 v16, v23 offset:28
	s_and_saveexec_b64 s[24:25], s[16:17]
	s_cbranch_execz .LBB549_98
; %bb.97:
	s_add_i32 s26, s2, 64
	s_mov_b32 s27, 0
	s_lshl_b64 s[26:27], s[26:27], 3
	s_add_u32 s26, s20, s26
	v_mov_b32_e32 v17, 1
	s_addc_u32 s27, s21, s27
	s_waitcnt lgkmcnt(0)
	global_store_dwordx2 v23, v[16:17], s[26:27] sc1
.LBB549_98:
	s_or_b64 exec, exec, s[24:25]
	v_xad_u32 v18, v44, -1, s2
	v_add_u32_e32 v22, 64, v18
	v_lshl_add_u64 v[24:25], v[22:23], 3, s[20:21]
	global_load_dwordx2 v[20:21], v[24:25], off sc1
	s_waitcnt vmcnt(0)
	v_cmp_eq_u16_sdwa s[26:27], v21, v23 src0_sel:BYTE_0 src1_sel:DWORD
	s_and_saveexec_b64 s[24:25], s[26:27]
	s_cbranch_execz .LBB549_102
; %bb.99:
	s_mov_b64 s[26:27], 0
	v_mov_b32_e32 v17, 0
.LBB549_100:                            ; =>This Inner Loop Header: Depth=1
	global_load_dwordx2 v[20:21], v[24:25], off sc1
	s_waitcnt vmcnt(0)
	v_cmp_ne_u16_sdwa s[28:29], v21, v17 src0_sel:BYTE_0 src1_sel:DWORD
	s_or_b64 s[26:27], s[28:29], s[26:27]
	s_andn2_b64 exec, exec, s[26:27]
	s_cbranch_execnz .LBB549_100
; %bb.101:
	s_or_b64 exec, exec, s[26:27]
.LBB549_102:
	s_or_b64 exec, exec, s[24:25]
	v_and_b32_e32 v56, 63, v44
	v_mov_b32_e32 v54, 2
	v_cmp_ne_u32_e32 vcc, 63, v56
	v_cmp_eq_u16_sdwa s[24:25], v21, v54 src0_sel:BYTE_0 src1_sel:DWORD
	v_lshlrev_b64 v[22:23], v44, -1
	v_addc_co_u32_e32 v24, vcc, 0, v44, vcc
	v_and_b32_e32 v17, s25, v23
	v_lshlrev_b32_e32 v58, 2, v24
	v_or_b32_e32 v17, 0x80000000, v17
	ds_bpermute_b32 v24, v58, v20
	v_and_b32_e32 v19, s24, v22
	v_ffbl_b32_e32 v17, v17
	v_add_u32_e32 v17, 32, v17
	v_ffbl_b32_e32 v19, v19
	v_min_u32_e32 v17, v19, v17
	v_cmp_lt_u32_e32 vcc, v56, v17
	v_add_u32_e32 v62, 2, v56
	v_add_u32_e32 v65, 4, v56
	s_waitcnt lgkmcnt(0)
	v_cndmask_b32_e32 v19, 0, v24, vcc
	v_cmp_gt_u32_e32 vcc, 62, v56
	v_add_u32_e32 v19, v19, v20
	v_add_u32_e32 v67, 8, v56
	v_cndmask_b32_e64 v20, 0, 1, vcc
	v_lshlrev_b32_e32 v20, 1, v20
	v_add_lshl_u32 v60, v20, v44, 2
	ds_bpermute_b32 v20, v60, v19
	v_cmp_le_u32_e32 vcc, v62, v17
	v_add_u32_e32 v69, 16, v56
	v_add_u32_e32 v71, 32, v56
	s_waitcnt lgkmcnt(0)
	v_cndmask_b32_e32 v20, 0, v20, vcc
	v_cmp_gt_u32_e32 vcc, 60, v56
	v_add_u32_e32 v19, v19, v20
	s_nop 0
	v_cndmask_b32_e64 v20, 0, 1, vcc
	v_lshlrev_b32_e32 v20, 2, v20
	v_add_lshl_u32 v64, v20, v44, 2
	ds_bpermute_b32 v20, v64, v19
	v_cmp_le_u32_e32 vcc, v65, v17
	s_waitcnt lgkmcnt(0)
	s_nop 0
	v_cndmask_b32_e32 v20, 0, v20, vcc
	v_cmp_gt_u32_e32 vcc, 56, v56
	v_add_u32_e32 v19, v19, v20
	s_nop 0
	v_cndmask_b32_e64 v20, 0, 1, vcc
	v_lshlrev_b32_e32 v20, 3, v20
	v_add_lshl_u32 v66, v20, v44, 2
	ds_bpermute_b32 v20, v66, v19
	v_cmp_le_u32_e32 vcc, v67, v17
	s_waitcnt lgkmcnt(0)
	s_nop 0
	;; [unrolled: 11-line block ×4, first 2 shown]
	v_cndmask_b32_e32 v17, 0, v20, vcc
	v_add_u32_e32 v20, v19, v17
	v_mov_b32_e32 v19, 0
	s_branch .LBB549_104
.LBB549_103:                            ;   in Loop: Header=BB549_104 Depth=1
	s_or_b64 exec, exec, s[24:25]
	v_cmp_eq_u16_sdwa s[24:25], v21, v54 src0_sel:BYTE_0 src1_sel:DWORD
	ds_bpermute_b32 v72, v58, v20
	v_subrev_u32_e32 v18, 64, v18
	v_and_b32_e32 v24, s25, v23
	v_or_b32_e32 v24, 0x80000000, v24
	v_and_b32_e32 v25, s24, v22
	v_ffbl_b32_e32 v24, v24
	v_add_u32_e32 v24, 32, v24
	v_ffbl_b32_e32 v25, v25
	v_min_u32_e32 v24, v25, v24
	v_cmp_lt_u32_e32 vcc, v56, v24
	s_waitcnt lgkmcnt(0)
	s_nop 0
	v_cndmask_b32_e32 v25, 0, v72, vcc
	v_add_u32_e32 v20, v25, v20
	ds_bpermute_b32 v25, v60, v20
	v_cmp_le_u32_e32 vcc, v62, v24
	s_waitcnt lgkmcnt(0)
	s_nop 0
	v_cndmask_b32_e32 v25, 0, v25, vcc
	v_add_u32_e32 v20, v20, v25
	ds_bpermute_b32 v25, v64, v20
	v_cmp_le_u32_e32 vcc, v65, v24
	;; [unrolled: 6-line block ×5, first 2 shown]
	s_waitcnt lgkmcnt(0)
	s_nop 0
	v_cndmask_b32_e32 v24, 0, v25, vcc
	v_add3_u32 v20, v24, v17, v20
.LBB549_104:                            ; =>This Loop Header: Depth=1
                                        ;     Child Loop BB549_107 Depth 2
	v_cmp_ne_u16_sdwa s[24:25], v21, v54 src0_sel:BYTE_0 src1_sel:DWORD
	s_nop 1
	v_cndmask_b32_e64 v17, 0, 1, s[24:25]
	;;#ASMSTART
	;;#ASMEND
	s_nop 0
	v_cmp_ne_u32_e32 vcc, 0, v17
	s_cmp_lg_u64 vcc, exec
	v_mov_b32_e32 v17, v20
	s_cbranch_scc1 .LBB549_109
; %bb.105:                              ;   in Loop: Header=BB549_104 Depth=1
	v_lshl_add_u64 v[24:25], v[18:19], 3, s[20:21]
	global_load_dwordx2 v[20:21], v[24:25], off sc1
	s_waitcnt vmcnt(0)
	v_cmp_eq_u16_sdwa s[26:27], v21, v19 src0_sel:BYTE_0 src1_sel:DWORD
	s_and_saveexec_b64 s[24:25], s[26:27]
	s_cbranch_execz .LBB549_103
; %bb.106:                              ;   in Loop: Header=BB549_104 Depth=1
	s_mov_b64 s[26:27], 0
.LBB549_107:                            ;   Parent Loop BB549_104 Depth=1
                                        ; =>  This Inner Loop Header: Depth=2
	global_load_dwordx2 v[20:21], v[24:25], off sc1
	s_waitcnt vmcnt(0)
	v_cmp_ne_u16_sdwa s[28:29], v21, v19 src0_sel:BYTE_0 src1_sel:DWORD
	s_or_b64 s[26:27], s[28:29], s[26:27]
	s_andn2_b64 exec, exec, s[26:27]
	s_cbranch_execnz .LBB549_107
; %bb.108:                              ;   in Loop: Header=BB549_104 Depth=1
	s_or_b64 exec, exec, s[26:27]
	s_branch .LBB549_103
.LBB549_109:                            ;   in Loop: Header=BB549_104 Depth=1
                                        ; implicit-def: $vgpr20
                                        ; implicit-def: $vgpr21
	s_cbranch_execz .LBB549_104
; %bb.110:
	s_and_saveexec_b64 s[24:25], s[16:17]
	s_cbranch_execz .LBB549_112
; %bb.111:
	s_add_i32 s2, s2, 64
	s_mov_b32 s3, 0
	s_lshl_b64 s[2:3], s[2:3], 3
	s_add_u32 s2, s20, s2
	v_add_u32_e32 v18, v17, v16
	v_mov_b32_e32 v19, 2
	s_addc_u32 s3, s21, s3
	v_mov_b32_e32 v20, 0
	global_store_dwordx2 v20, v[18:19], s[2:3] sc1
	ds_write_b64 v20, v[16:17] offset:30720
.LBB549_112:
	s_or_b64 exec, exec, s[24:25]
	v_cmp_eq_u32_e32 vcc, 0, v0
	s_and_b64 exec, exec, vcc
	s_cbranch_execz .LBB549_114
; %bb.113:
	v_mov_b32_e32 v16, 0
	ds_write_b32 v16, v17 offset:28
.LBB549_114:
	s_or_b64 exec, exec, s[22:23]
	v_mov_b32_e32 v16, 0
	s_waitcnt lgkmcnt(0)
	s_barrier
	ds_read_b32 v19, v16 offset:28
	s_waitcnt lgkmcnt(0)
	s_barrier
	ds_read_b64 v[16:17], v16 offset:30720
	v_cndmask_b32_e64 v18, v52, v50, s[16:17]
	v_cmp_ne_u32_e32 vcc, 0, v0
	s_nop 1
	v_cndmask_b32_e32 v18, 0, v18, vcc
	v_add_u32_e32 v72, v19, v18
	s_waitcnt lgkmcnt(0)
	v_mov_b32_e32 v18, v17
	s_load_dwordx2 s[2:3], s[0:1], 0x28
	s_branch .LBB549_125
.LBB549_115:
                                        ; implicit-def: $vgpr18
                                        ; implicit-def: $vgpr16
                                        ; implicit-def: $vgpr72
	s_load_dwordx2 s[2:3], s[0:1], 0x28
	s_cbranch_execz .LBB549_125
; %bb.116:
	v_mov_b32_dpp v16, v48 row_shr:1 row_mask:0xf bank_mask:0xf
	v_cndmask_b32_e64 v16, v16, 0, s[14:15]
	v_add_u32_e32 v16, v16, v48
	s_nop 1
	v_mov_b32_dpp v17, v16 row_shr:2 row_mask:0xf bank_mask:0xf
	v_cndmask_b32_e64 v17, 0, v17, s[12:13]
	v_add_u32_e32 v16, v16, v17
	s_nop 1
	;; [unrolled: 4-line block ×4, first 2 shown]
	v_mov_b32_dpp v17, v16 row_bcast:15 row_mask:0xf bank_mask:0xf
	v_cndmask_b32_e64 v17, v17, 0, s[6:7]
	v_add_u32_e32 v16, v16, v17
	s_nop 1
	v_mov_b32_dpp v17, v16 row_bcast:31 row_mask:0xf bank_mask:0xf
	v_cndmask_b32_e64 v17, 0, v17, s[18:19]
	v_add_u32_e32 v16, v16, v17
	s_and_saveexec_b64 s[0:1], s[4:5]
	s_cbranch_execz .LBB549_118
; %bb.117:
	v_lshlrev_b32_e32 v17, 2, v46
	ds_write_b32 v17, v16
.LBB549_118:
	s_or_b64 exec, exec, s[0:1]
	v_cmp_gt_u32_e32 vcc, 8, v0
	s_waitcnt lgkmcnt(0)
	s_barrier
	s_and_saveexec_b64 s[0:1], vcc
	s_cbranch_execz .LBB549_120
; %bb.119:
	v_lshlrev_b32_e32 v17, 2, v0
	ds_read_b32 v18, v17
	v_and_b32_e32 v19, 7, v44
	v_cmp_ne_u32_e32 vcc, 0, v19
	s_waitcnt lgkmcnt(0)
	v_mov_b32_dpp v20, v18 row_shr:1 row_mask:0xf bank_mask:0xf
	v_cndmask_b32_e32 v20, 0, v20, vcc
	v_add_u32_e32 v18, v20, v18
	v_cmp_lt_u32_e32 vcc, 1, v19
	s_nop 0
	v_mov_b32_dpp v20, v18 row_shr:2 row_mask:0xf bank_mask:0xf
	v_cndmask_b32_e32 v20, 0, v20, vcc
	v_add_u32_e32 v18, v18, v20
	v_cmp_lt_u32_e32 vcc, 3, v19
	s_nop 0
	v_mov_b32_dpp v20, v18 row_shr:4 row_mask:0xf bank_mask:0xf
	v_cndmask_b32_e32 v19, 0, v20, vcc
	v_add_u32_e32 v18, v18, v19
	ds_write_b32 v17, v18
.LBB549_120:
	s_or_b64 exec, exec, s[0:1]
	v_cmp_lt_u32_e32 vcc, 63, v0
	v_mov_b32_e32 v17, 0
	v_mov_b32_e32 v18, 0
	s_waitcnt lgkmcnt(0)
	s_barrier
	s_and_saveexec_b64 s[0:1], vcc
	s_cbranch_execz .LBB549_122
; %bb.121:
	v_lshl_add_u32 v18, v46, 2, -4
	ds_read_b32 v18, v18
.LBB549_122:
	s_or_b64 exec, exec, s[0:1]
	v_add_u32_e32 v19, -1, v44
	v_and_b32_e32 v20, 64, v44
	v_cmp_lt_i32_e32 vcc, v19, v20
	s_waitcnt lgkmcnt(0)
	v_add_u32_e32 v16, v18, v16
	v_cndmask_b32_e32 v19, v19, v44, vcc
	v_lshlrev_b32_e32 v19, 2, v19
	ds_bpermute_b32 v19, v19, v16
	ds_read_b32 v16, v17 offset:28
	v_cmp_eq_u32_e32 vcc, 0, v0
	s_and_saveexec_b64 s[0:1], vcc
	s_cbranch_execz .LBB549_124
; %bb.123:
	v_mov_b32_e32 v20, 0
	v_mov_b32_e32 v17, 2
	s_waitcnt lgkmcnt(0)
	global_store_dwordx2 v20, v[16:17], s[20:21] offset:512 sc1
.LBB549_124:
	s_or_b64 exec, exec, s[0:1]
	v_cmp_eq_u32_e64 s[0:1], 0, v44
	s_waitcnt lgkmcnt(0)
	s_barrier
	v_cndmask_b32_e64 v17, v19, v18, s[0:1]
	v_mov_b32_e32 v18, 0
	v_cndmask_b32_e64 v72, v17, 0, vcc
.LBB549_125:
	v_add_u32_e32 v78, v72, v26
	v_add_u32_e32 v76, v78, v27
	;; [unrolled: 1-line block ×27, first 2 shown]
	s_movk_i32 s0, 0x201
	v_add_u32_e32 v22, v24, v63
	v_cmp_gt_u32_e32 vcc, s0, v16
	v_add_u32_sdwa v20, v22, v91 dst_sel:DWORD dst_unused:UNUSED_PAD src0_sel:DWORD src1_sel:BYTE_0
	s_mov_b64 s[0:1], -1
	s_cbranch_vccnz .LBB549_129
; %bb.126:
	s_and_b64 vcc, exec, s[0:1]
	s_cbranch_vccnz .LBB549_220
.LBB549_127:
	v_cmp_eq_u32_e32 vcc, 0, v0
	s_and_b64 s[0:1], vcc, s[68:69]
	s_waitcnt lgkmcnt(0)
	s_and_saveexec_b64 s[2:3], s[0:1]
	s_cbranch_execnz .LBB549_294
.LBB549_128:
	s_endpgm
.LBB549_129:
	v_add_u32_e32 v17, v18, v16
	s_lshl_b64 s[0:1], s[66:67], 1
	s_waitcnt lgkmcnt(0)
	s_add_u32 s0, s2, s0
	v_cmp_lt_u32_e32 vcc, v72, v17
	s_addc_u32 s1, s3, s1
	s_or_b64 s[6:7], s[70:71], vcc
	s_and_saveexec_b64 s[4:5], s[6:7]
	s_cbranch_execz .LBB549_132
; %bb.130:
	v_and_b32_e32 v19, 1, v124
	v_cmp_eq_u32_e32 vcc, 1, v19
	s_and_b64 exec, exec, vcc
	s_cbranch_execz .LBB549_132
; %bb.131:
	v_mov_b32_e32 v73, 0
	v_lshl_add_u64 v[126:127], v[72:73], 1, s[0:1]
	global_store_short v[126:127], v14, off
.LBB549_132:
	s_or_b64 exec, exec, s[4:5]
	v_cmp_lt_u32_e32 vcc, v78, v17
	s_or_b64 s[6:7], s[70:71], vcc
	s_and_saveexec_b64 s[4:5], s[6:7]
	s_cbranch_execz .LBB549_135
; %bb.133:
	v_and_b32_e32 v19, 1, v123
	v_cmp_eq_u32_e32 vcc, 1, v19
	s_and_b64 exec, exec, vcc
	s_cbranch_execz .LBB549_135
; %bb.134:
	v_mov_b32_e32 v79, 0
	v_lshl_add_u64 v[126:127], v[78:79], 1, s[0:1]
	global_store_short v[126:127], v100, off
.LBB549_135:
	s_or_b64 exec, exec, s[4:5]
	v_cmp_lt_u32_e32 vcc, v76, v17
	s_or_b64 s[6:7], s[70:71], vcc
	s_and_saveexec_b64 s[4:5], s[6:7]
	s_cbranch_execz .LBB549_138
; %bb.136:
	v_and_b32_e32 v19, 1, v122
	v_cmp_eq_u32_e32 vcc, 1, v19
	s_and_b64 exec, exec, vcc
	s_cbranch_execz .LBB549_138
; %bb.137:
	v_mov_b32_e32 v77, 0
	v_lshl_add_u64 v[126:127], v[76:77], 1, s[0:1]
	global_store_short v[126:127], v15, off
.LBB549_138:
	s_or_b64 exec, exec, s[4:5]
	v_cmp_lt_u32_e32 vcc, v74, v17
	s_or_b64 s[6:7], s[70:71], vcc
	s_and_saveexec_b64 s[4:5], s[6:7]
	s_cbranch_execz .LBB549_141
; %bb.139:
	v_and_b32_e32 v19, 1, v121
	v_cmp_eq_u32_e32 vcc, 1, v19
	s_and_b64 exec, exec, vcc
	s_cbranch_execz .LBB549_141
; %bb.140:
	v_mov_b32_e32 v75, 0
	v_lshl_add_u64 v[126:127], v[74:75], 1, s[0:1]
	global_store_short v[126:127], v98, off
.LBB549_141:
	s_or_b64 exec, exec, s[4:5]
	v_cmp_lt_u32_e32 vcc, v70, v17
	s_or_b64 s[6:7], s[70:71], vcc
	s_and_saveexec_b64 s[4:5], s[6:7]
	s_cbranch_execz .LBB549_144
; %bb.142:
	v_and_b32_e32 v19, 1, v120
	v_cmp_eq_u32_e32 vcc, 1, v19
	s_and_b64 exec, exec, vcc
	s_cbranch_execz .LBB549_144
; %bb.143:
	v_mov_b32_e32 v71, 0
	v_lshl_add_u64 v[126:127], v[70:71], 1, s[0:1]
	global_store_short v[126:127], v12, off
.LBB549_144:
	s_or_b64 exec, exec, s[4:5]
	v_cmp_lt_u32_e32 vcc, v68, v17
	s_or_b64 s[6:7], s[70:71], vcc
	s_and_saveexec_b64 s[4:5], s[6:7]
	s_cbranch_execz .LBB549_147
; %bb.145:
	v_and_b32_e32 v19, 1, v119
	v_cmp_eq_u32_e32 vcc, 1, v19
	s_and_b64 exec, exec, vcc
	s_cbranch_execz .LBB549_147
; %bb.146:
	v_mov_b32_e32 v69, 0
	v_lshl_add_u64 v[126:127], v[68:69], 1, s[0:1]
	global_store_short v[126:127], v96, off
.LBB549_147:
	s_or_b64 exec, exec, s[4:5]
	v_cmp_lt_u32_e32 vcc, v66, v17
	s_or_b64 s[6:7], s[70:71], vcc
	s_and_saveexec_b64 s[4:5], s[6:7]
	s_cbranch_execz .LBB549_150
; %bb.148:
	v_and_b32_e32 v19, 1, v118
	v_cmp_eq_u32_e32 vcc, 1, v19
	s_and_b64 exec, exec, vcc
	s_cbranch_execz .LBB549_150
; %bb.149:
	v_mov_b32_e32 v67, 0
	v_lshl_add_u64 v[126:127], v[66:67], 1, s[0:1]
	global_store_short v[126:127], v13, off
.LBB549_150:
	s_or_b64 exec, exec, s[4:5]
	v_cmp_lt_u32_e32 vcc, v64, v17
	s_or_b64 s[6:7], s[70:71], vcc
	s_and_saveexec_b64 s[4:5], s[6:7]
	s_cbranch_execz .LBB549_153
; %bb.151:
	v_and_b32_e32 v19, 1, v117
	v_cmp_eq_u32_e32 vcc, 1, v19
	s_and_b64 exec, exec, vcc
	s_cbranch_execz .LBB549_153
; %bb.152:
	v_mov_b32_e32 v65, 0
	v_lshl_add_u64 v[126:127], v[64:65], 1, s[0:1]
	global_store_short v[126:127], v94, off
.LBB549_153:
	s_or_b64 exec, exec, s[4:5]
	v_cmp_lt_u32_e32 vcc, v62, v17
	s_or_b64 s[6:7], s[70:71], vcc
	s_and_saveexec_b64 s[4:5], s[6:7]
	s_cbranch_execz .LBB549_156
; %bb.154:
	v_and_b32_e32 v19, 1, v116
	v_cmp_eq_u32_e32 vcc, 1, v19
	s_and_b64 exec, exec, vcc
	s_cbranch_execz .LBB549_156
; %bb.155:
	v_mov_b32_e32 v63, 0
	v_lshl_add_u64 v[126:127], v[62:63], 1, s[0:1]
	global_store_short v[126:127], v10, off
.LBB549_156:
	s_or_b64 exec, exec, s[4:5]
	v_cmp_lt_u32_e32 vcc, v60, v17
	s_or_b64 s[6:7], s[70:71], vcc
	s_and_saveexec_b64 s[4:5], s[6:7]
	s_cbranch_execz .LBB549_159
; %bb.157:
	v_and_b32_e32 v19, 1, v115
	v_cmp_eq_u32_e32 vcc, 1, v19
	s_and_b64 exec, exec, vcc
	s_cbranch_execz .LBB549_159
; %bb.158:
	v_mov_b32_e32 v61, 0
	v_lshl_add_u64 v[126:127], v[60:61], 1, s[0:1]
	global_store_short v[126:127], v92, off
.LBB549_159:
	s_or_b64 exec, exec, s[4:5]
	v_cmp_lt_u32_e32 vcc, v58, v17
	s_or_b64 s[6:7], s[70:71], vcc
	s_and_saveexec_b64 s[4:5], s[6:7]
	s_cbranch_execz .LBB549_162
; %bb.160:
	v_and_b32_e32 v19, 1, v114
	v_cmp_eq_u32_e32 vcc, 1, v19
	s_and_b64 exec, exec, vcc
	s_cbranch_execz .LBB549_162
; %bb.161:
	v_mov_b32_e32 v59, 0
	v_lshl_add_u64 v[126:127], v[58:59], 1, s[0:1]
	global_store_short v[126:127], v11, off
.LBB549_162:
	s_or_b64 exec, exec, s[4:5]
	v_cmp_lt_u32_e32 vcc, v56, v17
	s_or_b64 s[6:7], s[70:71], vcc
	s_and_saveexec_b64 s[4:5], s[6:7]
	s_cbranch_execz .LBB549_165
; %bb.163:
	v_and_b32_e32 v19, 1, v113
	v_cmp_eq_u32_e32 vcc, 1, v19
	s_and_b64 exec, exec, vcc
	s_cbranch_execz .LBB549_165
; %bb.164:
	v_mov_b32_e32 v57, 0
	v_lshl_add_u64 v[126:127], v[56:57], 1, s[0:1]
	global_store_short v[126:127], v90, off
.LBB549_165:
	s_or_b64 exec, exec, s[4:5]
	v_cmp_lt_u32_e32 vcc, v54, v17
	s_or_b64 s[6:7], s[70:71], vcc
	s_and_saveexec_b64 s[4:5], s[6:7]
	s_cbranch_execz .LBB549_168
; %bb.166:
	v_and_b32_e32 v19, 1, v112
	v_cmp_eq_u32_e32 vcc, 1, v19
	s_and_b64 exec, exec, vcc
	s_cbranch_execz .LBB549_168
; %bb.167:
	v_mov_b32_e32 v55, 0
	v_lshl_add_u64 v[126:127], v[54:55], 1, s[0:1]
	global_store_short v[126:127], v8, off
.LBB549_168:
	s_or_b64 exec, exec, s[4:5]
	v_cmp_lt_u32_e32 vcc, v52, v17
	s_or_b64 s[6:7], s[70:71], vcc
	s_and_saveexec_b64 s[4:5], s[6:7]
	s_cbranch_execz .LBB549_171
; %bb.169:
	v_and_b32_e32 v19, 1, v111
	v_cmp_eq_u32_e32 vcc, 1, v19
	s_and_b64 exec, exec, vcc
	s_cbranch_execz .LBB549_171
; %bb.170:
	v_mov_b32_e32 v53, 0
	v_lshl_add_u64 v[126:127], v[52:53], 1, s[0:1]
	global_store_short v[126:127], v88, off
.LBB549_171:
	s_or_b64 exec, exec, s[4:5]
	v_cmp_lt_u32_e32 vcc, v50, v17
	s_or_b64 s[6:7], s[70:71], vcc
	s_and_saveexec_b64 s[4:5], s[6:7]
	s_cbranch_execz .LBB549_174
; %bb.172:
	v_and_b32_e32 v19, 1, v110
	v_cmp_eq_u32_e32 vcc, 1, v19
	s_and_b64 exec, exec, vcc
	s_cbranch_execz .LBB549_174
; %bb.173:
	v_mov_b32_e32 v51, 0
	v_lshl_add_u64 v[126:127], v[50:51], 1, s[0:1]
	global_store_short v[126:127], v9, off
.LBB549_174:
	s_or_b64 exec, exec, s[4:5]
	v_cmp_lt_u32_e32 vcc, v48, v17
	s_or_b64 s[6:7], s[70:71], vcc
	s_and_saveexec_b64 s[4:5], s[6:7]
	s_cbranch_execz .LBB549_177
; %bb.175:
	v_and_b32_e32 v19, 1, v109
	v_cmp_eq_u32_e32 vcc, 1, v19
	s_and_b64 exec, exec, vcc
	s_cbranch_execz .LBB549_177
; %bb.176:
	v_mov_b32_e32 v49, 0
	v_lshl_add_u64 v[126:127], v[48:49], 1, s[0:1]
	global_store_short v[126:127], v87, off
.LBB549_177:
	s_or_b64 exec, exec, s[4:5]
	v_cmp_lt_u32_e32 vcc, v46, v17
	s_or_b64 s[6:7], s[70:71], vcc
	s_and_saveexec_b64 s[4:5], s[6:7]
	s_cbranch_execz .LBB549_180
; %bb.178:
	v_and_b32_e32 v19, 1, v108
	v_cmp_eq_u32_e32 vcc, 1, v19
	s_and_b64 exec, exec, vcc
	s_cbranch_execz .LBB549_180
; %bb.179:
	v_mov_b32_e32 v47, 0
	v_lshl_add_u64 v[126:127], v[46:47], 1, s[0:1]
	global_store_short v[126:127], v6, off
.LBB549_180:
	s_or_b64 exec, exec, s[4:5]
	v_cmp_lt_u32_e32 vcc, v44, v17
	s_or_b64 s[6:7], s[70:71], vcc
	s_and_saveexec_b64 s[4:5], s[6:7]
	s_cbranch_execz .LBB549_183
; %bb.181:
	v_and_b32_e32 v19, 1, v107
	v_cmp_eq_u32_e32 vcc, 1, v19
	s_and_b64 exec, exec, vcc
	s_cbranch_execz .LBB549_183
; %bb.182:
	v_mov_b32_e32 v45, 0
	v_lshl_add_u64 v[126:127], v[44:45], 1, s[0:1]
	global_store_short v[126:127], v86, off
.LBB549_183:
	s_or_b64 exec, exec, s[4:5]
	v_cmp_lt_u32_e32 vcc, v42, v17
	s_or_b64 s[6:7], s[70:71], vcc
	s_and_saveexec_b64 s[4:5], s[6:7]
	s_cbranch_execz .LBB549_186
; %bb.184:
	v_and_b32_e32 v19, 1, v106
	v_cmp_eq_u32_e32 vcc, 1, v19
	s_and_b64 exec, exec, vcc
	s_cbranch_execz .LBB549_186
; %bb.185:
	v_mov_b32_e32 v43, 0
	v_lshl_add_u64 v[126:127], v[42:43], 1, s[0:1]
	global_store_short v[126:127], v7, off
.LBB549_186:
	s_or_b64 exec, exec, s[4:5]
	v_cmp_lt_u32_e32 vcc, v40, v17
	s_or_b64 s[6:7], s[70:71], vcc
	s_and_saveexec_b64 s[4:5], s[6:7]
	s_cbranch_execz .LBB549_189
; %bb.187:
	v_and_b32_e32 v19, 1, v105
	v_cmp_eq_u32_e32 vcc, 1, v19
	s_and_b64 exec, exec, vcc
	s_cbranch_execz .LBB549_189
; %bb.188:
	v_mov_b32_e32 v41, 0
	v_lshl_add_u64 v[126:127], v[40:41], 1, s[0:1]
	global_store_short v[126:127], v85, off
.LBB549_189:
	s_or_b64 exec, exec, s[4:5]
	v_cmp_lt_u32_e32 vcc, v38, v17
	s_or_b64 s[6:7], s[70:71], vcc
	s_and_saveexec_b64 s[4:5], s[6:7]
	s_cbranch_execz .LBB549_192
; %bb.190:
	v_and_b32_e32 v19, 1, v104
	v_cmp_eq_u32_e32 vcc, 1, v19
	s_and_b64 exec, exec, vcc
	s_cbranch_execz .LBB549_192
; %bb.191:
	v_mov_b32_e32 v39, 0
	v_lshl_add_u64 v[126:127], v[38:39], 1, s[0:1]
	global_store_short v[126:127], v4, off
.LBB549_192:
	s_or_b64 exec, exec, s[4:5]
	v_cmp_lt_u32_e32 vcc, v36, v17
	s_or_b64 s[6:7], s[70:71], vcc
	s_and_saveexec_b64 s[4:5], s[6:7]
	s_cbranch_execz .LBB549_195
; %bb.193:
	v_and_b32_e32 v19, 1, v103
	v_cmp_eq_u32_e32 vcc, 1, v19
	s_and_b64 exec, exec, vcc
	s_cbranch_execz .LBB549_195
; %bb.194:
	v_mov_b32_e32 v37, 0
	v_lshl_add_u64 v[126:127], v[36:37], 1, s[0:1]
	global_store_short v[126:127], v84, off
.LBB549_195:
	s_or_b64 exec, exec, s[4:5]
	v_cmp_lt_u32_e32 vcc, v34, v17
	s_or_b64 s[6:7], s[70:71], vcc
	s_and_saveexec_b64 s[4:5], s[6:7]
	s_cbranch_execz .LBB549_198
; %bb.196:
	v_and_b32_e32 v19, 1, v102
	v_cmp_eq_u32_e32 vcc, 1, v19
	s_and_b64 exec, exec, vcc
	s_cbranch_execz .LBB549_198
; %bb.197:
	v_mov_b32_e32 v35, 0
	v_lshl_add_u64 v[126:127], v[34:35], 1, s[0:1]
	global_store_short v[126:127], v5, off
.LBB549_198:
	s_or_b64 exec, exec, s[4:5]
	v_cmp_lt_u32_e32 vcc, v32, v17
	s_or_b64 s[6:7], s[70:71], vcc
	s_and_saveexec_b64 s[4:5], s[6:7]
	s_cbranch_execz .LBB549_201
; %bb.199:
	v_and_b32_e32 v19, 1, v101
	v_cmp_eq_u32_e32 vcc, 1, v19
	s_and_b64 exec, exec, vcc
	s_cbranch_execz .LBB549_201
; %bb.200:
	v_mov_b32_e32 v33, 0
	v_lshl_add_u64 v[126:127], v[32:33], 1, s[0:1]
	global_store_short v[126:127], v83, off
.LBB549_201:
	s_or_b64 exec, exec, s[4:5]
	v_cmp_lt_u32_e32 vcc, v30, v17
	s_or_b64 s[6:7], s[70:71], vcc
	s_and_saveexec_b64 s[4:5], s[6:7]
	s_cbranch_execz .LBB549_204
; %bb.202:
	v_and_b32_e32 v19, 1, v99
	v_cmp_eq_u32_e32 vcc, 1, v19
	s_and_b64 exec, exec, vcc
	s_cbranch_execz .LBB549_204
; %bb.203:
	v_mov_b32_e32 v31, 0
	v_lshl_add_u64 v[126:127], v[30:31], 1, s[0:1]
	global_store_short v[126:127], v2, off
.LBB549_204:
	s_or_b64 exec, exec, s[4:5]
	v_cmp_lt_u32_e32 vcc, v28, v17
	s_or_b64 s[6:7], s[70:71], vcc
	s_and_saveexec_b64 s[4:5], s[6:7]
	s_cbranch_execz .LBB549_207
; %bb.205:
	v_and_b32_e32 v19, 1, v97
	v_cmp_eq_u32_e32 vcc, 1, v19
	s_and_b64 exec, exec, vcc
	s_cbranch_execz .LBB549_207
; %bb.206:
	v_mov_b32_e32 v29, 0
	v_lshl_add_u64 v[126:127], v[28:29], 1, s[0:1]
	global_store_short v[126:127], v82, off
.LBB549_207:
	s_or_b64 exec, exec, s[4:5]
	v_cmp_lt_u32_e32 vcc, v26, v17
	s_or_b64 s[6:7], s[70:71], vcc
	s_and_saveexec_b64 s[4:5], s[6:7]
	s_cbranch_execz .LBB549_210
; %bb.208:
	v_and_b32_e32 v19, 1, v95
	v_cmp_eq_u32_e32 vcc, 1, v19
	s_and_b64 exec, exec, vcc
	s_cbranch_execz .LBB549_210
; %bb.209:
	v_mov_b32_e32 v27, 0
	v_lshl_add_u64 v[126:127], v[26:27], 1, s[0:1]
	global_store_short v[126:127], v3, off
.LBB549_210:
	s_or_b64 exec, exec, s[4:5]
	v_cmp_lt_u32_e32 vcc, v24, v17
	s_or_b64 s[6:7], s[70:71], vcc
	s_and_saveexec_b64 s[4:5], s[6:7]
	s_cbranch_execz .LBB549_213
; %bb.211:
	v_and_b32_e32 v19, 1, v93
	v_cmp_eq_u32_e32 vcc, 1, v19
	s_and_b64 exec, exec, vcc
	s_cbranch_execz .LBB549_213
; %bb.212:
	v_mov_b32_e32 v25, 0
	v_lshl_add_u64 v[126:127], v[24:25], 1, s[0:1]
	global_store_short v[126:127], v81, off
.LBB549_213:
	s_or_b64 exec, exec, s[4:5]
	v_cmp_lt_u32_e32 vcc, v22, v17
	s_or_b64 s[6:7], s[70:71], vcc
	s_and_saveexec_b64 s[4:5], s[6:7]
	s_cbranch_execz .LBB549_216
; %bb.214:
	v_and_b32_e32 v19, 1, v91
	v_cmp_eq_u32_e32 vcc, 1, v19
	s_and_b64 exec, exec, vcc
	s_cbranch_execz .LBB549_216
; %bb.215:
	v_mov_b32_e32 v23, 0
	v_lshl_add_u64 v[126:127], v[22:23], 1, s[0:1]
	global_store_short v[126:127], v80, off
.LBB549_216:
	s_or_b64 exec, exec, s[4:5]
	v_cmp_lt_u32_e32 vcc, v20, v17
	s_or_b64 s[6:7], s[70:71], vcc
	s_and_saveexec_b64 s[4:5], s[6:7]
	s_cbranch_execz .LBB549_219
; %bb.217:
	v_and_b32_e32 v17, 1, v89
	v_cmp_eq_u32_e32 vcc, 1, v17
	s_and_b64 exec, exec, vcc
	s_cbranch_execz .LBB549_219
; %bb.218:
	v_mov_b32_e32 v21, 0
	v_lshl_add_u64 v[126:127], v[20:21], 1, s[0:1]
	global_store_short v[126:127], v1, off
.LBB549_219:
	s_or_b64 exec, exec, s[4:5]
	s_branch .LBB549_127
.LBB549_220:
	v_and_b32_e32 v17, 1, v124
	v_cmp_eq_u32_e32 vcc, 1, v17
	s_and_saveexec_b64 s[0:1], vcc
	s_cbranch_execz .LBB549_222
; %bb.221:
	v_sub_u32_e32 v17, v72, v18
	v_lshlrev_b32_e32 v17, 1, v17
	ds_write_b16 v17, v14
.LBB549_222:
	s_or_b64 exec, exec, s[0:1]
	v_and_b32_e32 v14, 1, v123
	v_cmp_eq_u32_e32 vcc, 1, v14
	s_and_saveexec_b64 s[0:1], vcc
	s_cbranch_execz .LBB549_224
; %bb.223:
	v_sub_u32_e32 v14, v78, v18
	v_lshlrev_b32_e32 v14, 1, v14
	ds_write_b16 v14, v100
.LBB549_224:
	s_or_b64 exec, exec, s[0:1]
	;; [unrolled: 10-line block ×30, first 2 shown]
	v_cmp_lt_u32_e32 vcc, v0, v16
	s_waitcnt lgkmcnt(0)
	s_barrier
	s_and_saveexec_b64 s[0:1], vcc
	s_cbranch_execz .LBB549_293
; %bb.281:
	s_lshl_b64 s[4:5], s[66:67], 1
	v_mov_b32_e32 v19, 0
	s_add_u32 s2, s2, s4
	s_addc_u32 s3, s3, s5
	v_lshlrev_b64 v[2:3], 1, v[18:19]
	v_lshl_add_u64 v[8:9], s[2:3], 0, v[2:3]
	v_xad_u32 v1, v0, -1, v16
	s_movk_i32 s2, 0x5ff
	v_cmp_lt_u32_e32 vcc, s2, v1
	s_mov_b64 s[4:5], -1
	v_mov_b32_e32 v2, v0
	s_and_saveexec_b64 s[2:3], vcc
	s_cbranch_execz .LBB549_290
; %bb.282:
	v_lshrrev_b32_e32 v12, 9, v1
	v_add_u32_e32 v4, -3, v12
	v_or_b32_e32 v3, 0x600, v0
	v_or_b32_e32 v2, 0x400, v0
	v_lshrrev_b32_e32 v5, 2, v4
	v_or_b32_e32 v1, 0x200, v0
	v_add_u32_e32 v14, 1, v5
	v_cmp_lt_u32_e32 vcc, 11, v4
	v_mov_b64_e32 v[6:7], v[2:3]
	v_lshlrev_b32_e32 v13, 1, v0
	v_mov_b64_e32 v[4:5], v[0:1]
	s_and_saveexec_b64 s[4:5], vcc
	s_cbranch_execz .LBB549_286
; %bb.283:
	v_mov_b64_e32 v[6:7], v[2:3]
	v_and_b32_e32 v15, 0x7ffffffc, v14
	s_mov_b32 s8, 0
	s_mov_b64 s[6:7], 0
	v_mov_b32_e32 v11, 0
	v_mov_b32_e32 v17, v13
	v_mov_b64_e32 v[4:5], v[0:1]
.LBB549_284:                            ; =>This Inner Loop Header: Depth=1
	v_mov_b32_e32 v10, v4
	ds_read_u16 v1, v17
	ds_read_u16 v44, v17 offset:1024
	ds_read_u16 v45, v17 offset:2048
	;; [unrolled: 1-line block ×7, first 2 shown]
	v_lshl_add_u64 v[36:37], v[10:11], 1, v[8:9]
	v_mov_b32_e32 v10, v5
	v_lshl_add_u64 v[38:39], v[10:11], 1, v[8:9]
	v_mov_b32_e32 v10, v6
	ds_read_u16 v51, v17 offset:8192
	ds_read_u16 v52, v17 offset:9216
	;; [unrolled: 1-line block ×8, first 2 shown]
	v_lshl_add_u64 v[40:41], v[10:11], 1, v[8:9]
	v_mov_b32_e32 v10, v7
	v_add_u32_e32 v2, 0x800, v7
	v_mov_b32_e32 v3, v11
	v_lshl_add_u64 v[42:43], v[10:11], 1, v[8:9]
	v_add_u32_e32 v10, 0x800, v4
	v_add_u32_e32 v20, 0x800, v6
	;; [unrolled: 1-line block ×3, first 2 shown]
	v_mov_b32_e32 v23, v11
	v_mov_b32_e32 v21, v11
	v_add_u32_e32 v15, -4, v15
	v_lshl_add_u64 v[2:3], v[2:3], 1, v[8:9]
	s_waitcnt lgkmcnt(14)
	global_store_short v[36:37], v1, off
	global_store_short v[38:39], v44, off
	s_waitcnt lgkmcnt(13)
	global_store_short v[40:41], v45, off
	s_waitcnt lgkmcnt(12)
	global_store_short v[42:43], v46, off
	v_lshl_add_u64 v[36:37], v[10:11], 1, v[8:9]
	v_add_u32_e32 v10, 0x1000, v4
	v_add_u32_e32 v24, 0x1000, v7
	;; [unrolled: 1-line block ×4, first 2 shown]
	v_mov_b32_e32 v29, v11
	v_mov_b32_e32 v27, v11
	v_mov_b32_e32 v25, v11
	s_add_i32 s8, s8, 16
	v_lshl_add_u64 v[22:23], v[22:23], 1, v[8:9]
	v_lshl_add_u64 v[20:21], v[20:21], 1, v[8:9]
	v_cmp_eq_u32_e32 vcc, 0, v15
	s_waitcnt lgkmcnt(11)
	global_store_short v[36:37], v47, off
	s_waitcnt lgkmcnt(10)
	global_store_short v[22:23], v48, off
	s_waitcnt lgkmcnt(9)
	global_store_short v[20:21], v49, off
	s_waitcnt lgkmcnt(8)
	global_store_short v[2:3], v50, off
	v_lshl_add_u64 v[2:3], v[10:11], 1, v[8:9]
	v_add_u32_e32 v10, 0x1800, v4
	v_add_u32_e32 v30, 0x1800, v7
	;; [unrolled: 1-line block ×4, first 2 shown]
	v_mov_b32_e32 v35, v11
	v_mov_b32_e32 v33, v11
	;; [unrolled: 1-line block ×3, first 2 shown]
	v_add_u32_e32 v17, 0x4000, v17
	v_lshl_add_u64 v[28:29], v[28:29], 1, v[8:9]
	v_lshl_add_u64 v[26:27], v[26:27], 1, v[8:9]
	;; [unrolled: 1-line block ×3, first 2 shown]
	v_add_u32_e32 v5, 0x2000, v5
	v_mov_b32_e32 v19, s8
	v_add_u32_e32 v6, 0x2000, v6
	s_or_b64 s[6:7], vcc, s[6:7]
	v_add_u32_e32 v7, 0x2000, v7
	v_add_u32_e32 v4, 0x2000, v4
	s_waitcnt lgkmcnt(7)
	global_store_short v[2:3], v51, off
	s_waitcnt lgkmcnt(6)
	global_store_short v[28:29], v52, off
	;; [unrolled: 2-line block ×4, first 2 shown]
	v_lshl_add_u64 v[2:3], v[10:11], 1, v[8:9]
	v_lshl_add_u64 v[34:35], v[34:35], 1, v[8:9]
	;; [unrolled: 1-line block ×4, first 2 shown]
	s_waitcnt lgkmcnt(3)
	global_store_short v[2:3], v55, off
	s_waitcnt lgkmcnt(2)
	global_store_short v[34:35], v56, off
	;; [unrolled: 2-line block ×4, first 2 shown]
	s_andn2_b64 exec, exec, s[6:7]
	s_cbranch_execnz .LBB549_284
; %bb.285:
	s_or_b64 exec, exec, s[6:7]
.LBB549_286:
	s_or_b64 exec, exec, s[4:5]
	v_and_b32_e32 v1, 3, v14
	v_cmp_ne_u32_e32 vcc, 0, v1
	s_and_saveexec_b64 s[4:5], vcc
	s_cbranch_execz .LBB549_289
; %bb.287:
	v_lshl_or_b32 v10, v19, 10, v13
	s_mov_b64 s[6:7], 0
	v_mov_b32_e32 v3, 0
.LBB549_288:                            ; =>This Inner Loop Header: Depth=1
	ds_read_u16 v11, v10
	ds_read_u16 v13, v10 offset:1024
	ds_read_u16 v17, v10 offset:2048
	;; [unrolled: 1-line block ×3, first 2 shown]
	v_mov_b32_e32 v2, v4
	v_add_u32_e32 v1, -1, v1
	v_lshl_add_u64 v[14:15], v[2:3], 1, v[8:9]
	v_mov_b32_e32 v2, v5
	v_cmp_eq_u32_e32 vcc, 0, v1
	v_lshl_add_u64 v[20:21], v[2:3], 1, v[8:9]
	v_mov_b32_e32 v2, v6
	v_add_u32_e32 v4, 0x800, v4
	v_add_u32_e32 v10, 0x1000, v10
	;; [unrolled: 1-line block ×4, first 2 shown]
	s_or_b64 s[6:7], vcc, s[6:7]
	v_lshl_add_u64 v[22:23], v[2:3], 1, v[8:9]
	v_mov_b32_e32 v2, v7
	v_add_u32_e32 v7, 0x800, v7
	v_lshl_add_u64 v[24:25], v[2:3], 1, v[8:9]
	s_waitcnt lgkmcnt(3)
	global_store_short v[14:15], v11, off
	s_waitcnt lgkmcnt(2)
	global_store_short v[20:21], v13, off
	;; [unrolled: 2-line block ×4, first 2 shown]
	s_andn2_b64 exec, exec, s[6:7]
	s_cbranch_execnz .LBB549_288
.LBB549_289:
	s_or_b64 exec, exec, s[4:5]
	v_add_u32_e32 v1, 1, v12
	v_and_b32_e32 v3, 0xfffffc, v1
	v_cmp_ne_u32_e32 vcc, v1, v3
	v_lshl_or_b32 v2, v3, 9, v0
	s_orn2_b64 s[4:5], vcc, exec
.LBB549_290:
	s_or_b64 exec, exec, s[2:3]
	s_and_b64 exec, exec, s[4:5]
	s_cbranch_execz .LBB549_293
; %bb.291:
	v_lshlrev_b32_e32 v1, 1, v2
	s_mov_b64 s[2:3], 0
	v_mov_b32_e32 v3, 0
.LBB549_292:                            ; =>This Inner Loop Header: Depth=1
	ds_read_u16 v6, v1
	v_lshl_add_u64 v[4:5], v[2:3], 1, v[8:9]
	v_add_u32_e32 v2, 0x200, v2
	v_cmp_ge_u32_e32 vcc, v2, v16
	v_add_u32_e32 v1, 0x400, v1
	s_or_b64 s[2:3], vcc, s[2:3]
	s_waitcnt lgkmcnt(0)
	global_store_short v[4:5], v6, off
	s_andn2_b64 exec, exec, s[2:3]
	s_cbranch_execnz .LBB549_292
.LBB549_293:
	s_or_b64 exec, exec, s[0:1]
	v_cmp_eq_u32_e32 vcc, 0, v0
	s_and_b64 s[0:1], vcc, s[68:69]
	s_and_saveexec_b64 s[2:3], s[0:1]
	s_cbranch_execz .LBB549_128
.LBB549_294:
	v_mov_b32_e32 v17, 0
	v_lshl_add_u64 v[0:1], s[66:67], 0, v[16:17]
	v_mov_b32_e32 v19, v17
	v_lshl_add_u64 v[0:1], v[0:1], 0, v[18:19]
	global_store_dwordx2 v17, v[0:1], s[64:65]
	s_endpgm
	.section	.rodata,"a",@progbits
	.p2align	6, 0x0
	.amdhsa_kernel _ZN7rocprim17ROCPRIM_400000_NS6detail17trampoline_kernelINS0_14default_configENS1_25partition_config_selectorILNS1_17partition_subalgoE8EsNS0_10empty_typeEbEEZZNS1_14partition_implILS5_8ELb0ES3_jPKsPS6_PKS6_NS0_5tupleIJPsS6_EEENSE_IJSB_SB_EEENS0_18inequality_wrapperIN6hipcub16HIPCUB_304000_NS8EqualityEEEPlJS6_EEE10hipError_tPvRmT3_T4_T5_T6_T7_T9_mT8_P12ihipStream_tbDpT10_ENKUlT_T0_E_clISt17integral_constantIbLb0EES17_EEDaS12_S13_EUlS12_E_NS1_11comp_targetILNS1_3genE5ELNS1_11target_archE942ELNS1_3gpuE9ELNS1_3repE0EEENS1_30default_config_static_selectorELNS0_4arch9wavefront6targetE1EEEvT1_
		.amdhsa_group_segment_fixed_size 30728
		.amdhsa_private_segment_fixed_size 0
		.amdhsa_kernarg_size 112
		.amdhsa_user_sgpr_count 2
		.amdhsa_user_sgpr_dispatch_ptr 0
		.amdhsa_user_sgpr_queue_ptr 0
		.amdhsa_user_sgpr_kernarg_segment_ptr 1
		.amdhsa_user_sgpr_dispatch_id 0
		.amdhsa_user_sgpr_kernarg_preload_length 0
		.amdhsa_user_sgpr_kernarg_preload_offset 0
		.amdhsa_user_sgpr_private_segment_size 0
		.amdhsa_uses_dynamic_stack 0
		.amdhsa_enable_private_segment 0
		.amdhsa_system_sgpr_workgroup_id_x 1
		.amdhsa_system_sgpr_workgroup_id_y 0
		.amdhsa_system_sgpr_workgroup_id_z 0
		.amdhsa_system_sgpr_workgroup_info 0
		.amdhsa_system_vgpr_workitem_id 0
		.amdhsa_next_free_vgpr 128
		.amdhsa_next_free_sgpr 78
		.amdhsa_accum_offset 128
		.amdhsa_reserve_vcc 1
		.amdhsa_float_round_mode_32 0
		.amdhsa_float_round_mode_16_64 0
		.amdhsa_float_denorm_mode_32 3
		.amdhsa_float_denorm_mode_16_64 3
		.amdhsa_dx10_clamp 1
		.amdhsa_ieee_mode 1
		.amdhsa_fp16_overflow 0
		.amdhsa_tg_split 0
		.amdhsa_exception_fp_ieee_invalid_op 0
		.amdhsa_exception_fp_denorm_src 0
		.amdhsa_exception_fp_ieee_div_zero 0
		.amdhsa_exception_fp_ieee_overflow 0
		.amdhsa_exception_fp_ieee_underflow 0
		.amdhsa_exception_fp_ieee_inexact 0
		.amdhsa_exception_int_div_zero 0
	.end_amdhsa_kernel
	.section	.text._ZN7rocprim17ROCPRIM_400000_NS6detail17trampoline_kernelINS0_14default_configENS1_25partition_config_selectorILNS1_17partition_subalgoE8EsNS0_10empty_typeEbEEZZNS1_14partition_implILS5_8ELb0ES3_jPKsPS6_PKS6_NS0_5tupleIJPsS6_EEENSE_IJSB_SB_EEENS0_18inequality_wrapperIN6hipcub16HIPCUB_304000_NS8EqualityEEEPlJS6_EEE10hipError_tPvRmT3_T4_T5_T6_T7_T9_mT8_P12ihipStream_tbDpT10_ENKUlT_T0_E_clISt17integral_constantIbLb0EES17_EEDaS12_S13_EUlS12_E_NS1_11comp_targetILNS1_3genE5ELNS1_11target_archE942ELNS1_3gpuE9ELNS1_3repE0EEENS1_30default_config_static_selectorELNS0_4arch9wavefront6targetE1EEEvT1_,"axG",@progbits,_ZN7rocprim17ROCPRIM_400000_NS6detail17trampoline_kernelINS0_14default_configENS1_25partition_config_selectorILNS1_17partition_subalgoE8EsNS0_10empty_typeEbEEZZNS1_14partition_implILS5_8ELb0ES3_jPKsPS6_PKS6_NS0_5tupleIJPsS6_EEENSE_IJSB_SB_EEENS0_18inequality_wrapperIN6hipcub16HIPCUB_304000_NS8EqualityEEEPlJS6_EEE10hipError_tPvRmT3_T4_T5_T6_T7_T9_mT8_P12ihipStream_tbDpT10_ENKUlT_T0_E_clISt17integral_constantIbLb0EES17_EEDaS12_S13_EUlS12_E_NS1_11comp_targetILNS1_3genE5ELNS1_11target_archE942ELNS1_3gpuE9ELNS1_3repE0EEENS1_30default_config_static_selectorELNS0_4arch9wavefront6targetE1EEEvT1_,comdat
.Lfunc_end549:
	.size	_ZN7rocprim17ROCPRIM_400000_NS6detail17trampoline_kernelINS0_14default_configENS1_25partition_config_selectorILNS1_17partition_subalgoE8EsNS0_10empty_typeEbEEZZNS1_14partition_implILS5_8ELb0ES3_jPKsPS6_PKS6_NS0_5tupleIJPsS6_EEENSE_IJSB_SB_EEENS0_18inequality_wrapperIN6hipcub16HIPCUB_304000_NS8EqualityEEEPlJS6_EEE10hipError_tPvRmT3_T4_T5_T6_T7_T9_mT8_P12ihipStream_tbDpT10_ENKUlT_T0_E_clISt17integral_constantIbLb0EES17_EEDaS12_S13_EUlS12_E_NS1_11comp_targetILNS1_3genE5ELNS1_11target_archE942ELNS1_3gpuE9ELNS1_3repE0EEENS1_30default_config_static_selectorELNS0_4arch9wavefront6targetE1EEEvT1_, .Lfunc_end549-_ZN7rocprim17ROCPRIM_400000_NS6detail17trampoline_kernelINS0_14default_configENS1_25partition_config_selectorILNS1_17partition_subalgoE8EsNS0_10empty_typeEbEEZZNS1_14partition_implILS5_8ELb0ES3_jPKsPS6_PKS6_NS0_5tupleIJPsS6_EEENSE_IJSB_SB_EEENS0_18inequality_wrapperIN6hipcub16HIPCUB_304000_NS8EqualityEEEPlJS6_EEE10hipError_tPvRmT3_T4_T5_T6_T7_T9_mT8_P12ihipStream_tbDpT10_ENKUlT_T0_E_clISt17integral_constantIbLb0EES17_EEDaS12_S13_EUlS12_E_NS1_11comp_targetILNS1_3genE5ELNS1_11target_archE942ELNS1_3gpuE9ELNS1_3repE0EEENS1_30default_config_static_selectorELNS0_4arch9wavefront6targetE1EEEvT1_
                                        ; -- End function
	.section	.AMDGPU.csdata,"",@progbits
; Kernel info:
; codeLenInByte = 12272
; NumSgprs: 84
; NumVgprs: 128
; NumAgprs: 0
; TotalNumVgprs: 128
; ScratchSize: 0
; MemoryBound: 0
; FloatMode: 240
; IeeeMode: 1
; LDSByteSize: 30728 bytes/workgroup (compile time only)
; SGPRBlocks: 10
; VGPRBlocks: 15
; NumSGPRsForWavesPerEU: 84
; NumVGPRsForWavesPerEU: 128
; AccumOffset: 128
; Occupancy: 4
; WaveLimiterHint : 1
; COMPUTE_PGM_RSRC2:SCRATCH_EN: 0
; COMPUTE_PGM_RSRC2:USER_SGPR: 2
; COMPUTE_PGM_RSRC2:TRAP_HANDLER: 0
; COMPUTE_PGM_RSRC2:TGID_X_EN: 1
; COMPUTE_PGM_RSRC2:TGID_Y_EN: 0
; COMPUTE_PGM_RSRC2:TGID_Z_EN: 0
; COMPUTE_PGM_RSRC2:TIDIG_COMP_CNT: 0
; COMPUTE_PGM_RSRC3_GFX90A:ACCUM_OFFSET: 31
; COMPUTE_PGM_RSRC3_GFX90A:TG_SPLIT: 0
	.section	.text._ZN7rocprim17ROCPRIM_400000_NS6detail17trampoline_kernelINS0_14default_configENS1_25partition_config_selectorILNS1_17partition_subalgoE8EsNS0_10empty_typeEbEEZZNS1_14partition_implILS5_8ELb0ES3_jPKsPS6_PKS6_NS0_5tupleIJPsS6_EEENSE_IJSB_SB_EEENS0_18inequality_wrapperIN6hipcub16HIPCUB_304000_NS8EqualityEEEPlJS6_EEE10hipError_tPvRmT3_T4_T5_T6_T7_T9_mT8_P12ihipStream_tbDpT10_ENKUlT_T0_E_clISt17integral_constantIbLb0EES17_EEDaS12_S13_EUlS12_E_NS1_11comp_targetILNS1_3genE4ELNS1_11target_archE910ELNS1_3gpuE8ELNS1_3repE0EEENS1_30default_config_static_selectorELNS0_4arch9wavefront6targetE1EEEvT1_,"axG",@progbits,_ZN7rocprim17ROCPRIM_400000_NS6detail17trampoline_kernelINS0_14default_configENS1_25partition_config_selectorILNS1_17partition_subalgoE8EsNS0_10empty_typeEbEEZZNS1_14partition_implILS5_8ELb0ES3_jPKsPS6_PKS6_NS0_5tupleIJPsS6_EEENSE_IJSB_SB_EEENS0_18inequality_wrapperIN6hipcub16HIPCUB_304000_NS8EqualityEEEPlJS6_EEE10hipError_tPvRmT3_T4_T5_T6_T7_T9_mT8_P12ihipStream_tbDpT10_ENKUlT_T0_E_clISt17integral_constantIbLb0EES17_EEDaS12_S13_EUlS12_E_NS1_11comp_targetILNS1_3genE4ELNS1_11target_archE910ELNS1_3gpuE8ELNS1_3repE0EEENS1_30default_config_static_selectorELNS0_4arch9wavefront6targetE1EEEvT1_,comdat
	.protected	_ZN7rocprim17ROCPRIM_400000_NS6detail17trampoline_kernelINS0_14default_configENS1_25partition_config_selectorILNS1_17partition_subalgoE8EsNS0_10empty_typeEbEEZZNS1_14partition_implILS5_8ELb0ES3_jPKsPS6_PKS6_NS0_5tupleIJPsS6_EEENSE_IJSB_SB_EEENS0_18inequality_wrapperIN6hipcub16HIPCUB_304000_NS8EqualityEEEPlJS6_EEE10hipError_tPvRmT3_T4_T5_T6_T7_T9_mT8_P12ihipStream_tbDpT10_ENKUlT_T0_E_clISt17integral_constantIbLb0EES17_EEDaS12_S13_EUlS12_E_NS1_11comp_targetILNS1_3genE4ELNS1_11target_archE910ELNS1_3gpuE8ELNS1_3repE0EEENS1_30default_config_static_selectorELNS0_4arch9wavefront6targetE1EEEvT1_ ; -- Begin function _ZN7rocprim17ROCPRIM_400000_NS6detail17trampoline_kernelINS0_14default_configENS1_25partition_config_selectorILNS1_17partition_subalgoE8EsNS0_10empty_typeEbEEZZNS1_14partition_implILS5_8ELb0ES3_jPKsPS6_PKS6_NS0_5tupleIJPsS6_EEENSE_IJSB_SB_EEENS0_18inequality_wrapperIN6hipcub16HIPCUB_304000_NS8EqualityEEEPlJS6_EEE10hipError_tPvRmT3_T4_T5_T6_T7_T9_mT8_P12ihipStream_tbDpT10_ENKUlT_T0_E_clISt17integral_constantIbLb0EES17_EEDaS12_S13_EUlS12_E_NS1_11comp_targetILNS1_3genE4ELNS1_11target_archE910ELNS1_3gpuE8ELNS1_3repE0EEENS1_30default_config_static_selectorELNS0_4arch9wavefront6targetE1EEEvT1_
	.globl	_ZN7rocprim17ROCPRIM_400000_NS6detail17trampoline_kernelINS0_14default_configENS1_25partition_config_selectorILNS1_17partition_subalgoE8EsNS0_10empty_typeEbEEZZNS1_14partition_implILS5_8ELb0ES3_jPKsPS6_PKS6_NS0_5tupleIJPsS6_EEENSE_IJSB_SB_EEENS0_18inequality_wrapperIN6hipcub16HIPCUB_304000_NS8EqualityEEEPlJS6_EEE10hipError_tPvRmT3_T4_T5_T6_T7_T9_mT8_P12ihipStream_tbDpT10_ENKUlT_T0_E_clISt17integral_constantIbLb0EES17_EEDaS12_S13_EUlS12_E_NS1_11comp_targetILNS1_3genE4ELNS1_11target_archE910ELNS1_3gpuE8ELNS1_3repE0EEENS1_30default_config_static_selectorELNS0_4arch9wavefront6targetE1EEEvT1_
	.p2align	8
	.type	_ZN7rocprim17ROCPRIM_400000_NS6detail17trampoline_kernelINS0_14default_configENS1_25partition_config_selectorILNS1_17partition_subalgoE8EsNS0_10empty_typeEbEEZZNS1_14partition_implILS5_8ELb0ES3_jPKsPS6_PKS6_NS0_5tupleIJPsS6_EEENSE_IJSB_SB_EEENS0_18inequality_wrapperIN6hipcub16HIPCUB_304000_NS8EqualityEEEPlJS6_EEE10hipError_tPvRmT3_T4_T5_T6_T7_T9_mT8_P12ihipStream_tbDpT10_ENKUlT_T0_E_clISt17integral_constantIbLb0EES17_EEDaS12_S13_EUlS12_E_NS1_11comp_targetILNS1_3genE4ELNS1_11target_archE910ELNS1_3gpuE8ELNS1_3repE0EEENS1_30default_config_static_selectorELNS0_4arch9wavefront6targetE1EEEvT1_,@function
_ZN7rocprim17ROCPRIM_400000_NS6detail17trampoline_kernelINS0_14default_configENS1_25partition_config_selectorILNS1_17partition_subalgoE8EsNS0_10empty_typeEbEEZZNS1_14partition_implILS5_8ELb0ES3_jPKsPS6_PKS6_NS0_5tupleIJPsS6_EEENSE_IJSB_SB_EEENS0_18inequality_wrapperIN6hipcub16HIPCUB_304000_NS8EqualityEEEPlJS6_EEE10hipError_tPvRmT3_T4_T5_T6_T7_T9_mT8_P12ihipStream_tbDpT10_ENKUlT_T0_E_clISt17integral_constantIbLb0EES17_EEDaS12_S13_EUlS12_E_NS1_11comp_targetILNS1_3genE4ELNS1_11target_archE910ELNS1_3gpuE8ELNS1_3repE0EEENS1_30default_config_static_selectorELNS0_4arch9wavefront6targetE1EEEvT1_: ; @_ZN7rocprim17ROCPRIM_400000_NS6detail17trampoline_kernelINS0_14default_configENS1_25partition_config_selectorILNS1_17partition_subalgoE8EsNS0_10empty_typeEbEEZZNS1_14partition_implILS5_8ELb0ES3_jPKsPS6_PKS6_NS0_5tupleIJPsS6_EEENSE_IJSB_SB_EEENS0_18inequality_wrapperIN6hipcub16HIPCUB_304000_NS8EqualityEEEPlJS6_EEE10hipError_tPvRmT3_T4_T5_T6_T7_T9_mT8_P12ihipStream_tbDpT10_ENKUlT_T0_E_clISt17integral_constantIbLb0EES17_EEDaS12_S13_EUlS12_E_NS1_11comp_targetILNS1_3genE4ELNS1_11target_archE910ELNS1_3gpuE8ELNS1_3repE0EEENS1_30default_config_static_selectorELNS0_4arch9wavefront6targetE1EEEvT1_
; %bb.0:
	.section	.rodata,"a",@progbits
	.p2align	6, 0x0
	.amdhsa_kernel _ZN7rocprim17ROCPRIM_400000_NS6detail17trampoline_kernelINS0_14default_configENS1_25partition_config_selectorILNS1_17partition_subalgoE8EsNS0_10empty_typeEbEEZZNS1_14partition_implILS5_8ELb0ES3_jPKsPS6_PKS6_NS0_5tupleIJPsS6_EEENSE_IJSB_SB_EEENS0_18inequality_wrapperIN6hipcub16HIPCUB_304000_NS8EqualityEEEPlJS6_EEE10hipError_tPvRmT3_T4_T5_T6_T7_T9_mT8_P12ihipStream_tbDpT10_ENKUlT_T0_E_clISt17integral_constantIbLb0EES17_EEDaS12_S13_EUlS12_E_NS1_11comp_targetILNS1_3genE4ELNS1_11target_archE910ELNS1_3gpuE8ELNS1_3repE0EEENS1_30default_config_static_selectorELNS0_4arch9wavefront6targetE1EEEvT1_
		.amdhsa_group_segment_fixed_size 0
		.amdhsa_private_segment_fixed_size 0
		.amdhsa_kernarg_size 112
		.amdhsa_user_sgpr_count 2
		.amdhsa_user_sgpr_dispatch_ptr 0
		.amdhsa_user_sgpr_queue_ptr 0
		.amdhsa_user_sgpr_kernarg_segment_ptr 1
		.amdhsa_user_sgpr_dispatch_id 0
		.amdhsa_user_sgpr_kernarg_preload_length 0
		.amdhsa_user_sgpr_kernarg_preload_offset 0
		.amdhsa_user_sgpr_private_segment_size 0
		.amdhsa_uses_dynamic_stack 0
		.amdhsa_enable_private_segment 0
		.amdhsa_system_sgpr_workgroup_id_x 1
		.amdhsa_system_sgpr_workgroup_id_y 0
		.amdhsa_system_sgpr_workgroup_id_z 0
		.amdhsa_system_sgpr_workgroup_info 0
		.amdhsa_system_vgpr_workitem_id 0
		.amdhsa_next_free_vgpr 1
		.amdhsa_next_free_sgpr 0
		.amdhsa_accum_offset 4
		.amdhsa_reserve_vcc 0
		.amdhsa_float_round_mode_32 0
		.amdhsa_float_round_mode_16_64 0
		.amdhsa_float_denorm_mode_32 3
		.amdhsa_float_denorm_mode_16_64 3
		.amdhsa_dx10_clamp 1
		.amdhsa_ieee_mode 1
		.amdhsa_fp16_overflow 0
		.amdhsa_tg_split 0
		.amdhsa_exception_fp_ieee_invalid_op 0
		.amdhsa_exception_fp_denorm_src 0
		.amdhsa_exception_fp_ieee_div_zero 0
		.amdhsa_exception_fp_ieee_overflow 0
		.amdhsa_exception_fp_ieee_underflow 0
		.amdhsa_exception_fp_ieee_inexact 0
		.amdhsa_exception_int_div_zero 0
	.end_amdhsa_kernel
	.section	.text._ZN7rocprim17ROCPRIM_400000_NS6detail17trampoline_kernelINS0_14default_configENS1_25partition_config_selectorILNS1_17partition_subalgoE8EsNS0_10empty_typeEbEEZZNS1_14partition_implILS5_8ELb0ES3_jPKsPS6_PKS6_NS0_5tupleIJPsS6_EEENSE_IJSB_SB_EEENS0_18inequality_wrapperIN6hipcub16HIPCUB_304000_NS8EqualityEEEPlJS6_EEE10hipError_tPvRmT3_T4_T5_T6_T7_T9_mT8_P12ihipStream_tbDpT10_ENKUlT_T0_E_clISt17integral_constantIbLb0EES17_EEDaS12_S13_EUlS12_E_NS1_11comp_targetILNS1_3genE4ELNS1_11target_archE910ELNS1_3gpuE8ELNS1_3repE0EEENS1_30default_config_static_selectorELNS0_4arch9wavefront6targetE1EEEvT1_,"axG",@progbits,_ZN7rocprim17ROCPRIM_400000_NS6detail17trampoline_kernelINS0_14default_configENS1_25partition_config_selectorILNS1_17partition_subalgoE8EsNS0_10empty_typeEbEEZZNS1_14partition_implILS5_8ELb0ES3_jPKsPS6_PKS6_NS0_5tupleIJPsS6_EEENSE_IJSB_SB_EEENS0_18inequality_wrapperIN6hipcub16HIPCUB_304000_NS8EqualityEEEPlJS6_EEE10hipError_tPvRmT3_T4_T5_T6_T7_T9_mT8_P12ihipStream_tbDpT10_ENKUlT_T0_E_clISt17integral_constantIbLb0EES17_EEDaS12_S13_EUlS12_E_NS1_11comp_targetILNS1_3genE4ELNS1_11target_archE910ELNS1_3gpuE8ELNS1_3repE0EEENS1_30default_config_static_selectorELNS0_4arch9wavefront6targetE1EEEvT1_,comdat
.Lfunc_end550:
	.size	_ZN7rocprim17ROCPRIM_400000_NS6detail17trampoline_kernelINS0_14default_configENS1_25partition_config_selectorILNS1_17partition_subalgoE8EsNS0_10empty_typeEbEEZZNS1_14partition_implILS5_8ELb0ES3_jPKsPS6_PKS6_NS0_5tupleIJPsS6_EEENSE_IJSB_SB_EEENS0_18inequality_wrapperIN6hipcub16HIPCUB_304000_NS8EqualityEEEPlJS6_EEE10hipError_tPvRmT3_T4_T5_T6_T7_T9_mT8_P12ihipStream_tbDpT10_ENKUlT_T0_E_clISt17integral_constantIbLb0EES17_EEDaS12_S13_EUlS12_E_NS1_11comp_targetILNS1_3genE4ELNS1_11target_archE910ELNS1_3gpuE8ELNS1_3repE0EEENS1_30default_config_static_selectorELNS0_4arch9wavefront6targetE1EEEvT1_, .Lfunc_end550-_ZN7rocprim17ROCPRIM_400000_NS6detail17trampoline_kernelINS0_14default_configENS1_25partition_config_selectorILNS1_17partition_subalgoE8EsNS0_10empty_typeEbEEZZNS1_14partition_implILS5_8ELb0ES3_jPKsPS6_PKS6_NS0_5tupleIJPsS6_EEENSE_IJSB_SB_EEENS0_18inequality_wrapperIN6hipcub16HIPCUB_304000_NS8EqualityEEEPlJS6_EEE10hipError_tPvRmT3_T4_T5_T6_T7_T9_mT8_P12ihipStream_tbDpT10_ENKUlT_T0_E_clISt17integral_constantIbLb0EES17_EEDaS12_S13_EUlS12_E_NS1_11comp_targetILNS1_3genE4ELNS1_11target_archE910ELNS1_3gpuE8ELNS1_3repE0EEENS1_30default_config_static_selectorELNS0_4arch9wavefront6targetE1EEEvT1_
                                        ; -- End function
	.section	.AMDGPU.csdata,"",@progbits
; Kernel info:
; codeLenInByte = 0
; NumSgprs: 6
; NumVgprs: 0
; NumAgprs: 0
; TotalNumVgprs: 0
; ScratchSize: 0
; MemoryBound: 0
; FloatMode: 240
; IeeeMode: 1
; LDSByteSize: 0 bytes/workgroup (compile time only)
; SGPRBlocks: 0
; VGPRBlocks: 0
; NumSGPRsForWavesPerEU: 6
; NumVGPRsForWavesPerEU: 1
; AccumOffset: 4
; Occupancy: 8
; WaveLimiterHint : 0
; COMPUTE_PGM_RSRC2:SCRATCH_EN: 0
; COMPUTE_PGM_RSRC2:USER_SGPR: 2
; COMPUTE_PGM_RSRC2:TRAP_HANDLER: 0
; COMPUTE_PGM_RSRC2:TGID_X_EN: 1
; COMPUTE_PGM_RSRC2:TGID_Y_EN: 0
; COMPUTE_PGM_RSRC2:TGID_Z_EN: 0
; COMPUTE_PGM_RSRC2:TIDIG_COMP_CNT: 0
; COMPUTE_PGM_RSRC3_GFX90A:ACCUM_OFFSET: 0
; COMPUTE_PGM_RSRC3_GFX90A:TG_SPLIT: 0
	.section	.text._ZN7rocprim17ROCPRIM_400000_NS6detail17trampoline_kernelINS0_14default_configENS1_25partition_config_selectorILNS1_17partition_subalgoE8EsNS0_10empty_typeEbEEZZNS1_14partition_implILS5_8ELb0ES3_jPKsPS6_PKS6_NS0_5tupleIJPsS6_EEENSE_IJSB_SB_EEENS0_18inequality_wrapperIN6hipcub16HIPCUB_304000_NS8EqualityEEEPlJS6_EEE10hipError_tPvRmT3_T4_T5_T6_T7_T9_mT8_P12ihipStream_tbDpT10_ENKUlT_T0_E_clISt17integral_constantIbLb0EES17_EEDaS12_S13_EUlS12_E_NS1_11comp_targetILNS1_3genE3ELNS1_11target_archE908ELNS1_3gpuE7ELNS1_3repE0EEENS1_30default_config_static_selectorELNS0_4arch9wavefront6targetE1EEEvT1_,"axG",@progbits,_ZN7rocprim17ROCPRIM_400000_NS6detail17trampoline_kernelINS0_14default_configENS1_25partition_config_selectorILNS1_17partition_subalgoE8EsNS0_10empty_typeEbEEZZNS1_14partition_implILS5_8ELb0ES3_jPKsPS6_PKS6_NS0_5tupleIJPsS6_EEENSE_IJSB_SB_EEENS0_18inequality_wrapperIN6hipcub16HIPCUB_304000_NS8EqualityEEEPlJS6_EEE10hipError_tPvRmT3_T4_T5_T6_T7_T9_mT8_P12ihipStream_tbDpT10_ENKUlT_T0_E_clISt17integral_constantIbLb0EES17_EEDaS12_S13_EUlS12_E_NS1_11comp_targetILNS1_3genE3ELNS1_11target_archE908ELNS1_3gpuE7ELNS1_3repE0EEENS1_30default_config_static_selectorELNS0_4arch9wavefront6targetE1EEEvT1_,comdat
	.protected	_ZN7rocprim17ROCPRIM_400000_NS6detail17trampoline_kernelINS0_14default_configENS1_25partition_config_selectorILNS1_17partition_subalgoE8EsNS0_10empty_typeEbEEZZNS1_14partition_implILS5_8ELb0ES3_jPKsPS6_PKS6_NS0_5tupleIJPsS6_EEENSE_IJSB_SB_EEENS0_18inequality_wrapperIN6hipcub16HIPCUB_304000_NS8EqualityEEEPlJS6_EEE10hipError_tPvRmT3_T4_T5_T6_T7_T9_mT8_P12ihipStream_tbDpT10_ENKUlT_T0_E_clISt17integral_constantIbLb0EES17_EEDaS12_S13_EUlS12_E_NS1_11comp_targetILNS1_3genE3ELNS1_11target_archE908ELNS1_3gpuE7ELNS1_3repE0EEENS1_30default_config_static_selectorELNS0_4arch9wavefront6targetE1EEEvT1_ ; -- Begin function _ZN7rocprim17ROCPRIM_400000_NS6detail17trampoline_kernelINS0_14default_configENS1_25partition_config_selectorILNS1_17partition_subalgoE8EsNS0_10empty_typeEbEEZZNS1_14partition_implILS5_8ELb0ES3_jPKsPS6_PKS6_NS0_5tupleIJPsS6_EEENSE_IJSB_SB_EEENS0_18inequality_wrapperIN6hipcub16HIPCUB_304000_NS8EqualityEEEPlJS6_EEE10hipError_tPvRmT3_T4_T5_T6_T7_T9_mT8_P12ihipStream_tbDpT10_ENKUlT_T0_E_clISt17integral_constantIbLb0EES17_EEDaS12_S13_EUlS12_E_NS1_11comp_targetILNS1_3genE3ELNS1_11target_archE908ELNS1_3gpuE7ELNS1_3repE0EEENS1_30default_config_static_selectorELNS0_4arch9wavefront6targetE1EEEvT1_
	.globl	_ZN7rocprim17ROCPRIM_400000_NS6detail17trampoline_kernelINS0_14default_configENS1_25partition_config_selectorILNS1_17partition_subalgoE8EsNS0_10empty_typeEbEEZZNS1_14partition_implILS5_8ELb0ES3_jPKsPS6_PKS6_NS0_5tupleIJPsS6_EEENSE_IJSB_SB_EEENS0_18inequality_wrapperIN6hipcub16HIPCUB_304000_NS8EqualityEEEPlJS6_EEE10hipError_tPvRmT3_T4_T5_T6_T7_T9_mT8_P12ihipStream_tbDpT10_ENKUlT_T0_E_clISt17integral_constantIbLb0EES17_EEDaS12_S13_EUlS12_E_NS1_11comp_targetILNS1_3genE3ELNS1_11target_archE908ELNS1_3gpuE7ELNS1_3repE0EEENS1_30default_config_static_selectorELNS0_4arch9wavefront6targetE1EEEvT1_
	.p2align	8
	.type	_ZN7rocprim17ROCPRIM_400000_NS6detail17trampoline_kernelINS0_14default_configENS1_25partition_config_selectorILNS1_17partition_subalgoE8EsNS0_10empty_typeEbEEZZNS1_14partition_implILS5_8ELb0ES3_jPKsPS6_PKS6_NS0_5tupleIJPsS6_EEENSE_IJSB_SB_EEENS0_18inequality_wrapperIN6hipcub16HIPCUB_304000_NS8EqualityEEEPlJS6_EEE10hipError_tPvRmT3_T4_T5_T6_T7_T9_mT8_P12ihipStream_tbDpT10_ENKUlT_T0_E_clISt17integral_constantIbLb0EES17_EEDaS12_S13_EUlS12_E_NS1_11comp_targetILNS1_3genE3ELNS1_11target_archE908ELNS1_3gpuE7ELNS1_3repE0EEENS1_30default_config_static_selectorELNS0_4arch9wavefront6targetE1EEEvT1_,@function
_ZN7rocprim17ROCPRIM_400000_NS6detail17trampoline_kernelINS0_14default_configENS1_25partition_config_selectorILNS1_17partition_subalgoE8EsNS0_10empty_typeEbEEZZNS1_14partition_implILS5_8ELb0ES3_jPKsPS6_PKS6_NS0_5tupleIJPsS6_EEENSE_IJSB_SB_EEENS0_18inequality_wrapperIN6hipcub16HIPCUB_304000_NS8EqualityEEEPlJS6_EEE10hipError_tPvRmT3_T4_T5_T6_T7_T9_mT8_P12ihipStream_tbDpT10_ENKUlT_T0_E_clISt17integral_constantIbLb0EES17_EEDaS12_S13_EUlS12_E_NS1_11comp_targetILNS1_3genE3ELNS1_11target_archE908ELNS1_3gpuE7ELNS1_3repE0EEENS1_30default_config_static_selectorELNS0_4arch9wavefront6targetE1EEEvT1_: ; @_ZN7rocprim17ROCPRIM_400000_NS6detail17trampoline_kernelINS0_14default_configENS1_25partition_config_selectorILNS1_17partition_subalgoE8EsNS0_10empty_typeEbEEZZNS1_14partition_implILS5_8ELb0ES3_jPKsPS6_PKS6_NS0_5tupleIJPsS6_EEENSE_IJSB_SB_EEENS0_18inequality_wrapperIN6hipcub16HIPCUB_304000_NS8EqualityEEEPlJS6_EEE10hipError_tPvRmT3_T4_T5_T6_T7_T9_mT8_P12ihipStream_tbDpT10_ENKUlT_T0_E_clISt17integral_constantIbLb0EES17_EEDaS12_S13_EUlS12_E_NS1_11comp_targetILNS1_3genE3ELNS1_11target_archE908ELNS1_3gpuE7ELNS1_3repE0EEENS1_30default_config_static_selectorELNS0_4arch9wavefront6targetE1EEEvT1_
; %bb.0:
	.section	.rodata,"a",@progbits
	.p2align	6, 0x0
	.amdhsa_kernel _ZN7rocprim17ROCPRIM_400000_NS6detail17trampoline_kernelINS0_14default_configENS1_25partition_config_selectorILNS1_17partition_subalgoE8EsNS0_10empty_typeEbEEZZNS1_14partition_implILS5_8ELb0ES3_jPKsPS6_PKS6_NS0_5tupleIJPsS6_EEENSE_IJSB_SB_EEENS0_18inequality_wrapperIN6hipcub16HIPCUB_304000_NS8EqualityEEEPlJS6_EEE10hipError_tPvRmT3_T4_T5_T6_T7_T9_mT8_P12ihipStream_tbDpT10_ENKUlT_T0_E_clISt17integral_constantIbLb0EES17_EEDaS12_S13_EUlS12_E_NS1_11comp_targetILNS1_3genE3ELNS1_11target_archE908ELNS1_3gpuE7ELNS1_3repE0EEENS1_30default_config_static_selectorELNS0_4arch9wavefront6targetE1EEEvT1_
		.amdhsa_group_segment_fixed_size 0
		.amdhsa_private_segment_fixed_size 0
		.amdhsa_kernarg_size 112
		.amdhsa_user_sgpr_count 2
		.amdhsa_user_sgpr_dispatch_ptr 0
		.amdhsa_user_sgpr_queue_ptr 0
		.amdhsa_user_sgpr_kernarg_segment_ptr 1
		.amdhsa_user_sgpr_dispatch_id 0
		.amdhsa_user_sgpr_kernarg_preload_length 0
		.amdhsa_user_sgpr_kernarg_preload_offset 0
		.amdhsa_user_sgpr_private_segment_size 0
		.amdhsa_uses_dynamic_stack 0
		.amdhsa_enable_private_segment 0
		.amdhsa_system_sgpr_workgroup_id_x 1
		.amdhsa_system_sgpr_workgroup_id_y 0
		.amdhsa_system_sgpr_workgroup_id_z 0
		.amdhsa_system_sgpr_workgroup_info 0
		.amdhsa_system_vgpr_workitem_id 0
		.amdhsa_next_free_vgpr 1
		.amdhsa_next_free_sgpr 0
		.amdhsa_accum_offset 4
		.amdhsa_reserve_vcc 0
		.amdhsa_float_round_mode_32 0
		.amdhsa_float_round_mode_16_64 0
		.amdhsa_float_denorm_mode_32 3
		.amdhsa_float_denorm_mode_16_64 3
		.amdhsa_dx10_clamp 1
		.amdhsa_ieee_mode 1
		.amdhsa_fp16_overflow 0
		.amdhsa_tg_split 0
		.amdhsa_exception_fp_ieee_invalid_op 0
		.amdhsa_exception_fp_denorm_src 0
		.amdhsa_exception_fp_ieee_div_zero 0
		.amdhsa_exception_fp_ieee_overflow 0
		.amdhsa_exception_fp_ieee_underflow 0
		.amdhsa_exception_fp_ieee_inexact 0
		.amdhsa_exception_int_div_zero 0
	.end_amdhsa_kernel
	.section	.text._ZN7rocprim17ROCPRIM_400000_NS6detail17trampoline_kernelINS0_14default_configENS1_25partition_config_selectorILNS1_17partition_subalgoE8EsNS0_10empty_typeEbEEZZNS1_14partition_implILS5_8ELb0ES3_jPKsPS6_PKS6_NS0_5tupleIJPsS6_EEENSE_IJSB_SB_EEENS0_18inequality_wrapperIN6hipcub16HIPCUB_304000_NS8EqualityEEEPlJS6_EEE10hipError_tPvRmT3_T4_T5_T6_T7_T9_mT8_P12ihipStream_tbDpT10_ENKUlT_T0_E_clISt17integral_constantIbLb0EES17_EEDaS12_S13_EUlS12_E_NS1_11comp_targetILNS1_3genE3ELNS1_11target_archE908ELNS1_3gpuE7ELNS1_3repE0EEENS1_30default_config_static_selectorELNS0_4arch9wavefront6targetE1EEEvT1_,"axG",@progbits,_ZN7rocprim17ROCPRIM_400000_NS6detail17trampoline_kernelINS0_14default_configENS1_25partition_config_selectorILNS1_17partition_subalgoE8EsNS0_10empty_typeEbEEZZNS1_14partition_implILS5_8ELb0ES3_jPKsPS6_PKS6_NS0_5tupleIJPsS6_EEENSE_IJSB_SB_EEENS0_18inequality_wrapperIN6hipcub16HIPCUB_304000_NS8EqualityEEEPlJS6_EEE10hipError_tPvRmT3_T4_T5_T6_T7_T9_mT8_P12ihipStream_tbDpT10_ENKUlT_T0_E_clISt17integral_constantIbLb0EES17_EEDaS12_S13_EUlS12_E_NS1_11comp_targetILNS1_3genE3ELNS1_11target_archE908ELNS1_3gpuE7ELNS1_3repE0EEENS1_30default_config_static_selectorELNS0_4arch9wavefront6targetE1EEEvT1_,comdat
.Lfunc_end551:
	.size	_ZN7rocprim17ROCPRIM_400000_NS6detail17trampoline_kernelINS0_14default_configENS1_25partition_config_selectorILNS1_17partition_subalgoE8EsNS0_10empty_typeEbEEZZNS1_14partition_implILS5_8ELb0ES3_jPKsPS6_PKS6_NS0_5tupleIJPsS6_EEENSE_IJSB_SB_EEENS0_18inequality_wrapperIN6hipcub16HIPCUB_304000_NS8EqualityEEEPlJS6_EEE10hipError_tPvRmT3_T4_T5_T6_T7_T9_mT8_P12ihipStream_tbDpT10_ENKUlT_T0_E_clISt17integral_constantIbLb0EES17_EEDaS12_S13_EUlS12_E_NS1_11comp_targetILNS1_3genE3ELNS1_11target_archE908ELNS1_3gpuE7ELNS1_3repE0EEENS1_30default_config_static_selectorELNS0_4arch9wavefront6targetE1EEEvT1_, .Lfunc_end551-_ZN7rocprim17ROCPRIM_400000_NS6detail17trampoline_kernelINS0_14default_configENS1_25partition_config_selectorILNS1_17partition_subalgoE8EsNS0_10empty_typeEbEEZZNS1_14partition_implILS5_8ELb0ES3_jPKsPS6_PKS6_NS0_5tupleIJPsS6_EEENSE_IJSB_SB_EEENS0_18inequality_wrapperIN6hipcub16HIPCUB_304000_NS8EqualityEEEPlJS6_EEE10hipError_tPvRmT3_T4_T5_T6_T7_T9_mT8_P12ihipStream_tbDpT10_ENKUlT_T0_E_clISt17integral_constantIbLb0EES17_EEDaS12_S13_EUlS12_E_NS1_11comp_targetILNS1_3genE3ELNS1_11target_archE908ELNS1_3gpuE7ELNS1_3repE0EEENS1_30default_config_static_selectorELNS0_4arch9wavefront6targetE1EEEvT1_
                                        ; -- End function
	.section	.AMDGPU.csdata,"",@progbits
; Kernel info:
; codeLenInByte = 0
; NumSgprs: 6
; NumVgprs: 0
; NumAgprs: 0
; TotalNumVgprs: 0
; ScratchSize: 0
; MemoryBound: 0
; FloatMode: 240
; IeeeMode: 1
; LDSByteSize: 0 bytes/workgroup (compile time only)
; SGPRBlocks: 0
; VGPRBlocks: 0
; NumSGPRsForWavesPerEU: 6
; NumVGPRsForWavesPerEU: 1
; AccumOffset: 4
; Occupancy: 8
; WaveLimiterHint : 0
; COMPUTE_PGM_RSRC2:SCRATCH_EN: 0
; COMPUTE_PGM_RSRC2:USER_SGPR: 2
; COMPUTE_PGM_RSRC2:TRAP_HANDLER: 0
; COMPUTE_PGM_RSRC2:TGID_X_EN: 1
; COMPUTE_PGM_RSRC2:TGID_Y_EN: 0
; COMPUTE_PGM_RSRC2:TGID_Z_EN: 0
; COMPUTE_PGM_RSRC2:TIDIG_COMP_CNT: 0
; COMPUTE_PGM_RSRC3_GFX90A:ACCUM_OFFSET: 0
; COMPUTE_PGM_RSRC3_GFX90A:TG_SPLIT: 0
	.section	.text._ZN7rocprim17ROCPRIM_400000_NS6detail17trampoline_kernelINS0_14default_configENS1_25partition_config_selectorILNS1_17partition_subalgoE8EsNS0_10empty_typeEbEEZZNS1_14partition_implILS5_8ELb0ES3_jPKsPS6_PKS6_NS0_5tupleIJPsS6_EEENSE_IJSB_SB_EEENS0_18inequality_wrapperIN6hipcub16HIPCUB_304000_NS8EqualityEEEPlJS6_EEE10hipError_tPvRmT3_T4_T5_T6_T7_T9_mT8_P12ihipStream_tbDpT10_ENKUlT_T0_E_clISt17integral_constantIbLb0EES17_EEDaS12_S13_EUlS12_E_NS1_11comp_targetILNS1_3genE2ELNS1_11target_archE906ELNS1_3gpuE6ELNS1_3repE0EEENS1_30default_config_static_selectorELNS0_4arch9wavefront6targetE1EEEvT1_,"axG",@progbits,_ZN7rocprim17ROCPRIM_400000_NS6detail17trampoline_kernelINS0_14default_configENS1_25partition_config_selectorILNS1_17partition_subalgoE8EsNS0_10empty_typeEbEEZZNS1_14partition_implILS5_8ELb0ES3_jPKsPS6_PKS6_NS0_5tupleIJPsS6_EEENSE_IJSB_SB_EEENS0_18inequality_wrapperIN6hipcub16HIPCUB_304000_NS8EqualityEEEPlJS6_EEE10hipError_tPvRmT3_T4_T5_T6_T7_T9_mT8_P12ihipStream_tbDpT10_ENKUlT_T0_E_clISt17integral_constantIbLb0EES17_EEDaS12_S13_EUlS12_E_NS1_11comp_targetILNS1_3genE2ELNS1_11target_archE906ELNS1_3gpuE6ELNS1_3repE0EEENS1_30default_config_static_selectorELNS0_4arch9wavefront6targetE1EEEvT1_,comdat
	.protected	_ZN7rocprim17ROCPRIM_400000_NS6detail17trampoline_kernelINS0_14default_configENS1_25partition_config_selectorILNS1_17partition_subalgoE8EsNS0_10empty_typeEbEEZZNS1_14partition_implILS5_8ELb0ES3_jPKsPS6_PKS6_NS0_5tupleIJPsS6_EEENSE_IJSB_SB_EEENS0_18inequality_wrapperIN6hipcub16HIPCUB_304000_NS8EqualityEEEPlJS6_EEE10hipError_tPvRmT3_T4_T5_T6_T7_T9_mT8_P12ihipStream_tbDpT10_ENKUlT_T0_E_clISt17integral_constantIbLb0EES17_EEDaS12_S13_EUlS12_E_NS1_11comp_targetILNS1_3genE2ELNS1_11target_archE906ELNS1_3gpuE6ELNS1_3repE0EEENS1_30default_config_static_selectorELNS0_4arch9wavefront6targetE1EEEvT1_ ; -- Begin function _ZN7rocprim17ROCPRIM_400000_NS6detail17trampoline_kernelINS0_14default_configENS1_25partition_config_selectorILNS1_17partition_subalgoE8EsNS0_10empty_typeEbEEZZNS1_14partition_implILS5_8ELb0ES3_jPKsPS6_PKS6_NS0_5tupleIJPsS6_EEENSE_IJSB_SB_EEENS0_18inequality_wrapperIN6hipcub16HIPCUB_304000_NS8EqualityEEEPlJS6_EEE10hipError_tPvRmT3_T4_T5_T6_T7_T9_mT8_P12ihipStream_tbDpT10_ENKUlT_T0_E_clISt17integral_constantIbLb0EES17_EEDaS12_S13_EUlS12_E_NS1_11comp_targetILNS1_3genE2ELNS1_11target_archE906ELNS1_3gpuE6ELNS1_3repE0EEENS1_30default_config_static_selectorELNS0_4arch9wavefront6targetE1EEEvT1_
	.globl	_ZN7rocprim17ROCPRIM_400000_NS6detail17trampoline_kernelINS0_14default_configENS1_25partition_config_selectorILNS1_17partition_subalgoE8EsNS0_10empty_typeEbEEZZNS1_14partition_implILS5_8ELb0ES3_jPKsPS6_PKS6_NS0_5tupleIJPsS6_EEENSE_IJSB_SB_EEENS0_18inequality_wrapperIN6hipcub16HIPCUB_304000_NS8EqualityEEEPlJS6_EEE10hipError_tPvRmT3_T4_T5_T6_T7_T9_mT8_P12ihipStream_tbDpT10_ENKUlT_T0_E_clISt17integral_constantIbLb0EES17_EEDaS12_S13_EUlS12_E_NS1_11comp_targetILNS1_3genE2ELNS1_11target_archE906ELNS1_3gpuE6ELNS1_3repE0EEENS1_30default_config_static_selectorELNS0_4arch9wavefront6targetE1EEEvT1_
	.p2align	8
	.type	_ZN7rocprim17ROCPRIM_400000_NS6detail17trampoline_kernelINS0_14default_configENS1_25partition_config_selectorILNS1_17partition_subalgoE8EsNS0_10empty_typeEbEEZZNS1_14partition_implILS5_8ELb0ES3_jPKsPS6_PKS6_NS0_5tupleIJPsS6_EEENSE_IJSB_SB_EEENS0_18inequality_wrapperIN6hipcub16HIPCUB_304000_NS8EqualityEEEPlJS6_EEE10hipError_tPvRmT3_T4_T5_T6_T7_T9_mT8_P12ihipStream_tbDpT10_ENKUlT_T0_E_clISt17integral_constantIbLb0EES17_EEDaS12_S13_EUlS12_E_NS1_11comp_targetILNS1_3genE2ELNS1_11target_archE906ELNS1_3gpuE6ELNS1_3repE0EEENS1_30default_config_static_selectorELNS0_4arch9wavefront6targetE1EEEvT1_,@function
_ZN7rocprim17ROCPRIM_400000_NS6detail17trampoline_kernelINS0_14default_configENS1_25partition_config_selectorILNS1_17partition_subalgoE8EsNS0_10empty_typeEbEEZZNS1_14partition_implILS5_8ELb0ES3_jPKsPS6_PKS6_NS0_5tupleIJPsS6_EEENSE_IJSB_SB_EEENS0_18inequality_wrapperIN6hipcub16HIPCUB_304000_NS8EqualityEEEPlJS6_EEE10hipError_tPvRmT3_T4_T5_T6_T7_T9_mT8_P12ihipStream_tbDpT10_ENKUlT_T0_E_clISt17integral_constantIbLb0EES17_EEDaS12_S13_EUlS12_E_NS1_11comp_targetILNS1_3genE2ELNS1_11target_archE906ELNS1_3gpuE6ELNS1_3repE0EEENS1_30default_config_static_selectorELNS0_4arch9wavefront6targetE1EEEvT1_: ; @_ZN7rocprim17ROCPRIM_400000_NS6detail17trampoline_kernelINS0_14default_configENS1_25partition_config_selectorILNS1_17partition_subalgoE8EsNS0_10empty_typeEbEEZZNS1_14partition_implILS5_8ELb0ES3_jPKsPS6_PKS6_NS0_5tupleIJPsS6_EEENSE_IJSB_SB_EEENS0_18inequality_wrapperIN6hipcub16HIPCUB_304000_NS8EqualityEEEPlJS6_EEE10hipError_tPvRmT3_T4_T5_T6_T7_T9_mT8_P12ihipStream_tbDpT10_ENKUlT_T0_E_clISt17integral_constantIbLb0EES17_EEDaS12_S13_EUlS12_E_NS1_11comp_targetILNS1_3genE2ELNS1_11target_archE906ELNS1_3gpuE6ELNS1_3repE0EEENS1_30default_config_static_selectorELNS0_4arch9wavefront6targetE1EEEvT1_
; %bb.0:
	.section	.rodata,"a",@progbits
	.p2align	6, 0x0
	.amdhsa_kernel _ZN7rocprim17ROCPRIM_400000_NS6detail17trampoline_kernelINS0_14default_configENS1_25partition_config_selectorILNS1_17partition_subalgoE8EsNS0_10empty_typeEbEEZZNS1_14partition_implILS5_8ELb0ES3_jPKsPS6_PKS6_NS0_5tupleIJPsS6_EEENSE_IJSB_SB_EEENS0_18inequality_wrapperIN6hipcub16HIPCUB_304000_NS8EqualityEEEPlJS6_EEE10hipError_tPvRmT3_T4_T5_T6_T7_T9_mT8_P12ihipStream_tbDpT10_ENKUlT_T0_E_clISt17integral_constantIbLb0EES17_EEDaS12_S13_EUlS12_E_NS1_11comp_targetILNS1_3genE2ELNS1_11target_archE906ELNS1_3gpuE6ELNS1_3repE0EEENS1_30default_config_static_selectorELNS0_4arch9wavefront6targetE1EEEvT1_
		.amdhsa_group_segment_fixed_size 0
		.amdhsa_private_segment_fixed_size 0
		.amdhsa_kernarg_size 112
		.amdhsa_user_sgpr_count 2
		.amdhsa_user_sgpr_dispatch_ptr 0
		.amdhsa_user_sgpr_queue_ptr 0
		.amdhsa_user_sgpr_kernarg_segment_ptr 1
		.amdhsa_user_sgpr_dispatch_id 0
		.amdhsa_user_sgpr_kernarg_preload_length 0
		.amdhsa_user_sgpr_kernarg_preload_offset 0
		.amdhsa_user_sgpr_private_segment_size 0
		.amdhsa_uses_dynamic_stack 0
		.amdhsa_enable_private_segment 0
		.amdhsa_system_sgpr_workgroup_id_x 1
		.amdhsa_system_sgpr_workgroup_id_y 0
		.amdhsa_system_sgpr_workgroup_id_z 0
		.amdhsa_system_sgpr_workgroup_info 0
		.amdhsa_system_vgpr_workitem_id 0
		.amdhsa_next_free_vgpr 1
		.amdhsa_next_free_sgpr 0
		.amdhsa_accum_offset 4
		.amdhsa_reserve_vcc 0
		.amdhsa_float_round_mode_32 0
		.amdhsa_float_round_mode_16_64 0
		.amdhsa_float_denorm_mode_32 3
		.amdhsa_float_denorm_mode_16_64 3
		.amdhsa_dx10_clamp 1
		.amdhsa_ieee_mode 1
		.amdhsa_fp16_overflow 0
		.amdhsa_tg_split 0
		.amdhsa_exception_fp_ieee_invalid_op 0
		.amdhsa_exception_fp_denorm_src 0
		.amdhsa_exception_fp_ieee_div_zero 0
		.amdhsa_exception_fp_ieee_overflow 0
		.amdhsa_exception_fp_ieee_underflow 0
		.amdhsa_exception_fp_ieee_inexact 0
		.amdhsa_exception_int_div_zero 0
	.end_amdhsa_kernel
	.section	.text._ZN7rocprim17ROCPRIM_400000_NS6detail17trampoline_kernelINS0_14default_configENS1_25partition_config_selectorILNS1_17partition_subalgoE8EsNS0_10empty_typeEbEEZZNS1_14partition_implILS5_8ELb0ES3_jPKsPS6_PKS6_NS0_5tupleIJPsS6_EEENSE_IJSB_SB_EEENS0_18inequality_wrapperIN6hipcub16HIPCUB_304000_NS8EqualityEEEPlJS6_EEE10hipError_tPvRmT3_T4_T5_T6_T7_T9_mT8_P12ihipStream_tbDpT10_ENKUlT_T0_E_clISt17integral_constantIbLb0EES17_EEDaS12_S13_EUlS12_E_NS1_11comp_targetILNS1_3genE2ELNS1_11target_archE906ELNS1_3gpuE6ELNS1_3repE0EEENS1_30default_config_static_selectorELNS0_4arch9wavefront6targetE1EEEvT1_,"axG",@progbits,_ZN7rocprim17ROCPRIM_400000_NS6detail17trampoline_kernelINS0_14default_configENS1_25partition_config_selectorILNS1_17partition_subalgoE8EsNS0_10empty_typeEbEEZZNS1_14partition_implILS5_8ELb0ES3_jPKsPS6_PKS6_NS0_5tupleIJPsS6_EEENSE_IJSB_SB_EEENS0_18inequality_wrapperIN6hipcub16HIPCUB_304000_NS8EqualityEEEPlJS6_EEE10hipError_tPvRmT3_T4_T5_T6_T7_T9_mT8_P12ihipStream_tbDpT10_ENKUlT_T0_E_clISt17integral_constantIbLb0EES17_EEDaS12_S13_EUlS12_E_NS1_11comp_targetILNS1_3genE2ELNS1_11target_archE906ELNS1_3gpuE6ELNS1_3repE0EEENS1_30default_config_static_selectorELNS0_4arch9wavefront6targetE1EEEvT1_,comdat
.Lfunc_end552:
	.size	_ZN7rocprim17ROCPRIM_400000_NS6detail17trampoline_kernelINS0_14default_configENS1_25partition_config_selectorILNS1_17partition_subalgoE8EsNS0_10empty_typeEbEEZZNS1_14partition_implILS5_8ELb0ES3_jPKsPS6_PKS6_NS0_5tupleIJPsS6_EEENSE_IJSB_SB_EEENS0_18inequality_wrapperIN6hipcub16HIPCUB_304000_NS8EqualityEEEPlJS6_EEE10hipError_tPvRmT3_T4_T5_T6_T7_T9_mT8_P12ihipStream_tbDpT10_ENKUlT_T0_E_clISt17integral_constantIbLb0EES17_EEDaS12_S13_EUlS12_E_NS1_11comp_targetILNS1_3genE2ELNS1_11target_archE906ELNS1_3gpuE6ELNS1_3repE0EEENS1_30default_config_static_selectorELNS0_4arch9wavefront6targetE1EEEvT1_, .Lfunc_end552-_ZN7rocprim17ROCPRIM_400000_NS6detail17trampoline_kernelINS0_14default_configENS1_25partition_config_selectorILNS1_17partition_subalgoE8EsNS0_10empty_typeEbEEZZNS1_14partition_implILS5_8ELb0ES3_jPKsPS6_PKS6_NS0_5tupleIJPsS6_EEENSE_IJSB_SB_EEENS0_18inequality_wrapperIN6hipcub16HIPCUB_304000_NS8EqualityEEEPlJS6_EEE10hipError_tPvRmT3_T4_T5_T6_T7_T9_mT8_P12ihipStream_tbDpT10_ENKUlT_T0_E_clISt17integral_constantIbLb0EES17_EEDaS12_S13_EUlS12_E_NS1_11comp_targetILNS1_3genE2ELNS1_11target_archE906ELNS1_3gpuE6ELNS1_3repE0EEENS1_30default_config_static_selectorELNS0_4arch9wavefront6targetE1EEEvT1_
                                        ; -- End function
	.section	.AMDGPU.csdata,"",@progbits
; Kernel info:
; codeLenInByte = 0
; NumSgprs: 6
; NumVgprs: 0
; NumAgprs: 0
; TotalNumVgprs: 0
; ScratchSize: 0
; MemoryBound: 0
; FloatMode: 240
; IeeeMode: 1
; LDSByteSize: 0 bytes/workgroup (compile time only)
; SGPRBlocks: 0
; VGPRBlocks: 0
; NumSGPRsForWavesPerEU: 6
; NumVGPRsForWavesPerEU: 1
; AccumOffset: 4
; Occupancy: 8
; WaveLimiterHint : 0
; COMPUTE_PGM_RSRC2:SCRATCH_EN: 0
; COMPUTE_PGM_RSRC2:USER_SGPR: 2
; COMPUTE_PGM_RSRC2:TRAP_HANDLER: 0
; COMPUTE_PGM_RSRC2:TGID_X_EN: 1
; COMPUTE_PGM_RSRC2:TGID_Y_EN: 0
; COMPUTE_PGM_RSRC2:TGID_Z_EN: 0
; COMPUTE_PGM_RSRC2:TIDIG_COMP_CNT: 0
; COMPUTE_PGM_RSRC3_GFX90A:ACCUM_OFFSET: 0
; COMPUTE_PGM_RSRC3_GFX90A:TG_SPLIT: 0
	.section	.text._ZN7rocprim17ROCPRIM_400000_NS6detail17trampoline_kernelINS0_14default_configENS1_25partition_config_selectorILNS1_17partition_subalgoE8EsNS0_10empty_typeEbEEZZNS1_14partition_implILS5_8ELb0ES3_jPKsPS6_PKS6_NS0_5tupleIJPsS6_EEENSE_IJSB_SB_EEENS0_18inequality_wrapperIN6hipcub16HIPCUB_304000_NS8EqualityEEEPlJS6_EEE10hipError_tPvRmT3_T4_T5_T6_T7_T9_mT8_P12ihipStream_tbDpT10_ENKUlT_T0_E_clISt17integral_constantIbLb0EES17_EEDaS12_S13_EUlS12_E_NS1_11comp_targetILNS1_3genE10ELNS1_11target_archE1200ELNS1_3gpuE4ELNS1_3repE0EEENS1_30default_config_static_selectorELNS0_4arch9wavefront6targetE1EEEvT1_,"axG",@progbits,_ZN7rocprim17ROCPRIM_400000_NS6detail17trampoline_kernelINS0_14default_configENS1_25partition_config_selectorILNS1_17partition_subalgoE8EsNS0_10empty_typeEbEEZZNS1_14partition_implILS5_8ELb0ES3_jPKsPS6_PKS6_NS0_5tupleIJPsS6_EEENSE_IJSB_SB_EEENS0_18inequality_wrapperIN6hipcub16HIPCUB_304000_NS8EqualityEEEPlJS6_EEE10hipError_tPvRmT3_T4_T5_T6_T7_T9_mT8_P12ihipStream_tbDpT10_ENKUlT_T0_E_clISt17integral_constantIbLb0EES17_EEDaS12_S13_EUlS12_E_NS1_11comp_targetILNS1_3genE10ELNS1_11target_archE1200ELNS1_3gpuE4ELNS1_3repE0EEENS1_30default_config_static_selectorELNS0_4arch9wavefront6targetE1EEEvT1_,comdat
	.protected	_ZN7rocprim17ROCPRIM_400000_NS6detail17trampoline_kernelINS0_14default_configENS1_25partition_config_selectorILNS1_17partition_subalgoE8EsNS0_10empty_typeEbEEZZNS1_14partition_implILS5_8ELb0ES3_jPKsPS6_PKS6_NS0_5tupleIJPsS6_EEENSE_IJSB_SB_EEENS0_18inequality_wrapperIN6hipcub16HIPCUB_304000_NS8EqualityEEEPlJS6_EEE10hipError_tPvRmT3_T4_T5_T6_T7_T9_mT8_P12ihipStream_tbDpT10_ENKUlT_T0_E_clISt17integral_constantIbLb0EES17_EEDaS12_S13_EUlS12_E_NS1_11comp_targetILNS1_3genE10ELNS1_11target_archE1200ELNS1_3gpuE4ELNS1_3repE0EEENS1_30default_config_static_selectorELNS0_4arch9wavefront6targetE1EEEvT1_ ; -- Begin function _ZN7rocprim17ROCPRIM_400000_NS6detail17trampoline_kernelINS0_14default_configENS1_25partition_config_selectorILNS1_17partition_subalgoE8EsNS0_10empty_typeEbEEZZNS1_14partition_implILS5_8ELb0ES3_jPKsPS6_PKS6_NS0_5tupleIJPsS6_EEENSE_IJSB_SB_EEENS0_18inequality_wrapperIN6hipcub16HIPCUB_304000_NS8EqualityEEEPlJS6_EEE10hipError_tPvRmT3_T4_T5_T6_T7_T9_mT8_P12ihipStream_tbDpT10_ENKUlT_T0_E_clISt17integral_constantIbLb0EES17_EEDaS12_S13_EUlS12_E_NS1_11comp_targetILNS1_3genE10ELNS1_11target_archE1200ELNS1_3gpuE4ELNS1_3repE0EEENS1_30default_config_static_selectorELNS0_4arch9wavefront6targetE1EEEvT1_
	.globl	_ZN7rocprim17ROCPRIM_400000_NS6detail17trampoline_kernelINS0_14default_configENS1_25partition_config_selectorILNS1_17partition_subalgoE8EsNS0_10empty_typeEbEEZZNS1_14partition_implILS5_8ELb0ES3_jPKsPS6_PKS6_NS0_5tupleIJPsS6_EEENSE_IJSB_SB_EEENS0_18inequality_wrapperIN6hipcub16HIPCUB_304000_NS8EqualityEEEPlJS6_EEE10hipError_tPvRmT3_T4_T5_T6_T7_T9_mT8_P12ihipStream_tbDpT10_ENKUlT_T0_E_clISt17integral_constantIbLb0EES17_EEDaS12_S13_EUlS12_E_NS1_11comp_targetILNS1_3genE10ELNS1_11target_archE1200ELNS1_3gpuE4ELNS1_3repE0EEENS1_30default_config_static_selectorELNS0_4arch9wavefront6targetE1EEEvT1_
	.p2align	8
	.type	_ZN7rocprim17ROCPRIM_400000_NS6detail17trampoline_kernelINS0_14default_configENS1_25partition_config_selectorILNS1_17partition_subalgoE8EsNS0_10empty_typeEbEEZZNS1_14partition_implILS5_8ELb0ES3_jPKsPS6_PKS6_NS0_5tupleIJPsS6_EEENSE_IJSB_SB_EEENS0_18inequality_wrapperIN6hipcub16HIPCUB_304000_NS8EqualityEEEPlJS6_EEE10hipError_tPvRmT3_T4_T5_T6_T7_T9_mT8_P12ihipStream_tbDpT10_ENKUlT_T0_E_clISt17integral_constantIbLb0EES17_EEDaS12_S13_EUlS12_E_NS1_11comp_targetILNS1_3genE10ELNS1_11target_archE1200ELNS1_3gpuE4ELNS1_3repE0EEENS1_30default_config_static_selectorELNS0_4arch9wavefront6targetE1EEEvT1_,@function
_ZN7rocprim17ROCPRIM_400000_NS6detail17trampoline_kernelINS0_14default_configENS1_25partition_config_selectorILNS1_17partition_subalgoE8EsNS0_10empty_typeEbEEZZNS1_14partition_implILS5_8ELb0ES3_jPKsPS6_PKS6_NS0_5tupleIJPsS6_EEENSE_IJSB_SB_EEENS0_18inequality_wrapperIN6hipcub16HIPCUB_304000_NS8EqualityEEEPlJS6_EEE10hipError_tPvRmT3_T4_T5_T6_T7_T9_mT8_P12ihipStream_tbDpT10_ENKUlT_T0_E_clISt17integral_constantIbLb0EES17_EEDaS12_S13_EUlS12_E_NS1_11comp_targetILNS1_3genE10ELNS1_11target_archE1200ELNS1_3gpuE4ELNS1_3repE0EEENS1_30default_config_static_selectorELNS0_4arch9wavefront6targetE1EEEvT1_: ; @_ZN7rocprim17ROCPRIM_400000_NS6detail17trampoline_kernelINS0_14default_configENS1_25partition_config_selectorILNS1_17partition_subalgoE8EsNS0_10empty_typeEbEEZZNS1_14partition_implILS5_8ELb0ES3_jPKsPS6_PKS6_NS0_5tupleIJPsS6_EEENSE_IJSB_SB_EEENS0_18inequality_wrapperIN6hipcub16HIPCUB_304000_NS8EqualityEEEPlJS6_EEE10hipError_tPvRmT3_T4_T5_T6_T7_T9_mT8_P12ihipStream_tbDpT10_ENKUlT_T0_E_clISt17integral_constantIbLb0EES17_EEDaS12_S13_EUlS12_E_NS1_11comp_targetILNS1_3genE10ELNS1_11target_archE1200ELNS1_3gpuE4ELNS1_3repE0EEENS1_30default_config_static_selectorELNS0_4arch9wavefront6targetE1EEEvT1_
; %bb.0:
	.section	.rodata,"a",@progbits
	.p2align	6, 0x0
	.amdhsa_kernel _ZN7rocprim17ROCPRIM_400000_NS6detail17trampoline_kernelINS0_14default_configENS1_25partition_config_selectorILNS1_17partition_subalgoE8EsNS0_10empty_typeEbEEZZNS1_14partition_implILS5_8ELb0ES3_jPKsPS6_PKS6_NS0_5tupleIJPsS6_EEENSE_IJSB_SB_EEENS0_18inequality_wrapperIN6hipcub16HIPCUB_304000_NS8EqualityEEEPlJS6_EEE10hipError_tPvRmT3_T4_T5_T6_T7_T9_mT8_P12ihipStream_tbDpT10_ENKUlT_T0_E_clISt17integral_constantIbLb0EES17_EEDaS12_S13_EUlS12_E_NS1_11comp_targetILNS1_3genE10ELNS1_11target_archE1200ELNS1_3gpuE4ELNS1_3repE0EEENS1_30default_config_static_selectorELNS0_4arch9wavefront6targetE1EEEvT1_
		.amdhsa_group_segment_fixed_size 0
		.amdhsa_private_segment_fixed_size 0
		.amdhsa_kernarg_size 112
		.amdhsa_user_sgpr_count 2
		.amdhsa_user_sgpr_dispatch_ptr 0
		.amdhsa_user_sgpr_queue_ptr 0
		.amdhsa_user_sgpr_kernarg_segment_ptr 1
		.amdhsa_user_sgpr_dispatch_id 0
		.amdhsa_user_sgpr_kernarg_preload_length 0
		.amdhsa_user_sgpr_kernarg_preload_offset 0
		.amdhsa_user_sgpr_private_segment_size 0
		.amdhsa_uses_dynamic_stack 0
		.amdhsa_enable_private_segment 0
		.amdhsa_system_sgpr_workgroup_id_x 1
		.amdhsa_system_sgpr_workgroup_id_y 0
		.amdhsa_system_sgpr_workgroup_id_z 0
		.amdhsa_system_sgpr_workgroup_info 0
		.amdhsa_system_vgpr_workitem_id 0
		.amdhsa_next_free_vgpr 1
		.amdhsa_next_free_sgpr 0
		.amdhsa_accum_offset 4
		.amdhsa_reserve_vcc 0
		.amdhsa_float_round_mode_32 0
		.amdhsa_float_round_mode_16_64 0
		.amdhsa_float_denorm_mode_32 3
		.amdhsa_float_denorm_mode_16_64 3
		.amdhsa_dx10_clamp 1
		.amdhsa_ieee_mode 1
		.amdhsa_fp16_overflow 0
		.amdhsa_tg_split 0
		.amdhsa_exception_fp_ieee_invalid_op 0
		.amdhsa_exception_fp_denorm_src 0
		.amdhsa_exception_fp_ieee_div_zero 0
		.amdhsa_exception_fp_ieee_overflow 0
		.amdhsa_exception_fp_ieee_underflow 0
		.amdhsa_exception_fp_ieee_inexact 0
		.amdhsa_exception_int_div_zero 0
	.end_amdhsa_kernel
	.section	.text._ZN7rocprim17ROCPRIM_400000_NS6detail17trampoline_kernelINS0_14default_configENS1_25partition_config_selectorILNS1_17partition_subalgoE8EsNS0_10empty_typeEbEEZZNS1_14partition_implILS5_8ELb0ES3_jPKsPS6_PKS6_NS0_5tupleIJPsS6_EEENSE_IJSB_SB_EEENS0_18inequality_wrapperIN6hipcub16HIPCUB_304000_NS8EqualityEEEPlJS6_EEE10hipError_tPvRmT3_T4_T5_T6_T7_T9_mT8_P12ihipStream_tbDpT10_ENKUlT_T0_E_clISt17integral_constantIbLb0EES17_EEDaS12_S13_EUlS12_E_NS1_11comp_targetILNS1_3genE10ELNS1_11target_archE1200ELNS1_3gpuE4ELNS1_3repE0EEENS1_30default_config_static_selectorELNS0_4arch9wavefront6targetE1EEEvT1_,"axG",@progbits,_ZN7rocprim17ROCPRIM_400000_NS6detail17trampoline_kernelINS0_14default_configENS1_25partition_config_selectorILNS1_17partition_subalgoE8EsNS0_10empty_typeEbEEZZNS1_14partition_implILS5_8ELb0ES3_jPKsPS6_PKS6_NS0_5tupleIJPsS6_EEENSE_IJSB_SB_EEENS0_18inequality_wrapperIN6hipcub16HIPCUB_304000_NS8EqualityEEEPlJS6_EEE10hipError_tPvRmT3_T4_T5_T6_T7_T9_mT8_P12ihipStream_tbDpT10_ENKUlT_T0_E_clISt17integral_constantIbLb0EES17_EEDaS12_S13_EUlS12_E_NS1_11comp_targetILNS1_3genE10ELNS1_11target_archE1200ELNS1_3gpuE4ELNS1_3repE0EEENS1_30default_config_static_selectorELNS0_4arch9wavefront6targetE1EEEvT1_,comdat
.Lfunc_end553:
	.size	_ZN7rocprim17ROCPRIM_400000_NS6detail17trampoline_kernelINS0_14default_configENS1_25partition_config_selectorILNS1_17partition_subalgoE8EsNS0_10empty_typeEbEEZZNS1_14partition_implILS5_8ELb0ES3_jPKsPS6_PKS6_NS0_5tupleIJPsS6_EEENSE_IJSB_SB_EEENS0_18inequality_wrapperIN6hipcub16HIPCUB_304000_NS8EqualityEEEPlJS6_EEE10hipError_tPvRmT3_T4_T5_T6_T7_T9_mT8_P12ihipStream_tbDpT10_ENKUlT_T0_E_clISt17integral_constantIbLb0EES17_EEDaS12_S13_EUlS12_E_NS1_11comp_targetILNS1_3genE10ELNS1_11target_archE1200ELNS1_3gpuE4ELNS1_3repE0EEENS1_30default_config_static_selectorELNS0_4arch9wavefront6targetE1EEEvT1_, .Lfunc_end553-_ZN7rocprim17ROCPRIM_400000_NS6detail17trampoline_kernelINS0_14default_configENS1_25partition_config_selectorILNS1_17partition_subalgoE8EsNS0_10empty_typeEbEEZZNS1_14partition_implILS5_8ELb0ES3_jPKsPS6_PKS6_NS0_5tupleIJPsS6_EEENSE_IJSB_SB_EEENS0_18inequality_wrapperIN6hipcub16HIPCUB_304000_NS8EqualityEEEPlJS6_EEE10hipError_tPvRmT3_T4_T5_T6_T7_T9_mT8_P12ihipStream_tbDpT10_ENKUlT_T0_E_clISt17integral_constantIbLb0EES17_EEDaS12_S13_EUlS12_E_NS1_11comp_targetILNS1_3genE10ELNS1_11target_archE1200ELNS1_3gpuE4ELNS1_3repE0EEENS1_30default_config_static_selectorELNS0_4arch9wavefront6targetE1EEEvT1_
                                        ; -- End function
	.section	.AMDGPU.csdata,"",@progbits
; Kernel info:
; codeLenInByte = 0
; NumSgprs: 6
; NumVgprs: 0
; NumAgprs: 0
; TotalNumVgprs: 0
; ScratchSize: 0
; MemoryBound: 0
; FloatMode: 240
; IeeeMode: 1
; LDSByteSize: 0 bytes/workgroup (compile time only)
; SGPRBlocks: 0
; VGPRBlocks: 0
; NumSGPRsForWavesPerEU: 6
; NumVGPRsForWavesPerEU: 1
; AccumOffset: 4
; Occupancy: 8
; WaveLimiterHint : 0
; COMPUTE_PGM_RSRC2:SCRATCH_EN: 0
; COMPUTE_PGM_RSRC2:USER_SGPR: 2
; COMPUTE_PGM_RSRC2:TRAP_HANDLER: 0
; COMPUTE_PGM_RSRC2:TGID_X_EN: 1
; COMPUTE_PGM_RSRC2:TGID_Y_EN: 0
; COMPUTE_PGM_RSRC2:TGID_Z_EN: 0
; COMPUTE_PGM_RSRC2:TIDIG_COMP_CNT: 0
; COMPUTE_PGM_RSRC3_GFX90A:ACCUM_OFFSET: 0
; COMPUTE_PGM_RSRC3_GFX90A:TG_SPLIT: 0
	.section	.text._ZN7rocprim17ROCPRIM_400000_NS6detail17trampoline_kernelINS0_14default_configENS1_25partition_config_selectorILNS1_17partition_subalgoE8EsNS0_10empty_typeEbEEZZNS1_14partition_implILS5_8ELb0ES3_jPKsPS6_PKS6_NS0_5tupleIJPsS6_EEENSE_IJSB_SB_EEENS0_18inequality_wrapperIN6hipcub16HIPCUB_304000_NS8EqualityEEEPlJS6_EEE10hipError_tPvRmT3_T4_T5_T6_T7_T9_mT8_P12ihipStream_tbDpT10_ENKUlT_T0_E_clISt17integral_constantIbLb0EES17_EEDaS12_S13_EUlS12_E_NS1_11comp_targetILNS1_3genE9ELNS1_11target_archE1100ELNS1_3gpuE3ELNS1_3repE0EEENS1_30default_config_static_selectorELNS0_4arch9wavefront6targetE1EEEvT1_,"axG",@progbits,_ZN7rocprim17ROCPRIM_400000_NS6detail17trampoline_kernelINS0_14default_configENS1_25partition_config_selectorILNS1_17partition_subalgoE8EsNS0_10empty_typeEbEEZZNS1_14partition_implILS5_8ELb0ES3_jPKsPS6_PKS6_NS0_5tupleIJPsS6_EEENSE_IJSB_SB_EEENS0_18inequality_wrapperIN6hipcub16HIPCUB_304000_NS8EqualityEEEPlJS6_EEE10hipError_tPvRmT3_T4_T5_T6_T7_T9_mT8_P12ihipStream_tbDpT10_ENKUlT_T0_E_clISt17integral_constantIbLb0EES17_EEDaS12_S13_EUlS12_E_NS1_11comp_targetILNS1_3genE9ELNS1_11target_archE1100ELNS1_3gpuE3ELNS1_3repE0EEENS1_30default_config_static_selectorELNS0_4arch9wavefront6targetE1EEEvT1_,comdat
	.protected	_ZN7rocprim17ROCPRIM_400000_NS6detail17trampoline_kernelINS0_14default_configENS1_25partition_config_selectorILNS1_17partition_subalgoE8EsNS0_10empty_typeEbEEZZNS1_14partition_implILS5_8ELb0ES3_jPKsPS6_PKS6_NS0_5tupleIJPsS6_EEENSE_IJSB_SB_EEENS0_18inequality_wrapperIN6hipcub16HIPCUB_304000_NS8EqualityEEEPlJS6_EEE10hipError_tPvRmT3_T4_T5_T6_T7_T9_mT8_P12ihipStream_tbDpT10_ENKUlT_T0_E_clISt17integral_constantIbLb0EES17_EEDaS12_S13_EUlS12_E_NS1_11comp_targetILNS1_3genE9ELNS1_11target_archE1100ELNS1_3gpuE3ELNS1_3repE0EEENS1_30default_config_static_selectorELNS0_4arch9wavefront6targetE1EEEvT1_ ; -- Begin function _ZN7rocprim17ROCPRIM_400000_NS6detail17trampoline_kernelINS0_14default_configENS1_25partition_config_selectorILNS1_17partition_subalgoE8EsNS0_10empty_typeEbEEZZNS1_14partition_implILS5_8ELb0ES3_jPKsPS6_PKS6_NS0_5tupleIJPsS6_EEENSE_IJSB_SB_EEENS0_18inequality_wrapperIN6hipcub16HIPCUB_304000_NS8EqualityEEEPlJS6_EEE10hipError_tPvRmT3_T4_T5_T6_T7_T9_mT8_P12ihipStream_tbDpT10_ENKUlT_T0_E_clISt17integral_constantIbLb0EES17_EEDaS12_S13_EUlS12_E_NS1_11comp_targetILNS1_3genE9ELNS1_11target_archE1100ELNS1_3gpuE3ELNS1_3repE0EEENS1_30default_config_static_selectorELNS0_4arch9wavefront6targetE1EEEvT1_
	.globl	_ZN7rocprim17ROCPRIM_400000_NS6detail17trampoline_kernelINS0_14default_configENS1_25partition_config_selectorILNS1_17partition_subalgoE8EsNS0_10empty_typeEbEEZZNS1_14partition_implILS5_8ELb0ES3_jPKsPS6_PKS6_NS0_5tupleIJPsS6_EEENSE_IJSB_SB_EEENS0_18inequality_wrapperIN6hipcub16HIPCUB_304000_NS8EqualityEEEPlJS6_EEE10hipError_tPvRmT3_T4_T5_T6_T7_T9_mT8_P12ihipStream_tbDpT10_ENKUlT_T0_E_clISt17integral_constantIbLb0EES17_EEDaS12_S13_EUlS12_E_NS1_11comp_targetILNS1_3genE9ELNS1_11target_archE1100ELNS1_3gpuE3ELNS1_3repE0EEENS1_30default_config_static_selectorELNS0_4arch9wavefront6targetE1EEEvT1_
	.p2align	8
	.type	_ZN7rocprim17ROCPRIM_400000_NS6detail17trampoline_kernelINS0_14default_configENS1_25partition_config_selectorILNS1_17partition_subalgoE8EsNS0_10empty_typeEbEEZZNS1_14partition_implILS5_8ELb0ES3_jPKsPS6_PKS6_NS0_5tupleIJPsS6_EEENSE_IJSB_SB_EEENS0_18inequality_wrapperIN6hipcub16HIPCUB_304000_NS8EqualityEEEPlJS6_EEE10hipError_tPvRmT3_T4_T5_T6_T7_T9_mT8_P12ihipStream_tbDpT10_ENKUlT_T0_E_clISt17integral_constantIbLb0EES17_EEDaS12_S13_EUlS12_E_NS1_11comp_targetILNS1_3genE9ELNS1_11target_archE1100ELNS1_3gpuE3ELNS1_3repE0EEENS1_30default_config_static_selectorELNS0_4arch9wavefront6targetE1EEEvT1_,@function
_ZN7rocprim17ROCPRIM_400000_NS6detail17trampoline_kernelINS0_14default_configENS1_25partition_config_selectorILNS1_17partition_subalgoE8EsNS0_10empty_typeEbEEZZNS1_14partition_implILS5_8ELb0ES3_jPKsPS6_PKS6_NS0_5tupleIJPsS6_EEENSE_IJSB_SB_EEENS0_18inequality_wrapperIN6hipcub16HIPCUB_304000_NS8EqualityEEEPlJS6_EEE10hipError_tPvRmT3_T4_T5_T6_T7_T9_mT8_P12ihipStream_tbDpT10_ENKUlT_T0_E_clISt17integral_constantIbLb0EES17_EEDaS12_S13_EUlS12_E_NS1_11comp_targetILNS1_3genE9ELNS1_11target_archE1100ELNS1_3gpuE3ELNS1_3repE0EEENS1_30default_config_static_selectorELNS0_4arch9wavefront6targetE1EEEvT1_: ; @_ZN7rocprim17ROCPRIM_400000_NS6detail17trampoline_kernelINS0_14default_configENS1_25partition_config_selectorILNS1_17partition_subalgoE8EsNS0_10empty_typeEbEEZZNS1_14partition_implILS5_8ELb0ES3_jPKsPS6_PKS6_NS0_5tupleIJPsS6_EEENSE_IJSB_SB_EEENS0_18inequality_wrapperIN6hipcub16HIPCUB_304000_NS8EqualityEEEPlJS6_EEE10hipError_tPvRmT3_T4_T5_T6_T7_T9_mT8_P12ihipStream_tbDpT10_ENKUlT_T0_E_clISt17integral_constantIbLb0EES17_EEDaS12_S13_EUlS12_E_NS1_11comp_targetILNS1_3genE9ELNS1_11target_archE1100ELNS1_3gpuE3ELNS1_3repE0EEENS1_30default_config_static_selectorELNS0_4arch9wavefront6targetE1EEEvT1_
; %bb.0:
	.section	.rodata,"a",@progbits
	.p2align	6, 0x0
	.amdhsa_kernel _ZN7rocprim17ROCPRIM_400000_NS6detail17trampoline_kernelINS0_14default_configENS1_25partition_config_selectorILNS1_17partition_subalgoE8EsNS0_10empty_typeEbEEZZNS1_14partition_implILS5_8ELb0ES3_jPKsPS6_PKS6_NS0_5tupleIJPsS6_EEENSE_IJSB_SB_EEENS0_18inequality_wrapperIN6hipcub16HIPCUB_304000_NS8EqualityEEEPlJS6_EEE10hipError_tPvRmT3_T4_T5_T6_T7_T9_mT8_P12ihipStream_tbDpT10_ENKUlT_T0_E_clISt17integral_constantIbLb0EES17_EEDaS12_S13_EUlS12_E_NS1_11comp_targetILNS1_3genE9ELNS1_11target_archE1100ELNS1_3gpuE3ELNS1_3repE0EEENS1_30default_config_static_selectorELNS0_4arch9wavefront6targetE1EEEvT1_
		.amdhsa_group_segment_fixed_size 0
		.amdhsa_private_segment_fixed_size 0
		.amdhsa_kernarg_size 112
		.amdhsa_user_sgpr_count 2
		.amdhsa_user_sgpr_dispatch_ptr 0
		.amdhsa_user_sgpr_queue_ptr 0
		.amdhsa_user_sgpr_kernarg_segment_ptr 1
		.amdhsa_user_sgpr_dispatch_id 0
		.amdhsa_user_sgpr_kernarg_preload_length 0
		.amdhsa_user_sgpr_kernarg_preload_offset 0
		.amdhsa_user_sgpr_private_segment_size 0
		.amdhsa_uses_dynamic_stack 0
		.amdhsa_enable_private_segment 0
		.amdhsa_system_sgpr_workgroup_id_x 1
		.amdhsa_system_sgpr_workgroup_id_y 0
		.amdhsa_system_sgpr_workgroup_id_z 0
		.amdhsa_system_sgpr_workgroup_info 0
		.amdhsa_system_vgpr_workitem_id 0
		.amdhsa_next_free_vgpr 1
		.amdhsa_next_free_sgpr 0
		.amdhsa_accum_offset 4
		.amdhsa_reserve_vcc 0
		.amdhsa_float_round_mode_32 0
		.amdhsa_float_round_mode_16_64 0
		.amdhsa_float_denorm_mode_32 3
		.amdhsa_float_denorm_mode_16_64 3
		.amdhsa_dx10_clamp 1
		.amdhsa_ieee_mode 1
		.amdhsa_fp16_overflow 0
		.amdhsa_tg_split 0
		.amdhsa_exception_fp_ieee_invalid_op 0
		.amdhsa_exception_fp_denorm_src 0
		.amdhsa_exception_fp_ieee_div_zero 0
		.amdhsa_exception_fp_ieee_overflow 0
		.amdhsa_exception_fp_ieee_underflow 0
		.amdhsa_exception_fp_ieee_inexact 0
		.amdhsa_exception_int_div_zero 0
	.end_amdhsa_kernel
	.section	.text._ZN7rocprim17ROCPRIM_400000_NS6detail17trampoline_kernelINS0_14default_configENS1_25partition_config_selectorILNS1_17partition_subalgoE8EsNS0_10empty_typeEbEEZZNS1_14partition_implILS5_8ELb0ES3_jPKsPS6_PKS6_NS0_5tupleIJPsS6_EEENSE_IJSB_SB_EEENS0_18inequality_wrapperIN6hipcub16HIPCUB_304000_NS8EqualityEEEPlJS6_EEE10hipError_tPvRmT3_T4_T5_T6_T7_T9_mT8_P12ihipStream_tbDpT10_ENKUlT_T0_E_clISt17integral_constantIbLb0EES17_EEDaS12_S13_EUlS12_E_NS1_11comp_targetILNS1_3genE9ELNS1_11target_archE1100ELNS1_3gpuE3ELNS1_3repE0EEENS1_30default_config_static_selectorELNS0_4arch9wavefront6targetE1EEEvT1_,"axG",@progbits,_ZN7rocprim17ROCPRIM_400000_NS6detail17trampoline_kernelINS0_14default_configENS1_25partition_config_selectorILNS1_17partition_subalgoE8EsNS0_10empty_typeEbEEZZNS1_14partition_implILS5_8ELb0ES3_jPKsPS6_PKS6_NS0_5tupleIJPsS6_EEENSE_IJSB_SB_EEENS0_18inequality_wrapperIN6hipcub16HIPCUB_304000_NS8EqualityEEEPlJS6_EEE10hipError_tPvRmT3_T4_T5_T6_T7_T9_mT8_P12ihipStream_tbDpT10_ENKUlT_T0_E_clISt17integral_constantIbLb0EES17_EEDaS12_S13_EUlS12_E_NS1_11comp_targetILNS1_3genE9ELNS1_11target_archE1100ELNS1_3gpuE3ELNS1_3repE0EEENS1_30default_config_static_selectorELNS0_4arch9wavefront6targetE1EEEvT1_,comdat
.Lfunc_end554:
	.size	_ZN7rocprim17ROCPRIM_400000_NS6detail17trampoline_kernelINS0_14default_configENS1_25partition_config_selectorILNS1_17partition_subalgoE8EsNS0_10empty_typeEbEEZZNS1_14partition_implILS5_8ELb0ES3_jPKsPS6_PKS6_NS0_5tupleIJPsS6_EEENSE_IJSB_SB_EEENS0_18inequality_wrapperIN6hipcub16HIPCUB_304000_NS8EqualityEEEPlJS6_EEE10hipError_tPvRmT3_T4_T5_T6_T7_T9_mT8_P12ihipStream_tbDpT10_ENKUlT_T0_E_clISt17integral_constantIbLb0EES17_EEDaS12_S13_EUlS12_E_NS1_11comp_targetILNS1_3genE9ELNS1_11target_archE1100ELNS1_3gpuE3ELNS1_3repE0EEENS1_30default_config_static_selectorELNS0_4arch9wavefront6targetE1EEEvT1_, .Lfunc_end554-_ZN7rocprim17ROCPRIM_400000_NS6detail17trampoline_kernelINS0_14default_configENS1_25partition_config_selectorILNS1_17partition_subalgoE8EsNS0_10empty_typeEbEEZZNS1_14partition_implILS5_8ELb0ES3_jPKsPS6_PKS6_NS0_5tupleIJPsS6_EEENSE_IJSB_SB_EEENS0_18inequality_wrapperIN6hipcub16HIPCUB_304000_NS8EqualityEEEPlJS6_EEE10hipError_tPvRmT3_T4_T5_T6_T7_T9_mT8_P12ihipStream_tbDpT10_ENKUlT_T0_E_clISt17integral_constantIbLb0EES17_EEDaS12_S13_EUlS12_E_NS1_11comp_targetILNS1_3genE9ELNS1_11target_archE1100ELNS1_3gpuE3ELNS1_3repE0EEENS1_30default_config_static_selectorELNS0_4arch9wavefront6targetE1EEEvT1_
                                        ; -- End function
	.section	.AMDGPU.csdata,"",@progbits
; Kernel info:
; codeLenInByte = 0
; NumSgprs: 6
; NumVgprs: 0
; NumAgprs: 0
; TotalNumVgprs: 0
; ScratchSize: 0
; MemoryBound: 0
; FloatMode: 240
; IeeeMode: 1
; LDSByteSize: 0 bytes/workgroup (compile time only)
; SGPRBlocks: 0
; VGPRBlocks: 0
; NumSGPRsForWavesPerEU: 6
; NumVGPRsForWavesPerEU: 1
; AccumOffset: 4
; Occupancy: 8
; WaveLimiterHint : 0
; COMPUTE_PGM_RSRC2:SCRATCH_EN: 0
; COMPUTE_PGM_RSRC2:USER_SGPR: 2
; COMPUTE_PGM_RSRC2:TRAP_HANDLER: 0
; COMPUTE_PGM_RSRC2:TGID_X_EN: 1
; COMPUTE_PGM_RSRC2:TGID_Y_EN: 0
; COMPUTE_PGM_RSRC2:TGID_Z_EN: 0
; COMPUTE_PGM_RSRC2:TIDIG_COMP_CNT: 0
; COMPUTE_PGM_RSRC3_GFX90A:ACCUM_OFFSET: 0
; COMPUTE_PGM_RSRC3_GFX90A:TG_SPLIT: 0
	.section	.text._ZN7rocprim17ROCPRIM_400000_NS6detail17trampoline_kernelINS0_14default_configENS1_25partition_config_selectorILNS1_17partition_subalgoE8EsNS0_10empty_typeEbEEZZNS1_14partition_implILS5_8ELb0ES3_jPKsPS6_PKS6_NS0_5tupleIJPsS6_EEENSE_IJSB_SB_EEENS0_18inequality_wrapperIN6hipcub16HIPCUB_304000_NS8EqualityEEEPlJS6_EEE10hipError_tPvRmT3_T4_T5_T6_T7_T9_mT8_P12ihipStream_tbDpT10_ENKUlT_T0_E_clISt17integral_constantIbLb0EES17_EEDaS12_S13_EUlS12_E_NS1_11comp_targetILNS1_3genE8ELNS1_11target_archE1030ELNS1_3gpuE2ELNS1_3repE0EEENS1_30default_config_static_selectorELNS0_4arch9wavefront6targetE1EEEvT1_,"axG",@progbits,_ZN7rocprim17ROCPRIM_400000_NS6detail17trampoline_kernelINS0_14default_configENS1_25partition_config_selectorILNS1_17partition_subalgoE8EsNS0_10empty_typeEbEEZZNS1_14partition_implILS5_8ELb0ES3_jPKsPS6_PKS6_NS0_5tupleIJPsS6_EEENSE_IJSB_SB_EEENS0_18inequality_wrapperIN6hipcub16HIPCUB_304000_NS8EqualityEEEPlJS6_EEE10hipError_tPvRmT3_T4_T5_T6_T7_T9_mT8_P12ihipStream_tbDpT10_ENKUlT_T0_E_clISt17integral_constantIbLb0EES17_EEDaS12_S13_EUlS12_E_NS1_11comp_targetILNS1_3genE8ELNS1_11target_archE1030ELNS1_3gpuE2ELNS1_3repE0EEENS1_30default_config_static_selectorELNS0_4arch9wavefront6targetE1EEEvT1_,comdat
	.protected	_ZN7rocprim17ROCPRIM_400000_NS6detail17trampoline_kernelINS0_14default_configENS1_25partition_config_selectorILNS1_17partition_subalgoE8EsNS0_10empty_typeEbEEZZNS1_14partition_implILS5_8ELb0ES3_jPKsPS6_PKS6_NS0_5tupleIJPsS6_EEENSE_IJSB_SB_EEENS0_18inequality_wrapperIN6hipcub16HIPCUB_304000_NS8EqualityEEEPlJS6_EEE10hipError_tPvRmT3_T4_T5_T6_T7_T9_mT8_P12ihipStream_tbDpT10_ENKUlT_T0_E_clISt17integral_constantIbLb0EES17_EEDaS12_S13_EUlS12_E_NS1_11comp_targetILNS1_3genE8ELNS1_11target_archE1030ELNS1_3gpuE2ELNS1_3repE0EEENS1_30default_config_static_selectorELNS0_4arch9wavefront6targetE1EEEvT1_ ; -- Begin function _ZN7rocprim17ROCPRIM_400000_NS6detail17trampoline_kernelINS0_14default_configENS1_25partition_config_selectorILNS1_17partition_subalgoE8EsNS0_10empty_typeEbEEZZNS1_14partition_implILS5_8ELb0ES3_jPKsPS6_PKS6_NS0_5tupleIJPsS6_EEENSE_IJSB_SB_EEENS0_18inequality_wrapperIN6hipcub16HIPCUB_304000_NS8EqualityEEEPlJS6_EEE10hipError_tPvRmT3_T4_T5_T6_T7_T9_mT8_P12ihipStream_tbDpT10_ENKUlT_T0_E_clISt17integral_constantIbLb0EES17_EEDaS12_S13_EUlS12_E_NS1_11comp_targetILNS1_3genE8ELNS1_11target_archE1030ELNS1_3gpuE2ELNS1_3repE0EEENS1_30default_config_static_selectorELNS0_4arch9wavefront6targetE1EEEvT1_
	.globl	_ZN7rocprim17ROCPRIM_400000_NS6detail17trampoline_kernelINS0_14default_configENS1_25partition_config_selectorILNS1_17partition_subalgoE8EsNS0_10empty_typeEbEEZZNS1_14partition_implILS5_8ELb0ES3_jPKsPS6_PKS6_NS0_5tupleIJPsS6_EEENSE_IJSB_SB_EEENS0_18inequality_wrapperIN6hipcub16HIPCUB_304000_NS8EqualityEEEPlJS6_EEE10hipError_tPvRmT3_T4_T5_T6_T7_T9_mT8_P12ihipStream_tbDpT10_ENKUlT_T0_E_clISt17integral_constantIbLb0EES17_EEDaS12_S13_EUlS12_E_NS1_11comp_targetILNS1_3genE8ELNS1_11target_archE1030ELNS1_3gpuE2ELNS1_3repE0EEENS1_30default_config_static_selectorELNS0_4arch9wavefront6targetE1EEEvT1_
	.p2align	8
	.type	_ZN7rocprim17ROCPRIM_400000_NS6detail17trampoline_kernelINS0_14default_configENS1_25partition_config_selectorILNS1_17partition_subalgoE8EsNS0_10empty_typeEbEEZZNS1_14partition_implILS5_8ELb0ES3_jPKsPS6_PKS6_NS0_5tupleIJPsS6_EEENSE_IJSB_SB_EEENS0_18inequality_wrapperIN6hipcub16HIPCUB_304000_NS8EqualityEEEPlJS6_EEE10hipError_tPvRmT3_T4_T5_T6_T7_T9_mT8_P12ihipStream_tbDpT10_ENKUlT_T0_E_clISt17integral_constantIbLb0EES17_EEDaS12_S13_EUlS12_E_NS1_11comp_targetILNS1_3genE8ELNS1_11target_archE1030ELNS1_3gpuE2ELNS1_3repE0EEENS1_30default_config_static_selectorELNS0_4arch9wavefront6targetE1EEEvT1_,@function
_ZN7rocprim17ROCPRIM_400000_NS6detail17trampoline_kernelINS0_14default_configENS1_25partition_config_selectorILNS1_17partition_subalgoE8EsNS0_10empty_typeEbEEZZNS1_14partition_implILS5_8ELb0ES3_jPKsPS6_PKS6_NS0_5tupleIJPsS6_EEENSE_IJSB_SB_EEENS0_18inequality_wrapperIN6hipcub16HIPCUB_304000_NS8EqualityEEEPlJS6_EEE10hipError_tPvRmT3_T4_T5_T6_T7_T9_mT8_P12ihipStream_tbDpT10_ENKUlT_T0_E_clISt17integral_constantIbLb0EES17_EEDaS12_S13_EUlS12_E_NS1_11comp_targetILNS1_3genE8ELNS1_11target_archE1030ELNS1_3gpuE2ELNS1_3repE0EEENS1_30default_config_static_selectorELNS0_4arch9wavefront6targetE1EEEvT1_: ; @_ZN7rocprim17ROCPRIM_400000_NS6detail17trampoline_kernelINS0_14default_configENS1_25partition_config_selectorILNS1_17partition_subalgoE8EsNS0_10empty_typeEbEEZZNS1_14partition_implILS5_8ELb0ES3_jPKsPS6_PKS6_NS0_5tupleIJPsS6_EEENSE_IJSB_SB_EEENS0_18inequality_wrapperIN6hipcub16HIPCUB_304000_NS8EqualityEEEPlJS6_EEE10hipError_tPvRmT3_T4_T5_T6_T7_T9_mT8_P12ihipStream_tbDpT10_ENKUlT_T0_E_clISt17integral_constantIbLb0EES17_EEDaS12_S13_EUlS12_E_NS1_11comp_targetILNS1_3genE8ELNS1_11target_archE1030ELNS1_3gpuE2ELNS1_3repE0EEENS1_30default_config_static_selectorELNS0_4arch9wavefront6targetE1EEEvT1_
; %bb.0:
	.section	.rodata,"a",@progbits
	.p2align	6, 0x0
	.amdhsa_kernel _ZN7rocprim17ROCPRIM_400000_NS6detail17trampoline_kernelINS0_14default_configENS1_25partition_config_selectorILNS1_17partition_subalgoE8EsNS0_10empty_typeEbEEZZNS1_14partition_implILS5_8ELb0ES3_jPKsPS6_PKS6_NS0_5tupleIJPsS6_EEENSE_IJSB_SB_EEENS0_18inequality_wrapperIN6hipcub16HIPCUB_304000_NS8EqualityEEEPlJS6_EEE10hipError_tPvRmT3_T4_T5_T6_T7_T9_mT8_P12ihipStream_tbDpT10_ENKUlT_T0_E_clISt17integral_constantIbLb0EES17_EEDaS12_S13_EUlS12_E_NS1_11comp_targetILNS1_3genE8ELNS1_11target_archE1030ELNS1_3gpuE2ELNS1_3repE0EEENS1_30default_config_static_selectorELNS0_4arch9wavefront6targetE1EEEvT1_
		.amdhsa_group_segment_fixed_size 0
		.amdhsa_private_segment_fixed_size 0
		.amdhsa_kernarg_size 112
		.amdhsa_user_sgpr_count 2
		.amdhsa_user_sgpr_dispatch_ptr 0
		.amdhsa_user_sgpr_queue_ptr 0
		.amdhsa_user_sgpr_kernarg_segment_ptr 1
		.amdhsa_user_sgpr_dispatch_id 0
		.amdhsa_user_sgpr_kernarg_preload_length 0
		.amdhsa_user_sgpr_kernarg_preload_offset 0
		.amdhsa_user_sgpr_private_segment_size 0
		.amdhsa_uses_dynamic_stack 0
		.amdhsa_enable_private_segment 0
		.amdhsa_system_sgpr_workgroup_id_x 1
		.amdhsa_system_sgpr_workgroup_id_y 0
		.amdhsa_system_sgpr_workgroup_id_z 0
		.amdhsa_system_sgpr_workgroup_info 0
		.amdhsa_system_vgpr_workitem_id 0
		.amdhsa_next_free_vgpr 1
		.amdhsa_next_free_sgpr 0
		.amdhsa_accum_offset 4
		.amdhsa_reserve_vcc 0
		.amdhsa_float_round_mode_32 0
		.amdhsa_float_round_mode_16_64 0
		.amdhsa_float_denorm_mode_32 3
		.amdhsa_float_denorm_mode_16_64 3
		.amdhsa_dx10_clamp 1
		.amdhsa_ieee_mode 1
		.amdhsa_fp16_overflow 0
		.amdhsa_tg_split 0
		.amdhsa_exception_fp_ieee_invalid_op 0
		.amdhsa_exception_fp_denorm_src 0
		.amdhsa_exception_fp_ieee_div_zero 0
		.amdhsa_exception_fp_ieee_overflow 0
		.amdhsa_exception_fp_ieee_underflow 0
		.amdhsa_exception_fp_ieee_inexact 0
		.amdhsa_exception_int_div_zero 0
	.end_amdhsa_kernel
	.section	.text._ZN7rocprim17ROCPRIM_400000_NS6detail17trampoline_kernelINS0_14default_configENS1_25partition_config_selectorILNS1_17partition_subalgoE8EsNS0_10empty_typeEbEEZZNS1_14partition_implILS5_8ELb0ES3_jPKsPS6_PKS6_NS0_5tupleIJPsS6_EEENSE_IJSB_SB_EEENS0_18inequality_wrapperIN6hipcub16HIPCUB_304000_NS8EqualityEEEPlJS6_EEE10hipError_tPvRmT3_T4_T5_T6_T7_T9_mT8_P12ihipStream_tbDpT10_ENKUlT_T0_E_clISt17integral_constantIbLb0EES17_EEDaS12_S13_EUlS12_E_NS1_11comp_targetILNS1_3genE8ELNS1_11target_archE1030ELNS1_3gpuE2ELNS1_3repE0EEENS1_30default_config_static_selectorELNS0_4arch9wavefront6targetE1EEEvT1_,"axG",@progbits,_ZN7rocprim17ROCPRIM_400000_NS6detail17trampoline_kernelINS0_14default_configENS1_25partition_config_selectorILNS1_17partition_subalgoE8EsNS0_10empty_typeEbEEZZNS1_14partition_implILS5_8ELb0ES3_jPKsPS6_PKS6_NS0_5tupleIJPsS6_EEENSE_IJSB_SB_EEENS0_18inequality_wrapperIN6hipcub16HIPCUB_304000_NS8EqualityEEEPlJS6_EEE10hipError_tPvRmT3_T4_T5_T6_T7_T9_mT8_P12ihipStream_tbDpT10_ENKUlT_T0_E_clISt17integral_constantIbLb0EES17_EEDaS12_S13_EUlS12_E_NS1_11comp_targetILNS1_3genE8ELNS1_11target_archE1030ELNS1_3gpuE2ELNS1_3repE0EEENS1_30default_config_static_selectorELNS0_4arch9wavefront6targetE1EEEvT1_,comdat
.Lfunc_end555:
	.size	_ZN7rocprim17ROCPRIM_400000_NS6detail17trampoline_kernelINS0_14default_configENS1_25partition_config_selectorILNS1_17partition_subalgoE8EsNS0_10empty_typeEbEEZZNS1_14partition_implILS5_8ELb0ES3_jPKsPS6_PKS6_NS0_5tupleIJPsS6_EEENSE_IJSB_SB_EEENS0_18inequality_wrapperIN6hipcub16HIPCUB_304000_NS8EqualityEEEPlJS6_EEE10hipError_tPvRmT3_T4_T5_T6_T7_T9_mT8_P12ihipStream_tbDpT10_ENKUlT_T0_E_clISt17integral_constantIbLb0EES17_EEDaS12_S13_EUlS12_E_NS1_11comp_targetILNS1_3genE8ELNS1_11target_archE1030ELNS1_3gpuE2ELNS1_3repE0EEENS1_30default_config_static_selectorELNS0_4arch9wavefront6targetE1EEEvT1_, .Lfunc_end555-_ZN7rocprim17ROCPRIM_400000_NS6detail17trampoline_kernelINS0_14default_configENS1_25partition_config_selectorILNS1_17partition_subalgoE8EsNS0_10empty_typeEbEEZZNS1_14partition_implILS5_8ELb0ES3_jPKsPS6_PKS6_NS0_5tupleIJPsS6_EEENSE_IJSB_SB_EEENS0_18inequality_wrapperIN6hipcub16HIPCUB_304000_NS8EqualityEEEPlJS6_EEE10hipError_tPvRmT3_T4_T5_T6_T7_T9_mT8_P12ihipStream_tbDpT10_ENKUlT_T0_E_clISt17integral_constantIbLb0EES17_EEDaS12_S13_EUlS12_E_NS1_11comp_targetILNS1_3genE8ELNS1_11target_archE1030ELNS1_3gpuE2ELNS1_3repE0EEENS1_30default_config_static_selectorELNS0_4arch9wavefront6targetE1EEEvT1_
                                        ; -- End function
	.section	.AMDGPU.csdata,"",@progbits
; Kernel info:
; codeLenInByte = 0
; NumSgprs: 6
; NumVgprs: 0
; NumAgprs: 0
; TotalNumVgprs: 0
; ScratchSize: 0
; MemoryBound: 0
; FloatMode: 240
; IeeeMode: 1
; LDSByteSize: 0 bytes/workgroup (compile time only)
; SGPRBlocks: 0
; VGPRBlocks: 0
; NumSGPRsForWavesPerEU: 6
; NumVGPRsForWavesPerEU: 1
; AccumOffset: 4
; Occupancy: 8
; WaveLimiterHint : 0
; COMPUTE_PGM_RSRC2:SCRATCH_EN: 0
; COMPUTE_PGM_RSRC2:USER_SGPR: 2
; COMPUTE_PGM_RSRC2:TRAP_HANDLER: 0
; COMPUTE_PGM_RSRC2:TGID_X_EN: 1
; COMPUTE_PGM_RSRC2:TGID_Y_EN: 0
; COMPUTE_PGM_RSRC2:TGID_Z_EN: 0
; COMPUTE_PGM_RSRC2:TIDIG_COMP_CNT: 0
; COMPUTE_PGM_RSRC3_GFX90A:ACCUM_OFFSET: 0
; COMPUTE_PGM_RSRC3_GFX90A:TG_SPLIT: 0
	.section	.text._ZN7rocprim17ROCPRIM_400000_NS6detail17trampoline_kernelINS0_14default_configENS1_25partition_config_selectorILNS1_17partition_subalgoE8EsNS0_10empty_typeEbEEZZNS1_14partition_implILS5_8ELb0ES3_jPKsPS6_PKS6_NS0_5tupleIJPsS6_EEENSE_IJSB_SB_EEENS0_18inequality_wrapperIN6hipcub16HIPCUB_304000_NS8EqualityEEEPlJS6_EEE10hipError_tPvRmT3_T4_T5_T6_T7_T9_mT8_P12ihipStream_tbDpT10_ENKUlT_T0_E_clISt17integral_constantIbLb1EES17_EEDaS12_S13_EUlS12_E_NS1_11comp_targetILNS1_3genE0ELNS1_11target_archE4294967295ELNS1_3gpuE0ELNS1_3repE0EEENS1_30default_config_static_selectorELNS0_4arch9wavefront6targetE1EEEvT1_,"axG",@progbits,_ZN7rocprim17ROCPRIM_400000_NS6detail17trampoline_kernelINS0_14default_configENS1_25partition_config_selectorILNS1_17partition_subalgoE8EsNS0_10empty_typeEbEEZZNS1_14partition_implILS5_8ELb0ES3_jPKsPS6_PKS6_NS0_5tupleIJPsS6_EEENSE_IJSB_SB_EEENS0_18inequality_wrapperIN6hipcub16HIPCUB_304000_NS8EqualityEEEPlJS6_EEE10hipError_tPvRmT3_T4_T5_T6_T7_T9_mT8_P12ihipStream_tbDpT10_ENKUlT_T0_E_clISt17integral_constantIbLb1EES17_EEDaS12_S13_EUlS12_E_NS1_11comp_targetILNS1_3genE0ELNS1_11target_archE4294967295ELNS1_3gpuE0ELNS1_3repE0EEENS1_30default_config_static_selectorELNS0_4arch9wavefront6targetE1EEEvT1_,comdat
	.protected	_ZN7rocprim17ROCPRIM_400000_NS6detail17trampoline_kernelINS0_14default_configENS1_25partition_config_selectorILNS1_17partition_subalgoE8EsNS0_10empty_typeEbEEZZNS1_14partition_implILS5_8ELb0ES3_jPKsPS6_PKS6_NS0_5tupleIJPsS6_EEENSE_IJSB_SB_EEENS0_18inequality_wrapperIN6hipcub16HIPCUB_304000_NS8EqualityEEEPlJS6_EEE10hipError_tPvRmT3_T4_T5_T6_T7_T9_mT8_P12ihipStream_tbDpT10_ENKUlT_T0_E_clISt17integral_constantIbLb1EES17_EEDaS12_S13_EUlS12_E_NS1_11comp_targetILNS1_3genE0ELNS1_11target_archE4294967295ELNS1_3gpuE0ELNS1_3repE0EEENS1_30default_config_static_selectorELNS0_4arch9wavefront6targetE1EEEvT1_ ; -- Begin function _ZN7rocprim17ROCPRIM_400000_NS6detail17trampoline_kernelINS0_14default_configENS1_25partition_config_selectorILNS1_17partition_subalgoE8EsNS0_10empty_typeEbEEZZNS1_14partition_implILS5_8ELb0ES3_jPKsPS6_PKS6_NS0_5tupleIJPsS6_EEENSE_IJSB_SB_EEENS0_18inequality_wrapperIN6hipcub16HIPCUB_304000_NS8EqualityEEEPlJS6_EEE10hipError_tPvRmT3_T4_T5_T6_T7_T9_mT8_P12ihipStream_tbDpT10_ENKUlT_T0_E_clISt17integral_constantIbLb1EES17_EEDaS12_S13_EUlS12_E_NS1_11comp_targetILNS1_3genE0ELNS1_11target_archE4294967295ELNS1_3gpuE0ELNS1_3repE0EEENS1_30default_config_static_selectorELNS0_4arch9wavefront6targetE1EEEvT1_
	.globl	_ZN7rocprim17ROCPRIM_400000_NS6detail17trampoline_kernelINS0_14default_configENS1_25partition_config_selectorILNS1_17partition_subalgoE8EsNS0_10empty_typeEbEEZZNS1_14partition_implILS5_8ELb0ES3_jPKsPS6_PKS6_NS0_5tupleIJPsS6_EEENSE_IJSB_SB_EEENS0_18inequality_wrapperIN6hipcub16HIPCUB_304000_NS8EqualityEEEPlJS6_EEE10hipError_tPvRmT3_T4_T5_T6_T7_T9_mT8_P12ihipStream_tbDpT10_ENKUlT_T0_E_clISt17integral_constantIbLb1EES17_EEDaS12_S13_EUlS12_E_NS1_11comp_targetILNS1_3genE0ELNS1_11target_archE4294967295ELNS1_3gpuE0ELNS1_3repE0EEENS1_30default_config_static_selectorELNS0_4arch9wavefront6targetE1EEEvT1_
	.p2align	8
	.type	_ZN7rocprim17ROCPRIM_400000_NS6detail17trampoline_kernelINS0_14default_configENS1_25partition_config_selectorILNS1_17partition_subalgoE8EsNS0_10empty_typeEbEEZZNS1_14partition_implILS5_8ELb0ES3_jPKsPS6_PKS6_NS0_5tupleIJPsS6_EEENSE_IJSB_SB_EEENS0_18inequality_wrapperIN6hipcub16HIPCUB_304000_NS8EqualityEEEPlJS6_EEE10hipError_tPvRmT3_T4_T5_T6_T7_T9_mT8_P12ihipStream_tbDpT10_ENKUlT_T0_E_clISt17integral_constantIbLb1EES17_EEDaS12_S13_EUlS12_E_NS1_11comp_targetILNS1_3genE0ELNS1_11target_archE4294967295ELNS1_3gpuE0ELNS1_3repE0EEENS1_30default_config_static_selectorELNS0_4arch9wavefront6targetE1EEEvT1_,@function
_ZN7rocprim17ROCPRIM_400000_NS6detail17trampoline_kernelINS0_14default_configENS1_25partition_config_selectorILNS1_17partition_subalgoE8EsNS0_10empty_typeEbEEZZNS1_14partition_implILS5_8ELb0ES3_jPKsPS6_PKS6_NS0_5tupleIJPsS6_EEENSE_IJSB_SB_EEENS0_18inequality_wrapperIN6hipcub16HIPCUB_304000_NS8EqualityEEEPlJS6_EEE10hipError_tPvRmT3_T4_T5_T6_T7_T9_mT8_P12ihipStream_tbDpT10_ENKUlT_T0_E_clISt17integral_constantIbLb1EES17_EEDaS12_S13_EUlS12_E_NS1_11comp_targetILNS1_3genE0ELNS1_11target_archE4294967295ELNS1_3gpuE0ELNS1_3repE0EEENS1_30default_config_static_selectorELNS0_4arch9wavefront6targetE1EEEvT1_: ; @_ZN7rocprim17ROCPRIM_400000_NS6detail17trampoline_kernelINS0_14default_configENS1_25partition_config_selectorILNS1_17partition_subalgoE8EsNS0_10empty_typeEbEEZZNS1_14partition_implILS5_8ELb0ES3_jPKsPS6_PKS6_NS0_5tupleIJPsS6_EEENSE_IJSB_SB_EEENS0_18inequality_wrapperIN6hipcub16HIPCUB_304000_NS8EqualityEEEPlJS6_EEE10hipError_tPvRmT3_T4_T5_T6_T7_T9_mT8_P12ihipStream_tbDpT10_ENKUlT_T0_E_clISt17integral_constantIbLb1EES17_EEDaS12_S13_EUlS12_E_NS1_11comp_targetILNS1_3genE0ELNS1_11target_archE4294967295ELNS1_3gpuE0ELNS1_3repE0EEENS1_30default_config_static_selectorELNS0_4arch9wavefront6targetE1EEEvT1_
; %bb.0:
	.section	.rodata,"a",@progbits
	.p2align	6, 0x0
	.amdhsa_kernel _ZN7rocprim17ROCPRIM_400000_NS6detail17trampoline_kernelINS0_14default_configENS1_25partition_config_selectorILNS1_17partition_subalgoE8EsNS0_10empty_typeEbEEZZNS1_14partition_implILS5_8ELb0ES3_jPKsPS6_PKS6_NS0_5tupleIJPsS6_EEENSE_IJSB_SB_EEENS0_18inequality_wrapperIN6hipcub16HIPCUB_304000_NS8EqualityEEEPlJS6_EEE10hipError_tPvRmT3_T4_T5_T6_T7_T9_mT8_P12ihipStream_tbDpT10_ENKUlT_T0_E_clISt17integral_constantIbLb1EES17_EEDaS12_S13_EUlS12_E_NS1_11comp_targetILNS1_3genE0ELNS1_11target_archE4294967295ELNS1_3gpuE0ELNS1_3repE0EEENS1_30default_config_static_selectorELNS0_4arch9wavefront6targetE1EEEvT1_
		.amdhsa_group_segment_fixed_size 0
		.amdhsa_private_segment_fixed_size 0
		.amdhsa_kernarg_size 128
		.amdhsa_user_sgpr_count 2
		.amdhsa_user_sgpr_dispatch_ptr 0
		.amdhsa_user_sgpr_queue_ptr 0
		.amdhsa_user_sgpr_kernarg_segment_ptr 1
		.amdhsa_user_sgpr_dispatch_id 0
		.amdhsa_user_sgpr_kernarg_preload_length 0
		.amdhsa_user_sgpr_kernarg_preload_offset 0
		.amdhsa_user_sgpr_private_segment_size 0
		.amdhsa_uses_dynamic_stack 0
		.amdhsa_enable_private_segment 0
		.amdhsa_system_sgpr_workgroup_id_x 1
		.amdhsa_system_sgpr_workgroup_id_y 0
		.amdhsa_system_sgpr_workgroup_id_z 0
		.amdhsa_system_sgpr_workgroup_info 0
		.amdhsa_system_vgpr_workitem_id 0
		.amdhsa_next_free_vgpr 1
		.amdhsa_next_free_sgpr 0
		.amdhsa_accum_offset 4
		.amdhsa_reserve_vcc 0
		.amdhsa_float_round_mode_32 0
		.amdhsa_float_round_mode_16_64 0
		.amdhsa_float_denorm_mode_32 3
		.amdhsa_float_denorm_mode_16_64 3
		.amdhsa_dx10_clamp 1
		.amdhsa_ieee_mode 1
		.amdhsa_fp16_overflow 0
		.amdhsa_tg_split 0
		.amdhsa_exception_fp_ieee_invalid_op 0
		.amdhsa_exception_fp_denorm_src 0
		.amdhsa_exception_fp_ieee_div_zero 0
		.amdhsa_exception_fp_ieee_overflow 0
		.amdhsa_exception_fp_ieee_underflow 0
		.amdhsa_exception_fp_ieee_inexact 0
		.amdhsa_exception_int_div_zero 0
	.end_amdhsa_kernel
	.section	.text._ZN7rocprim17ROCPRIM_400000_NS6detail17trampoline_kernelINS0_14default_configENS1_25partition_config_selectorILNS1_17partition_subalgoE8EsNS0_10empty_typeEbEEZZNS1_14partition_implILS5_8ELb0ES3_jPKsPS6_PKS6_NS0_5tupleIJPsS6_EEENSE_IJSB_SB_EEENS0_18inequality_wrapperIN6hipcub16HIPCUB_304000_NS8EqualityEEEPlJS6_EEE10hipError_tPvRmT3_T4_T5_T6_T7_T9_mT8_P12ihipStream_tbDpT10_ENKUlT_T0_E_clISt17integral_constantIbLb1EES17_EEDaS12_S13_EUlS12_E_NS1_11comp_targetILNS1_3genE0ELNS1_11target_archE4294967295ELNS1_3gpuE0ELNS1_3repE0EEENS1_30default_config_static_selectorELNS0_4arch9wavefront6targetE1EEEvT1_,"axG",@progbits,_ZN7rocprim17ROCPRIM_400000_NS6detail17trampoline_kernelINS0_14default_configENS1_25partition_config_selectorILNS1_17partition_subalgoE8EsNS0_10empty_typeEbEEZZNS1_14partition_implILS5_8ELb0ES3_jPKsPS6_PKS6_NS0_5tupleIJPsS6_EEENSE_IJSB_SB_EEENS0_18inequality_wrapperIN6hipcub16HIPCUB_304000_NS8EqualityEEEPlJS6_EEE10hipError_tPvRmT3_T4_T5_T6_T7_T9_mT8_P12ihipStream_tbDpT10_ENKUlT_T0_E_clISt17integral_constantIbLb1EES17_EEDaS12_S13_EUlS12_E_NS1_11comp_targetILNS1_3genE0ELNS1_11target_archE4294967295ELNS1_3gpuE0ELNS1_3repE0EEENS1_30default_config_static_selectorELNS0_4arch9wavefront6targetE1EEEvT1_,comdat
.Lfunc_end556:
	.size	_ZN7rocprim17ROCPRIM_400000_NS6detail17trampoline_kernelINS0_14default_configENS1_25partition_config_selectorILNS1_17partition_subalgoE8EsNS0_10empty_typeEbEEZZNS1_14partition_implILS5_8ELb0ES3_jPKsPS6_PKS6_NS0_5tupleIJPsS6_EEENSE_IJSB_SB_EEENS0_18inequality_wrapperIN6hipcub16HIPCUB_304000_NS8EqualityEEEPlJS6_EEE10hipError_tPvRmT3_T4_T5_T6_T7_T9_mT8_P12ihipStream_tbDpT10_ENKUlT_T0_E_clISt17integral_constantIbLb1EES17_EEDaS12_S13_EUlS12_E_NS1_11comp_targetILNS1_3genE0ELNS1_11target_archE4294967295ELNS1_3gpuE0ELNS1_3repE0EEENS1_30default_config_static_selectorELNS0_4arch9wavefront6targetE1EEEvT1_, .Lfunc_end556-_ZN7rocprim17ROCPRIM_400000_NS6detail17trampoline_kernelINS0_14default_configENS1_25partition_config_selectorILNS1_17partition_subalgoE8EsNS0_10empty_typeEbEEZZNS1_14partition_implILS5_8ELb0ES3_jPKsPS6_PKS6_NS0_5tupleIJPsS6_EEENSE_IJSB_SB_EEENS0_18inequality_wrapperIN6hipcub16HIPCUB_304000_NS8EqualityEEEPlJS6_EEE10hipError_tPvRmT3_T4_T5_T6_T7_T9_mT8_P12ihipStream_tbDpT10_ENKUlT_T0_E_clISt17integral_constantIbLb1EES17_EEDaS12_S13_EUlS12_E_NS1_11comp_targetILNS1_3genE0ELNS1_11target_archE4294967295ELNS1_3gpuE0ELNS1_3repE0EEENS1_30default_config_static_selectorELNS0_4arch9wavefront6targetE1EEEvT1_
                                        ; -- End function
	.section	.AMDGPU.csdata,"",@progbits
; Kernel info:
; codeLenInByte = 0
; NumSgprs: 6
; NumVgprs: 0
; NumAgprs: 0
; TotalNumVgprs: 0
; ScratchSize: 0
; MemoryBound: 0
; FloatMode: 240
; IeeeMode: 1
; LDSByteSize: 0 bytes/workgroup (compile time only)
; SGPRBlocks: 0
; VGPRBlocks: 0
; NumSGPRsForWavesPerEU: 6
; NumVGPRsForWavesPerEU: 1
; AccumOffset: 4
; Occupancy: 8
; WaveLimiterHint : 0
; COMPUTE_PGM_RSRC2:SCRATCH_EN: 0
; COMPUTE_PGM_RSRC2:USER_SGPR: 2
; COMPUTE_PGM_RSRC2:TRAP_HANDLER: 0
; COMPUTE_PGM_RSRC2:TGID_X_EN: 1
; COMPUTE_PGM_RSRC2:TGID_Y_EN: 0
; COMPUTE_PGM_RSRC2:TGID_Z_EN: 0
; COMPUTE_PGM_RSRC2:TIDIG_COMP_CNT: 0
; COMPUTE_PGM_RSRC3_GFX90A:ACCUM_OFFSET: 0
; COMPUTE_PGM_RSRC3_GFX90A:TG_SPLIT: 0
	.section	.text._ZN7rocprim17ROCPRIM_400000_NS6detail17trampoline_kernelINS0_14default_configENS1_25partition_config_selectorILNS1_17partition_subalgoE8EsNS0_10empty_typeEbEEZZNS1_14partition_implILS5_8ELb0ES3_jPKsPS6_PKS6_NS0_5tupleIJPsS6_EEENSE_IJSB_SB_EEENS0_18inequality_wrapperIN6hipcub16HIPCUB_304000_NS8EqualityEEEPlJS6_EEE10hipError_tPvRmT3_T4_T5_T6_T7_T9_mT8_P12ihipStream_tbDpT10_ENKUlT_T0_E_clISt17integral_constantIbLb1EES17_EEDaS12_S13_EUlS12_E_NS1_11comp_targetILNS1_3genE5ELNS1_11target_archE942ELNS1_3gpuE9ELNS1_3repE0EEENS1_30default_config_static_selectorELNS0_4arch9wavefront6targetE1EEEvT1_,"axG",@progbits,_ZN7rocprim17ROCPRIM_400000_NS6detail17trampoline_kernelINS0_14default_configENS1_25partition_config_selectorILNS1_17partition_subalgoE8EsNS0_10empty_typeEbEEZZNS1_14partition_implILS5_8ELb0ES3_jPKsPS6_PKS6_NS0_5tupleIJPsS6_EEENSE_IJSB_SB_EEENS0_18inequality_wrapperIN6hipcub16HIPCUB_304000_NS8EqualityEEEPlJS6_EEE10hipError_tPvRmT3_T4_T5_T6_T7_T9_mT8_P12ihipStream_tbDpT10_ENKUlT_T0_E_clISt17integral_constantIbLb1EES17_EEDaS12_S13_EUlS12_E_NS1_11comp_targetILNS1_3genE5ELNS1_11target_archE942ELNS1_3gpuE9ELNS1_3repE0EEENS1_30default_config_static_selectorELNS0_4arch9wavefront6targetE1EEEvT1_,comdat
	.protected	_ZN7rocprim17ROCPRIM_400000_NS6detail17trampoline_kernelINS0_14default_configENS1_25partition_config_selectorILNS1_17partition_subalgoE8EsNS0_10empty_typeEbEEZZNS1_14partition_implILS5_8ELb0ES3_jPKsPS6_PKS6_NS0_5tupleIJPsS6_EEENSE_IJSB_SB_EEENS0_18inequality_wrapperIN6hipcub16HIPCUB_304000_NS8EqualityEEEPlJS6_EEE10hipError_tPvRmT3_T4_T5_T6_T7_T9_mT8_P12ihipStream_tbDpT10_ENKUlT_T0_E_clISt17integral_constantIbLb1EES17_EEDaS12_S13_EUlS12_E_NS1_11comp_targetILNS1_3genE5ELNS1_11target_archE942ELNS1_3gpuE9ELNS1_3repE0EEENS1_30default_config_static_selectorELNS0_4arch9wavefront6targetE1EEEvT1_ ; -- Begin function _ZN7rocprim17ROCPRIM_400000_NS6detail17trampoline_kernelINS0_14default_configENS1_25partition_config_selectorILNS1_17partition_subalgoE8EsNS0_10empty_typeEbEEZZNS1_14partition_implILS5_8ELb0ES3_jPKsPS6_PKS6_NS0_5tupleIJPsS6_EEENSE_IJSB_SB_EEENS0_18inequality_wrapperIN6hipcub16HIPCUB_304000_NS8EqualityEEEPlJS6_EEE10hipError_tPvRmT3_T4_T5_T6_T7_T9_mT8_P12ihipStream_tbDpT10_ENKUlT_T0_E_clISt17integral_constantIbLb1EES17_EEDaS12_S13_EUlS12_E_NS1_11comp_targetILNS1_3genE5ELNS1_11target_archE942ELNS1_3gpuE9ELNS1_3repE0EEENS1_30default_config_static_selectorELNS0_4arch9wavefront6targetE1EEEvT1_
	.globl	_ZN7rocprim17ROCPRIM_400000_NS6detail17trampoline_kernelINS0_14default_configENS1_25partition_config_selectorILNS1_17partition_subalgoE8EsNS0_10empty_typeEbEEZZNS1_14partition_implILS5_8ELb0ES3_jPKsPS6_PKS6_NS0_5tupleIJPsS6_EEENSE_IJSB_SB_EEENS0_18inequality_wrapperIN6hipcub16HIPCUB_304000_NS8EqualityEEEPlJS6_EEE10hipError_tPvRmT3_T4_T5_T6_T7_T9_mT8_P12ihipStream_tbDpT10_ENKUlT_T0_E_clISt17integral_constantIbLb1EES17_EEDaS12_S13_EUlS12_E_NS1_11comp_targetILNS1_3genE5ELNS1_11target_archE942ELNS1_3gpuE9ELNS1_3repE0EEENS1_30default_config_static_selectorELNS0_4arch9wavefront6targetE1EEEvT1_
	.p2align	8
	.type	_ZN7rocprim17ROCPRIM_400000_NS6detail17trampoline_kernelINS0_14default_configENS1_25partition_config_selectorILNS1_17partition_subalgoE8EsNS0_10empty_typeEbEEZZNS1_14partition_implILS5_8ELb0ES3_jPKsPS6_PKS6_NS0_5tupleIJPsS6_EEENSE_IJSB_SB_EEENS0_18inequality_wrapperIN6hipcub16HIPCUB_304000_NS8EqualityEEEPlJS6_EEE10hipError_tPvRmT3_T4_T5_T6_T7_T9_mT8_P12ihipStream_tbDpT10_ENKUlT_T0_E_clISt17integral_constantIbLb1EES17_EEDaS12_S13_EUlS12_E_NS1_11comp_targetILNS1_3genE5ELNS1_11target_archE942ELNS1_3gpuE9ELNS1_3repE0EEENS1_30default_config_static_selectorELNS0_4arch9wavefront6targetE1EEEvT1_,@function
_ZN7rocprim17ROCPRIM_400000_NS6detail17trampoline_kernelINS0_14default_configENS1_25partition_config_selectorILNS1_17partition_subalgoE8EsNS0_10empty_typeEbEEZZNS1_14partition_implILS5_8ELb0ES3_jPKsPS6_PKS6_NS0_5tupleIJPsS6_EEENSE_IJSB_SB_EEENS0_18inequality_wrapperIN6hipcub16HIPCUB_304000_NS8EqualityEEEPlJS6_EEE10hipError_tPvRmT3_T4_T5_T6_T7_T9_mT8_P12ihipStream_tbDpT10_ENKUlT_T0_E_clISt17integral_constantIbLb1EES17_EEDaS12_S13_EUlS12_E_NS1_11comp_targetILNS1_3genE5ELNS1_11target_archE942ELNS1_3gpuE9ELNS1_3repE0EEENS1_30default_config_static_selectorELNS0_4arch9wavefront6targetE1EEEvT1_: ; @_ZN7rocprim17ROCPRIM_400000_NS6detail17trampoline_kernelINS0_14default_configENS1_25partition_config_selectorILNS1_17partition_subalgoE8EsNS0_10empty_typeEbEEZZNS1_14partition_implILS5_8ELb0ES3_jPKsPS6_PKS6_NS0_5tupleIJPsS6_EEENSE_IJSB_SB_EEENS0_18inequality_wrapperIN6hipcub16HIPCUB_304000_NS8EqualityEEEPlJS6_EEE10hipError_tPvRmT3_T4_T5_T6_T7_T9_mT8_P12ihipStream_tbDpT10_ENKUlT_T0_E_clISt17integral_constantIbLb1EES17_EEDaS12_S13_EUlS12_E_NS1_11comp_targetILNS1_3genE5ELNS1_11target_archE942ELNS1_3gpuE9ELNS1_3repE0EEENS1_30default_config_static_selectorELNS0_4arch9wavefront6targetE1EEEvT1_
; %bb.0:
	s_load_dwordx4 s[64:67], s[0:1], 0x40
	s_load_dwordx2 s[8:9], s[0:1], 0x50
	s_load_dwordx2 s[72:73], s[0:1], 0x60
	v_cmp_ne_u32_e64 s[2:3], 0, v0
	v_cmp_eq_u32_e64 s[18:19], 0, v0
	s_and_saveexec_b64 s[4:5], s[18:19]
	s_cbranch_execz .LBB557_4
; %bb.1:
	s_mov_b64 s[10:11], exec
	v_mbcnt_lo_u32_b32 v1, s10, 0
	v_mbcnt_hi_u32_b32 v1, s11, v1
	v_cmp_eq_u32_e32 vcc, 0, v1
                                        ; implicit-def: $vgpr2
	s_and_saveexec_b64 s[6:7], vcc
	s_cbranch_execz .LBB557_3
; %bb.2:
	s_load_dwordx2 s[12:13], s[0:1], 0x70
	s_bcnt1_i32_b64 s10, s[10:11]
	v_mov_b32_e32 v2, 0
	v_mov_b32_e32 v3, s10
	s_waitcnt lgkmcnt(0)
	global_atomic_add v2, v2, v3, s[12:13] sc0
.LBB557_3:
	s_or_b64 exec, exec, s[6:7]
	s_waitcnt vmcnt(0)
	v_readfirstlane_b32 s6, v2
	v_mov_b32_e32 v2, 0
	s_nop 0
	v_add_u32_e32 v1, s6, v1
	ds_write_b32 v2, v1
.LBB557_4:
	s_or_b64 exec, exec, s[4:5]
	v_mov_b32_e32 v3, 0
	s_load_dwordx4 s[4:7], s[0:1], 0x8
	s_load_dwordx2 s[68:69], s[0:1], 0x28
	s_load_dword s10, s[0:1], 0x68
	s_waitcnt lgkmcnt(0)
	s_barrier
	ds_read_b32 v1, v3
	s_waitcnt lgkmcnt(0)
	s_barrier
	global_load_dwordx2 v[8:9], v3, s[66:67]
	s_lshl_b64 s[0:1], s[6:7], 1
	s_add_u32 s4, s4, s0
	s_movk_i32 s0, 0x3c00
	v_mul_lo_u32 v2, v1, s0
	s_mul_i32 s0, s10, 0x3c00
	s_addc_u32 s5, s5, s1
	s_add_i32 s1, s0, s6
	v_mov_b32_e32 v5, s9
	s_add_i32 s9, s10, -1
	s_sub_i32 s80, s8, s1
	s_add_u32 s0, s6, s0
	v_readfirstlane_b32 s33, v1
	s_addc_u32 s1, s7, 0
	v_mov_b32_e32 v4, s8
	s_cmp_eq_u32 s33, s9
	v_cmp_ge_u64_e32 vcc, s[0:1], v[4:5]
	s_cselect_b64 s[66:67], -1, 0
	s_and_b64 s[74:75], vcc, s[66:67]
	s_xor_b64 s[70:71], s[74:75], -1
	v_lshlrev_b64 v[4:5], 1, v[2:3]
	s_mov_b64 s[0:1], -1
	v_lshl_add_u64 v[18:19], s[4:5], 0, v[4:5]
	s_and_b64 vcc, exec, s[70:71]
	s_cbranch_vccz .LBB557_6
; %bb.5:
	v_lshlrev_b32_e32 v2, 1, v0
	v_lshl_add_u64 v[4:5], v[18:19], 0, v[2:3]
	v_add_co_u32_e32 v6, vcc, 0x1000, v4
	v_readfirstlane_b32 s0, v18
	s_nop 0
	v_addc_co_u32_e32 v7, vcc, 0, v5, vcc
	v_add_co_u32_e32 v10, vcc, 0x2000, v4
	v_readfirstlane_b32 s1, v19
	s_nop 0
	v_addc_co_u32_e32 v11, vcc, 0, v5, vcc
	s_nop 2
	global_load_ushort v1, v2, s[0:1]
	global_load_ushort v3, v2, s[0:1] offset:1024
	global_load_ushort v12, v2, s[0:1] offset:2048
	;; [unrolled: 1-line block ×3, first 2 shown]
	global_load_ushort v14, v[6:7], off
	global_load_ushort v15, v[6:7], off offset:1024
	global_load_ushort v16, v[6:7], off offset:2048
	;; [unrolled: 1-line block ×3, first 2 shown]
	global_load_ushort v20, v[10:11], off
	global_load_ushort v21, v[10:11], off offset:1024
	global_load_ushort v22, v[10:11], off offset:2048
	;; [unrolled: 1-line block ×3, first 2 shown]
	v_add_co_u32_e32 v6, vcc, 0x3000, v4
	s_mov_b64 s[0:1], 0
	s_nop 0
	v_addc_co_u32_e32 v7, vcc, 0, v5, vcc
	v_add_co_u32_e32 v10, vcc, 0x4000, v4
	s_nop 1
	v_addc_co_u32_e32 v11, vcc, 0, v5, vcc
	global_load_ushort v24, v[6:7], off
	global_load_ushort v25, v[6:7], off offset:1024
	global_load_ushort v26, v[6:7], off offset:2048
	;; [unrolled: 1-line block ×3, first 2 shown]
	global_load_ushort v28, v[10:11], off
	global_load_ushort v29, v[10:11], off offset:1024
	global_load_ushort v30, v[10:11], off offset:2048
	;; [unrolled: 1-line block ×3, first 2 shown]
	v_add_co_u32_e32 v6, vcc, 0x5000, v4
	s_nop 1
	v_addc_co_u32_e32 v7, vcc, 0, v5, vcc
	v_add_co_u32_e32 v10, vcc, 0x6000, v4
	s_nop 1
	v_addc_co_u32_e32 v11, vcc, 0, v5, vcc
	v_add_co_u32_e32 v4, vcc, 0x7000, v4
	global_load_ushort v32, v[6:7], off
	global_load_ushort v33, v[6:7], off offset:1024
	global_load_ushort v34, v[6:7], off offset:2048
	;; [unrolled: 1-line block ×3, first 2 shown]
	global_load_ushort v36, v[10:11], off
	global_load_ushort v37, v[10:11], off offset:1024
	global_load_ushort v38, v[10:11], off offset:2048
	;; [unrolled: 1-line block ×3, first 2 shown]
	v_addc_co_u32_e32 v5, vcc, 0, v5, vcc
	global_load_ushort v6, v[4:5], off
	global_load_ushort v7, v[4:5], off offset:1024
	s_waitcnt vmcnt(29)
	ds_write_b16 v2, v1
	s_waitcnt vmcnt(28)
	ds_write_b16 v2, v3 offset:1024
	s_waitcnt vmcnt(27)
	ds_write_b16 v2, v12 offset:2048
	;; [unrolled: 2-line block ×29, first 2 shown]
	s_waitcnt lgkmcnt(0)
	s_barrier
.LBB557_6:
	s_andn2_b64 vcc, exec, s[0:1]
	s_addk_i32 s80, 0x3c00
	s_cbranch_vccnz .LBB557_68
; %bb.7:
	v_cmp_gt_u32_e32 vcc, s80, v0
                                        ; implicit-def: $vgpr1
	s_and_saveexec_b64 s[0:1], vcc
	s_cbranch_execz .LBB557_9
; %bb.8:
	v_lshlrev_b32_e32 v1, 1, v0
	v_readfirstlane_b32 s4, v18
	v_readfirstlane_b32 s5, v19
	s_nop 4
	global_load_ushort v1, v1, s[4:5]
.LBB557_9:
	s_or_b64 exec, exec, s[0:1]
	v_or_b32_e32 v2, 0x200, v0
	v_cmp_gt_u32_e32 vcc, s80, v2
                                        ; implicit-def: $vgpr2
	s_and_saveexec_b64 s[0:1], vcc
	s_cbranch_execz .LBB557_11
; %bb.10:
	v_lshlrev_b32_e32 v2, 1, v0
	v_readfirstlane_b32 s4, v18
	v_readfirstlane_b32 s5, v19
	s_nop 4
	global_load_ushort v2, v2, s[4:5] offset:1024
.LBB557_11:
	s_or_b64 exec, exec, s[0:1]
	v_or_b32_e32 v3, 0x400, v0
	v_cmp_gt_u32_e32 vcc, s80, v3
                                        ; implicit-def: $vgpr3
	s_and_saveexec_b64 s[0:1], vcc
	s_cbranch_execz .LBB557_13
; %bb.12:
	v_lshlrev_b32_e32 v3, 1, v0
	v_readfirstlane_b32 s4, v18
	v_readfirstlane_b32 s5, v19
	s_nop 4
	global_load_ushort v3, v3, s[4:5] offset:2048
.LBB557_13:
	s_or_b64 exec, exec, s[0:1]
	v_or_b32_e32 v4, 0x600, v0
	v_cmp_gt_u32_e32 vcc, s80, v4
                                        ; implicit-def: $vgpr4
	s_and_saveexec_b64 s[0:1], vcc
	s_cbranch_execz .LBB557_15
; %bb.14:
	v_lshlrev_b32_e32 v4, 1, v0
	v_readfirstlane_b32 s4, v18
	v_readfirstlane_b32 s5, v19
	s_nop 4
	global_load_ushort v4, v4, s[4:5] offset:3072
.LBB557_15:
	s_or_b64 exec, exec, s[0:1]
	v_or_b32_e32 v6, 0x800, v0
	v_cmp_gt_u32_e32 vcc, s80, v6
                                        ; implicit-def: $vgpr5
	s_and_saveexec_b64 s[0:1], vcc
	s_cbranch_execz .LBB557_17
; %bb.16:
	v_lshlrev_b32_e32 v5, 1, v6
	v_readfirstlane_b32 s4, v18
	v_readfirstlane_b32 s5, v19
	s_nop 4
	global_load_ushort v5, v5, s[4:5]
.LBB557_17:
	s_or_b64 exec, exec, s[0:1]
	v_or_b32_e32 v7, 0xa00, v0
	v_cmp_gt_u32_e32 vcc, s80, v7
                                        ; implicit-def: $vgpr6
	s_and_saveexec_b64 s[0:1], vcc
	s_cbranch_execz .LBB557_19
; %bb.18:
	v_lshlrev_b32_e32 v6, 1, v7
	v_readfirstlane_b32 s4, v18
	v_readfirstlane_b32 s5, v19
	s_nop 4
	global_load_ushort v6, v6, s[4:5]
.LBB557_19:
	s_or_b64 exec, exec, s[0:1]
	v_or_b32_e32 v10, 0xc00, v0
	v_cmp_gt_u32_e32 vcc, s80, v10
                                        ; implicit-def: $vgpr7
	s_and_saveexec_b64 s[0:1], vcc
	s_cbranch_execz .LBB557_21
; %bb.20:
	v_lshlrev_b32_e32 v7, 1, v10
	v_readfirstlane_b32 s4, v18
	v_readfirstlane_b32 s5, v19
	s_nop 4
	global_load_ushort v7, v7, s[4:5]
.LBB557_21:
	s_or_b64 exec, exec, s[0:1]
	v_or_b32_e32 v11, 0xe00, v0
	v_cmp_gt_u32_e32 vcc, s80, v11
                                        ; implicit-def: $vgpr10
	s_and_saveexec_b64 s[0:1], vcc
	s_cbranch_execz .LBB557_23
; %bb.22:
	v_lshlrev_b32_e32 v10, 1, v11
	v_readfirstlane_b32 s4, v18
	v_readfirstlane_b32 s5, v19
	s_nop 4
	global_load_ushort v10, v10, s[4:5]
.LBB557_23:
	s_or_b64 exec, exec, s[0:1]
	v_or_b32_e32 v12, 0x1000, v0
	v_cmp_gt_u32_e32 vcc, s80, v12
                                        ; implicit-def: $vgpr11
	s_and_saveexec_b64 s[0:1], vcc
	s_cbranch_execz .LBB557_25
; %bb.24:
	v_lshlrev_b32_e32 v11, 1, v12
	v_readfirstlane_b32 s4, v18
	v_readfirstlane_b32 s5, v19
	s_nop 4
	global_load_ushort v11, v11, s[4:5]
.LBB557_25:
	s_or_b64 exec, exec, s[0:1]
	v_or_b32_e32 v13, 0x1200, v0
	v_cmp_gt_u32_e32 vcc, s80, v13
                                        ; implicit-def: $vgpr12
	s_and_saveexec_b64 s[0:1], vcc
	s_cbranch_execz .LBB557_27
; %bb.26:
	v_lshlrev_b32_e32 v12, 1, v13
	v_readfirstlane_b32 s4, v18
	v_readfirstlane_b32 s5, v19
	s_nop 4
	global_load_ushort v12, v12, s[4:5]
.LBB557_27:
	s_or_b64 exec, exec, s[0:1]
	v_or_b32_e32 v14, 0x1400, v0
	v_cmp_gt_u32_e32 vcc, s80, v14
                                        ; implicit-def: $vgpr13
	s_and_saveexec_b64 s[0:1], vcc
	s_cbranch_execz .LBB557_29
; %bb.28:
	v_lshlrev_b32_e32 v13, 1, v14
	v_readfirstlane_b32 s4, v18
	v_readfirstlane_b32 s5, v19
	s_nop 4
	global_load_ushort v13, v13, s[4:5]
.LBB557_29:
	s_or_b64 exec, exec, s[0:1]
	v_or_b32_e32 v15, 0x1600, v0
	v_cmp_gt_u32_e32 vcc, s80, v15
                                        ; implicit-def: $vgpr14
	s_and_saveexec_b64 s[0:1], vcc
	s_cbranch_execz .LBB557_31
; %bb.30:
	v_lshlrev_b32_e32 v14, 1, v15
	v_readfirstlane_b32 s4, v18
	v_readfirstlane_b32 s5, v19
	s_nop 4
	global_load_ushort v14, v14, s[4:5]
.LBB557_31:
	s_or_b64 exec, exec, s[0:1]
	v_or_b32_e32 v16, 0x1800, v0
	v_cmp_gt_u32_e32 vcc, s80, v16
                                        ; implicit-def: $vgpr15
	s_and_saveexec_b64 s[0:1], vcc
	s_cbranch_execz .LBB557_33
; %bb.32:
	v_lshlrev_b32_e32 v15, 1, v16
	v_readfirstlane_b32 s4, v18
	v_readfirstlane_b32 s5, v19
	s_nop 4
	global_load_ushort v15, v15, s[4:5]
.LBB557_33:
	s_or_b64 exec, exec, s[0:1]
	v_or_b32_e32 v17, 0x1a00, v0
	v_cmp_gt_u32_e32 vcc, s80, v17
                                        ; implicit-def: $vgpr16
	s_and_saveexec_b64 s[0:1], vcc
	s_cbranch_execz .LBB557_35
; %bb.34:
	v_lshlrev_b32_e32 v16, 1, v17
	v_readfirstlane_b32 s4, v18
	v_readfirstlane_b32 s5, v19
	s_nop 4
	global_load_ushort v16, v16, s[4:5]
.LBB557_35:
	s_or_b64 exec, exec, s[0:1]
	v_or_b32_e32 v20, 0x1c00, v0
	v_cmp_gt_u32_e32 vcc, s80, v20
                                        ; implicit-def: $vgpr17
	s_and_saveexec_b64 s[0:1], vcc
	s_cbranch_execz .LBB557_37
; %bb.36:
	v_lshlrev_b32_e32 v17, 1, v20
	v_readfirstlane_b32 s4, v18
	v_readfirstlane_b32 s5, v19
	s_nop 4
	global_load_ushort v17, v17, s[4:5]
.LBB557_37:
	s_or_b64 exec, exec, s[0:1]
	v_or_b32_e32 v21, 0x1e00, v0
	v_cmp_gt_u32_e32 vcc, s80, v21
                                        ; implicit-def: $vgpr20
	s_and_saveexec_b64 s[0:1], vcc
	s_cbranch_execz .LBB557_39
; %bb.38:
	v_lshlrev_b32_e32 v20, 1, v21
	v_readfirstlane_b32 s4, v18
	v_readfirstlane_b32 s5, v19
	s_nop 4
	global_load_ushort v20, v20, s[4:5]
.LBB557_39:
	s_or_b64 exec, exec, s[0:1]
	v_or_b32_e32 v22, 0x2000, v0
	v_cmp_gt_u32_e32 vcc, s80, v22
                                        ; implicit-def: $vgpr21
	s_and_saveexec_b64 s[0:1], vcc
	s_cbranch_execz .LBB557_41
; %bb.40:
	v_lshlrev_b32_e32 v21, 1, v22
	v_readfirstlane_b32 s4, v18
	v_readfirstlane_b32 s5, v19
	s_nop 4
	global_load_ushort v21, v21, s[4:5]
.LBB557_41:
	s_or_b64 exec, exec, s[0:1]
	v_or_b32_e32 v23, 0x2200, v0
	v_cmp_gt_u32_e32 vcc, s80, v23
                                        ; implicit-def: $vgpr22
	s_and_saveexec_b64 s[0:1], vcc
	s_cbranch_execz .LBB557_43
; %bb.42:
	v_lshlrev_b32_e32 v22, 1, v23
	v_readfirstlane_b32 s4, v18
	v_readfirstlane_b32 s5, v19
	s_nop 4
	global_load_ushort v22, v22, s[4:5]
.LBB557_43:
	s_or_b64 exec, exec, s[0:1]
	v_or_b32_e32 v24, 0x2400, v0
	v_cmp_gt_u32_e32 vcc, s80, v24
                                        ; implicit-def: $vgpr23
	s_and_saveexec_b64 s[0:1], vcc
	s_cbranch_execz .LBB557_45
; %bb.44:
	v_lshlrev_b32_e32 v23, 1, v24
	v_readfirstlane_b32 s4, v18
	v_readfirstlane_b32 s5, v19
	s_nop 4
	global_load_ushort v23, v23, s[4:5]
.LBB557_45:
	s_or_b64 exec, exec, s[0:1]
	v_or_b32_e32 v25, 0x2600, v0
	v_cmp_gt_u32_e32 vcc, s80, v25
                                        ; implicit-def: $vgpr24
	s_and_saveexec_b64 s[0:1], vcc
	s_cbranch_execz .LBB557_47
; %bb.46:
	v_lshlrev_b32_e32 v24, 1, v25
	v_readfirstlane_b32 s4, v18
	v_readfirstlane_b32 s5, v19
	s_nop 4
	global_load_ushort v24, v24, s[4:5]
.LBB557_47:
	s_or_b64 exec, exec, s[0:1]
	v_or_b32_e32 v26, 0x2800, v0
	v_cmp_gt_u32_e32 vcc, s80, v26
                                        ; implicit-def: $vgpr25
	s_and_saveexec_b64 s[0:1], vcc
	s_cbranch_execz .LBB557_49
; %bb.48:
	v_lshlrev_b32_e32 v25, 1, v26
	v_readfirstlane_b32 s4, v18
	v_readfirstlane_b32 s5, v19
	s_nop 4
	global_load_ushort v25, v25, s[4:5]
.LBB557_49:
	s_or_b64 exec, exec, s[0:1]
	v_or_b32_e32 v27, 0x2a00, v0
	v_cmp_gt_u32_e32 vcc, s80, v27
                                        ; implicit-def: $vgpr26
	s_and_saveexec_b64 s[0:1], vcc
	s_cbranch_execz .LBB557_51
; %bb.50:
	v_lshlrev_b32_e32 v26, 1, v27
	v_readfirstlane_b32 s4, v18
	v_readfirstlane_b32 s5, v19
	s_nop 4
	global_load_ushort v26, v26, s[4:5]
.LBB557_51:
	s_or_b64 exec, exec, s[0:1]
	v_or_b32_e32 v28, 0x2c00, v0
	v_cmp_gt_u32_e32 vcc, s80, v28
                                        ; implicit-def: $vgpr27
	s_and_saveexec_b64 s[0:1], vcc
	s_cbranch_execz .LBB557_53
; %bb.52:
	v_lshlrev_b32_e32 v27, 1, v28
	v_readfirstlane_b32 s4, v18
	v_readfirstlane_b32 s5, v19
	s_nop 4
	global_load_ushort v27, v27, s[4:5]
.LBB557_53:
	s_or_b64 exec, exec, s[0:1]
	v_or_b32_e32 v29, 0x2e00, v0
	v_cmp_gt_u32_e32 vcc, s80, v29
                                        ; implicit-def: $vgpr28
	s_and_saveexec_b64 s[0:1], vcc
	s_cbranch_execz .LBB557_55
; %bb.54:
	v_lshlrev_b32_e32 v28, 1, v29
	v_readfirstlane_b32 s4, v18
	v_readfirstlane_b32 s5, v19
	s_nop 4
	global_load_ushort v28, v28, s[4:5]
.LBB557_55:
	s_or_b64 exec, exec, s[0:1]
	v_or_b32_e32 v30, 0x3000, v0
	v_cmp_gt_u32_e32 vcc, s80, v30
                                        ; implicit-def: $vgpr29
	s_and_saveexec_b64 s[0:1], vcc
	s_cbranch_execz .LBB557_57
; %bb.56:
	v_lshlrev_b32_e32 v29, 1, v30
	v_readfirstlane_b32 s4, v18
	v_readfirstlane_b32 s5, v19
	s_nop 4
	global_load_ushort v29, v29, s[4:5]
.LBB557_57:
	s_or_b64 exec, exec, s[0:1]
	v_or_b32_e32 v31, 0x3200, v0
	v_cmp_gt_u32_e32 vcc, s80, v31
                                        ; implicit-def: $vgpr30
	s_and_saveexec_b64 s[0:1], vcc
	s_cbranch_execz .LBB557_59
; %bb.58:
	v_lshlrev_b32_e32 v30, 1, v31
	v_readfirstlane_b32 s4, v18
	v_readfirstlane_b32 s5, v19
	s_nop 4
	global_load_ushort v30, v30, s[4:5]
.LBB557_59:
	s_or_b64 exec, exec, s[0:1]
	v_or_b32_e32 v32, 0x3400, v0
	v_cmp_gt_u32_e32 vcc, s80, v32
                                        ; implicit-def: $vgpr31
	s_and_saveexec_b64 s[0:1], vcc
	s_cbranch_execz .LBB557_61
; %bb.60:
	v_lshlrev_b32_e32 v31, 1, v32
	v_readfirstlane_b32 s4, v18
	v_readfirstlane_b32 s5, v19
	s_nop 4
	global_load_ushort v31, v31, s[4:5]
.LBB557_61:
	s_or_b64 exec, exec, s[0:1]
	v_or_b32_e32 v33, 0x3600, v0
	v_cmp_gt_u32_e32 vcc, s80, v33
                                        ; implicit-def: $vgpr32
	s_and_saveexec_b64 s[0:1], vcc
	s_cbranch_execz .LBB557_63
; %bb.62:
	v_lshlrev_b32_e32 v32, 1, v33
	v_readfirstlane_b32 s4, v18
	v_readfirstlane_b32 s5, v19
	s_nop 4
	global_load_ushort v32, v32, s[4:5]
.LBB557_63:
	s_or_b64 exec, exec, s[0:1]
	v_or_b32_e32 v34, 0x3800, v0
	v_cmp_gt_u32_e32 vcc, s80, v34
                                        ; implicit-def: $vgpr33
	s_and_saveexec_b64 s[0:1], vcc
	s_cbranch_execz .LBB557_65
; %bb.64:
	v_lshlrev_b32_e32 v33, 1, v34
	v_readfirstlane_b32 s4, v18
	v_readfirstlane_b32 s5, v19
	s_nop 4
	global_load_ushort v33, v33, s[4:5]
.LBB557_65:
	s_or_b64 exec, exec, s[0:1]
	v_or_b32_e32 v35, 0x3a00, v0
	v_cmp_gt_u32_e32 vcc, s80, v35
                                        ; implicit-def: $vgpr34
	s_and_saveexec_b64 s[0:1], vcc
	s_cbranch_execz .LBB557_67
; %bb.66:
	v_lshlrev_b32_e32 v34, 1, v35
	v_readfirstlane_b32 s4, v18
	v_readfirstlane_b32 s5, v19
	s_nop 4
	global_load_ushort v34, v34, s[4:5]
.LBB557_67:
	s_or_b64 exec, exec, s[0:1]
	v_lshlrev_b32_e32 v35, 1, v0
	s_waitcnt vmcnt(0)
	ds_write_b16 v35, v1
	ds_write_b16 v35, v2 offset:1024
	ds_write_b16 v35, v3 offset:2048
	ds_write_b16 v35, v4 offset:3072
	ds_write_b16 v35, v5 offset:4096
	ds_write_b16 v35, v6 offset:5120
	ds_write_b16 v35, v7 offset:6144
	ds_write_b16 v35, v10 offset:7168
	ds_write_b16 v35, v11 offset:8192
	ds_write_b16 v35, v12 offset:9216
	ds_write_b16 v35, v13 offset:10240
	ds_write_b16 v35, v14 offset:11264
	ds_write_b16 v35, v15 offset:12288
	ds_write_b16 v35, v16 offset:13312
	ds_write_b16 v35, v17 offset:14336
	ds_write_b16 v35, v20 offset:15360
	ds_write_b16 v35, v21 offset:16384
	ds_write_b16 v35, v22 offset:17408
	ds_write_b16 v35, v23 offset:18432
	ds_write_b16 v35, v24 offset:19456
	ds_write_b16 v35, v25 offset:20480
	ds_write_b16 v35, v26 offset:21504
	ds_write_b16 v35, v27 offset:22528
	ds_write_b16 v35, v28 offset:23552
	ds_write_b16 v35, v29 offset:24576
	ds_write_b16 v35, v30 offset:25600
	ds_write_b16 v35, v31 offset:26624
	ds_write_b16 v35, v32 offset:27648
	ds_write_b16 v35, v33 offset:28672
	ds_write_b16 v35, v34 offset:29696
	s_waitcnt lgkmcnt(0)
	s_barrier
.LBB557_68:
	v_mul_u32_u24_e32 v27, 30, v0
	v_lshlrev_b32_e32 v50, 1, v27
	ds_read_b32 v84, v50 offset:56
	ds_read2_b32 v[2:3], v50 offset0:12 offset1:13
	ds_read2_b32 v[4:5], v50 offset0:10 offset1:11
	ds_read2_b32 v[6:7], v50 offset0:8 offset1:9
	ds_read2_b32 v[16:17], v50 offset1:1
	ds_read2_b32 v[14:15], v50 offset0:2 offset1:3
	ds_read2_b32 v[12:13], v50 offset0:4 offset1:5
	;; [unrolled: 1-line block ×3, first 2 shown]
	s_cmp_lg_u32 s33, 0
	s_cselect_b64 s[76:77], -1, 0
	s_cmp_lg_u64 s[6:7], 0
	s_cselect_b64 s[0:1], -1, 0
	s_or_b64 s[0:1], s[0:1], s[76:77]
	v_mad_u32_u24 v20, v0, 30, 29
	v_mad_u32_u24 v21, v0, 30, 28
	s_waitcnt lgkmcnt(7)
	v_lshrrev_b32_e32 v1, 16, v84
	v_mad_u32_u24 v22, v0, 30, 27
	s_waitcnt lgkmcnt(6)
	v_lshrrev_b32_e32 v86, 16, v2
	v_lshrrev_b32_e32 v85, 16, v3
	v_mad_u32_u24 v23, v0, 30, 26
	v_mad_u32_u24 v24, v0, 30, 25
	;; [unrolled: 1-line block ×4, first 2 shown]
	s_waitcnt lgkmcnt(5)
	v_lshrrev_b32_e32 v88, 16, v4
	v_lshrrev_b32_e32 v87, 16, v5
	v_mad_u32_u24 v28, v0, 30, 22
	s_waitcnt lgkmcnt(3)
	v_lshrrev_b32_e32 v105, 16, v16
	v_lshrrev_b32_e32 v102, 16, v17
	v_or_b32_e32 v49, 1, v27
	v_mad_u32_u24 v48, v0, 30, 2
	v_mad_u32_u24 v46, v0, 30, 3
	v_mad_u32_u24 v44, v0, 30, 4
	s_waitcnt lgkmcnt(2)
	v_lshrrev_b32_e32 v100, 16, v14
	v_lshrrev_b32_e32 v98, 16, v15
	v_mad_u32_u24 v47, v0, 30, 5
	v_mad_u32_u24 v45, v0, 30, 6
	v_mad_u32_u24 v42, v0, 30, 7
	v_mad_u32_u24 v40, v0, 30, 8
	s_waitcnt lgkmcnt(1)
	v_lshrrev_b32_e32 v96, 16, v12
	v_lshrrev_b32_e32 v94, 16, v13
	v_mad_u32_u24 v43, v0, 30, 9
	;; [unrolled: 7-line block ×3, first 2 shown]
	v_mad_u32_u24 v37, v0, 30, 14
	v_mad_u32_u24 v34, v0, 30, 15
	;; [unrolled: 1-line block ×3, first 2 shown]
	v_lshrrev_b32_e32 v90, 16, v6
	v_lshrrev_b32_e32 v89, 16, v7
	v_mad_u32_u24 v35, v0, 30, 17
	v_mad_u32_u24 v33, v0, 30, 18
	;; [unrolled: 1-line block ×5, first 2 shown]
	s_mov_b64 s[78:79], 0
	s_and_b64 vcc, exec, s[0:1]
	s_barrier
	s_cbranch_vccz .LBB557_73
; %bb.69:
	global_load_ushort v18, v[18:19], off offset:-2
	v_lshlrev_b32_e32 v19, 1, v0
	s_and_b64 vcc, exec, s[70:71]
	ds_write_b16 v19, v1
	s_cbranch_vccz .LBB557_75
; %bb.70:
	s_waitcnt vmcnt(0)
	v_mov_b32_e32 v51, v18
	s_waitcnt lgkmcnt(0)
	s_barrier
	s_and_saveexec_b64 s[0:1], s[2:3]
	s_cbranch_execz .LBB557_72
; %bb.71:
	v_add_u32_e32 v51, -2, v19
	ds_read_u16 v51, v51
.LBB557_72:
	s_or_b64 exec, exec, s[0:1]
	v_cmp_ne_u16_e32 vcc, v84, v1
	s_waitcnt lgkmcnt(0)
	v_cmp_ne_u16_e64 s[0:1], v51, v16
	v_cndmask_b32_e64 v93, 0, 1, vcc
	v_cmp_ne_u16_e32 vcc, v85, v84
	s_nop 1
	v_cndmask_b32_e64 v95, 0, 1, vcc
	v_cmp_ne_u16_e32 vcc, v3, v85
	s_nop 1
	;; [unrolled: 3-line block ×28, first 2 shown]
	v_cndmask_b32_e64 v127, 0, 1, vcc
	s_branch .LBB557_79
.LBB557_73:
                                        ; implicit-def: $sgpr0_sgpr1
                                        ; implicit-def: $vgpr127
                                        ; implicit-def: $vgpr126
                                        ; implicit-def: $vgpr125
                                        ; implicit-def: $vgpr124
                                        ; implicit-def: $vgpr123
                                        ; implicit-def: $vgpr122
                                        ; implicit-def: $vgpr121
                                        ; implicit-def: $vgpr120
                                        ; implicit-def: $vgpr119
                                        ; implicit-def: $vgpr118
                                        ; implicit-def: $vgpr117
                                        ; implicit-def: $vgpr116
                                        ; implicit-def: $vgpr115
                                        ; implicit-def: $vgpr114
                                        ; implicit-def: $vgpr113
                                        ; implicit-def: $vgpr112
                                        ; implicit-def: $vgpr111
                                        ; implicit-def: $vgpr110
                                        ; implicit-def: $vgpr109
                                        ; implicit-def: $vgpr108
                                        ; implicit-def: $vgpr107
                                        ; implicit-def: $vgpr106
                                        ; implicit-def: $vgpr104
                                        ; implicit-def: $vgpr103
                                        ; implicit-def: $vgpr101
                                        ; implicit-def: $vgpr99
                                        ; implicit-def: $vgpr97
                                        ; implicit-def: $vgpr95
                                        ; implicit-def: $vgpr93
	s_branch .LBB557_80
.LBB557_74:
                                        ; implicit-def: $sgpr6
	s_branch .LBB557_88
.LBB557_75:
                                        ; implicit-def: $sgpr0_sgpr1
                                        ; implicit-def: $vgpr127
                                        ; implicit-def: $vgpr126
                                        ; implicit-def: $vgpr125
                                        ; implicit-def: $vgpr124
                                        ; implicit-def: $vgpr123
                                        ; implicit-def: $vgpr122
                                        ; implicit-def: $vgpr121
                                        ; implicit-def: $vgpr120
                                        ; implicit-def: $vgpr119
                                        ; implicit-def: $vgpr118
                                        ; implicit-def: $vgpr117
                                        ; implicit-def: $vgpr116
                                        ; implicit-def: $vgpr115
                                        ; implicit-def: $vgpr114
                                        ; implicit-def: $vgpr113
                                        ; implicit-def: $vgpr112
                                        ; implicit-def: $vgpr111
                                        ; implicit-def: $vgpr110
                                        ; implicit-def: $vgpr109
                                        ; implicit-def: $vgpr108
                                        ; implicit-def: $vgpr107
                                        ; implicit-def: $vgpr106
                                        ; implicit-def: $vgpr104
                                        ; implicit-def: $vgpr103
                                        ; implicit-def: $vgpr101
                                        ; implicit-def: $vgpr99
                                        ; implicit-def: $vgpr97
                                        ; implicit-def: $vgpr95
                                        ; implicit-def: $vgpr93
	s_cbranch_execz .LBB557_79
; %bb.76:
	s_waitcnt lgkmcnt(0)
	s_barrier
	s_and_saveexec_b64 s[0:1], s[2:3]
	s_cbranch_execz .LBB557_78
; %bb.77:
	s_waitcnt vmcnt(0)
	v_add_u32_e32 v18, -2, v19
	ds_read_u16 v18, v18
.LBB557_78:
	s_or_b64 exec, exec, s[0:1]
	v_cmp_gt_u32_e32 vcc, s80, v20
	v_cmp_ne_u16_e64 s[0:1], v84, v1
	s_and_b64 s[0:1], vcc, s[0:1]
	v_cmp_gt_u32_e32 vcc, s80, v21
	v_cndmask_b32_e64 v93, 0, 1, s[0:1]
	v_cmp_ne_u16_e64 s[0:1], v85, v84
	s_and_b64 s[0:1], vcc, s[0:1]
	v_cmp_gt_u32_e32 vcc, s80, v22
	v_cndmask_b32_e64 v95, 0, 1, s[0:1]
	;; [unrolled: 4-line block ×29, first 2 shown]
	s_waitcnt vmcnt(0) lgkmcnt(0)
	v_cmp_ne_u16_e64 s[0:1], v18, v16
	s_and_b64 s[0:1], vcc, s[0:1]
.LBB557_79:
	s_mov_b64 s[78:79], -1
	s_cbranch_execnz .LBB557_74
.LBB557_80:
	s_movk_i32 s0, 0xffc6
	s_waitcnt vmcnt(0)
	v_mad_i32_i24 v18, v0, s0, v50
	s_and_b64 vcc, exec, s[70:71]
	v_cmp_ne_u16_e64 s[0:1], v84, v1
	v_cmp_ne_u16_e64 s[4:5], v85, v84
	v_cmp_ne_u16_e64 s[6:7], v3, v85
	v_cmp_ne_u16_e64 s[8:9], v86, v3
	v_cmp_ne_u16_e64 s[10:11], v2, v86
	v_cmp_ne_u16_e64 s[12:13], v87, v2
	v_cmp_ne_u16_e64 s[14:15], v5, v87
	v_cmp_ne_u16_e64 s[16:17], v88, v5
	v_cmp_ne_u16_e64 s[20:21], v4, v88
	v_cmp_ne_u16_e64 s[22:23], v89, v4
	v_cmp_ne_u16_e64 s[24:25], v7, v89
	v_cmp_ne_u16_e64 s[26:27], v90, v7
	v_cmp_ne_u16_e64 s[28:29], v6, v90
	v_cmp_ne_u16_e64 s[30:31], v91, v6
	v_cmp_ne_u16_e64 s[34:35], v11, v91
	v_cmp_ne_u16_e64 s[36:37], v92, v11
	v_cmp_ne_u16_e64 s[38:39], v10, v92
	v_cmp_ne_u16_e64 s[40:41], v94, v10
	v_cmp_ne_u16_e64 s[42:43], v13, v94
	v_cmp_ne_u16_e64 s[44:45], v96, v13
	v_cmp_ne_u16_e64 s[46:47], v12, v96
	v_cmp_ne_u16_e64 s[48:49], v98, v12
	v_cmp_ne_u16_e64 s[50:51], v15, v98
	v_cmp_ne_u16_e64 s[52:53], v100, v15
	v_cmp_ne_u16_e64 s[54:55], v14, v100
	v_cmp_ne_u16_e64 s[56:57], v102, v14
	v_cmp_ne_u16_e64 s[58:59], v17, v102
	v_cmp_ne_u16_e64 s[60:61], v105, v17
	v_cmp_ne_u16_e64 s[62:63], v16, v105
	ds_write_b16 v18, v1
	s_cbranch_vccz .LBB557_84
; %bb.81:
	v_cndmask_b32_e64 v93, 0, 1, s[0:1]
	v_cndmask_b32_e64 v95, 0, 1, s[4:5]
	;; [unrolled: 1-line block ×29, first 2 shown]
	s_waitcnt lgkmcnt(0)
	s_barrier
	s_waitcnt lgkmcnt(0)
                                        ; implicit-def: $sgpr0_sgpr1
	s_and_saveexec_b64 s[4:5], s[2:3]
	s_xor_b64 s[4:5], exec, s[4:5]
	s_cbranch_execz .LBB557_83
; %bb.82:
	v_add_u32_e32 v19, -2, v18
	ds_read_u16 v19, v19
	s_or_b64 s[78:79], s[78:79], exec
	s_waitcnt lgkmcnt(0)
	v_cmp_ne_u16_e32 vcc, v19, v16
	s_and_b64 s[0:1], vcc, exec
.LBB557_83:
	s_or_b64 exec, exec, s[4:5]
	s_mov_b32 s6, 1
	s_branch .LBB557_88
.LBB557_84:
                                        ; implicit-def: $sgpr0_sgpr1
                                        ; implicit-def: $vgpr127
                                        ; implicit-def: $vgpr126
                                        ; implicit-def: $vgpr125
                                        ; implicit-def: $vgpr124
                                        ; implicit-def: $vgpr123
                                        ; implicit-def: $vgpr122
                                        ; implicit-def: $vgpr121
                                        ; implicit-def: $vgpr120
                                        ; implicit-def: $vgpr119
                                        ; implicit-def: $vgpr118
                                        ; implicit-def: $vgpr117
                                        ; implicit-def: $vgpr116
                                        ; implicit-def: $vgpr115
                                        ; implicit-def: $vgpr114
                                        ; implicit-def: $vgpr113
                                        ; implicit-def: $vgpr112
                                        ; implicit-def: $vgpr111
                                        ; implicit-def: $vgpr110
                                        ; implicit-def: $vgpr109
                                        ; implicit-def: $vgpr108
                                        ; implicit-def: $vgpr107
                                        ; implicit-def: $vgpr106
                                        ; implicit-def: $vgpr104
                                        ; implicit-def: $vgpr103
                                        ; implicit-def: $vgpr101
                                        ; implicit-def: $vgpr99
                                        ; implicit-def: $vgpr97
                                        ; implicit-def: $vgpr95
                                        ; implicit-def: $vgpr93
                                        ; implicit-def: $sgpr6
	s_cbranch_execz .LBB557_88
; %bb.85:
	v_cmp_gt_u32_e32 vcc, s80, v20
	v_cmp_ne_u16_e64 s[0:1], v84, v1
	s_and_b64 s[0:1], vcc, s[0:1]
	v_cmp_gt_u32_e32 vcc, s80, v21
	v_cndmask_b32_e64 v93, 0, 1, s[0:1]
	v_cmp_ne_u16_e64 s[0:1], v85, v84
	s_and_b64 s[0:1], vcc, s[0:1]
	v_cmp_gt_u32_e32 vcc, s80, v22
	v_cndmask_b32_e64 v95, 0, 1, s[0:1]
	;; [unrolled: 4-line block ×28, first 2 shown]
	v_cmp_ne_u16_e64 s[0:1], v16, v105
	s_and_b64 s[0:1], vcc, s[0:1]
	s_waitcnt lgkmcnt(0)
	v_cndmask_b32_e64 v127, 0, 1, s[0:1]
	s_barrier
	s_waitcnt lgkmcnt(0)
                                        ; implicit-def: $sgpr0_sgpr1
	s_and_saveexec_b64 s[4:5], s[2:3]
	s_cbranch_execz .LBB557_87
; %bb.86:
	v_add_u32_e32 v18, -2, v18
	ds_read_u16 v18, v18
	v_cmp_gt_u32_e32 vcc, s80, v27
	s_or_b64 s[78:79], s[78:79], exec
	s_waitcnt lgkmcnt(0)
	v_cmp_ne_u16_e64 s[0:1], v18, v16
	s_and_b64 s[0:1], vcc, s[0:1]
	s_and_b64 s[0:1], s[0:1], exec
.LBB557_87:
	s_or_b64 exec, exec, s[4:5]
	s_mov_b32 s6, 1
.LBB557_88:
	v_mov_b32_e32 v128, s6
	s_and_saveexec_b64 s[2:3], s[78:79]
; %bb.89:
	v_cndmask_b32_e64 v128, 0, 1, s[0:1]
; %bb.90:
	s_or_b64 exec, exec, s[2:3]
	s_andn2_b64 vcc, exec, s[74:75]
	s_cbranch_vccnz .LBB557_92
; %bb.91:
	v_cmp_gt_u32_e32 vcc, s80, v27
	s_nop 1
	v_cndmask_b32_e32 v128, 0, v128, vcc
	v_cmp_gt_u32_e32 vcc, s80, v49
	s_nop 1
	v_cndmask_b32_e32 v127, 0, v127, vcc
	;; [unrolled: 3-line block ×30, first 2 shown]
.LBB557_92:
	v_and_b32_e32 v63, 0xff, v99
	v_and_b32_e32 v65, 0xff, v97
	s_waitcnt vmcnt(0)
	v_add_u32_sdwa v18, v95, v93 dst_sel:DWORD dst_unused:UNUSED_PAD src0_sel:BYTE_0 src1_sel:BYTE_0
	v_and_b32_e32 v59, 0xff, v103
	v_and_b32_e32 v61, 0xff, v101
	v_add3_u32 v18, v18, v65, v63
	v_and_b32_e32 v55, 0xff, v106
	v_and_b32_e32 v57, 0xff, v104
	v_add3_u32 v18, v18, v61, v59
	;; [unrolled: 3-line block ×13, first 2 shown]
	v_add3_u32 v50, v18, v29, v28
	v_mbcnt_lo_u32_b32 v18, -1, 0
	v_mbcnt_hi_u32_b32 v46, -1, v18
	v_and_b32_e32 v18, 15, v46
	v_cmp_eq_u32_e64 s[14:15], 0, v18
	v_cmp_lt_u32_e64 s[12:13], 1, v18
	v_cmp_lt_u32_e64 s[10:11], 3, v18
	;; [unrolled: 1-line block ×3, first 2 shown]
	v_and_b32_e32 v18, 16, v46
	v_cmp_eq_u32_e64 s[6:7], 0, v18
	v_or_b32_e32 v18, 63, v0
	v_cmp_lt_u32_e64 s[2:3], 31, v46
	v_lshrrev_b32_e32 v48, 6, v0
	v_cmp_eq_u32_e64 s[4:5], v18, v0
	s_and_b64 vcc, exec, s[76:77]
	s_waitcnt lgkmcnt(0)
	s_barrier
	s_cbranch_vccz .LBB557_123
; %bb.93:
	v_mov_b32_dpp v18, v50 row_shr:1 row_mask:0xf bank_mask:0xf
	v_cndmask_b32_e64 v18, v18, 0, s[14:15]
	v_add_u32_e32 v18, v18, v50
	s_nop 1
	v_mov_b32_dpp v19, v18 row_shr:2 row_mask:0xf bank_mask:0xf
	v_cndmask_b32_e64 v19, 0, v19, s[12:13]
	v_add_u32_e32 v18, v18, v19
	s_nop 1
	;; [unrolled: 4-line block ×4, first 2 shown]
	v_mov_b32_dpp v19, v18 row_bcast:15 row_mask:0xf bank_mask:0xf
	v_cndmask_b32_e64 v19, v19, 0, s[6:7]
	v_add_u32_e32 v18, v18, v19
	s_nop 1
	v_mov_b32_dpp v19, v18 row_bcast:31 row_mask:0xf bank_mask:0xf
	v_cndmask_b32_e64 v19, 0, v19, s[2:3]
	v_add_u32_e32 v18, v18, v19
	s_and_saveexec_b64 s[0:1], s[4:5]
	s_cbranch_execz .LBB557_95
; %bb.94:
	v_lshlrev_b32_e32 v19, 2, v48
	ds_write_b32 v19, v18
.LBB557_95:
	s_or_b64 exec, exec, s[0:1]
	v_cmp_gt_u32_e32 vcc, 8, v0
	s_waitcnt lgkmcnt(0)
	s_barrier
	s_and_saveexec_b64 s[0:1], vcc
	s_cbranch_execz .LBB557_97
; %bb.96:
	v_lshlrev_b32_e32 v19, 2, v0
	ds_read_b32 v20, v19
	v_and_b32_e32 v21, 7, v46
	v_cmp_ne_u32_e32 vcc, 0, v21
	s_waitcnt lgkmcnt(0)
	v_mov_b32_dpp v22, v20 row_shr:1 row_mask:0xf bank_mask:0xf
	v_cndmask_b32_e32 v22, 0, v22, vcc
	v_add_u32_e32 v20, v22, v20
	v_cmp_lt_u32_e32 vcc, 1, v21
	s_nop 0
	v_mov_b32_dpp v22, v20 row_shr:2 row_mask:0xf bank_mask:0xf
	v_cndmask_b32_e32 v22, 0, v22, vcc
	v_add_u32_e32 v20, v20, v22
	v_cmp_lt_u32_e32 vcc, 3, v21
	s_nop 0
	v_mov_b32_dpp v22, v20 row_shr:4 row_mask:0xf bank_mask:0xf
	v_cndmask_b32_e32 v21, 0, v22, vcc
	v_add_u32_e32 v20, v20, v21
	ds_write_b32 v19, v20
.LBB557_97:
	s_or_b64 exec, exec, s[0:1]
	v_cmp_gt_u32_e32 vcc, 64, v0
	v_cmp_lt_u32_e64 s[0:1], 63, v0
	s_waitcnt lgkmcnt(0)
	s_barrier
	s_waitcnt lgkmcnt(0)
                                        ; implicit-def: $vgpr52
	s_and_saveexec_b64 s[16:17], s[0:1]
	s_cbranch_execz .LBB557_99
; %bb.98:
	v_lshl_add_u32 v19, v48, 2, -4
	ds_read_b32 v52, v19
	s_waitcnt lgkmcnt(0)
	v_add_u32_e32 v18, v52, v18
.LBB557_99:
	s_or_b64 exec, exec, s[16:17]
	v_add_u32_e32 v19, -1, v46
	v_and_b32_e32 v20, 64, v46
	v_cmp_lt_i32_e64 s[0:1], v19, v20
	v_cmp_eq_u32_e64 s[16:17], 0, v46
	s_nop 0
	v_cndmask_b32_e64 v19, v19, v46, s[0:1]
	v_lshlrev_b32_e32 v19, 2, v19
	ds_bpermute_b32 v54, v19, v18
	s_and_saveexec_b64 s[0:1], vcc
	s_cbranch_execz .LBB557_122
; %bb.100:
	v_mov_b32_e32 v27, 0
	ds_read_b32 v18, v27 offset:28
	s_and_saveexec_b64 s[20:21], s[16:17]
	s_cbranch_execz .LBB557_102
; %bb.101:
	s_add_i32 s22, s33, 64
	s_mov_b32 s23, 0
	s_lshl_b64 s[22:23], s[22:23], 3
	s_add_u32 s22, s72, s22
	v_mov_b32_e32 v19, 1
	s_addc_u32 s23, s73, s23
	s_waitcnt lgkmcnt(0)
	global_store_dwordx2 v27, v[18:19], s[22:23] sc1
.LBB557_102:
	s_or_b64 exec, exec, s[20:21]
	v_xad_u32 v20, v46, -1, s33
	v_add_u32_e32 v26, 64, v20
	v_lshl_add_u64 v[22:23], v[26:27], 3, s[72:73]
	global_load_dwordx2 v[24:25], v[22:23], off sc1
	s_waitcnt vmcnt(0)
	v_cmp_eq_u16_sdwa s[22:23], v25, v27 src0_sel:BYTE_0 src1_sel:DWORD
	s_and_saveexec_b64 s[20:21], s[22:23]
	s_cbranch_execz .LBB557_108
; %bb.103:
	s_mov_b32 s24, 1
	s_mov_b64 s[22:23], 0
	v_mov_b32_e32 v19, 0
.LBB557_104:                            ; =>This Loop Header: Depth=1
                                        ;     Child Loop BB557_105 Depth 2
	s_max_u32 s25, s24, 1
.LBB557_105:                            ;   Parent Loop BB557_104 Depth=1
                                        ; =>  This Inner Loop Header: Depth=2
	s_add_i32 s25, s25, -1
	s_cmp_eq_u32 s25, 0
	s_sleep 1
	s_cbranch_scc0 .LBB557_105
; %bb.106:                              ;   in Loop: Header=BB557_104 Depth=1
	global_load_dwordx2 v[24:25], v[22:23], off sc1
	s_cmp_lt_u32 s24, 32
	s_cselect_b64 s[26:27], -1, 0
	s_cmp_lg_u64 s[26:27], 0
	s_addc_u32 s24, s24, 0
	s_waitcnt vmcnt(0)
	v_cmp_ne_u16_sdwa s[26:27], v25, v19 src0_sel:BYTE_0 src1_sel:DWORD
	s_or_b64 s[22:23], s[26:27], s[22:23]
	s_andn2_b64 exec, exec, s[22:23]
	s_cbranch_execnz .LBB557_104
; %bb.107:
	s_or_b64 exec, exec, s[22:23]
.LBB557_108:
	s_or_b64 exec, exec, s[20:21]
	v_and_b32_e32 v58, 63, v46
	v_mov_b32_e32 v56, 2
	v_cmp_ne_u32_e32 vcc, 63, v58
	v_cmp_eq_u16_sdwa s[20:21], v25, v56 src0_sel:BYTE_0 src1_sel:DWORD
	v_lshlrev_b64 v[22:23], v46, -1
	v_addc_co_u32_e32 v26, vcc, 0, v46, vcc
	v_and_b32_e32 v19, s21, v23
	v_lshlrev_b32_e32 v60, 2, v26
	v_or_b32_e32 v19, 0x80000000, v19
	ds_bpermute_b32 v26, v60, v24
	v_and_b32_e32 v21, s20, v22
	v_ffbl_b32_e32 v19, v19
	v_add_u32_e32 v19, 32, v19
	v_ffbl_b32_e32 v21, v21
	v_min_u32_e32 v19, v21, v19
	v_cmp_lt_u32_e32 vcc, v58, v19
	v_add_u32_e32 v64, 2, v58
	v_add_u32_e32 v67, 4, v58
	s_waitcnt lgkmcnt(0)
	v_cndmask_b32_e32 v21, 0, v26, vcc
	v_cmp_gt_u32_e32 vcc, 62, v58
	v_add_u32_e32 v21, v21, v24
	v_add_u32_e32 v69, 8, v58
	v_cndmask_b32_e64 v24, 0, 1, vcc
	v_lshlrev_b32_e32 v24, 1, v24
	v_add_lshl_u32 v62, v24, v46, 2
	ds_bpermute_b32 v24, v62, v21
	v_cmp_le_u32_e32 vcc, v64, v19
	v_add_u32_e32 v71, 16, v58
	v_add_u32_e32 v73, 32, v58
	s_waitcnt lgkmcnt(0)
	v_cndmask_b32_e32 v24, 0, v24, vcc
	v_cmp_gt_u32_e32 vcc, 60, v58
	v_add_u32_e32 v21, v21, v24
	s_nop 0
	v_cndmask_b32_e64 v24, 0, 1, vcc
	v_lshlrev_b32_e32 v24, 2, v24
	v_add_lshl_u32 v66, v24, v46, 2
	ds_bpermute_b32 v24, v66, v21
	v_cmp_le_u32_e32 vcc, v67, v19
	s_waitcnt lgkmcnt(0)
	s_nop 0
	v_cndmask_b32_e32 v24, 0, v24, vcc
	v_cmp_gt_u32_e32 vcc, 56, v58
	v_add_u32_e32 v21, v21, v24
	s_nop 0
	v_cndmask_b32_e64 v24, 0, 1, vcc
	v_lshlrev_b32_e32 v24, 3, v24
	v_add_lshl_u32 v68, v24, v46, 2
	ds_bpermute_b32 v24, v68, v21
	v_cmp_le_u32_e32 vcc, v69, v19
	s_waitcnt lgkmcnt(0)
	s_nop 0
	;; [unrolled: 11-line block ×4, first 2 shown]
	v_cndmask_b32_e32 v19, 0, v24, vcc
	v_add_u32_e32 v24, v21, v19
	v_mov_b32_e32 v21, 0
	s_branch .LBB557_110
.LBB557_109:                            ;   in Loop: Header=BB557_110 Depth=1
	s_or_b64 exec, exec, s[20:21]
	v_cmp_eq_u16_sdwa s[20:21], v25, v56 src0_sel:BYTE_0 src1_sel:DWORD
	ds_bpermute_b32 v74, v60, v24
	v_subrev_u32_e32 v20, 64, v20
	v_and_b32_e32 v26, s21, v23
	v_or_b32_e32 v26, 0x80000000, v26
	v_and_b32_e32 v27, s20, v22
	v_ffbl_b32_e32 v26, v26
	v_add_u32_e32 v26, 32, v26
	v_ffbl_b32_e32 v27, v27
	v_min_u32_e32 v26, v27, v26
	v_cmp_lt_u32_e32 vcc, v58, v26
	s_waitcnt lgkmcnt(0)
	s_nop 0
	v_cndmask_b32_e32 v27, 0, v74, vcc
	v_add_u32_e32 v24, v27, v24
	ds_bpermute_b32 v27, v62, v24
	v_cmp_le_u32_e32 vcc, v64, v26
	s_waitcnt lgkmcnt(0)
	s_nop 0
	v_cndmask_b32_e32 v27, 0, v27, vcc
	v_add_u32_e32 v24, v24, v27
	ds_bpermute_b32 v27, v66, v24
	v_cmp_le_u32_e32 vcc, v67, v26
	;; [unrolled: 6-line block ×5, first 2 shown]
	s_waitcnt lgkmcnt(0)
	s_nop 0
	v_cndmask_b32_e32 v26, 0, v27, vcc
	v_add3_u32 v24, v26, v19, v24
.LBB557_110:                            ; =>This Loop Header: Depth=1
                                        ;     Child Loop BB557_113 Depth 2
                                        ;       Child Loop BB557_114 Depth 3
	v_cmp_ne_u16_sdwa s[20:21], v25, v56 src0_sel:BYTE_0 src1_sel:DWORD
	s_nop 1
	v_cndmask_b32_e64 v19, 0, 1, s[20:21]
	;;#ASMSTART
	;;#ASMEND
	s_nop 0
	v_cmp_ne_u32_e32 vcc, 0, v19
	s_cmp_lg_u64 vcc, exec
	v_mov_b32_e32 v19, v24
	s_cbranch_scc1 .LBB557_117
; %bb.111:                              ;   in Loop: Header=BB557_110 Depth=1
	v_lshl_add_u64 v[26:27], v[20:21], 3, s[72:73]
	global_load_dwordx2 v[24:25], v[26:27], off sc1
	s_waitcnt vmcnt(0)
	v_cmp_eq_u16_sdwa s[22:23], v25, v21 src0_sel:BYTE_0 src1_sel:DWORD
	s_and_saveexec_b64 s[20:21], s[22:23]
	s_cbranch_execz .LBB557_109
; %bb.112:                              ;   in Loop: Header=BB557_110 Depth=1
	s_mov_b32 s24, 1
	s_mov_b64 s[22:23], 0
.LBB557_113:                            ;   Parent Loop BB557_110 Depth=1
                                        ; =>  This Loop Header: Depth=2
                                        ;       Child Loop BB557_114 Depth 3
	s_max_u32 s25, s24, 1
.LBB557_114:                            ;   Parent Loop BB557_110 Depth=1
                                        ;     Parent Loop BB557_113 Depth=2
                                        ; =>    This Inner Loop Header: Depth=3
	s_add_i32 s25, s25, -1
	s_cmp_eq_u32 s25, 0
	s_sleep 1
	s_cbranch_scc0 .LBB557_114
; %bb.115:                              ;   in Loop: Header=BB557_113 Depth=2
	global_load_dwordx2 v[24:25], v[26:27], off sc1
	s_cmp_lt_u32 s24, 32
	s_cselect_b64 s[26:27], -1, 0
	s_cmp_lg_u64 s[26:27], 0
	s_addc_u32 s24, s24, 0
	s_waitcnt vmcnt(0)
	v_cmp_ne_u16_sdwa s[26:27], v25, v21 src0_sel:BYTE_0 src1_sel:DWORD
	s_or_b64 s[22:23], s[26:27], s[22:23]
	s_andn2_b64 exec, exec, s[22:23]
	s_cbranch_execnz .LBB557_113
; %bb.116:                              ;   in Loop: Header=BB557_110 Depth=1
	s_or_b64 exec, exec, s[22:23]
	s_branch .LBB557_109
.LBB557_117:                            ;   in Loop: Header=BB557_110 Depth=1
                                        ; implicit-def: $vgpr24
                                        ; implicit-def: $vgpr25
	s_cbranch_execz .LBB557_110
; %bb.118:
	s_and_saveexec_b64 s[20:21], s[16:17]
	s_cbranch_execz .LBB557_120
; %bb.119:
	s_add_i32 s22, s33, 64
	s_mov_b32 s23, 0
	s_lshl_b64 s[22:23], s[22:23], 3
	s_add_u32 s22, s72, s22
	v_add_u32_e32 v20, v19, v18
	v_mov_b32_e32 v21, 2
	s_addc_u32 s23, s73, s23
	v_mov_b32_e32 v22, 0
	global_store_dwordx2 v22, v[20:21], s[22:23] sc1
	ds_write_b64 v22, v[18:19] offset:30720
.LBB557_120:
	s_or_b64 exec, exec, s[20:21]
	s_and_b64 exec, exec, s[18:19]
	s_cbranch_execz .LBB557_122
; %bb.121:
	v_mov_b32_e32 v18, 0
	ds_write_b32 v18, v19 offset:28
.LBB557_122:
	s_or_b64 exec, exec, s[0:1]
	v_mov_b32_e32 v18, 0
	s_waitcnt lgkmcnt(0)
	s_barrier
	ds_read_b32 v20, v18 offset:28
	s_waitcnt lgkmcnt(0)
	s_barrier
	ds_read_b64 v[18:19], v18 offset:30720
	v_cndmask_b32_e64 v21, v54, v52, s[16:17]
	v_cndmask_b32_e64 v21, v21, 0, s[18:19]
	v_add_u32_e32 v76, v20, v21
	s_waitcnt lgkmcnt(0)
	v_mov_b32_e32 v20, v19
	s_branch .LBB557_133
.LBB557_123:
                                        ; implicit-def: $vgpr20
                                        ; implicit-def: $vgpr18
                                        ; implicit-def: $vgpr76
	s_cbranch_execz .LBB557_133
; %bb.124:
	s_nop 0
	v_mov_b32_dpp v18, v50 row_shr:1 row_mask:0xf bank_mask:0xf
	v_cndmask_b32_e64 v18, v18, 0, s[14:15]
	v_add_u32_e32 v18, v18, v50
	s_nop 1
	v_mov_b32_dpp v19, v18 row_shr:2 row_mask:0xf bank_mask:0xf
	v_cndmask_b32_e64 v19, 0, v19, s[12:13]
	v_add_u32_e32 v18, v18, v19
	;; [unrolled: 4-line block ×4, first 2 shown]
	s_nop 1
	v_mov_b32_dpp v19, v18 row_bcast:15 row_mask:0xf bank_mask:0xf
	v_cndmask_b32_e64 v19, v19, 0, s[6:7]
	v_add_u32_e32 v18, v18, v19
	s_nop 1
	v_mov_b32_dpp v19, v18 row_bcast:31 row_mask:0xf bank_mask:0xf
	v_cndmask_b32_e64 v19, 0, v19, s[2:3]
	v_add_u32_e32 v18, v18, v19
	s_and_saveexec_b64 s[0:1], s[4:5]
	s_cbranch_execz .LBB557_126
; %bb.125:
	v_lshlrev_b32_e32 v19, 2, v48
	ds_write_b32 v19, v18
.LBB557_126:
	s_or_b64 exec, exec, s[0:1]
	v_cmp_gt_u32_e32 vcc, 8, v0
	s_waitcnt lgkmcnt(0)
	s_barrier
	s_and_saveexec_b64 s[0:1], vcc
	s_cbranch_execz .LBB557_128
; %bb.127:
	v_lshlrev_b32_e32 v19, 2, v0
	ds_read_b32 v20, v19
	v_and_b32_e32 v21, 7, v46
	v_cmp_ne_u32_e32 vcc, 0, v21
	s_waitcnt lgkmcnt(0)
	v_mov_b32_dpp v22, v20 row_shr:1 row_mask:0xf bank_mask:0xf
	v_cndmask_b32_e32 v22, 0, v22, vcc
	v_add_u32_e32 v20, v22, v20
	v_cmp_lt_u32_e32 vcc, 1, v21
	s_nop 0
	v_mov_b32_dpp v22, v20 row_shr:2 row_mask:0xf bank_mask:0xf
	v_cndmask_b32_e32 v22, 0, v22, vcc
	v_add_u32_e32 v20, v20, v22
	v_cmp_lt_u32_e32 vcc, 3, v21
	s_nop 0
	v_mov_b32_dpp v22, v20 row_shr:4 row_mask:0xf bank_mask:0xf
	v_cndmask_b32_e32 v21, 0, v22, vcc
	v_add_u32_e32 v20, v20, v21
	ds_write_b32 v19, v20
.LBB557_128:
	s_or_b64 exec, exec, s[0:1]
	v_cmp_lt_u32_e32 vcc, 63, v0
	v_mov_b32_e32 v19, 0
	v_mov_b32_e32 v20, 0
	s_waitcnt lgkmcnt(0)
	s_barrier
	s_and_saveexec_b64 s[0:1], vcc
	s_cbranch_execz .LBB557_130
; %bb.129:
	v_lshl_add_u32 v20, v48, 2, -4
	ds_read_b32 v20, v20
.LBB557_130:
	s_or_b64 exec, exec, s[0:1]
	v_add_u32_e32 v21, -1, v46
	v_and_b32_e32 v22, 64, v46
	v_cmp_lt_i32_e32 vcc, v21, v22
	s_waitcnt lgkmcnt(0)
	v_add_u32_e32 v18, v20, v18
	v_cndmask_b32_e32 v21, v21, v46, vcc
	v_lshlrev_b32_e32 v21, 2, v21
	ds_bpermute_b32 v21, v21, v18
	ds_read_b32 v18, v19 offset:28
	s_and_saveexec_b64 s[0:1], s[18:19]
	s_cbranch_execz .LBB557_132
; %bb.131:
	v_mov_b32_e32 v22, 0
	v_mov_b32_e32 v19, 2
	s_waitcnt lgkmcnt(0)
	global_store_dwordx2 v22, v[18:19], s[72:73] offset:512 sc1
.LBB557_132:
	s_or_b64 exec, exec, s[0:1]
	v_cmp_eq_u32_e32 vcc, 0, v46
	s_waitcnt lgkmcnt(0)
	s_barrier
	v_cndmask_b32_e32 v19, v21, v20, vcc
	v_mov_b32_e32 v20, 0
	v_cndmask_b32_e64 v76, v19, 0, s[18:19]
.LBB557_133:
	v_add_u32_e32 v80, v76, v28
	v_add_u32_e32 v78, v80, v29
	;; [unrolled: 1-line block ×27, first 2 shown]
	s_movk_i32 s0, 0x201
	v_add_u32_e32 v24, v26, v65
	v_cmp_gt_u32_e32 vcc, s0, v18
	v_add_u32_sdwa v22, v24, v95 dst_sel:DWORD dst_unused:UNUSED_PAD src0_sel:DWORD src1_sel:BYTE_0
	s_mov_b64 s[0:1], -1
	s_cbranch_vccnz .LBB557_137
; %bb.134:
	s_and_b64 vcc, exec, s[0:1]
	s_cbranch_vccnz .LBB557_228
.LBB557_135:
	s_and_b64 s[0:1], s[18:19], s[66:67]
	s_and_saveexec_b64 s[2:3], s[0:1]
	s_cbranch_execnz .LBB557_302
.LBB557_136:
	s_endpgm
.LBB557_137:
	v_add_u32_e32 v19, v20, v18
	v_lshlrev_b64 v[82:83], 1, v[8:9]
	v_cmp_lt_u32_e32 vcc, v76, v19
	v_lshl_add_u64 v[82:83], s[68:69], 0, v[82:83]
	s_or_b64 s[2:3], s[70:71], vcc
	s_and_saveexec_b64 s[0:1], s[2:3]
	s_cbranch_execz .LBB557_140
; %bb.138:
	v_and_b32_e32 v21, 1, v128
	v_cmp_eq_u32_e32 vcc, 1, v21
	s_and_b64 exec, exec, vcc
	s_cbranch_execz .LBB557_140
; %bb.139:
	v_mov_b32_e32 v77, 0
	v_lshl_add_u64 v[130:131], v[76:77], 1, v[82:83]
	global_store_short v[130:131], v16, off
.LBB557_140:
	s_or_b64 exec, exec, s[0:1]
	v_cmp_lt_u32_e32 vcc, v80, v19
	s_or_b64 s[2:3], s[70:71], vcc
	s_and_saveexec_b64 s[0:1], s[2:3]
	s_cbranch_execz .LBB557_143
; %bb.141:
	v_and_b32_e32 v21, 1, v127
	v_cmp_eq_u32_e32 vcc, 1, v21
	s_and_b64 exec, exec, vcc
	s_cbranch_execz .LBB557_143
; %bb.142:
	v_mov_b32_e32 v81, 0
	v_lshl_add_u64 v[130:131], v[80:81], 1, v[82:83]
	global_store_short v[130:131], v105, off
.LBB557_143:
	s_or_b64 exec, exec, s[0:1]
	v_cmp_lt_u32_e32 vcc, v78, v19
	;; [unrolled: 15-line block ×29, first 2 shown]
	s_or_b64 s[2:3], s[70:71], vcc
	s_and_saveexec_b64 s[0:1], s[2:3]
	s_cbranch_execz .LBB557_227
; %bb.225:
	v_and_b32_e32 v19, 1, v93
	v_cmp_eq_u32_e32 vcc, 1, v19
	s_and_b64 exec, exec, vcc
	s_cbranch_execz .LBB557_227
; %bb.226:
	v_mov_b32_e32 v23, 0
	v_lshl_add_u64 v[82:83], v[22:23], 1, v[82:83]
	global_store_short v[82:83], v1, off
.LBB557_227:
	s_or_b64 exec, exec, s[0:1]
	s_branch .LBB557_135
.LBB557_228:
	v_and_b32_e32 v19, 1, v128
	v_cmp_eq_u32_e32 vcc, 1, v19
	s_and_saveexec_b64 s[0:1], vcc
	s_cbranch_execz .LBB557_230
; %bb.229:
	v_sub_u32_e32 v19, v76, v20
	v_lshlrev_b32_e32 v19, 1, v19
	ds_write_b16 v19, v16
.LBB557_230:
	s_or_b64 exec, exec, s[0:1]
	v_and_b32_e32 v16, 1, v127
	v_cmp_eq_u32_e32 vcc, 1, v16
	s_and_saveexec_b64 s[0:1], vcc
	s_cbranch_execz .LBB557_232
; %bb.231:
	v_sub_u32_e32 v16, v80, v20
	v_lshlrev_b32_e32 v16, 1, v16
	ds_write_b16 v16, v105
.LBB557_232:
	s_or_b64 exec, exec, s[0:1]
	;; [unrolled: 10-line block ×30, first 2 shown]
	v_cmp_lt_u32_e32 vcc, v0, v18
	s_waitcnt lgkmcnt(0)
	s_barrier
	s_and_saveexec_b64 s[0:1], vcc
	s_cbranch_execz .LBB557_301
; %bb.289:
	v_mov_b32_e32 v21, 0
	v_lshlrev_b64 v[2:3], 1, v[8:9]
	v_lshl_add_u64 v[2:3], s[68:69], 0, v[2:3]
	v_lshlrev_b64 v[4:5], 1, v[20:21]
	v_xad_u32 v1, v0, -1, v18
	s_movk_i32 s2, 0x5ff
	v_lshl_add_u64 v[10:11], v[2:3], 0, v[4:5]
	v_cmp_lt_u32_e32 vcc, s2, v1
	s_mov_b64 s[4:5], -1
	s_and_saveexec_b64 s[2:3], vcc
	s_cbranch_execz .LBB557_298
; %bb.290:
	v_lshrrev_b32_e32 v14, 9, v1
	v_add_u32_e32 v4, -3, v14
	v_or_b32_e32 v3, 0x600, v0
	v_or_b32_e32 v2, 0x400, v0
	v_lshrrev_b32_e32 v5, 2, v4
	v_or_b32_e32 v1, 0x200, v0
	v_add_u32_e32 v16, 1, v5
	v_cmp_lt_u32_e32 vcc, 11, v4
	v_mov_b64_e32 v[6:7], v[2:3]
	v_lshlrev_b32_e32 v15, 1, v0
	v_mov_b64_e32 v[4:5], v[0:1]
	s_and_saveexec_b64 s[4:5], vcc
	s_cbranch_execz .LBB557_294
; %bb.291:
	v_mov_b64_e32 v[6:7], v[2:3]
	v_and_b32_e32 v17, 0x7ffffffc, v16
	s_mov_b32 s8, 0
	s_mov_b64 s[6:7], 0
	v_mov_b32_e32 v13, 0
	v_mov_b32_e32 v19, v15
	v_mov_b64_e32 v[4:5], v[0:1]
.LBB557_292:                            ; =>This Inner Loop Header: Depth=1
	v_mov_b32_e32 v12, v4
	ds_read_u16 v1, v19
	ds_read_u16 v46, v19 offset:1024
	ds_read_u16 v47, v19 offset:2048
	;; [unrolled: 1-line block ×7, first 2 shown]
	v_lshl_add_u64 v[38:39], v[12:13], 1, v[10:11]
	v_mov_b32_e32 v12, v5
	v_lshl_add_u64 v[40:41], v[12:13], 1, v[10:11]
	v_mov_b32_e32 v12, v6
	ds_read_u16 v53, v19 offset:8192
	ds_read_u16 v54, v19 offset:9216
	;; [unrolled: 1-line block ×8, first 2 shown]
	v_lshl_add_u64 v[42:43], v[12:13], 1, v[10:11]
	v_mov_b32_e32 v12, v7
	v_add_u32_e32 v2, 0x800, v7
	v_mov_b32_e32 v3, v13
	v_lshl_add_u64 v[44:45], v[12:13], 1, v[10:11]
	v_add_u32_e32 v12, 0x800, v4
	v_add_u32_e32 v22, 0x800, v6
	;; [unrolled: 1-line block ×3, first 2 shown]
	v_mov_b32_e32 v25, v13
	v_mov_b32_e32 v23, v13
	v_add_u32_e32 v17, -4, v17
	v_lshl_add_u64 v[2:3], v[2:3], 1, v[10:11]
	s_waitcnt lgkmcnt(14)
	global_store_short v[38:39], v1, off
	global_store_short v[40:41], v46, off
	s_waitcnt lgkmcnt(13)
	global_store_short v[42:43], v47, off
	s_waitcnt lgkmcnt(12)
	global_store_short v[44:45], v48, off
	v_lshl_add_u64 v[38:39], v[12:13], 1, v[10:11]
	v_add_u32_e32 v12, 0x1000, v4
	v_add_u32_e32 v26, 0x1000, v7
	;; [unrolled: 1-line block ×4, first 2 shown]
	v_mov_b32_e32 v31, v13
	v_mov_b32_e32 v29, v13
	;; [unrolled: 1-line block ×3, first 2 shown]
	s_add_i32 s8, s8, 16
	v_lshl_add_u64 v[24:25], v[24:25], 1, v[10:11]
	v_lshl_add_u64 v[22:23], v[22:23], 1, v[10:11]
	v_cmp_eq_u32_e32 vcc, 0, v17
	s_waitcnt lgkmcnt(11)
	global_store_short v[38:39], v49, off
	s_waitcnt lgkmcnt(10)
	global_store_short v[24:25], v50, off
	;; [unrolled: 2-line block ×4, first 2 shown]
	v_lshl_add_u64 v[2:3], v[12:13], 1, v[10:11]
	v_add_u32_e32 v12, 0x1800, v4
	v_add_u32_e32 v32, 0x1800, v7
	;; [unrolled: 1-line block ×4, first 2 shown]
	v_mov_b32_e32 v37, v13
	v_mov_b32_e32 v35, v13
	v_mov_b32_e32 v33, v13
	v_add_u32_e32 v19, 0x4000, v19
	v_lshl_add_u64 v[30:31], v[30:31], 1, v[10:11]
	v_lshl_add_u64 v[28:29], v[28:29], 1, v[10:11]
	;; [unrolled: 1-line block ×3, first 2 shown]
	v_add_u32_e32 v5, 0x2000, v5
	v_mov_b32_e32 v21, s8
	v_add_u32_e32 v6, 0x2000, v6
	s_or_b64 s[6:7], vcc, s[6:7]
	v_add_u32_e32 v7, 0x2000, v7
	v_add_u32_e32 v4, 0x2000, v4
	s_waitcnt lgkmcnt(7)
	global_store_short v[2:3], v53, off
	s_waitcnt lgkmcnt(6)
	global_store_short v[30:31], v54, off
	s_waitcnt lgkmcnt(5)
	global_store_short v[28:29], v55, off
	s_waitcnt lgkmcnt(4)
	global_store_short v[26:27], v56, off
	v_lshl_add_u64 v[2:3], v[12:13], 1, v[10:11]
	v_lshl_add_u64 v[36:37], v[36:37], 1, v[10:11]
	;; [unrolled: 1-line block ×4, first 2 shown]
	s_waitcnt lgkmcnt(3)
	global_store_short v[2:3], v57, off
	s_waitcnt lgkmcnt(2)
	global_store_short v[36:37], v58, off
	;; [unrolled: 2-line block ×4, first 2 shown]
	s_andn2_b64 exec, exec, s[6:7]
	s_cbranch_execnz .LBB557_292
; %bb.293:
	s_or_b64 exec, exec, s[6:7]
.LBB557_294:
	s_or_b64 exec, exec, s[4:5]
	v_and_b32_e32 v1, 3, v16
	v_cmp_ne_u32_e32 vcc, 0, v1
	s_and_saveexec_b64 s[4:5], vcc
	s_cbranch_execz .LBB557_297
; %bb.295:
	v_lshl_or_b32 v12, v21, 10, v15
	s_mov_b64 s[6:7], 0
	v_mov_b32_e32 v3, 0
.LBB557_296:                            ; =>This Inner Loop Header: Depth=1
	ds_read_u16 v13, v12
	ds_read_u16 v15, v12 offset:1024
	ds_read_u16 v19, v12 offset:2048
	;; [unrolled: 1-line block ×3, first 2 shown]
	v_mov_b32_e32 v2, v4
	v_add_u32_e32 v1, -1, v1
	v_lshl_add_u64 v[16:17], v[2:3], 1, v[10:11]
	v_mov_b32_e32 v2, v5
	v_cmp_eq_u32_e32 vcc, 0, v1
	v_lshl_add_u64 v[22:23], v[2:3], 1, v[10:11]
	v_mov_b32_e32 v2, v6
	v_add_u32_e32 v4, 0x800, v4
	v_add_u32_e32 v12, 0x1000, v12
	;; [unrolled: 1-line block ×4, first 2 shown]
	s_or_b64 s[6:7], vcc, s[6:7]
	v_lshl_add_u64 v[24:25], v[2:3], 1, v[10:11]
	v_mov_b32_e32 v2, v7
	v_add_u32_e32 v7, 0x800, v7
	v_lshl_add_u64 v[26:27], v[2:3], 1, v[10:11]
	s_waitcnt lgkmcnt(3)
	global_store_short v[16:17], v13, off
	s_waitcnt lgkmcnt(2)
	global_store_short v[22:23], v15, off
	;; [unrolled: 2-line block ×4, first 2 shown]
	s_andn2_b64 exec, exec, s[6:7]
	s_cbranch_execnz .LBB557_296
.LBB557_297:
	s_or_b64 exec, exec, s[4:5]
	v_add_u32_e32 v1, 1, v14
	v_and_b32_e32 v2, 0xfffffc, v1
	v_cmp_ne_u32_e32 vcc, v1, v2
	v_lshl_or_b32 v0, v2, 9, v0
	s_orn2_b64 s[4:5], vcc, exec
.LBB557_298:
	s_or_b64 exec, exec, s[2:3]
	s_and_b64 exec, exec, s[4:5]
	s_cbranch_execz .LBB557_301
; %bb.299:
	v_lshlrev_b32_e32 v2, 1, v0
	s_mov_b64 s[2:3], 0
	v_mov_b32_e32 v1, 0
.LBB557_300:                            ; =>This Inner Loop Header: Depth=1
	ds_read_u16 v3, v2
	v_lshl_add_u64 v[4:5], v[0:1], 1, v[10:11]
	v_add_u32_e32 v0, 0x200, v0
	v_cmp_ge_u32_e32 vcc, v0, v18
	v_add_u32_e32 v2, 0x400, v2
	s_or_b64 s[2:3], vcc, s[2:3]
	s_waitcnt lgkmcnt(0)
	global_store_short v[4:5], v3, off
	s_andn2_b64 exec, exec, s[2:3]
	s_cbranch_execnz .LBB557_300
.LBB557_301:
	s_or_b64 exec, exec, s[0:1]
	s_and_b64 s[0:1], s[18:19], s[66:67]
	s_and_saveexec_b64 s[2:3], s[0:1]
	s_cbranch_execz .LBB557_136
.LBB557_302:
	v_mov_b32_e32 v19, 0
	v_lshl_add_u64 v[0:1], v[8:9], 0, v[18:19]
	v_mov_b32_e32 v21, v19
	v_lshl_add_u64 v[0:1], v[0:1], 0, v[20:21]
	global_store_dwordx2 v19, v[0:1], s[64:65]
	s_endpgm
	.section	.rodata,"a",@progbits
	.p2align	6, 0x0
	.amdhsa_kernel _ZN7rocprim17ROCPRIM_400000_NS6detail17trampoline_kernelINS0_14default_configENS1_25partition_config_selectorILNS1_17partition_subalgoE8EsNS0_10empty_typeEbEEZZNS1_14partition_implILS5_8ELb0ES3_jPKsPS6_PKS6_NS0_5tupleIJPsS6_EEENSE_IJSB_SB_EEENS0_18inequality_wrapperIN6hipcub16HIPCUB_304000_NS8EqualityEEEPlJS6_EEE10hipError_tPvRmT3_T4_T5_T6_T7_T9_mT8_P12ihipStream_tbDpT10_ENKUlT_T0_E_clISt17integral_constantIbLb1EES17_EEDaS12_S13_EUlS12_E_NS1_11comp_targetILNS1_3genE5ELNS1_11target_archE942ELNS1_3gpuE9ELNS1_3repE0EEENS1_30default_config_static_selectorELNS0_4arch9wavefront6targetE1EEEvT1_
		.amdhsa_group_segment_fixed_size 30728
		.amdhsa_private_segment_fixed_size 0
		.amdhsa_kernarg_size 128
		.amdhsa_user_sgpr_count 2
		.amdhsa_user_sgpr_dispatch_ptr 0
		.amdhsa_user_sgpr_queue_ptr 0
		.amdhsa_user_sgpr_kernarg_segment_ptr 1
		.amdhsa_user_sgpr_dispatch_id 0
		.amdhsa_user_sgpr_kernarg_preload_length 0
		.amdhsa_user_sgpr_kernarg_preload_offset 0
		.amdhsa_user_sgpr_private_segment_size 0
		.amdhsa_uses_dynamic_stack 0
		.amdhsa_enable_private_segment 0
		.amdhsa_system_sgpr_workgroup_id_x 1
		.amdhsa_system_sgpr_workgroup_id_y 0
		.amdhsa_system_sgpr_workgroup_id_z 0
		.amdhsa_system_sgpr_workgroup_info 0
		.amdhsa_system_vgpr_workitem_id 0
		.amdhsa_next_free_vgpr 132
		.amdhsa_next_free_sgpr 81
		.amdhsa_accum_offset 132
		.amdhsa_reserve_vcc 1
		.amdhsa_float_round_mode_32 0
		.amdhsa_float_round_mode_16_64 0
		.amdhsa_float_denorm_mode_32 3
		.amdhsa_float_denorm_mode_16_64 3
		.amdhsa_dx10_clamp 1
		.amdhsa_ieee_mode 1
		.amdhsa_fp16_overflow 0
		.amdhsa_tg_split 0
		.amdhsa_exception_fp_ieee_invalid_op 0
		.amdhsa_exception_fp_denorm_src 0
		.amdhsa_exception_fp_ieee_div_zero 0
		.amdhsa_exception_fp_ieee_overflow 0
		.amdhsa_exception_fp_ieee_underflow 0
		.amdhsa_exception_fp_ieee_inexact 0
		.amdhsa_exception_int_div_zero 0
	.end_amdhsa_kernel
	.section	.text._ZN7rocprim17ROCPRIM_400000_NS6detail17trampoline_kernelINS0_14default_configENS1_25partition_config_selectorILNS1_17partition_subalgoE8EsNS0_10empty_typeEbEEZZNS1_14partition_implILS5_8ELb0ES3_jPKsPS6_PKS6_NS0_5tupleIJPsS6_EEENSE_IJSB_SB_EEENS0_18inequality_wrapperIN6hipcub16HIPCUB_304000_NS8EqualityEEEPlJS6_EEE10hipError_tPvRmT3_T4_T5_T6_T7_T9_mT8_P12ihipStream_tbDpT10_ENKUlT_T0_E_clISt17integral_constantIbLb1EES17_EEDaS12_S13_EUlS12_E_NS1_11comp_targetILNS1_3genE5ELNS1_11target_archE942ELNS1_3gpuE9ELNS1_3repE0EEENS1_30default_config_static_selectorELNS0_4arch9wavefront6targetE1EEEvT1_,"axG",@progbits,_ZN7rocprim17ROCPRIM_400000_NS6detail17trampoline_kernelINS0_14default_configENS1_25partition_config_selectorILNS1_17partition_subalgoE8EsNS0_10empty_typeEbEEZZNS1_14partition_implILS5_8ELb0ES3_jPKsPS6_PKS6_NS0_5tupleIJPsS6_EEENSE_IJSB_SB_EEENS0_18inequality_wrapperIN6hipcub16HIPCUB_304000_NS8EqualityEEEPlJS6_EEE10hipError_tPvRmT3_T4_T5_T6_T7_T9_mT8_P12ihipStream_tbDpT10_ENKUlT_T0_E_clISt17integral_constantIbLb1EES17_EEDaS12_S13_EUlS12_E_NS1_11comp_targetILNS1_3genE5ELNS1_11target_archE942ELNS1_3gpuE9ELNS1_3repE0EEENS1_30default_config_static_selectorELNS0_4arch9wavefront6targetE1EEEvT1_,comdat
.Lfunc_end557:
	.size	_ZN7rocprim17ROCPRIM_400000_NS6detail17trampoline_kernelINS0_14default_configENS1_25partition_config_selectorILNS1_17partition_subalgoE8EsNS0_10empty_typeEbEEZZNS1_14partition_implILS5_8ELb0ES3_jPKsPS6_PKS6_NS0_5tupleIJPsS6_EEENSE_IJSB_SB_EEENS0_18inequality_wrapperIN6hipcub16HIPCUB_304000_NS8EqualityEEEPlJS6_EEE10hipError_tPvRmT3_T4_T5_T6_T7_T9_mT8_P12ihipStream_tbDpT10_ENKUlT_T0_E_clISt17integral_constantIbLb1EES17_EEDaS12_S13_EUlS12_E_NS1_11comp_targetILNS1_3genE5ELNS1_11target_archE942ELNS1_3gpuE9ELNS1_3repE0EEENS1_30default_config_static_selectorELNS0_4arch9wavefront6targetE1EEEvT1_, .Lfunc_end557-_ZN7rocprim17ROCPRIM_400000_NS6detail17trampoline_kernelINS0_14default_configENS1_25partition_config_selectorILNS1_17partition_subalgoE8EsNS0_10empty_typeEbEEZZNS1_14partition_implILS5_8ELb0ES3_jPKsPS6_PKS6_NS0_5tupleIJPsS6_EEENSE_IJSB_SB_EEENS0_18inequality_wrapperIN6hipcub16HIPCUB_304000_NS8EqualityEEEPlJS6_EEE10hipError_tPvRmT3_T4_T5_T6_T7_T9_mT8_P12ihipStream_tbDpT10_ENKUlT_T0_E_clISt17integral_constantIbLb1EES17_EEDaS12_S13_EUlS12_E_NS1_11comp_targetILNS1_3genE5ELNS1_11target_archE942ELNS1_3gpuE9ELNS1_3repE0EEENS1_30default_config_static_selectorELNS0_4arch9wavefront6targetE1EEEvT1_
                                        ; -- End function
	.section	.AMDGPU.csdata,"",@progbits
; Kernel info:
; codeLenInByte = 12820
; NumSgprs: 87
; NumVgprs: 132
; NumAgprs: 0
; TotalNumVgprs: 132
; ScratchSize: 0
; MemoryBound: 0
; FloatMode: 240
; IeeeMode: 1
; LDSByteSize: 30728 bytes/workgroup (compile time only)
; SGPRBlocks: 10
; VGPRBlocks: 16
; NumSGPRsForWavesPerEU: 87
; NumVGPRsForWavesPerEU: 132
; AccumOffset: 132
; Occupancy: 3
; WaveLimiterHint : 1
; COMPUTE_PGM_RSRC2:SCRATCH_EN: 0
; COMPUTE_PGM_RSRC2:USER_SGPR: 2
; COMPUTE_PGM_RSRC2:TRAP_HANDLER: 0
; COMPUTE_PGM_RSRC2:TGID_X_EN: 1
; COMPUTE_PGM_RSRC2:TGID_Y_EN: 0
; COMPUTE_PGM_RSRC2:TGID_Z_EN: 0
; COMPUTE_PGM_RSRC2:TIDIG_COMP_CNT: 0
; COMPUTE_PGM_RSRC3_GFX90A:ACCUM_OFFSET: 32
; COMPUTE_PGM_RSRC3_GFX90A:TG_SPLIT: 0
	.section	.text._ZN7rocprim17ROCPRIM_400000_NS6detail17trampoline_kernelINS0_14default_configENS1_25partition_config_selectorILNS1_17partition_subalgoE8EsNS0_10empty_typeEbEEZZNS1_14partition_implILS5_8ELb0ES3_jPKsPS6_PKS6_NS0_5tupleIJPsS6_EEENSE_IJSB_SB_EEENS0_18inequality_wrapperIN6hipcub16HIPCUB_304000_NS8EqualityEEEPlJS6_EEE10hipError_tPvRmT3_T4_T5_T6_T7_T9_mT8_P12ihipStream_tbDpT10_ENKUlT_T0_E_clISt17integral_constantIbLb1EES17_EEDaS12_S13_EUlS12_E_NS1_11comp_targetILNS1_3genE4ELNS1_11target_archE910ELNS1_3gpuE8ELNS1_3repE0EEENS1_30default_config_static_selectorELNS0_4arch9wavefront6targetE1EEEvT1_,"axG",@progbits,_ZN7rocprim17ROCPRIM_400000_NS6detail17trampoline_kernelINS0_14default_configENS1_25partition_config_selectorILNS1_17partition_subalgoE8EsNS0_10empty_typeEbEEZZNS1_14partition_implILS5_8ELb0ES3_jPKsPS6_PKS6_NS0_5tupleIJPsS6_EEENSE_IJSB_SB_EEENS0_18inequality_wrapperIN6hipcub16HIPCUB_304000_NS8EqualityEEEPlJS6_EEE10hipError_tPvRmT3_T4_T5_T6_T7_T9_mT8_P12ihipStream_tbDpT10_ENKUlT_T0_E_clISt17integral_constantIbLb1EES17_EEDaS12_S13_EUlS12_E_NS1_11comp_targetILNS1_3genE4ELNS1_11target_archE910ELNS1_3gpuE8ELNS1_3repE0EEENS1_30default_config_static_selectorELNS0_4arch9wavefront6targetE1EEEvT1_,comdat
	.protected	_ZN7rocprim17ROCPRIM_400000_NS6detail17trampoline_kernelINS0_14default_configENS1_25partition_config_selectorILNS1_17partition_subalgoE8EsNS0_10empty_typeEbEEZZNS1_14partition_implILS5_8ELb0ES3_jPKsPS6_PKS6_NS0_5tupleIJPsS6_EEENSE_IJSB_SB_EEENS0_18inequality_wrapperIN6hipcub16HIPCUB_304000_NS8EqualityEEEPlJS6_EEE10hipError_tPvRmT3_T4_T5_T6_T7_T9_mT8_P12ihipStream_tbDpT10_ENKUlT_T0_E_clISt17integral_constantIbLb1EES17_EEDaS12_S13_EUlS12_E_NS1_11comp_targetILNS1_3genE4ELNS1_11target_archE910ELNS1_3gpuE8ELNS1_3repE0EEENS1_30default_config_static_selectorELNS0_4arch9wavefront6targetE1EEEvT1_ ; -- Begin function _ZN7rocprim17ROCPRIM_400000_NS6detail17trampoline_kernelINS0_14default_configENS1_25partition_config_selectorILNS1_17partition_subalgoE8EsNS0_10empty_typeEbEEZZNS1_14partition_implILS5_8ELb0ES3_jPKsPS6_PKS6_NS0_5tupleIJPsS6_EEENSE_IJSB_SB_EEENS0_18inequality_wrapperIN6hipcub16HIPCUB_304000_NS8EqualityEEEPlJS6_EEE10hipError_tPvRmT3_T4_T5_T6_T7_T9_mT8_P12ihipStream_tbDpT10_ENKUlT_T0_E_clISt17integral_constantIbLb1EES17_EEDaS12_S13_EUlS12_E_NS1_11comp_targetILNS1_3genE4ELNS1_11target_archE910ELNS1_3gpuE8ELNS1_3repE0EEENS1_30default_config_static_selectorELNS0_4arch9wavefront6targetE1EEEvT1_
	.globl	_ZN7rocprim17ROCPRIM_400000_NS6detail17trampoline_kernelINS0_14default_configENS1_25partition_config_selectorILNS1_17partition_subalgoE8EsNS0_10empty_typeEbEEZZNS1_14partition_implILS5_8ELb0ES3_jPKsPS6_PKS6_NS0_5tupleIJPsS6_EEENSE_IJSB_SB_EEENS0_18inequality_wrapperIN6hipcub16HIPCUB_304000_NS8EqualityEEEPlJS6_EEE10hipError_tPvRmT3_T4_T5_T6_T7_T9_mT8_P12ihipStream_tbDpT10_ENKUlT_T0_E_clISt17integral_constantIbLb1EES17_EEDaS12_S13_EUlS12_E_NS1_11comp_targetILNS1_3genE4ELNS1_11target_archE910ELNS1_3gpuE8ELNS1_3repE0EEENS1_30default_config_static_selectorELNS0_4arch9wavefront6targetE1EEEvT1_
	.p2align	8
	.type	_ZN7rocprim17ROCPRIM_400000_NS6detail17trampoline_kernelINS0_14default_configENS1_25partition_config_selectorILNS1_17partition_subalgoE8EsNS0_10empty_typeEbEEZZNS1_14partition_implILS5_8ELb0ES3_jPKsPS6_PKS6_NS0_5tupleIJPsS6_EEENSE_IJSB_SB_EEENS0_18inequality_wrapperIN6hipcub16HIPCUB_304000_NS8EqualityEEEPlJS6_EEE10hipError_tPvRmT3_T4_T5_T6_T7_T9_mT8_P12ihipStream_tbDpT10_ENKUlT_T0_E_clISt17integral_constantIbLb1EES17_EEDaS12_S13_EUlS12_E_NS1_11comp_targetILNS1_3genE4ELNS1_11target_archE910ELNS1_3gpuE8ELNS1_3repE0EEENS1_30default_config_static_selectorELNS0_4arch9wavefront6targetE1EEEvT1_,@function
_ZN7rocprim17ROCPRIM_400000_NS6detail17trampoline_kernelINS0_14default_configENS1_25partition_config_selectorILNS1_17partition_subalgoE8EsNS0_10empty_typeEbEEZZNS1_14partition_implILS5_8ELb0ES3_jPKsPS6_PKS6_NS0_5tupleIJPsS6_EEENSE_IJSB_SB_EEENS0_18inequality_wrapperIN6hipcub16HIPCUB_304000_NS8EqualityEEEPlJS6_EEE10hipError_tPvRmT3_T4_T5_T6_T7_T9_mT8_P12ihipStream_tbDpT10_ENKUlT_T0_E_clISt17integral_constantIbLb1EES17_EEDaS12_S13_EUlS12_E_NS1_11comp_targetILNS1_3genE4ELNS1_11target_archE910ELNS1_3gpuE8ELNS1_3repE0EEENS1_30default_config_static_selectorELNS0_4arch9wavefront6targetE1EEEvT1_: ; @_ZN7rocprim17ROCPRIM_400000_NS6detail17trampoline_kernelINS0_14default_configENS1_25partition_config_selectorILNS1_17partition_subalgoE8EsNS0_10empty_typeEbEEZZNS1_14partition_implILS5_8ELb0ES3_jPKsPS6_PKS6_NS0_5tupleIJPsS6_EEENSE_IJSB_SB_EEENS0_18inequality_wrapperIN6hipcub16HIPCUB_304000_NS8EqualityEEEPlJS6_EEE10hipError_tPvRmT3_T4_T5_T6_T7_T9_mT8_P12ihipStream_tbDpT10_ENKUlT_T0_E_clISt17integral_constantIbLb1EES17_EEDaS12_S13_EUlS12_E_NS1_11comp_targetILNS1_3genE4ELNS1_11target_archE910ELNS1_3gpuE8ELNS1_3repE0EEENS1_30default_config_static_selectorELNS0_4arch9wavefront6targetE1EEEvT1_
; %bb.0:
	.section	.rodata,"a",@progbits
	.p2align	6, 0x0
	.amdhsa_kernel _ZN7rocprim17ROCPRIM_400000_NS6detail17trampoline_kernelINS0_14default_configENS1_25partition_config_selectorILNS1_17partition_subalgoE8EsNS0_10empty_typeEbEEZZNS1_14partition_implILS5_8ELb0ES3_jPKsPS6_PKS6_NS0_5tupleIJPsS6_EEENSE_IJSB_SB_EEENS0_18inequality_wrapperIN6hipcub16HIPCUB_304000_NS8EqualityEEEPlJS6_EEE10hipError_tPvRmT3_T4_T5_T6_T7_T9_mT8_P12ihipStream_tbDpT10_ENKUlT_T0_E_clISt17integral_constantIbLb1EES17_EEDaS12_S13_EUlS12_E_NS1_11comp_targetILNS1_3genE4ELNS1_11target_archE910ELNS1_3gpuE8ELNS1_3repE0EEENS1_30default_config_static_selectorELNS0_4arch9wavefront6targetE1EEEvT1_
		.amdhsa_group_segment_fixed_size 0
		.amdhsa_private_segment_fixed_size 0
		.amdhsa_kernarg_size 128
		.amdhsa_user_sgpr_count 2
		.amdhsa_user_sgpr_dispatch_ptr 0
		.amdhsa_user_sgpr_queue_ptr 0
		.amdhsa_user_sgpr_kernarg_segment_ptr 1
		.amdhsa_user_sgpr_dispatch_id 0
		.amdhsa_user_sgpr_kernarg_preload_length 0
		.amdhsa_user_sgpr_kernarg_preload_offset 0
		.amdhsa_user_sgpr_private_segment_size 0
		.amdhsa_uses_dynamic_stack 0
		.amdhsa_enable_private_segment 0
		.amdhsa_system_sgpr_workgroup_id_x 1
		.amdhsa_system_sgpr_workgroup_id_y 0
		.amdhsa_system_sgpr_workgroup_id_z 0
		.amdhsa_system_sgpr_workgroup_info 0
		.amdhsa_system_vgpr_workitem_id 0
		.amdhsa_next_free_vgpr 1
		.amdhsa_next_free_sgpr 0
		.amdhsa_accum_offset 4
		.amdhsa_reserve_vcc 0
		.amdhsa_float_round_mode_32 0
		.amdhsa_float_round_mode_16_64 0
		.amdhsa_float_denorm_mode_32 3
		.amdhsa_float_denorm_mode_16_64 3
		.amdhsa_dx10_clamp 1
		.amdhsa_ieee_mode 1
		.amdhsa_fp16_overflow 0
		.amdhsa_tg_split 0
		.amdhsa_exception_fp_ieee_invalid_op 0
		.amdhsa_exception_fp_denorm_src 0
		.amdhsa_exception_fp_ieee_div_zero 0
		.amdhsa_exception_fp_ieee_overflow 0
		.amdhsa_exception_fp_ieee_underflow 0
		.amdhsa_exception_fp_ieee_inexact 0
		.amdhsa_exception_int_div_zero 0
	.end_amdhsa_kernel
	.section	.text._ZN7rocprim17ROCPRIM_400000_NS6detail17trampoline_kernelINS0_14default_configENS1_25partition_config_selectorILNS1_17partition_subalgoE8EsNS0_10empty_typeEbEEZZNS1_14partition_implILS5_8ELb0ES3_jPKsPS6_PKS6_NS0_5tupleIJPsS6_EEENSE_IJSB_SB_EEENS0_18inequality_wrapperIN6hipcub16HIPCUB_304000_NS8EqualityEEEPlJS6_EEE10hipError_tPvRmT3_T4_T5_T6_T7_T9_mT8_P12ihipStream_tbDpT10_ENKUlT_T0_E_clISt17integral_constantIbLb1EES17_EEDaS12_S13_EUlS12_E_NS1_11comp_targetILNS1_3genE4ELNS1_11target_archE910ELNS1_3gpuE8ELNS1_3repE0EEENS1_30default_config_static_selectorELNS0_4arch9wavefront6targetE1EEEvT1_,"axG",@progbits,_ZN7rocprim17ROCPRIM_400000_NS6detail17trampoline_kernelINS0_14default_configENS1_25partition_config_selectorILNS1_17partition_subalgoE8EsNS0_10empty_typeEbEEZZNS1_14partition_implILS5_8ELb0ES3_jPKsPS6_PKS6_NS0_5tupleIJPsS6_EEENSE_IJSB_SB_EEENS0_18inequality_wrapperIN6hipcub16HIPCUB_304000_NS8EqualityEEEPlJS6_EEE10hipError_tPvRmT3_T4_T5_T6_T7_T9_mT8_P12ihipStream_tbDpT10_ENKUlT_T0_E_clISt17integral_constantIbLb1EES17_EEDaS12_S13_EUlS12_E_NS1_11comp_targetILNS1_3genE4ELNS1_11target_archE910ELNS1_3gpuE8ELNS1_3repE0EEENS1_30default_config_static_selectorELNS0_4arch9wavefront6targetE1EEEvT1_,comdat
.Lfunc_end558:
	.size	_ZN7rocprim17ROCPRIM_400000_NS6detail17trampoline_kernelINS0_14default_configENS1_25partition_config_selectorILNS1_17partition_subalgoE8EsNS0_10empty_typeEbEEZZNS1_14partition_implILS5_8ELb0ES3_jPKsPS6_PKS6_NS0_5tupleIJPsS6_EEENSE_IJSB_SB_EEENS0_18inequality_wrapperIN6hipcub16HIPCUB_304000_NS8EqualityEEEPlJS6_EEE10hipError_tPvRmT3_T4_T5_T6_T7_T9_mT8_P12ihipStream_tbDpT10_ENKUlT_T0_E_clISt17integral_constantIbLb1EES17_EEDaS12_S13_EUlS12_E_NS1_11comp_targetILNS1_3genE4ELNS1_11target_archE910ELNS1_3gpuE8ELNS1_3repE0EEENS1_30default_config_static_selectorELNS0_4arch9wavefront6targetE1EEEvT1_, .Lfunc_end558-_ZN7rocprim17ROCPRIM_400000_NS6detail17trampoline_kernelINS0_14default_configENS1_25partition_config_selectorILNS1_17partition_subalgoE8EsNS0_10empty_typeEbEEZZNS1_14partition_implILS5_8ELb0ES3_jPKsPS6_PKS6_NS0_5tupleIJPsS6_EEENSE_IJSB_SB_EEENS0_18inequality_wrapperIN6hipcub16HIPCUB_304000_NS8EqualityEEEPlJS6_EEE10hipError_tPvRmT3_T4_T5_T6_T7_T9_mT8_P12ihipStream_tbDpT10_ENKUlT_T0_E_clISt17integral_constantIbLb1EES17_EEDaS12_S13_EUlS12_E_NS1_11comp_targetILNS1_3genE4ELNS1_11target_archE910ELNS1_3gpuE8ELNS1_3repE0EEENS1_30default_config_static_selectorELNS0_4arch9wavefront6targetE1EEEvT1_
                                        ; -- End function
	.section	.AMDGPU.csdata,"",@progbits
; Kernel info:
; codeLenInByte = 0
; NumSgprs: 6
; NumVgprs: 0
; NumAgprs: 0
; TotalNumVgprs: 0
; ScratchSize: 0
; MemoryBound: 0
; FloatMode: 240
; IeeeMode: 1
; LDSByteSize: 0 bytes/workgroup (compile time only)
; SGPRBlocks: 0
; VGPRBlocks: 0
; NumSGPRsForWavesPerEU: 6
; NumVGPRsForWavesPerEU: 1
; AccumOffset: 4
; Occupancy: 8
; WaveLimiterHint : 0
; COMPUTE_PGM_RSRC2:SCRATCH_EN: 0
; COMPUTE_PGM_RSRC2:USER_SGPR: 2
; COMPUTE_PGM_RSRC2:TRAP_HANDLER: 0
; COMPUTE_PGM_RSRC2:TGID_X_EN: 1
; COMPUTE_PGM_RSRC2:TGID_Y_EN: 0
; COMPUTE_PGM_RSRC2:TGID_Z_EN: 0
; COMPUTE_PGM_RSRC2:TIDIG_COMP_CNT: 0
; COMPUTE_PGM_RSRC3_GFX90A:ACCUM_OFFSET: 0
; COMPUTE_PGM_RSRC3_GFX90A:TG_SPLIT: 0
	.section	.text._ZN7rocprim17ROCPRIM_400000_NS6detail17trampoline_kernelINS0_14default_configENS1_25partition_config_selectorILNS1_17partition_subalgoE8EsNS0_10empty_typeEbEEZZNS1_14partition_implILS5_8ELb0ES3_jPKsPS6_PKS6_NS0_5tupleIJPsS6_EEENSE_IJSB_SB_EEENS0_18inequality_wrapperIN6hipcub16HIPCUB_304000_NS8EqualityEEEPlJS6_EEE10hipError_tPvRmT3_T4_T5_T6_T7_T9_mT8_P12ihipStream_tbDpT10_ENKUlT_T0_E_clISt17integral_constantIbLb1EES17_EEDaS12_S13_EUlS12_E_NS1_11comp_targetILNS1_3genE3ELNS1_11target_archE908ELNS1_3gpuE7ELNS1_3repE0EEENS1_30default_config_static_selectorELNS0_4arch9wavefront6targetE1EEEvT1_,"axG",@progbits,_ZN7rocprim17ROCPRIM_400000_NS6detail17trampoline_kernelINS0_14default_configENS1_25partition_config_selectorILNS1_17partition_subalgoE8EsNS0_10empty_typeEbEEZZNS1_14partition_implILS5_8ELb0ES3_jPKsPS6_PKS6_NS0_5tupleIJPsS6_EEENSE_IJSB_SB_EEENS0_18inequality_wrapperIN6hipcub16HIPCUB_304000_NS8EqualityEEEPlJS6_EEE10hipError_tPvRmT3_T4_T5_T6_T7_T9_mT8_P12ihipStream_tbDpT10_ENKUlT_T0_E_clISt17integral_constantIbLb1EES17_EEDaS12_S13_EUlS12_E_NS1_11comp_targetILNS1_3genE3ELNS1_11target_archE908ELNS1_3gpuE7ELNS1_3repE0EEENS1_30default_config_static_selectorELNS0_4arch9wavefront6targetE1EEEvT1_,comdat
	.protected	_ZN7rocprim17ROCPRIM_400000_NS6detail17trampoline_kernelINS0_14default_configENS1_25partition_config_selectorILNS1_17partition_subalgoE8EsNS0_10empty_typeEbEEZZNS1_14partition_implILS5_8ELb0ES3_jPKsPS6_PKS6_NS0_5tupleIJPsS6_EEENSE_IJSB_SB_EEENS0_18inequality_wrapperIN6hipcub16HIPCUB_304000_NS8EqualityEEEPlJS6_EEE10hipError_tPvRmT3_T4_T5_T6_T7_T9_mT8_P12ihipStream_tbDpT10_ENKUlT_T0_E_clISt17integral_constantIbLb1EES17_EEDaS12_S13_EUlS12_E_NS1_11comp_targetILNS1_3genE3ELNS1_11target_archE908ELNS1_3gpuE7ELNS1_3repE0EEENS1_30default_config_static_selectorELNS0_4arch9wavefront6targetE1EEEvT1_ ; -- Begin function _ZN7rocprim17ROCPRIM_400000_NS6detail17trampoline_kernelINS0_14default_configENS1_25partition_config_selectorILNS1_17partition_subalgoE8EsNS0_10empty_typeEbEEZZNS1_14partition_implILS5_8ELb0ES3_jPKsPS6_PKS6_NS0_5tupleIJPsS6_EEENSE_IJSB_SB_EEENS0_18inequality_wrapperIN6hipcub16HIPCUB_304000_NS8EqualityEEEPlJS6_EEE10hipError_tPvRmT3_T4_T5_T6_T7_T9_mT8_P12ihipStream_tbDpT10_ENKUlT_T0_E_clISt17integral_constantIbLb1EES17_EEDaS12_S13_EUlS12_E_NS1_11comp_targetILNS1_3genE3ELNS1_11target_archE908ELNS1_3gpuE7ELNS1_3repE0EEENS1_30default_config_static_selectorELNS0_4arch9wavefront6targetE1EEEvT1_
	.globl	_ZN7rocprim17ROCPRIM_400000_NS6detail17trampoline_kernelINS0_14default_configENS1_25partition_config_selectorILNS1_17partition_subalgoE8EsNS0_10empty_typeEbEEZZNS1_14partition_implILS5_8ELb0ES3_jPKsPS6_PKS6_NS0_5tupleIJPsS6_EEENSE_IJSB_SB_EEENS0_18inequality_wrapperIN6hipcub16HIPCUB_304000_NS8EqualityEEEPlJS6_EEE10hipError_tPvRmT3_T4_T5_T6_T7_T9_mT8_P12ihipStream_tbDpT10_ENKUlT_T0_E_clISt17integral_constantIbLb1EES17_EEDaS12_S13_EUlS12_E_NS1_11comp_targetILNS1_3genE3ELNS1_11target_archE908ELNS1_3gpuE7ELNS1_3repE0EEENS1_30default_config_static_selectorELNS0_4arch9wavefront6targetE1EEEvT1_
	.p2align	8
	.type	_ZN7rocprim17ROCPRIM_400000_NS6detail17trampoline_kernelINS0_14default_configENS1_25partition_config_selectorILNS1_17partition_subalgoE8EsNS0_10empty_typeEbEEZZNS1_14partition_implILS5_8ELb0ES3_jPKsPS6_PKS6_NS0_5tupleIJPsS6_EEENSE_IJSB_SB_EEENS0_18inequality_wrapperIN6hipcub16HIPCUB_304000_NS8EqualityEEEPlJS6_EEE10hipError_tPvRmT3_T4_T5_T6_T7_T9_mT8_P12ihipStream_tbDpT10_ENKUlT_T0_E_clISt17integral_constantIbLb1EES17_EEDaS12_S13_EUlS12_E_NS1_11comp_targetILNS1_3genE3ELNS1_11target_archE908ELNS1_3gpuE7ELNS1_3repE0EEENS1_30default_config_static_selectorELNS0_4arch9wavefront6targetE1EEEvT1_,@function
_ZN7rocprim17ROCPRIM_400000_NS6detail17trampoline_kernelINS0_14default_configENS1_25partition_config_selectorILNS1_17partition_subalgoE8EsNS0_10empty_typeEbEEZZNS1_14partition_implILS5_8ELb0ES3_jPKsPS6_PKS6_NS0_5tupleIJPsS6_EEENSE_IJSB_SB_EEENS0_18inequality_wrapperIN6hipcub16HIPCUB_304000_NS8EqualityEEEPlJS6_EEE10hipError_tPvRmT3_T4_T5_T6_T7_T9_mT8_P12ihipStream_tbDpT10_ENKUlT_T0_E_clISt17integral_constantIbLb1EES17_EEDaS12_S13_EUlS12_E_NS1_11comp_targetILNS1_3genE3ELNS1_11target_archE908ELNS1_3gpuE7ELNS1_3repE0EEENS1_30default_config_static_selectorELNS0_4arch9wavefront6targetE1EEEvT1_: ; @_ZN7rocprim17ROCPRIM_400000_NS6detail17trampoline_kernelINS0_14default_configENS1_25partition_config_selectorILNS1_17partition_subalgoE8EsNS0_10empty_typeEbEEZZNS1_14partition_implILS5_8ELb0ES3_jPKsPS6_PKS6_NS0_5tupleIJPsS6_EEENSE_IJSB_SB_EEENS0_18inequality_wrapperIN6hipcub16HIPCUB_304000_NS8EqualityEEEPlJS6_EEE10hipError_tPvRmT3_T4_T5_T6_T7_T9_mT8_P12ihipStream_tbDpT10_ENKUlT_T0_E_clISt17integral_constantIbLb1EES17_EEDaS12_S13_EUlS12_E_NS1_11comp_targetILNS1_3genE3ELNS1_11target_archE908ELNS1_3gpuE7ELNS1_3repE0EEENS1_30default_config_static_selectorELNS0_4arch9wavefront6targetE1EEEvT1_
; %bb.0:
	.section	.rodata,"a",@progbits
	.p2align	6, 0x0
	.amdhsa_kernel _ZN7rocprim17ROCPRIM_400000_NS6detail17trampoline_kernelINS0_14default_configENS1_25partition_config_selectorILNS1_17partition_subalgoE8EsNS0_10empty_typeEbEEZZNS1_14partition_implILS5_8ELb0ES3_jPKsPS6_PKS6_NS0_5tupleIJPsS6_EEENSE_IJSB_SB_EEENS0_18inequality_wrapperIN6hipcub16HIPCUB_304000_NS8EqualityEEEPlJS6_EEE10hipError_tPvRmT3_T4_T5_T6_T7_T9_mT8_P12ihipStream_tbDpT10_ENKUlT_T0_E_clISt17integral_constantIbLb1EES17_EEDaS12_S13_EUlS12_E_NS1_11comp_targetILNS1_3genE3ELNS1_11target_archE908ELNS1_3gpuE7ELNS1_3repE0EEENS1_30default_config_static_selectorELNS0_4arch9wavefront6targetE1EEEvT1_
		.amdhsa_group_segment_fixed_size 0
		.amdhsa_private_segment_fixed_size 0
		.amdhsa_kernarg_size 128
		.amdhsa_user_sgpr_count 2
		.amdhsa_user_sgpr_dispatch_ptr 0
		.amdhsa_user_sgpr_queue_ptr 0
		.amdhsa_user_sgpr_kernarg_segment_ptr 1
		.amdhsa_user_sgpr_dispatch_id 0
		.amdhsa_user_sgpr_kernarg_preload_length 0
		.amdhsa_user_sgpr_kernarg_preload_offset 0
		.amdhsa_user_sgpr_private_segment_size 0
		.amdhsa_uses_dynamic_stack 0
		.amdhsa_enable_private_segment 0
		.amdhsa_system_sgpr_workgroup_id_x 1
		.amdhsa_system_sgpr_workgroup_id_y 0
		.amdhsa_system_sgpr_workgroup_id_z 0
		.amdhsa_system_sgpr_workgroup_info 0
		.amdhsa_system_vgpr_workitem_id 0
		.amdhsa_next_free_vgpr 1
		.amdhsa_next_free_sgpr 0
		.amdhsa_accum_offset 4
		.amdhsa_reserve_vcc 0
		.amdhsa_float_round_mode_32 0
		.amdhsa_float_round_mode_16_64 0
		.amdhsa_float_denorm_mode_32 3
		.amdhsa_float_denorm_mode_16_64 3
		.amdhsa_dx10_clamp 1
		.amdhsa_ieee_mode 1
		.amdhsa_fp16_overflow 0
		.amdhsa_tg_split 0
		.amdhsa_exception_fp_ieee_invalid_op 0
		.amdhsa_exception_fp_denorm_src 0
		.amdhsa_exception_fp_ieee_div_zero 0
		.amdhsa_exception_fp_ieee_overflow 0
		.amdhsa_exception_fp_ieee_underflow 0
		.amdhsa_exception_fp_ieee_inexact 0
		.amdhsa_exception_int_div_zero 0
	.end_amdhsa_kernel
	.section	.text._ZN7rocprim17ROCPRIM_400000_NS6detail17trampoline_kernelINS0_14default_configENS1_25partition_config_selectorILNS1_17partition_subalgoE8EsNS0_10empty_typeEbEEZZNS1_14partition_implILS5_8ELb0ES3_jPKsPS6_PKS6_NS0_5tupleIJPsS6_EEENSE_IJSB_SB_EEENS0_18inequality_wrapperIN6hipcub16HIPCUB_304000_NS8EqualityEEEPlJS6_EEE10hipError_tPvRmT3_T4_T5_T6_T7_T9_mT8_P12ihipStream_tbDpT10_ENKUlT_T0_E_clISt17integral_constantIbLb1EES17_EEDaS12_S13_EUlS12_E_NS1_11comp_targetILNS1_3genE3ELNS1_11target_archE908ELNS1_3gpuE7ELNS1_3repE0EEENS1_30default_config_static_selectorELNS0_4arch9wavefront6targetE1EEEvT1_,"axG",@progbits,_ZN7rocprim17ROCPRIM_400000_NS6detail17trampoline_kernelINS0_14default_configENS1_25partition_config_selectorILNS1_17partition_subalgoE8EsNS0_10empty_typeEbEEZZNS1_14partition_implILS5_8ELb0ES3_jPKsPS6_PKS6_NS0_5tupleIJPsS6_EEENSE_IJSB_SB_EEENS0_18inequality_wrapperIN6hipcub16HIPCUB_304000_NS8EqualityEEEPlJS6_EEE10hipError_tPvRmT3_T4_T5_T6_T7_T9_mT8_P12ihipStream_tbDpT10_ENKUlT_T0_E_clISt17integral_constantIbLb1EES17_EEDaS12_S13_EUlS12_E_NS1_11comp_targetILNS1_3genE3ELNS1_11target_archE908ELNS1_3gpuE7ELNS1_3repE0EEENS1_30default_config_static_selectorELNS0_4arch9wavefront6targetE1EEEvT1_,comdat
.Lfunc_end559:
	.size	_ZN7rocprim17ROCPRIM_400000_NS6detail17trampoline_kernelINS0_14default_configENS1_25partition_config_selectorILNS1_17partition_subalgoE8EsNS0_10empty_typeEbEEZZNS1_14partition_implILS5_8ELb0ES3_jPKsPS6_PKS6_NS0_5tupleIJPsS6_EEENSE_IJSB_SB_EEENS0_18inequality_wrapperIN6hipcub16HIPCUB_304000_NS8EqualityEEEPlJS6_EEE10hipError_tPvRmT3_T4_T5_T6_T7_T9_mT8_P12ihipStream_tbDpT10_ENKUlT_T0_E_clISt17integral_constantIbLb1EES17_EEDaS12_S13_EUlS12_E_NS1_11comp_targetILNS1_3genE3ELNS1_11target_archE908ELNS1_3gpuE7ELNS1_3repE0EEENS1_30default_config_static_selectorELNS0_4arch9wavefront6targetE1EEEvT1_, .Lfunc_end559-_ZN7rocprim17ROCPRIM_400000_NS6detail17trampoline_kernelINS0_14default_configENS1_25partition_config_selectorILNS1_17partition_subalgoE8EsNS0_10empty_typeEbEEZZNS1_14partition_implILS5_8ELb0ES3_jPKsPS6_PKS6_NS0_5tupleIJPsS6_EEENSE_IJSB_SB_EEENS0_18inequality_wrapperIN6hipcub16HIPCUB_304000_NS8EqualityEEEPlJS6_EEE10hipError_tPvRmT3_T4_T5_T6_T7_T9_mT8_P12ihipStream_tbDpT10_ENKUlT_T0_E_clISt17integral_constantIbLb1EES17_EEDaS12_S13_EUlS12_E_NS1_11comp_targetILNS1_3genE3ELNS1_11target_archE908ELNS1_3gpuE7ELNS1_3repE0EEENS1_30default_config_static_selectorELNS0_4arch9wavefront6targetE1EEEvT1_
                                        ; -- End function
	.section	.AMDGPU.csdata,"",@progbits
; Kernel info:
; codeLenInByte = 0
; NumSgprs: 6
; NumVgprs: 0
; NumAgprs: 0
; TotalNumVgprs: 0
; ScratchSize: 0
; MemoryBound: 0
; FloatMode: 240
; IeeeMode: 1
; LDSByteSize: 0 bytes/workgroup (compile time only)
; SGPRBlocks: 0
; VGPRBlocks: 0
; NumSGPRsForWavesPerEU: 6
; NumVGPRsForWavesPerEU: 1
; AccumOffset: 4
; Occupancy: 8
; WaveLimiterHint : 0
; COMPUTE_PGM_RSRC2:SCRATCH_EN: 0
; COMPUTE_PGM_RSRC2:USER_SGPR: 2
; COMPUTE_PGM_RSRC2:TRAP_HANDLER: 0
; COMPUTE_PGM_RSRC2:TGID_X_EN: 1
; COMPUTE_PGM_RSRC2:TGID_Y_EN: 0
; COMPUTE_PGM_RSRC2:TGID_Z_EN: 0
; COMPUTE_PGM_RSRC2:TIDIG_COMP_CNT: 0
; COMPUTE_PGM_RSRC3_GFX90A:ACCUM_OFFSET: 0
; COMPUTE_PGM_RSRC3_GFX90A:TG_SPLIT: 0
	.section	.text._ZN7rocprim17ROCPRIM_400000_NS6detail17trampoline_kernelINS0_14default_configENS1_25partition_config_selectorILNS1_17partition_subalgoE8EsNS0_10empty_typeEbEEZZNS1_14partition_implILS5_8ELb0ES3_jPKsPS6_PKS6_NS0_5tupleIJPsS6_EEENSE_IJSB_SB_EEENS0_18inequality_wrapperIN6hipcub16HIPCUB_304000_NS8EqualityEEEPlJS6_EEE10hipError_tPvRmT3_T4_T5_T6_T7_T9_mT8_P12ihipStream_tbDpT10_ENKUlT_T0_E_clISt17integral_constantIbLb1EES17_EEDaS12_S13_EUlS12_E_NS1_11comp_targetILNS1_3genE2ELNS1_11target_archE906ELNS1_3gpuE6ELNS1_3repE0EEENS1_30default_config_static_selectorELNS0_4arch9wavefront6targetE1EEEvT1_,"axG",@progbits,_ZN7rocprim17ROCPRIM_400000_NS6detail17trampoline_kernelINS0_14default_configENS1_25partition_config_selectorILNS1_17partition_subalgoE8EsNS0_10empty_typeEbEEZZNS1_14partition_implILS5_8ELb0ES3_jPKsPS6_PKS6_NS0_5tupleIJPsS6_EEENSE_IJSB_SB_EEENS0_18inequality_wrapperIN6hipcub16HIPCUB_304000_NS8EqualityEEEPlJS6_EEE10hipError_tPvRmT3_T4_T5_T6_T7_T9_mT8_P12ihipStream_tbDpT10_ENKUlT_T0_E_clISt17integral_constantIbLb1EES17_EEDaS12_S13_EUlS12_E_NS1_11comp_targetILNS1_3genE2ELNS1_11target_archE906ELNS1_3gpuE6ELNS1_3repE0EEENS1_30default_config_static_selectorELNS0_4arch9wavefront6targetE1EEEvT1_,comdat
	.protected	_ZN7rocprim17ROCPRIM_400000_NS6detail17trampoline_kernelINS0_14default_configENS1_25partition_config_selectorILNS1_17partition_subalgoE8EsNS0_10empty_typeEbEEZZNS1_14partition_implILS5_8ELb0ES3_jPKsPS6_PKS6_NS0_5tupleIJPsS6_EEENSE_IJSB_SB_EEENS0_18inequality_wrapperIN6hipcub16HIPCUB_304000_NS8EqualityEEEPlJS6_EEE10hipError_tPvRmT3_T4_T5_T6_T7_T9_mT8_P12ihipStream_tbDpT10_ENKUlT_T0_E_clISt17integral_constantIbLb1EES17_EEDaS12_S13_EUlS12_E_NS1_11comp_targetILNS1_3genE2ELNS1_11target_archE906ELNS1_3gpuE6ELNS1_3repE0EEENS1_30default_config_static_selectorELNS0_4arch9wavefront6targetE1EEEvT1_ ; -- Begin function _ZN7rocprim17ROCPRIM_400000_NS6detail17trampoline_kernelINS0_14default_configENS1_25partition_config_selectorILNS1_17partition_subalgoE8EsNS0_10empty_typeEbEEZZNS1_14partition_implILS5_8ELb0ES3_jPKsPS6_PKS6_NS0_5tupleIJPsS6_EEENSE_IJSB_SB_EEENS0_18inequality_wrapperIN6hipcub16HIPCUB_304000_NS8EqualityEEEPlJS6_EEE10hipError_tPvRmT3_T4_T5_T6_T7_T9_mT8_P12ihipStream_tbDpT10_ENKUlT_T0_E_clISt17integral_constantIbLb1EES17_EEDaS12_S13_EUlS12_E_NS1_11comp_targetILNS1_3genE2ELNS1_11target_archE906ELNS1_3gpuE6ELNS1_3repE0EEENS1_30default_config_static_selectorELNS0_4arch9wavefront6targetE1EEEvT1_
	.globl	_ZN7rocprim17ROCPRIM_400000_NS6detail17trampoline_kernelINS0_14default_configENS1_25partition_config_selectorILNS1_17partition_subalgoE8EsNS0_10empty_typeEbEEZZNS1_14partition_implILS5_8ELb0ES3_jPKsPS6_PKS6_NS0_5tupleIJPsS6_EEENSE_IJSB_SB_EEENS0_18inequality_wrapperIN6hipcub16HIPCUB_304000_NS8EqualityEEEPlJS6_EEE10hipError_tPvRmT3_T4_T5_T6_T7_T9_mT8_P12ihipStream_tbDpT10_ENKUlT_T0_E_clISt17integral_constantIbLb1EES17_EEDaS12_S13_EUlS12_E_NS1_11comp_targetILNS1_3genE2ELNS1_11target_archE906ELNS1_3gpuE6ELNS1_3repE0EEENS1_30default_config_static_selectorELNS0_4arch9wavefront6targetE1EEEvT1_
	.p2align	8
	.type	_ZN7rocprim17ROCPRIM_400000_NS6detail17trampoline_kernelINS0_14default_configENS1_25partition_config_selectorILNS1_17partition_subalgoE8EsNS0_10empty_typeEbEEZZNS1_14partition_implILS5_8ELb0ES3_jPKsPS6_PKS6_NS0_5tupleIJPsS6_EEENSE_IJSB_SB_EEENS0_18inequality_wrapperIN6hipcub16HIPCUB_304000_NS8EqualityEEEPlJS6_EEE10hipError_tPvRmT3_T4_T5_T6_T7_T9_mT8_P12ihipStream_tbDpT10_ENKUlT_T0_E_clISt17integral_constantIbLb1EES17_EEDaS12_S13_EUlS12_E_NS1_11comp_targetILNS1_3genE2ELNS1_11target_archE906ELNS1_3gpuE6ELNS1_3repE0EEENS1_30default_config_static_selectorELNS0_4arch9wavefront6targetE1EEEvT1_,@function
_ZN7rocprim17ROCPRIM_400000_NS6detail17trampoline_kernelINS0_14default_configENS1_25partition_config_selectorILNS1_17partition_subalgoE8EsNS0_10empty_typeEbEEZZNS1_14partition_implILS5_8ELb0ES3_jPKsPS6_PKS6_NS0_5tupleIJPsS6_EEENSE_IJSB_SB_EEENS0_18inequality_wrapperIN6hipcub16HIPCUB_304000_NS8EqualityEEEPlJS6_EEE10hipError_tPvRmT3_T4_T5_T6_T7_T9_mT8_P12ihipStream_tbDpT10_ENKUlT_T0_E_clISt17integral_constantIbLb1EES17_EEDaS12_S13_EUlS12_E_NS1_11comp_targetILNS1_3genE2ELNS1_11target_archE906ELNS1_3gpuE6ELNS1_3repE0EEENS1_30default_config_static_selectorELNS0_4arch9wavefront6targetE1EEEvT1_: ; @_ZN7rocprim17ROCPRIM_400000_NS6detail17trampoline_kernelINS0_14default_configENS1_25partition_config_selectorILNS1_17partition_subalgoE8EsNS0_10empty_typeEbEEZZNS1_14partition_implILS5_8ELb0ES3_jPKsPS6_PKS6_NS0_5tupleIJPsS6_EEENSE_IJSB_SB_EEENS0_18inequality_wrapperIN6hipcub16HIPCUB_304000_NS8EqualityEEEPlJS6_EEE10hipError_tPvRmT3_T4_T5_T6_T7_T9_mT8_P12ihipStream_tbDpT10_ENKUlT_T0_E_clISt17integral_constantIbLb1EES17_EEDaS12_S13_EUlS12_E_NS1_11comp_targetILNS1_3genE2ELNS1_11target_archE906ELNS1_3gpuE6ELNS1_3repE0EEENS1_30default_config_static_selectorELNS0_4arch9wavefront6targetE1EEEvT1_
; %bb.0:
	.section	.rodata,"a",@progbits
	.p2align	6, 0x0
	.amdhsa_kernel _ZN7rocprim17ROCPRIM_400000_NS6detail17trampoline_kernelINS0_14default_configENS1_25partition_config_selectorILNS1_17partition_subalgoE8EsNS0_10empty_typeEbEEZZNS1_14partition_implILS5_8ELb0ES3_jPKsPS6_PKS6_NS0_5tupleIJPsS6_EEENSE_IJSB_SB_EEENS0_18inequality_wrapperIN6hipcub16HIPCUB_304000_NS8EqualityEEEPlJS6_EEE10hipError_tPvRmT3_T4_T5_T6_T7_T9_mT8_P12ihipStream_tbDpT10_ENKUlT_T0_E_clISt17integral_constantIbLb1EES17_EEDaS12_S13_EUlS12_E_NS1_11comp_targetILNS1_3genE2ELNS1_11target_archE906ELNS1_3gpuE6ELNS1_3repE0EEENS1_30default_config_static_selectorELNS0_4arch9wavefront6targetE1EEEvT1_
		.amdhsa_group_segment_fixed_size 0
		.amdhsa_private_segment_fixed_size 0
		.amdhsa_kernarg_size 128
		.amdhsa_user_sgpr_count 2
		.amdhsa_user_sgpr_dispatch_ptr 0
		.amdhsa_user_sgpr_queue_ptr 0
		.amdhsa_user_sgpr_kernarg_segment_ptr 1
		.amdhsa_user_sgpr_dispatch_id 0
		.amdhsa_user_sgpr_kernarg_preload_length 0
		.amdhsa_user_sgpr_kernarg_preload_offset 0
		.amdhsa_user_sgpr_private_segment_size 0
		.amdhsa_uses_dynamic_stack 0
		.amdhsa_enable_private_segment 0
		.amdhsa_system_sgpr_workgroup_id_x 1
		.amdhsa_system_sgpr_workgroup_id_y 0
		.amdhsa_system_sgpr_workgroup_id_z 0
		.amdhsa_system_sgpr_workgroup_info 0
		.amdhsa_system_vgpr_workitem_id 0
		.amdhsa_next_free_vgpr 1
		.amdhsa_next_free_sgpr 0
		.amdhsa_accum_offset 4
		.amdhsa_reserve_vcc 0
		.amdhsa_float_round_mode_32 0
		.amdhsa_float_round_mode_16_64 0
		.amdhsa_float_denorm_mode_32 3
		.amdhsa_float_denorm_mode_16_64 3
		.amdhsa_dx10_clamp 1
		.amdhsa_ieee_mode 1
		.amdhsa_fp16_overflow 0
		.amdhsa_tg_split 0
		.amdhsa_exception_fp_ieee_invalid_op 0
		.amdhsa_exception_fp_denorm_src 0
		.amdhsa_exception_fp_ieee_div_zero 0
		.amdhsa_exception_fp_ieee_overflow 0
		.amdhsa_exception_fp_ieee_underflow 0
		.amdhsa_exception_fp_ieee_inexact 0
		.amdhsa_exception_int_div_zero 0
	.end_amdhsa_kernel
	.section	.text._ZN7rocprim17ROCPRIM_400000_NS6detail17trampoline_kernelINS0_14default_configENS1_25partition_config_selectorILNS1_17partition_subalgoE8EsNS0_10empty_typeEbEEZZNS1_14partition_implILS5_8ELb0ES3_jPKsPS6_PKS6_NS0_5tupleIJPsS6_EEENSE_IJSB_SB_EEENS0_18inequality_wrapperIN6hipcub16HIPCUB_304000_NS8EqualityEEEPlJS6_EEE10hipError_tPvRmT3_T4_T5_T6_T7_T9_mT8_P12ihipStream_tbDpT10_ENKUlT_T0_E_clISt17integral_constantIbLb1EES17_EEDaS12_S13_EUlS12_E_NS1_11comp_targetILNS1_3genE2ELNS1_11target_archE906ELNS1_3gpuE6ELNS1_3repE0EEENS1_30default_config_static_selectorELNS0_4arch9wavefront6targetE1EEEvT1_,"axG",@progbits,_ZN7rocprim17ROCPRIM_400000_NS6detail17trampoline_kernelINS0_14default_configENS1_25partition_config_selectorILNS1_17partition_subalgoE8EsNS0_10empty_typeEbEEZZNS1_14partition_implILS5_8ELb0ES3_jPKsPS6_PKS6_NS0_5tupleIJPsS6_EEENSE_IJSB_SB_EEENS0_18inequality_wrapperIN6hipcub16HIPCUB_304000_NS8EqualityEEEPlJS6_EEE10hipError_tPvRmT3_T4_T5_T6_T7_T9_mT8_P12ihipStream_tbDpT10_ENKUlT_T0_E_clISt17integral_constantIbLb1EES17_EEDaS12_S13_EUlS12_E_NS1_11comp_targetILNS1_3genE2ELNS1_11target_archE906ELNS1_3gpuE6ELNS1_3repE0EEENS1_30default_config_static_selectorELNS0_4arch9wavefront6targetE1EEEvT1_,comdat
.Lfunc_end560:
	.size	_ZN7rocprim17ROCPRIM_400000_NS6detail17trampoline_kernelINS0_14default_configENS1_25partition_config_selectorILNS1_17partition_subalgoE8EsNS0_10empty_typeEbEEZZNS1_14partition_implILS5_8ELb0ES3_jPKsPS6_PKS6_NS0_5tupleIJPsS6_EEENSE_IJSB_SB_EEENS0_18inequality_wrapperIN6hipcub16HIPCUB_304000_NS8EqualityEEEPlJS6_EEE10hipError_tPvRmT3_T4_T5_T6_T7_T9_mT8_P12ihipStream_tbDpT10_ENKUlT_T0_E_clISt17integral_constantIbLb1EES17_EEDaS12_S13_EUlS12_E_NS1_11comp_targetILNS1_3genE2ELNS1_11target_archE906ELNS1_3gpuE6ELNS1_3repE0EEENS1_30default_config_static_selectorELNS0_4arch9wavefront6targetE1EEEvT1_, .Lfunc_end560-_ZN7rocprim17ROCPRIM_400000_NS6detail17trampoline_kernelINS0_14default_configENS1_25partition_config_selectorILNS1_17partition_subalgoE8EsNS0_10empty_typeEbEEZZNS1_14partition_implILS5_8ELb0ES3_jPKsPS6_PKS6_NS0_5tupleIJPsS6_EEENSE_IJSB_SB_EEENS0_18inequality_wrapperIN6hipcub16HIPCUB_304000_NS8EqualityEEEPlJS6_EEE10hipError_tPvRmT3_T4_T5_T6_T7_T9_mT8_P12ihipStream_tbDpT10_ENKUlT_T0_E_clISt17integral_constantIbLb1EES17_EEDaS12_S13_EUlS12_E_NS1_11comp_targetILNS1_3genE2ELNS1_11target_archE906ELNS1_3gpuE6ELNS1_3repE0EEENS1_30default_config_static_selectorELNS0_4arch9wavefront6targetE1EEEvT1_
                                        ; -- End function
	.section	.AMDGPU.csdata,"",@progbits
; Kernel info:
; codeLenInByte = 0
; NumSgprs: 6
; NumVgprs: 0
; NumAgprs: 0
; TotalNumVgprs: 0
; ScratchSize: 0
; MemoryBound: 0
; FloatMode: 240
; IeeeMode: 1
; LDSByteSize: 0 bytes/workgroup (compile time only)
; SGPRBlocks: 0
; VGPRBlocks: 0
; NumSGPRsForWavesPerEU: 6
; NumVGPRsForWavesPerEU: 1
; AccumOffset: 4
; Occupancy: 8
; WaveLimiterHint : 0
; COMPUTE_PGM_RSRC2:SCRATCH_EN: 0
; COMPUTE_PGM_RSRC2:USER_SGPR: 2
; COMPUTE_PGM_RSRC2:TRAP_HANDLER: 0
; COMPUTE_PGM_RSRC2:TGID_X_EN: 1
; COMPUTE_PGM_RSRC2:TGID_Y_EN: 0
; COMPUTE_PGM_RSRC2:TGID_Z_EN: 0
; COMPUTE_PGM_RSRC2:TIDIG_COMP_CNT: 0
; COMPUTE_PGM_RSRC3_GFX90A:ACCUM_OFFSET: 0
; COMPUTE_PGM_RSRC3_GFX90A:TG_SPLIT: 0
	.section	.text._ZN7rocprim17ROCPRIM_400000_NS6detail17trampoline_kernelINS0_14default_configENS1_25partition_config_selectorILNS1_17partition_subalgoE8EsNS0_10empty_typeEbEEZZNS1_14partition_implILS5_8ELb0ES3_jPKsPS6_PKS6_NS0_5tupleIJPsS6_EEENSE_IJSB_SB_EEENS0_18inequality_wrapperIN6hipcub16HIPCUB_304000_NS8EqualityEEEPlJS6_EEE10hipError_tPvRmT3_T4_T5_T6_T7_T9_mT8_P12ihipStream_tbDpT10_ENKUlT_T0_E_clISt17integral_constantIbLb1EES17_EEDaS12_S13_EUlS12_E_NS1_11comp_targetILNS1_3genE10ELNS1_11target_archE1200ELNS1_3gpuE4ELNS1_3repE0EEENS1_30default_config_static_selectorELNS0_4arch9wavefront6targetE1EEEvT1_,"axG",@progbits,_ZN7rocprim17ROCPRIM_400000_NS6detail17trampoline_kernelINS0_14default_configENS1_25partition_config_selectorILNS1_17partition_subalgoE8EsNS0_10empty_typeEbEEZZNS1_14partition_implILS5_8ELb0ES3_jPKsPS6_PKS6_NS0_5tupleIJPsS6_EEENSE_IJSB_SB_EEENS0_18inequality_wrapperIN6hipcub16HIPCUB_304000_NS8EqualityEEEPlJS6_EEE10hipError_tPvRmT3_T4_T5_T6_T7_T9_mT8_P12ihipStream_tbDpT10_ENKUlT_T0_E_clISt17integral_constantIbLb1EES17_EEDaS12_S13_EUlS12_E_NS1_11comp_targetILNS1_3genE10ELNS1_11target_archE1200ELNS1_3gpuE4ELNS1_3repE0EEENS1_30default_config_static_selectorELNS0_4arch9wavefront6targetE1EEEvT1_,comdat
	.protected	_ZN7rocprim17ROCPRIM_400000_NS6detail17trampoline_kernelINS0_14default_configENS1_25partition_config_selectorILNS1_17partition_subalgoE8EsNS0_10empty_typeEbEEZZNS1_14partition_implILS5_8ELb0ES3_jPKsPS6_PKS6_NS0_5tupleIJPsS6_EEENSE_IJSB_SB_EEENS0_18inequality_wrapperIN6hipcub16HIPCUB_304000_NS8EqualityEEEPlJS6_EEE10hipError_tPvRmT3_T4_T5_T6_T7_T9_mT8_P12ihipStream_tbDpT10_ENKUlT_T0_E_clISt17integral_constantIbLb1EES17_EEDaS12_S13_EUlS12_E_NS1_11comp_targetILNS1_3genE10ELNS1_11target_archE1200ELNS1_3gpuE4ELNS1_3repE0EEENS1_30default_config_static_selectorELNS0_4arch9wavefront6targetE1EEEvT1_ ; -- Begin function _ZN7rocprim17ROCPRIM_400000_NS6detail17trampoline_kernelINS0_14default_configENS1_25partition_config_selectorILNS1_17partition_subalgoE8EsNS0_10empty_typeEbEEZZNS1_14partition_implILS5_8ELb0ES3_jPKsPS6_PKS6_NS0_5tupleIJPsS6_EEENSE_IJSB_SB_EEENS0_18inequality_wrapperIN6hipcub16HIPCUB_304000_NS8EqualityEEEPlJS6_EEE10hipError_tPvRmT3_T4_T5_T6_T7_T9_mT8_P12ihipStream_tbDpT10_ENKUlT_T0_E_clISt17integral_constantIbLb1EES17_EEDaS12_S13_EUlS12_E_NS1_11comp_targetILNS1_3genE10ELNS1_11target_archE1200ELNS1_3gpuE4ELNS1_3repE0EEENS1_30default_config_static_selectorELNS0_4arch9wavefront6targetE1EEEvT1_
	.globl	_ZN7rocprim17ROCPRIM_400000_NS6detail17trampoline_kernelINS0_14default_configENS1_25partition_config_selectorILNS1_17partition_subalgoE8EsNS0_10empty_typeEbEEZZNS1_14partition_implILS5_8ELb0ES3_jPKsPS6_PKS6_NS0_5tupleIJPsS6_EEENSE_IJSB_SB_EEENS0_18inequality_wrapperIN6hipcub16HIPCUB_304000_NS8EqualityEEEPlJS6_EEE10hipError_tPvRmT3_T4_T5_T6_T7_T9_mT8_P12ihipStream_tbDpT10_ENKUlT_T0_E_clISt17integral_constantIbLb1EES17_EEDaS12_S13_EUlS12_E_NS1_11comp_targetILNS1_3genE10ELNS1_11target_archE1200ELNS1_3gpuE4ELNS1_3repE0EEENS1_30default_config_static_selectorELNS0_4arch9wavefront6targetE1EEEvT1_
	.p2align	8
	.type	_ZN7rocprim17ROCPRIM_400000_NS6detail17trampoline_kernelINS0_14default_configENS1_25partition_config_selectorILNS1_17partition_subalgoE8EsNS0_10empty_typeEbEEZZNS1_14partition_implILS5_8ELb0ES3_jPKsPS6_PKS6_NS0_5tupleIJPsS6_EEENSE_IJSB_SB_EEENS0_18inequality_wrapperIN6hipcub16HIPCUB_304000_NS8EqualityEEEPlJS6_EEE10hipError_tPvRmT3_T4_T5_T6_T7_T9_mT8_P12ihipStream_tbDpT10_ENKUlT_T0_E_clISt17integral_constantIbLb1EES17_EEDaS12_S13_EUlS12_E_NS1_11comp_targetILNS1_3genE10ELNS1_11target_archE1200ELNS1_3gpuE4ELNS1_3repE0EEENS1_30default_config_static_selectorELNS0_4arch9wavefront6targetE1EEEvT1_,@function
_ZN7rocprim17ROCPRIM_400000_NS6detail17trampoline_kernelINS0_14default_configENS1_25partition_config_selectorILNS1_17partition_subalgoE8EsNS0_10empty_typeEbEEZZNS1_14partition_implILS5_8ELb0ES3_jPKsPS6_PKS6_NS0_5tupleIJPsS6_EEENSE_IJSB_SB_EEENS0_18inequality_wrapperIN6hipcub16HIPCUB_304000_NS8EqualityEEEPlJS6_EEE10hipError_tPvRmT3_T4_T5_T6_T7_T9_mT8_P12ihipStream_tbDpT10_ENKUlT_T0_E_clISt17integral_constantIbLb1EES17_EEDaS12_S13_EUlS12_E_NS1_11comp_targetILNS1_3genE10ELNS1_11target_archE1200ELNS1_3gpuE4ELNS1_3repE0EEENS1_30default_config_static_selectorELNS0_4arch9wavefront6targetE1EEEvT1_: ; @_ZN7rocprim17ROCPRIM_400000_NS6detail17trampoline_kernelINS0_14default_configENS1_25partition_config_selectorILNS1_17partition_subalgoE8EsNS0_10empty_typeEbEEZZNS1_14partition_implILS5_8ELb0ES3_jPKsPS6_PKS6_NS0_5tupleIJPsS6_EEENSE_IJSB_SB_EEENS0_18inequality_wrapperIN6hipcub16HIPCUB_304000_NS8EqualityEEEPlJS6_EEE10hipError_tPvRmT3_T4_T5_T6_T7_T9_mT8_P12ihipStream_tbDpT10_ENKUlT_T0_E_clISt17integral_constantIbLb1EES17_EEDaS12_S13_EUlS12_E_NS1_11comp_targetILNS1_3genE10ELNS1_11target_archE1200ELNS1_3gpuE4ELNS1_3repE0EEENS1_30default_config_static_selectorELNS0_4arch9wavefront6targetE1EEEvT1_
; %bb.0:
	.section	.rodata,"a",@progbits
	.p2align	6, 0x0
	.amdhsa_kernel _ZN7rocprim17ROCPRIM_400000_NS6detail17trampoline_kernelINS0_14default_configENS1_25partition_config_selectorILNS1_17partition_subalgoE8EsNS0_10empty_typeEbEEZZNS1_14partition_implILS5_8ELb0ES3_jPKsPS6_PKS6_NS0_5tupleIJPsS6_EEENSE_IJSB_SB_EEENS0_18inequality_wrapperIN6hipcub16HIPCUB_304000_NS8EqualityEEEPlJS6_EEE10hipError_tPvRmT3_T4_T5_T6_T7_T9_mT8_P12ihipStream_tbDpT10_ENKUlT_T0_E_clISt17integral_constantIbLb1EES17_EEDaS12_S13_EUlS12_E_NS1_11comp_targetILNS1_3genE10ELNS1_11target_archE1200ELNS1_3gpuE4ELNS1_3repE0EEENS1_30default_config_static_selectorELNS0_4arch9wavefront6targetE1EEEvT1_
		.amdhsa_group_segment_fixed_size 0
		.amdhsa_private_segment_fixed_size 0
		.amdhsa_kernarg_size 128
		.amdhsa_user_sgpr_count 2
		.amdhsa_user_sgpr_dispatch_ptr 0
		.amdhsa_user_sgpr_queue_ptr 0
		.amdhsa_user_sgpr_kernarg_segment_ptr 1
		.amdhsa_user_sgpr_dispatch_id 0
		.amdhsa_user_sgpr_kernarg_preload_length 0
		.amdhsa_user_sgpr_kernarg_preload_offset 0
		.amdhsa_user_sgpr_private_segment_size 0
		.amdhsa_uses_dynamic_stack 0
		.amdhsa_enable_private_segment 0
		.amdhsa_system_sgpr_workgroup_id_x 1
		.amdhsa_system_sgpr_workgroup_id_y 0
		.amdhsa_system_sgpr_workgroup_id_z 0
		.amdhsa_system_sgpr_workgroup_info 0
		.amdhsa_system_vgpr_workitem_id 0
		.amdhsa_next_free_vgpr 1
		.amdhsa_next_free_sgpr 0
		.amdhsa_accum_offset 4
		.amdhsa_reserve_vcc 0
		.amdhsa_float_round_mode_32 0
		.amdhsa_float_round_mode_16_64 0
		.amdhsa_float_denorm_mode_32 3
		.amdhsa_float_denorm_mode_16_64 3
		.amdhsa_dx10_clamp 1
		.amdhsa_ieee_mode 1
		.amdhsa_fp16_overflow 0
		.amdhsa_tg_split 0
		.amdhsa_exception_fp_ieee_invalid_op 0
		.amdhsa_exception_fp_denorm_src 0
		.amdhsa_exception_fp_ieee_div_zero 0
		.amdhsa_exception_fp_ieee_overflow 0
		.amdhsa_exception_fp_ieee_underflow 0
		.amdhsa_exception_fp_ieee_inexact 0
		.amdhsa_exception_int_div_zero 0
	.end_amdhsa_kernel
	.section	.text._ZN7rocprim17ROCPRIM_400000_NS6detail17trampoline_kernelINS0_14default_configENS1_25partition_config_selectorILNS1_17partition_subalgoE8EsNS0_10empty_typeEbEEZZNS1_14partition_implILS5_8ELb0ES3_jPKsPS6_PKS6_NS0_5tupleIJPsS6_EEENSE_IJSB_SB_EEENS0_18inequality_wrapperIN6hipcub16HIPCUB_304000_NS8EqualityEEEPlJS6_EEE10hipError_tPvRmT3_T4_T5_T6_T7_T9_mT8_P12ihipStream_tbDpT10_ENKUlT_T0_E_clISt17integral_constantIbLb1EES17_EEDaS12_S13_EUlS12_E_NS1_11comp_targetILNS1_3genE10ELNS1_11target_archE1200ELNS1_3gpuE4ELNS1_3repE0EEENS1_30default_config_static_selectorELNS0_4arch9wavefront6targetE1EEEvT1_,"axG",@progbits,_ZN7rocprim17ROCPRIM_400000_NS6detail17trampoline_kernelINS0_14default_configENS1_25partition_config_selectorILNS1_17partition_subalgoE8EsNS0_10empty_typeEbEEZZNS1_14partition_implILS5_8ELb0ES3_jPKsPS6_PKS6_NS0_5tupleIJPsS6_EEENSE_IJSB_SB_EEENS0_18inequality_wrapperIN6hipcub16HIPCUB_304000_NS8EqualityEEEPlJS6_EEE10hipError_tPvRmT3_T4_T5_T6_T7_T9_mT8_P12ihipStream_tbDpT10_ENKUlT_T0_E_clISt17integral_constantIbLb1EES17_EEDaS12_S13_EUlS12_E_NS1_11comp_targetILNS1_3genE10ELNS1_11target_archE1200ELNS1_3gpuE4ELNS1_3repE0EEENS1_30default_config_static_selectorELNS0_4arch9wavefront6targetE1EEEvT1_,comdat
.Lfunc_end561:
	.size	_ZN7rocprim17ROCPRIM_400000_NS6detail17trampoline_kernelINS0_14default_configENS1_25partition_config_selectorILNS1_17partition_subalgoE8EsNS0_10empty_typeEbEEZZNS1_14partition_implILS5_8ELb0ES3_jPKsPS6_PKS6_NS0_5tupleIJPsS6_EEENSE_IJSB_SB_EEENS0_18inequality_wrapperIN6hipcub16HIPCUB_304000_NS8EqualityEEEPlJS6_EEE10hipError_tPvRmT3_T4_T5_T6_T7_T9_mT8_P12ihipStream_tbDpT10_ENKUlT_T0_E_clISt17integral_constantIbLb1EES17_EEDaS12_S13_EUlS12_E_NS1_11comp_targetILNS1_3genE10ELNS1_11target_archE1200ELNS1_3gpuE4ELNS1_3repE0EEENS1_30default_config_static_selectorELNS0_4arch9wavefront6targetE1EEEvT1_, .Lfunc_end561-_ZN7rocprim17ROCPRIM_400000_NS6detail17trampoline_kernelINS0_14default_configENS1_25partition_config_selectorILNS1_17partition_subalgoE8EsNS0_10empty_typeEbEEZZNS1_14partition_implILS5_8ELb0ES3_jPKsPS6_PKS6_NS0_5tupleIJPsS6_EEENSE_IJSB_SB_EEENS0_18inequality_wrapperIN6hipcub16HIPCUB_304000_NS8EqualityEEEPlJS6_EEE10hipError_tPvRmT3_T4_T5_T6_T7_T9_mT8_P12ihipStream_tbDpT10_ENKUlT_T0_E_clISt17integral_constantIbLb1EES17_EEDaS12_S13_EUlS12_E_NS1_11comp_targetILNS1_3genE10ELNS1_11target_archE1200ELNS1_3gpuE4ELNS1_3repE0EEENS1_30default_config_static_selectorELNS0_4arch9wavefront6targetE1EEEvT1_
                                        ; -- End function
	.section	.AMDGPU.csdata,"",@progbits
; Kernel info:
; codeLenInByte = 0
; NumSgprs: 6
; NumVgprs: 0
; NumAgprs: 0
; TotalNumVgprs: 0
; ScratchSize: 0
; MemoryBound: 0
; FloatMode: 240
; IeeeMode: 1
; LDSByteSize: 0 bytes/workgroup (compile time only)
; SGPRBlocks: 0
; VGPRBlocks: 0
; NumSGPRsForWavesPerEU: 6
; NumVGPRsForWavesPerEU: 1
; AccumOffset: 4
; Occupancy: 8
; WaveLimiterHint : 0
; COMPUTE_PGM_RSRC2:SCRATCH_EN: 0
; COMPUTE_PGM_RSRC2:USER_SGPR: 2
; COMPUTE_PGM_RSRC2:TRAP_HANDLER: 0
; COMPUTE_PGM_RSRC2:TGID_X_EN: 1
; COMPUTE_PGM_RSRC2:TGID_Y_EN: 0
; COMPUTE_PGM_RSRC2:TGID_Z_EN: 0
; COMPUTE_PGM_RSRC2:TIDIG_COMP_CNT: 0
; COMPUTE_PGM_RSRC3_GFX90A:ACCUM_OFFSET: 0
; COMPUTE_PGM_RSRC3_GFX90A:TG_SPLIT: 0
	.section	.text._ZN7rocprim17ROCPRIM_400000_NS6detail17trampoline_kernelINS0_14default_configENS1_25partition_config_selectorILNS1_17partition_subalgoE8EsNS0_10empty_typeEbEEZZNS1_14partition_implILS5_8ELb0ES3_jPKsPS6_PKS6_NS0_5tupleIJPsS6_EEENSE_IJSB_SB_EEENS0_18inequality_wrapperIN6hipcub16HIPCUB_304000_NS8EqualityEEEPlJS6_EEE10hipError_tPvRmT3_T4_T5_T6_T7_T9_mT8_P12ihipStream_tbDpT10_ENKUlT_T0_E_clISt17integral_constantIbLb1EES17_EEDaS12_S13_EUlS12_E_NS1_11comp_targetILNS1_3genE9ELNS1_11target_archE1100ELNS1_3gpuE3ELNS1_3repE0EEENS1_30default_config_static_selectorELNS0_4arch9wavefront6targetE1EEEvT1_,"axG",@progbits,_ZN7rocprim17ROCPRIM_400000_NS6detail17trampoline_kernelINS0_14default_configENS1_25partition_config_selectorILNS1_17partition_subalgoE8EsNS0_10empty_typeEbEEZZNS1_14partition_implILS5_8ELb0ES3_jPKsPS6_PKS6_NS0_5tupleIJPsS6_EEENSE_IJSB_SB_EEENS0_18inequality_wrapperIN6hipcub16HIPCUB_304000_NS8EqualityEEEPlJS6_EEE10hipError_tPvRmT3_T4_T5_T6_T7_T9_mT8_P12ihipStream_tbDpT10_ENKUlT_T0_E_clISt17integral_constantIbLb1EES17_EEDaS12_S13_EUlS12_E_NS1_11comp_targetILNS1_3genE9ELNS1_11target_archE1100ELNS1_3gpuE3ELNS1_3repE0EEENS1_30default_config_static_selectorELNS0_4arch9wavefront6targetE1EEEvT1_,comdat
	.protected	_ZN7rocprim17ROCPRIM_400000_NS6detail17trampoline_kernelINS0_14default_configENS1_25partition_config_selectorILNS1_17partition_subalgoE8EsNS0_10empty_typeEbEEZZNS1_14partition_implILS5_8ELb0ES3_jPKsPS6_PKS6_NS0_5tupleIJPsS6_EEENSE_IJSB_SB_EEENS0_18inequality_wrapperIN6hipcub16HIPCUB_304000_NS8EqualityEEEPlJS6_EEE10hipError_tPvRmT3_T4_T5_T6_T7_T9_mT8_P12ihipStream_tbDpT10_ENKUlT_T0_E_clISt17integral_constantIbLb1EES17_EEDaS12_S13_EUlS12_E_NS1_11comp_targetILNS1_3genE9ELNS1_11target_archE1100ELNS1_3gpuE3ELNS1_3repE0EEENS1_30default_config_static_selectorELNS0_4arch9wavefront6targetE1EEEvT1_ ; -- Begin function _ZN7rocprim17ROCPRIM_400000_NS6detail17trampoline_kernelINS0_14default_configENS1_25partition_config_selectorILNS1_17partition_subalgoE8EsNS0_10empty_typeEbEEZZNS1_14partition_implILS5_8ELb0ES3_jPKsPS6_PKS6_NS0_5tupleIJPsS6_EEENSE_IJSB_SB_EEENS0_18inequality_wrapperIN6hipcub16HIPCUB_304000_NS8EqualityEEEPlJS6_EEE10hipError_tPvRmT3_T4_T5_T6_T7_T9_mT8_P12ihipStream_tbDpT10_ENKUlT_T0_E_clISt17integral_constantIbLb1EES17_EEDaS12_S13_EUlS12_E_NS1_11comp_targetILNS1_3genE9ELNS1_11target_archE1100ELNS1_3gpuE3ELNS1_3repE0EEENS1_30default_config_static_selectorELNS0_4arch9wavefront6targetE1EEEvT1_
	.globl	_ZN7rocprim17ROCPRIM_400000_NS6detail17trampoline_kernelINS0_14default_configENS1_25partition_config_selectorILNS1_17partition_subalgoE8EsNS0_10empty_typeEbEEZZNS1_14partition_implILS5_8ELb0ES3_jPKsPS6_PKS6_NS0_5tupleIJPsS6_EEENSE_IJSB_SB_EEENS0_18inequality_wrapperIN6hipcub16HIPCUB_304000_NS8EqualityEEEPlJS6_EEE10hipError_tPvRmT3_T4_T5_T6_T7_T9_mT8_P12ihipStream_tbDpT10_ENKUlT_T0_E_clISt17integral_constantIbLb1EES17_EEDaS12_S13_EUlS12_E_NS1_11comp_targetILNS1_3genE9ELNS1_11target_archE1100ELNS1_3gpuE3ELNS1_3repE0EEENS1_30default_config_static_selectorELNS0_4arch9wavefront6targetE1EEEvT1_
	.p2align	8
	.type	_ZN7rocprim17ROCPRIM_400000_NS6detail17trampoline_kernelINS0_14default_configENS1_25partition_config_selectorILNS1_17partition_subalgoE8EsNS0_10empty_typeEbEEZZNS1_14partition_implILS5_8ELb0ES3_jPKsPS6_PKS6_NS0_5tupleIJPsS6_EEENSE_IJSB_SB_EEENS0_18inequality_wrapperIN6hipcub16HIPCUB_304000_NS8EqualityEEEPlJS6_EEE10hipError_tPvRmT3_T4_T5_T6_T7_T9_mT8_P12ihipStream_tbDpT10_ENKUlT_T0_E_clISt17integral_constantIbLb1EES17_EEDaS12_S13_EUlS12_E_NS1_11comp_targetILNS1_3genE9ELNS1_11target_archE1100ELNS1_3gpuE3ELNS1_3repE0EEENS1_30default_config_static_selectorELNS0_4arch9wavefront6targetE1EEEvT1_,@function
_ZN7rocprim17ROCPRIM_400000_NS6detail17trampoline_kernelINS0_14default_configENS1_25partition_config_selectorILNS1_17partition_subalgoE8EsNS0_10empty_typeEbEEZZNS1_14partition_implILS5_8ELb0ES3_jPKsPS6_PKS6_NS0_5tupleIJPsS6_EEENSE_IJSB_SB_EEENS0_18inequality_wrapperIN6hipcub16HIPCUB_304000_NS8EqualityEEEPlJS6_EEE10hipError_tPvRmT3_T4_T5_T6_T7_T9_mT8_P12ihipStream_tbDpT10_ENKUlT_T0_E_clISt17integral_constantIbLb1EES17_EEDaS12_S13_EUlS12_E_NS1_11comp_targetILNS1_3genE9ELNS1_11target_archE1100ELNS1_3gpuE3ELNS1_3repE0EEENS1_30default_config_static_selectorELNS0_4arch9wavefront6targetE1EEEvT1_: ; @_ZN7rocprim17ROCPRIM_400000_NS6detail17trampoline_kernelINS0_14default_configENS1_25partition_config_selectorILNS1_17partition_subalgoE8EsNS0_10empty_typeEbEEZZNS1_14partition_implILS5_8ELb0ES3_jPKsPS6_PKS6_NS0_5tupleIJPsS6_EEENSE_IJSB_SB_EEENS0_18inequality_wrapperIN6hipcub16HIPCUB_304000_NS8EqualityEEEPlJS6_EEE10hipError_tPvRmT3_T4_T5_T6_T7_T9_mT8_P12ihipStream_tbDpT10_ENKUlT_T0_E_clISt17integral_constantIbLb1EES17_EEDaS12_S13_EUlS12_E_NS1_11comp_targetILNS1_3genE9ELNS1_11target_archE1100ELNS1_3gpuE3ELNS1_3repE0EEENS1_30default_config_static_selectorELNS0_4arch9wavefront6targetE1EEEvT1_
; %bb.0:
	.section	.rodata,"a",@progbits
	.p2align	6, 0x0
	.amdhsa_kernel _ZN7rocprim17ROCPRIM_400000_NS6detail17trampoline_kernelINS0_14default_configENS1_25partition_config_selectorILNS1_17partition_subalgoE8EsNS0_10empty_typeEbEEZZNS1_14partition_implILS5_8ELb0ES3_jPKsPS6_PKS6_NS0_5tupleIJPsS6_EEENSE_IJSB_SB_EEENS0_18inequality_wrapperIN6hipcub16HIPCUB_304000_NS8EqualityEEEPlJS6_EEE10hipError_tPvRmT3_T4_T5_T6_T7_T9_mT8_P12ihipStream_tbDpT10_ENKUlT_T0_E_clISt17integral_constantIbLb1EES17_EEDaS12_S13_EUlS12_E_NS1_11comp_targetILNS1_3genE9ELNS1_11target_archE1100ELNS1_3gpuE3ELNS1_3repE0EEENS1_30default_config_static_selectorELNS0_4arch9wavefront6targetE1EEEvT1_
		.amdhsa_group_segment_fixed_size 0
		.amdhsa_private_segment_fixed_size 0
		.amdhsa_kernarg_size 128
		.amdhsa_user_sgpr_count 2
		.amdhsa_user_sgpr_dispatch_ptr 0
		.amdhsa_user_sgpr_queue_ptr 0
		.amdhsa_user_sgpr_kernarg_segment_ptr 1
		.amdhsa_user_sgpr_dispatch_id 0
		.amdhsa_user_sgpr_kernarg_preload_length 0
		.amdhsa_user_sgpr_kernarg_preload_offset 0
		.amdhsa_user_sgpr_private_segment_size 0
		.amdhsa_uses_dynamic_stack 0
		.amdhsa_enable_private_segment 0
		.amdhsa_system_sgpr_workgroup_id_x 1
		.amdhsa_system_sgpr_workgroup_id_y 0
		.amdhsa_system_sgpr_workgroup_id_z 0
		.amdhsa_system_sgpr_workgroup_info 0
		.amdhsa_system_vgpr_workitem_id 0
		.amdhsa_next_free_vgpr 1
		.amdhsa_next_free_sgpr 0
		.amdhsa_accum_offset 4
		.amdhsa_reserve_vcc 0
		.amdhsa_float_round_mode_32 0
		.amdhsa_float_round_mode_16_64 0
		.amdhsa_float_denorm_mode_32 3
		.amdhsa_float_denorm_mode_16_64 3
		.amdhsa_dx10_clamp 1
		.amdhsa_ieee_mode 1
		.amdhsa_fp16_overflow 0
		.amdhsa_tg_split 0
		.amdhsa_exception_fp_ieee_invalid_op 0
		.amdhsa_exception_fp_denorm_src 0
		.amdhsa_exception_fp_ieee_div_zero 0
		.amdhsa_exception_fp_ieee_overflow 0
		.amdhsa_exception_fp_ieee_underflow 0
		.amdhsa_exception_fp_ieee_inexact 0
		.amdhsa_exception_int_div_zero 0
	.end_amdhsa_kernel
	.section	.text._ZN7rocprim17ROCPRIM_400000_NS6detail17trampoline_kernelINS0_14default_configENS1_25partition_config_selectorILNS1_17partition_subalgoE8EsNS0_10empty_typeEbEEZZNS1_14partition_implILS5_8ELb0ES3_jPKsPS6_PKS6_NS0_5tupleIJPsS6_EEENSE_IJSB_SB_EEENS0_18inequality_wrapperIN6hipcub16HIPCUB_304000_NS8EqualityEEEPlJS6_EEE10hipError_tPvRmT3_T4_T5_T6_T7_T9_mT8_P12ihipStream_tbDpT10_ENKUlT_T0_E_clISt17integral_constantIbLb1EES17_EEDaS12_S13_EUlS12_E_NS1_11comp_targetILNS1_3genE9ELNS1_11target_archE1100ELNS1_3gpuE3ELNS1_3repE0EEENS1_30default_config_static_selectorELNS0_4arch9wavefront6targetE1EEEvT1_,"axG",@progbits,_ZN7rocprim17ROCPRIM_400000_NS6detail17trampoline_kernelINS0_14default_configENS1_25partition_config_selectorILNS1_17partition_subalgoE8EsNS0_10empty_typeEbEEZZNS1_14partition_implILS5_8ELb0ES3_jPKsPS6_PKS6_NS0_5tupleIJPsS6_EEENSE_IJSB_SB_EEENS0_18inequality_wrapperIN6hipcub16HIPCUB_304000_NS8EqualityEEEPlJS6_EEE10hipError_tPvRmT3_T4_T5_T6_T7_T9_mT8_P12ihipStream_tbDpT10_ENKUlT_T0_E_clISt17integral_constantIbLb1EES17_EEDaS12_S13_EUlS12_E_NS1_11comp_targetILNS1_3genE9ELNS1_11target_archE1100ELNS1_3gpuE3ELNS1_3repE0EEENS1_30default_config_static_selectorELNS0_4arch9wavefront6targetE1EEEvT1_,comdat
.Lfunc_end562:
	.size	_ZN7rocprim17ROCPRIM_400000_NS6detail17trampoline_kernelINS0_14default_configENS1_25partition_config_selectorILNS1_17partition_subalgoE8EsNS0_10empty_typeEbEEZZNS1_14partition_implILS5_8ELb0ES3_jPKsPS6_PKS6_NS0_5tupleIJPsS6_EEENSE_IJSB_SB_EEENS0_18inequality_wrapperIN6hipcub16HIPCUB_304000_NS8EqualityEEEPlJS6_EEE10hipError_tPvRmT3_T4_T5_T6_T7_T9_mT8_P12ihipStream_tbDpT10_ENKUlT_T0_E_clISt17integral_constantIbLb1EES17_EEDaS12_S13_EUlS12_E_NS1_11comp_targetILNS1_3genE9ELNS1_11target_archE1100ELNS1_3gpuE3ELNS1_3repE0EEENS1_30default_config_static_selectorELNS0_4arch9wavefront6targetE1EEEvT1_, .Lfunc_end562-_ZN7rocprim17ROCPRIM_400000_NS6detail17trampoline_kernelINS0_14default_configENS1_25partition_config_selectorILNS1_17partition_subalgoE8EsNS0_10empty_typeEbEEZZNS1_14partition_implILS5_8ELb0ES3_jPKsPS6_PKS6_NS0_5tupleIJPsS6_EEENSE_IJSB_SB_EEENS0_18inequality_wrapperIN6hipcub16HIPCUB_304000_NS8EqualityEEEPlJS6_EEE10hipError_tPvRmT3_T4_T5_T6_T7_T9_mT8_P12ihipStream_tbDpT10_ENKUlT_T0_E_clISt17integral_constantIbLb1EES17_EEDaS12_S13_EUlS12_E_NS1_11comp_targetILNS1_3genE9ELNS1_11target_archE1100ELNS1_3gpuE3ELNS1_3repE0EEENS1_30default_config_static_selectorELNS0_4arch9wavefront6targetE1EEEvT1_
                                        ; -- End function
	.section	.AMDGPU.csdata,"",@progbits
; Kernel info:
; codeLenInByte = 0
; NumSgprs: 6
; NumVgprs: 0
; NumAgprs: 0
; TotalNumVgprs: 0
; ScratchSize: 0
; MemoryBound: 0
; FloatMode: 240
; IeeeMode: 1
; LDSByteSize: 0 bytes/workgroup (compile time only)
; SGPRBlocks: 0
; VGPRBlocks: 0
; NumSGPRsForWavesPerEU: 6
; NumVGPRsForWavesPerEU: 1
; AccumOffset: 4
; Occupancy: 8
; WaveLimiterHint : 0
; COMPUTE_PGM_RSRC2:SCRATCH_EN: 0
; COMPUTE_PGM_RSRC2:USER_SGPR: 2
; COMPUTE_PGM_RSRC2:TRAP_HANDLER: 0
; COMPUTE_PGM_RSRC2:TGID_X_EN: 1
; COMPUTE_PGM_RSRC2:TGID_Y_EN: 0
; COMPUTE_PGM_RSRC2:TGID_Z_EN: 0
; COMPUTE_PGM_RSRC2:TIDIG_COMP_CNT: 0
; COMPUTE_PGM_RSRC3_GFX90A:ACCUM_OFFSET: 0
; COMPUTE_PGM_RSRC3_GFX90A:TG_SPLIT: 0
	.section	.text._ZN7rocprim17ROCPRIM_400000_NS6detail17trampoline_kernelINS0_14default_configENS1_25partition_config_selectorILNS1_17partition_subalgoE8EsNS0_10empty_typeEbEEZZNS1_14partition_implILS5_8ELb0ES3_jPKsPS6_PKS6_NS0_5tupleIJPsS6_EEENSE_IJSB_SB_EEENS0_18inequality_wrapperIN6hipcub16HIPCUB_304000_NS8EqualityEEEPlJS6_EEE10hipError_tPvRmT3_T4_T5_T6_T7_T9_mT8_P12ihipStream_tbDpT10_ENKUlT_T0_E_clISt17integral_constantIbLb1EES17_EEDaS12_S13_EUlS12_E_NS1_11comp_targetILNS1_3genE8ELNS1_11target_archE1030ELNS1_3gpuE2ELNS1_3repE0EEENS1_30default_config_static_selectorELNS0_4arch9wavefront6targetE1EEEvT1_,"axG",@progbits,_ZN7rocprim17ROCPRIM_400000_NS6detail17trampoline_kernelINS0_14default_configENS1_25partition_config_selectorILNS1_17partition_subalgoE8EsNS0_10empty_typeEbEEZZNS1_14partition_implILS5_8ELb0ES3_jPKsPS6_PKS6_NS0_5tupleIJPsS6_EEENSE_IJSB_SB_EEENS0_18inequality_wrapperIN6hipcub16HIPCUB_304000_NS8EqualityEEEPlJS6_EEE10hipError_tPvRmT3_T4_T5_T6_T7_T9_mT8_P12ihipStream_tbDpT10_ENKUlT_T0_E_clISt17integral_constantIbLb1EES17_EEDaS12_S13_EUlS12_E_NS1_11comp_targetILNS1_3genE8ELNS1_11target_archE1030ELNS1_3gpuE2ELNS1_3repE0EEENS1_30default_config_static_selectorELNS0_4arch9wavefront6targetE1EEEvT1_,comdat
	.protected	_ZN7rocprim17ROCPRIM_400000_NS6detail17trampoline_kernelINS0_14default_configENS1_25partition_config_selectorILNS1_17partition_subalgoE8EsNS0_10empty_typeEbEEZZNS1_14partition_implILS5_8ELb0ES3_jPKsPS6_PKS6_NS0_5tupleIJPsS6_EEENSE_IJSB_SB_EEENS0_18inequality_wrapperIN6hipcub16HIPCUB_304000_NS8EqualityEEEPlJS6_EEE10hipError_tPvRmT3_T4_T5_T6_T7_T9_mT8_P12ihipStream_tbDpT10_ENKUlT_T0_E_clISt17integral_constantIbLb1EES17_EEDaS12_S13_EUlS12_E_NS1_11comp_targetILNS1_3genE8ELNS1_11target_archE1030ELNS1_3gpuE2ELNS1_3repE0EEENS1_30default_config_static_selectorELNS0_4arch9wavefront6targetE1EEEvT1_ ; -- Begin function _ZN7rocprim17ROCPRIM_400000_NS6detail17trampoline_kernelINS0_14default_configENS1_25partition_config_selectorILNS1_17partition_subalgoE8EsNS0_10empty_typeEbEEZZNS1_14partition_implILS5_8ELb0ES3_jPKsPS6_PKS6_NS0_5tupleIJPsS6_EEENSE_IJSB_SB_EEENS0_18inequality_wrapperIN6hipcub16HIPCUB_304000_NS8EqualityEEEPlJS6_EEE10hipError_tPvRmT3_T4_T5_T6_T7_T9_mT8_P12ihipStream_tbDpT10_ENKUlT_T0_E_clISt17integral_constantIbLb1EES17_EEDaS12_S13_EUlS12_E_NS1_11comp_targetILNS1_3genE8ELNS1_11target_archE1030ELNS1_3gpuE2ELNS1_3repE0EEENS1_30default_config_static_selectorELNS0_4arch9wavefront6targetE1EEEvT1_
	.globl	_ZN7rocprim17ROCPRIM_400000_NS6detail17trampoline_kernelINS0_14default_configENS1_25partition_config_selectorILNS1_17partition_subalgoE8EsNS0_10empty_typeEbEEZZNS1_14partition_implILS5_8ELb0ES3_jPKsPS6_PKS6_NS0_5tupleIJPsS6_EEENSE_IJSB_SB_EEENS0_18inequality_wrapperIN6hipcub16HIPCUB_304000_NS8EqualityEEEPlJS6_EEE10hipError_tPvRmT3_T4_T5_T6_T7_T9_mT8_P12ihipStream_tbDpT10_ENKUlT_T0_E_clISt17integral_constantIbLb1EES17_EEDaS12_S13_EUlS12_E_NS1_11comp_targetILNS1_3genE8ELNS1_11target_archE1030ELNS1_3gpuE2ELNS1_3repE0EEENS1_30default_config_static_selectorELNS0_4arch9wavefront6targetE1EEEvT1_
	.p2align	8
	.type	_ZN7rocprim17ROCPRIM_400000_NS6detail17trampoline_kernelINS0_14default_configENS1_25partition_config_selectorILNS1_17partition_subalgoE8EsNS0_10empty_typeEbEEZZNS1_14partition_implILS5_8ELb0ES3_jPKsPS6_PKS6_NS0_5tupleIJPsS6_EEENSE_IJSB_SB_EEENS0_18inequality_wrapperIN6hipcub16HIPCUB_304000_NS8EqualityEEEPlJS6_EEE10hipError_tPvRmT3_T4_T5_T6_T7_T9_mT8_P12ihipStream_tbDpT10_ENKUlT_T0_E_clISt17integral_constantIbLb1EES17_EEDaS12_S13_EUlS12_E_NS1_11comp_targetILNS1_3genE8ELNS1_11target_archE1030ELNS1_3gpuE2ELNS1_3repE0EEENS1_30default_config_static_selectorELNS0_4arch9wavefront6targetE1EEEvT1_,@function
_ZN7rocprim17ROCPRIM_400000_NS6detail17trampoline_kernelINS0_14default_configENS1_25partition_config_selectorILNS1_17partition_subalgoE8EsNS0_10empty_typeEbEEZZNS1_14partition_implILS5_8ELb0ES3_jPKsPS6_PKS6_NS0_5tupleIJPsS6_EEENSE_IJSB_SB_EEENS0_18inequality_wrapperIN6hipcub16HIPCUB_304000_NS8EqualityEEEPlJS6_EEE10hipError_tPvRmT3_T4_T5_T6_T7_T9_mT8_P12ihipStream_tbDpT10_ENKUlT_T0_E_clISt17integral_constantIbLb1EES17_EEDaS12_S13_EUlS12_E_NS1_11comp_targetILNS1_3genE8ELNS1_11target_archE1030ELNS1_3gpuE2ELNS1_3repE0EEENS1_30default_config_static_selectorELNS0_4arch9wavefront6targetE1EEEvT1_: ; @_ZN7rocprim17ROCPRIM_400000_NS6detail17trampoline_kernelINS0_14default_configENS1_25partition_config_selectorILNS1_17partition_subalgoE8EsNS0_10empty_typeEbEEZZNS1_14partition_implILS5_8ELb0ES3_jPKsPS6_PKS6_NS0_5tupleIJPsS6_EEENSE_IJSB_SB_EEENS0_18inequality_wrapperIN6hipcub16HIPCUB_304000_NS8EqualityEEEPlJS6_EEE10hipError_tPvRmT3_T4_T5_T6_T7_T9_mT8_P12ihipStream_tbDpT10_ENKUlT_T0_E_clISt17integral_constantIbLb1EES17_EEDaS12_S13_EUlS12_E_NS1_11comp_targetILNS1_3genE8ELNS1_11target_archE1030ELNS1_3gpuE2ELNS1_3repE0EEENS1_30default_config_static_selectorELNS0_4arch9wavefront6targetE1EEEvT1_
; %bb.0:
	.section	.rodata,"a",@progbits
	.p2align	6, 0x0
	.amdhsa_kernel _ZN7rocprim17ROCPRIM_400000_NS6detail17trampoline_kernelINS0_14default_configENS1_25partition_config_selectorILNS1_17partition_subalgoE8EsNS0_10empty_typeEbEEZZNS1_14partition_implILS5_8ELb0ES3_jPKsPS6_PKS6_NS0_5tupleIJPsS6_EEENSE_IJSB_SB_EEENS0_18inequality_wrapperIN6hipcub16HIPCUB_304000_NS8EqualityEEEPlJS6_EEE10hipError_tPvRmT3_T4_T5_T6_T7_T9_mT8_P12ihipStream_tbDpT10_ENKUlT_T0_E_clISt17integral_constantIbLb1EES17_EEDaS12_S13_EUlS12_E_NS1_11comp_targetILNS1_3genE8ELNS1_11target_archE1030ELNS1_3gpuE2ELNS1_3repE0EEENS1_30default_config_static_selectorELNS0_4arch9wavefront6targetE1EEEvT1_
		.amdhsa_group_segment_fixed_size 0
		.amdhsa_private_segment_fixed_size 0
		.amdhsa_kernarg_size 128
		.amdhsa_user_sgpr_count 2
		.amdhsa_user_sgpr_dispatch_ptr 0
		.amdhsa_user_sgpr_queue_ptr 0
		.amdhsa_user_sgpr_kernarg_segment_ptr 1
		.amdhsa_user_sgpr_dispatch_id 0
		.amdhsa_user_sgpr_kernarg_preload_length 0
		.amdhsa_user_sgpr_kernarg_preload_offset 0
		.amdhsa_user_sgpr_private_segment_size 0
		.amdhsa_uses_dynamic_stack 0
		.amdhsa_enable_private_segment 0
		.amdhsa_system_sgpr_workgroup_id_x 1
		.amdhsa_system_sgpr_workgroup_id_y 0
		.amdhsa_system_sgpr_workgroup_id_z 0
		.amdhsa_system_sgpr_workgroup_info 0
		.amdhsa_system_vgpr_workitem_id 0
		.amdhsa_next_free_vgpr 1
		.amdhsa_next_free_sgpr 0
		.amdhsa_accum_offset 4
		.amdhsa_reserve_vcc 0
		.amdhsa_float_round_mode_32 0
		.amdhsa_float_round_mode_16_64 0
		.amdhsa_float_denorm_mode_32 3
		.amdhsa_float_denorm_mode_16_64 3
		.amdhsa_dx10_clamp 1
		.amdhsa_ieee_mode 1
		.amdhsa_fp16_overflow 0
		.amdhsa_tg_split 0
		.amdhsa_exception_fp_ieee_invalid_op 0
		.amdhsa_exception_fp_denorm_src 0
		.amdhsa_exception_fp_ieee_div_zero 0
		.amdhsa_exception_fp_ieee_overflow 0
		.amdhsa_exception_fp_ieee_underflow 0
		.amdhsa_exception_fp_ieee_inexact 0
		.amdhsa_exception_int_div_zero 0
	.end_amdhsa_kernel
	.section	.text._ZN7rocprim17ROCPRIM_400000_NS6detail17trampoline_kernelINS0_14default_configENS1_25partition_config_selectorILNS1_17partition_subalgoE8EsNS0_10empty_typeEbEEZZNS1_14partition_implILS5_8ELb0ES3_jPKsPS6_PKS6_NS0_5tupleIJPsS6_EEENSE_IJSB_SB_EEENS0_18inequality_wrapperIN6hipcub16HIPCUB_304000_NS8EqualityEEEPlJS6_EEE10hipError_tPvRmT3_T4_T5_T6_T7_T9_mT8_P12ihipStream_tbDpT10_ENKUlT_T0_E_clISt17integral_constantIbLb1EES17_EEDaS12_S13_EUlS12_E_NS1_11comp_targetILNS1_3genE8ELNS1_11target_archE1030ELNS1_3gpuE2ELNS1_3repE0EEENS1_30default_config_static_selectorELNS0_4arch9wavefront6targetE1EEEvT1_,"axG",@progbits,_ZN7rocprim17ROCPRIM_400000_NS6detail17trampoline_kernelINS0_14default_configENS1_25partition_config_selectorILNS1_17partition_subalgoE8EsNS0_10empty_typeEbEEZZNS1_14partition_implILS5_8ELb0ES3_jPKsPS6_PKS6_NS0_5tupleIJPsS6_EEENSE_IJSB_SB_EEENS0_18inequality_wrapperIN6hipcub16HIPCUB_304000_NS8EqualityEEEPlJS6_EEE10hipError_tPvRmT3_T4_T5_T6_T7_T9_mT8_P12ihipStream_tbDpT10_ENKUlT_T0_E_clISt17integral_constantIbLb1EES17_EEDaS12_S13_EUlS12_E_NS1_11comp_targetILNS1_3genE8ELNS1_11target_archE1030ELNS1_3gpuE2ELNS1_3repE0EEENS1_30default_config_static_selectorELNS0_4arch9wavefront6targetE1EEEvT1_,comdat
.Lfunc_end563:
	.size	_ZN7rocprim17ROCPRIM_400000_NS6detail17trampoline_kernelINS0_14default_configENS1_25partition_config_selectorILNS1_17partition_subalgoE8EsNS0_10empty_typeEbEEZZNS1_14partition_implILS5_8ELb0ES3_jPKsPS6_PKS6_NS0_5tupleIJPsS6_EEENSE_IJSB_SB_EEENS0_18inequality_wrapperIN6hipcub16HIPCUB_304000_NS8EqualityEEEPlJS6_EEE10hipError_tPvRmT3_T4_T5_T6_T7_T9_mT8_P12ihipStream_tbDpT10_ENKUlT_T0_E_clISt17integral_constantIbLb1EES17_EEDaS12_S13_EUlS12_E_NS1_11comp_targetILNS1_3genE8ELNS1_11target_archE1030ELNS1_3gpuE2ELNS1_3repE0EEENS1_30default_config_static_selectorELNS0_4arch9wavefront6targetE1EEEvT1_, .Lfunc_end563-_ZN7rocprim17ROCPRIM_400000_NS6detail17trampoline_kernelINS0_14default_configENS1_25partition_config_selectorILNS1_17partition_subalgoE8EsNS0_10empty_typeEbEEZZNS1_14partition_implILS5_8ELb0ES3_jPKsPS6_PKS6_NS0_5tupleIJPsS6_EEENSE_IJSB_SB_EEENS0_18inequality_wrapperIN6hipcub16HIPCUB_304000_NS8EqualityEEEPlJS6_EEE10hipError_tPvRmT3_T4_T5_T6_T7_T9_mT8_P12ihipStream_tbDpT10_ENKUlT_T0_E_clISt17integral_constantIbLb1EES17_EEDaS12_S13_EUlS12_E_NS1_11comp_targetILNS1_3genE8ELNS1_11target_archE1030ELNS1_3gpuE2ELNS1_3repE0EEENS1_30default_config_static_selectorELNS0_4arch9wavefront6targetE1EEEvT1_
                                        ; -- End function
	.section	.AMDGPU.csdata,"",@progbits
; Kernel info:
; codeLenInByte = 0
; NumSgprs: 6
; NumVgprs: 0
; NumAgprs: 0
; TotalNumVgprs: 0
; ScratchSize: 0
; MemoryBound: 0
; FloatMode: 240
; IeeeMode: 1
; LDSByteSize: 0 bytes/workgroup (compile time only)
; SGPRBlocks: 0
; VGPRBlocks: 0
; NumSGPRsForWavesPerEU: 6
; NumVGPRsForWavesPerEU: 1
; AccumOffset: 4
; Occupancy: 8
; WaveLimiterHint : 0
; COMPUTE_PGM_RSRC2:SCRATCH_EN: 0
; COMPUTE_PGM_RSRC2:USER_SGPR: 2
; COMPUTE_PGM_RSRC2:TRAP_HANDLER: 0
; COMPUTE_PGM_RSRC2:TGID_X_EN: 1
; COMPUTE_PGM_RSRC2:TGID_Y_EN: 0
; COMPUTE_PGM_RSRC2:TGID_Z_EN: 0
; COMPUTE_PGM_RSRC2:TIDIG_COMP_CNT: 0
; COMPUTE_PGM_RSRC3_GFX90A:ACCUM_OFFSET: 0
; COMPUTE_PGM_RSRC3_GFX90A:TG_SPLIT: 0
	.section	.text._ZN7rocprim17ROCPRIM_400000_NS6detail17trampoline_kernelINS0_14default_configENS1_25partition_config_selectorILNS1_17partition_subalgoE8EsNS0_10empty_typeEbEEZZNS1_14partition_implILS5_8ELb0ES3_jPKsPS6_PKS6_NS0_5tupleIJPsS6_EEENSE_IJSB_SB_EEENS0_18inequality_wrapperIN6hipcub16HIPCUB_304000_NS8EqualityEEEPlJS6_EEE10hipError_tPvRmT3_T4_T5_T6_T7_T9_mT8_P12ihipStream_tbDpT10_ENKUlT_T0_E_clISt17integral_constantIbLb1EES16_IbLb0EEEEDaS12_S13_EUlS12_E_NS1_11comp_targetILNS1_3genE0ELNS1_11target_archE4294967295ELNS1_3gpuE0ELNS1_3repE0EEENS1_30default_config_static_selectorELNS0_4arch9wavefront6targetE1EEEvT1_,"axG",@progbits,_ZN7rocprim17ROCPRIM_400000_NS6detail17trampoline_kernelINS0_14default_configENS1_25partition_config_selectorILNS1_17partition_subalgoE8EsNS0_10empty_typeEbEEZZNS1_14partition_implILS5_8ELb0ES3_jPKsPS6_PKS6_NS0_5tupleIJPsS6_EEENSE_IJSB_SB_EEENS0_18inequality_wrapperIN6hipcub16HIPCUB_304000_NS8EqualityEEEPlJS6_EEE10hipError_tPvRmT3_T4_T5_T6_T7_T9_mT8_P12ihipStream_tbDpT10_ENKUlT_T0_E_clISt17integral_constantIbLb1EES16_IbLb0EEEEDaS12_S13_EUlS12_E_NS1_11comp_targetILNS1_3genE0ELNS1_11target_archE4294967295ELNS1_3gpuE0ELNS1_3repE0EEENS1_30default_config_static_selectorELNS0_4arch9wavefront6targetE1EEEvT1_,comdat
	.protected	_ZN7rocprim17ROCPRIM_400000_NS6detail17trampoline_kernelINS0_14default_configENS1_25partition_config_selectorILNS1_17partition_subalgoE8EsNS0_10empty_typeEbEEZZNS1_14partition_implILS5_8ELb0ES3_jPKsPS6_PKS6_NS0_5tupleIJPsS6_EEENSE_IJSB_SB_EEENS0_18inequality_wrapperIN6hipcub16HIPCUB_304000_NS8EqualityEEEPlJS6_EEE10hipError_tPvRmT3_T4_T5_T6_T7_T9_mT8_P12ihipStream_tbDpT10_ENKUlT_T0_E_clISt17integral_constantIbLb1EES16_IbLb0EEEEDaS12_S13_EUlS12_E_NS1_11comp_targetILNS1_3genE0ELNS1_11target_archE4294967295ELNS1_3gpuE0ELNS1_3repE0EEENS1_30default_config_static_selectorELNS0_4arch9wavefront6targetE1EEEvT1_ ; -- Begin function _ZN7rocprim17ROCPRIM_400000_NS6detail17trampoline_kernelINS0_14default_configENS1_25partition_config_selectorILNS1_17partition_subalgoE8EsNS0_10empty_typeEbEEZZNS1_14partition_implILS5_8ELb0ES3_jPKsPS6_PKS6_NS0_5tupleIJPsS6_EEENSE_IJSB_SB_EEENS0_18inequality_wrapperIN6hipcub16HIPCUB_304000_NS8EqualityEEEPlJS6_EEE10hipError_tPvRmT3_T4_T5_T6_T7_T9_mT8_P12ihipStream_tbDpT10_ENKUlT_T0_E_clISt17integral_constantIbLb1EES16_IbLb0EEEEDaS12_S13_EUlS12_E_NS1_11comp_targetILNS1_3genE0ELNS1_11target_archE4294967295ELNS1_3gpuE0ELNS1_3repE0EEENS1_30default_config_static_selectorELNS0_4arch9wavefront6targetE1EEEvT1_
	.globl	_ZN7rocprim17ROCPRIM_400000_NS6detail17trampoline_kernelINS0_14default_configENS1_25partition_config_selectorILNS1_17partition_subalgoE8EsNS0_10empty_typeEbEEZZNS1_14partition_implILS5_8ELb0ES3_jPKsPS6_PKS6_NS0_5tupleIJPsS6_EEENSE_IJSB_SB_EEENS0_18inequality_wrapperIN6hipcub16HIPCUB_304000_NS8EqualityEEEPlJS6_EEE10hipError_tPvRmT3_T4_T5_T6_T7_T9_mT8_P12ihipStream_tbDpT10_ENKUlT_T0_E_clISt17integral_constantIbLb1EES16_IbLb0EEEEDaS12_S13_EUlS12_E_NS1_11comp_targetILNS1_3genE0ELNS1_11target_archE4294967295ELNS1_3gpuE0ELNS1_3repE0EEENS1_30default_config_static_selectorELNS0_4arch9wavefront6targetE1EEEvT1_
	.p2align	8
	.type	_ZN7rocprim17ROCPRIM_400000_NS6detail17trampoline_kernelINS0_14default_configENS1_25partition_config_selectorILNS1_17partition_subalgoE8EsNS0_10empty_typeEbEEZZNS1_14partition_implILS5_8ELb0ES3_jPKsPS6_PKS6_NS0_5tupleIJPsS6_EEENSE_IJSB_SB_EEENS0_18inequality_wrapperIN6hipcub16HIPCUB_304000_NS8EqualityEEEPlJS6_EEE10hipError_tPvRmT3_T4_T5_T6_T7_T9_mT8_P12ihipStream_tbDpT10_ENKUlT_T0_E_clISt17integral_constantIbLb1EES16_IbLb0EEEEDaS12_S13_EUlS12_E_NS1_11comp_targetILNS1_3genE0ELNS1_11target_archE4294967295ELNS1_3gpuE0ELNS1_3repE0EEENS1_30default_config_static_selectorELNS0_4arch9wavefront6targetE1EEEvT1_,@function
_ZN7rocprim17ROCPRIM_400000_NS6detail17trampoline_kernelINS0_14default_configENS1_25partition_config_selectorILNS1_17partition_subalgoE8EsNS0_10empty_typeEbEEZZNS1_14partition_implILS5_8ELb0ES3_jPKsPS6_PKS6_NS0_5tupleIJPsS6_EEENSE_IJSB_SB_EEENS0_18inequality_wrapperIN6hipcub16HIPCUB_304000_NS8EqualityEEEPlJS6_EEE10hipError_tPvRmT3_T4_T5_T6_T7_T9_mT8_P12ihipStream_tbDpT10_ENKUlT_T0_E_clISt17integral_constantIbLb1EES16_IbLb0EEEEDaS12_S13_EUlS12_E_NS1_11comp_targetILNS1_3genE0ELNS1_11target_archE4294967295ELNS1_3gpuE0ELNS1_3repE0EEENS1_30default_config_static_selectorELNS0_4arch9wavefront6targetE1EEEvT1_: ; @_ZN7rocprim17ROCPRIM_400000_NS6detail17trampoline_kernelINS0_14default_configENS1_25partition_config_selectorILNS1_17partition_subalgoE8EsNS0_10empty_typeEbEEZZNS1_14partition_implILS5_8ELb0ES3_jPKsPS6_PKS6_NS0_5tupleIJPsS6_EEENSE_IJSB_SB_EEENS0_18inequality_wrapperIN6hipcub16HIPCUB_304000_NS8EqualityEEEPlJS6_EEE10hipError_tPvRmT3_T4_T5_T6_T7_T9_mT8_P12ihipStream_tbDpT10_ENKUlT_T0_E_clISt17integral_constantIbLb1EES16_IbLb0EEEEDaS12_S13_EUlS12_E_NS1_11comp_targetILNS1_3genE0ELNS1_11target_archE4294967295ELNS1_3gpuE0ELNS1_3repE0EEENS1_30default_config_static_selectorELNS0_4arch9wavefront6targetE1EEEvT1_
; %bb.0:
	.section	.rodata,"a",@progbits
	.p2align	6, 0x0
	.amdhsa_kernel _ZN7rocprim17ROCPRIM_400000_NS6detail17trampoline_kernelINS0_14default_configENS1_25partition_config_selectorILNS1_17partition_subalgoE8EsNS0_10empty_typeEbEEZZNS1_14partition_implILS5_8ELb0ES3_jPKsPS6_PKS6_NS0_5tupleIJPsS6_EEENSE_IJSB_SB_EEENS0_18inequality_wrapperIN6hipcub16HIPCUB_304000_NS8EqualityEEEPlJS6_EEE10hipError_tPvRmT3_T4_T5_T6_T7_T9_mT8_P12ihipStream_tbDpT10_ENKUlT_T0_E_clISt17integral_constantIbLb1EES16_IbLb0EEEEDaS12_S13_EUlS12_E_NS1_11comp_targetILNS1_3genE0ELNS1_11target_archE4294967295ELNS1_3gpuE0ELNS1_3repE0EEENS1_30default_config_static_selectorELNS0_4arch9wavefront6targetE1EEEvT1_
		.amdhsa_group_segment_fixed_size 0
		.amdhsa_private_segment_fixed_size 0
		.amdhsa_kernarg_size 112
		.amdhsa_user_sgpr_count 2
		.amdhsa_user_sgpr_dispatch_ptr 0
		.amdhsa_user_sgpr_queue_ptr 0
		.amdhsa_user_sgpr_kernarg_segment_ptr 1
		.amdhsa_user_sgpr_dispatch_id 0
		.amdhsa_user_sgpr_kernarg_preload_length 0
		.amdhsa_user_sgpr_kernarg_preload_offset 0
		.amdhsa_user_sgpr_private_segment_size 0
		.amdhsa_uses_dynamic_stack 0
		.amdhsa_enable_private_segment 0
		.amdhsa_system_sgpr_workgroup_id_x 1
		.amdhsa_system_sgpr_workgroup_id_y 0
		.amdhsa_system_sgpr_workgroup_id_z 0
		.amdhsa_system_sgpr_workgroup_info 0
		.amdhsa_system_vgpr_workitem_id 0
		.amdhsa_next_free_vgpr 1
		.amdhsa_next_free_sgpr 0
		.amdhsa_accum_offset 4
		.amdhsa_reserve_vcc 0
		.amdhsa_float_round_mode_32 0
		.amdhsa_float_round_mode_16_64 0
		.amdhsa_float_denorm_mode_32 3
		.amdhsa_float_denorm_mode_16_64 3
		.amdhsa_dx10_clamp 1
		.amdhsa_ieee_mode 1
		.amdhsa_fp16_overflow 0
		.amdhsa_tg_split 0
		.amdhsa_exception_fp_ieee_invalid_op 0
		.amdhsa_exception_fp_denorm_src 0
		.amdhsa_exception_fp_ieee_div_zero 0
		.amdhsa_exception_fp_ieee_overflow 0
		.amdhsa_exception_fp_ieee_underflow 0
		.amdhsa_exception_fp_ieee_inexact 0
		.amdhsa_exception_int_div_zero 0
	.end_amdhsa_kernel
	.section	.text._ZN7rocprim17ROCPRIM_400000_NS6detail17trampoline_kernelINS0_14default_configENS1_25partition_config_selectorILNS1_17partition_subalgoE8EsNS0_10empty_typeEbEEZZNS1_14partition_implILS5_8ELb0ES3_jPKsPS6_PKS6_NS0_5tupleIJPsS6_EEENSE_IJSB_SB_EEENS0_18inequality_wrapperIN6hipcub16HIPCUB_304000_NS8EqualityEEEPlJS6_EEE10hipError_tPvRmT3_T4_T5_T6_T7_T9_mT8_P12ihipStream_tbDpT10_ENKUlT_T0_E_clISt17integral_constantIbLb1EES16_IbLb0EEEEDaS12_S13_EUlS12_E_NS1_11comp_targetILNS1_3genE0ELNS1_11target_archE4294967295ELNS1_3gpuE0ELNS1_3repE0EEENS1_30default_config_static_selectorELNS0_4arch9wavefront6targetE1EEEvT1_,"axG",@progbits,_ZN7rocprim17ROCPRIM_400000_NS6detail17trampoline_kernelINS0_14default_configENS1_25partition_config_selectorILNS1_17partition_subalgoE8EsNS0_10empty_typeEbEEZZNS1_14partition_implILS5_8ELb0ES3_jPKsPS6_PKS6_NS0_5tupleIJPsS6_EEENSE_IJSB_SB_EEENS0_18inequality_wrapperIN6hipcub16HIPCUB_304000_NS8EqualityEEEPlJS6_EEE10hipError_tPvRmT3_T4_T5_T6_T7_T9_mT8_P12ihipStream_tbDpT10_ENKUlT_T0_E_clISt17integral_constantIbLb1EES16_IbLb0EEEEDaS12_S13_EUlS12_E_NS1_11comp_targetILNS1_3genE0ELNS1_11target_archE4294967295ELNS1_3gpuE0ELNS1_3repE0EEENS1_30default_config_static_selectorELNS0_4arch9wavefront6targetE1EEEvT1_,comdat
.Lfunc_end564:
	.size	_ZN7rocprim17ROCPRIM_400000_NS6detail17trampoline_kernelINS0_14default_configENS1_25partition_config_selectorILNS1_17partition_subalgoE8EsNS0_10empty_typeEbEEZZNS1_14partition_implILS5_8ELb0ES3_jPKsPS6_PKS6_NS0_5tupleIJPsS6_EEENSE_IJSB_SB_EEENS0_18inequality_wrapperIN6hipcub16HIPCUB_304000_NS8EqualityEEEPlJS6_EEE10hipError_tPvRmT3_T4_T5_T6_T7_T9_mT8_P12ihipStream_tbDpT10_ENKUlT_T0_E_clISt17integral_constantIbLb1EES16_IbLb0EEEEDaS12_S13_EUlS12_E_NS1_11comp_targetILNS1_3genE0ELNS1_11target_archE4294967295ELNS1_3gpuE0ELNS1_3repE0EEENS1_30default_config_static_selectorELNS0_4arch9wavefront6targetE1EEEvT1_, .Lfunc_end564-_ZN7rocprim17ROCPRIM_400000_NS6detail17trampoline_kernelINS0_14default_configENS1_25partition_config_selectorILNS1_17partition_subalgoE8EsNS0_10empty_typeEbEEZZNS1_14partition_implILS5_8ELb0ES3_jPKsPS6_PKS6_NS0_5tupleIJPsS6_EEENSE_IJSB_SB_EEENS0_18inequality_wrapperIN6hipcub16HIPCUB_304000_NS8EqualityEEEPlJS6_EEE10hipError_tPvRmT3_T4_T5_T6_T7_T9_mT8_P12ihipStream_tbDpT10_ENKUlT_T0_E_clISt17integral_constantIbLb1EES16_IbLb0EEEEDaS12_S13_EUlS12_E_NS1_11comp_targetILNS1_3genE0ELNS1_11target_archE4294967295ELNS1_3gpuE0ELNS1_3repE0EEENS1_30default_config_static_selectorELNS0_4arch9wavefront6targetE1EEEvT1_
                                        ; -- End function
	.section	.AMDGPU.csdata,"",@progbits
; Kernel info:
; codeLenInByte = 0
; NumSgprs: 6
; NumVgprs: 0
; NumAgprs: 0
; TotalNumVgprs: 0
; ScratchSize: 0
; MemoryBound: 0
; FloatMode: 240
; IeeeMode: 1
; LDSByteSize: 0 bytes/workgroup (compile time only)
; SGPRBlocks: 0
; VGPRBlocks: 0
; NumSGPRsForWavesPerEU: 6
; NumVGPRsForWavesPerEU: 1
; AccumOffset: 4
; Occupancy: 8
; WaveLimiterHint : 0
; COMPUTE_PGM_RSRC2:SCRATCH_EN: 0
; COMPUTE_PGM_RSRC2:USER_SGPR: 2
; COMPUTE_PGM_RSRC2:TRAP_HANDLER: 0
; COMPUTE_PGM_RSRC2:TGID_X_EN: 1
; COMPUTE_PGM_RSRC2:TGID_Y_EN: 0
; COMPUTE_PGM_RSRC2:TGID_Z_EN: 0
; COMPUTE_PGM_RSRC2:TIDIG_COMP_CNT: 0
; COMPUTE_PGM_RSRC3_GFX90A:ACCUM_OFFSET: 0
; COMPUTE_PGM_RSRC3_GFX90A:TG_SPLIT: 0
	.section	.text._ZN7rocprim17ROCPRIM_400000_NS6detail17trampoline_kernelINS0_14default_configENS1_25partition_config_selectorILNS1_17partition_subalgoE8EsNS0_10empty_typeEbEEZZNS1_14partition_implILS5_8ELb0ES3_jPKsPS6_PKS6_NS0_5tupleIJPsS6_EEENSE_IJSB_SB_EEENS0_18inequality_wrapperIN6hipcub16HIPCUB_304000_NS8EqualityEEEPlJS6_EEE10hipError_tPvRmT3_T4_T5_T6_T7_T9_mT8_P12ihipStream_tbDpT10_ENKUlT_T0_E_clISt17integral_constantIbLb1EES16_IbLb0EEEEDaS12_S13_EUlS12_E_NS1_11comp_targetILNS1_3genE5ELNS1_11target_archE942ELNS1_3gpuE9ELNS1_3repE0EEENS1_30default_config_static_selectorELNS0_4arch9wavefront6targetE1EEEvT1_,"axG",@progbits,_ZN7rocprim17ROCPRIM_400000_NS6detail17trampoline_kernelINS0_14default_configENS1_25partition_config_selectorILNS1_17partition_subalgoE8EsNS0_10empty_typeEbEEZZNS1_14partition_implILS5_8ELb0ES3_jPKsPS6_PKS6_NS0_5tupleIJPsS6_EEENSE_IJSB_SB_EEENS0_18inequality_wrapperIN6hipcub16HIPCUB_304000_NS8EqualityEEEPlJS6_EEE10hipError_tPvRmT3_T4_T5_T6_T7_T9_mT8_P12ihipStream_tbDpT10_ENKUlT_T0_E_clISt17integral_constantIbLb1EES16_IbLb0EEEEDaS12_S13_EUlS12_E_NS1_11comp_targetILNS1_3genE5ELNS1_11target_archE942ELNS1_3gpuE9ELNS1_3repE0EEENS1_30default_config_static_selectorELNS0_4arch9wavefront6targetE1EEEvT1_,comdat
	.protected	_ZN7rocprim17ROCPRIM_400000_NS6detail17trampoline_kernelINS0_14default_configENS1_25partition_config_selectorILNS1_17partition_subalgoE8EsNS0_10empty_typeEbEEZZNS1_14partition_implILS5_8ELb0ES3_jPKsPS6_PKS6_NS0_5tupleIJPsS6_EEENSE_IJSB_SB_EEENS0_18inequality_wrapperIN6hipcub16HIPCUB_304000_NS8EqualityEEEPlJS6_EEE10hipError_tPvRmT3_T4_T5_T6_T7_T9_mT8_P12ihipStream_tbDpT10_ENKUlT_T0_E_clISt17integral_constantIbLb1EES16_IbLb0EEEEDaS12_S13_EUlS12_E_NS1_11comp_targetILNS1_3genE5ELNS1_11target_archE942ELNS1_3gpuE9ELNS1_3repE0EEENS1_30default_config_static_selectorELNS0_4arch9wavefront6targetE1EEEvT1_ ; -- Begin function _ZN7rocprim17ROCPRIM_400000_NS6detail17trampoline_kernelINS0_14default_configENS1_25partition_config_selectorILNS1_17partition_subalgoE8EsNS0_10empty_typeEbEEZZNS1_14partition_implILS5_8ELb0ES3_jPKsPS6_PKS6_NS0_5tupleIJPsS6_EEENSE_IJSB_SB_EEENS0_18inequality_wrapperIN6hipcub16HIPCUB_304000_NS8EqualityEEEPlJS6_EEE10hipError_tPvRmT3_T4_T5_T6_T7_T9_mT8_P12ihipStream_tbDpT10_ENKUlT_T0_E_clISt17integral_constantIbLb1EES16_IbLb0EEEEDaS12_S13_EUlS12_E_NS1_11comp_targetILNS1_3genE5ELNS1_11target_archE942ELNS1_3gpuE9ELNS1_3repE0EEENS1_30default_config_static_selectorELNS0_4arch9wavefront6targetE1EEEvT1_
	.globl	_ZN7rocprim17ROCPRIM_400000_NS6detail17trampoline_kernelINS0_14default_configENS1_25partition_config_selectorILNS1_17partition_subalgoE8EsNS0_10empty_typeEbEEZZNS1_14partition_implILS5_8ELb0ES3_jPKsPS6_PKS6_NS0_5tupleIJPsS6_EEENSE_IJSB_SB_EEENS0_18inequality_wrapperIN6hipcub16HIPCUB_304000_NS8EqualityEEEPlJS6_EEE10hipError_tPvRmT3_T4_T5_T6_T7_T9_mT8_P12ihipStream_tbDpT10_ENKUlT_T0_E_clISt17integral_constantIbLb1EES16_IbLb0EEEEDaS12_S13_EUlS12_E_NS1_11comp_targetILNS1_3genE5ELNS1_11target_archE942ELNS1_3gpuE9ELNS1_3repE0EEENS1_30default_config_static_selectorELNS0_4arch9wavefront6targetE1EEEvT1_
	.p2align	8
	.type	_ZN7rocprim17ROCPRIM_400000_NS6detail17trampoline_kernelINS0_14default_configENS1_25partition_config_selectorILNS1_17partition_subalgoE8EsNS0_10empty_typeEbEEZZNS1_14partition_implILS5_8ELb0ES3_jPKsPS6_PKS6_NS0_5tupleIJPsS6_EEENSE_IJSB_SB_EEENS0_18inequality_wrapperIN6hipcub16HIPCUB_304000_NS8EqualityEEEPlJS6_EEE10hipError_tPvRmT3_T4_T5_T6_T7_T9_mT8_P12ihipStream_tbDpT10_ENKUlT_T0_E_clISt17integral_constantIbLb1EES16_IbLb0EEEEDaS12_S13_EUlS12_E_NS1_11comp_targetILNS1_3genE5ELNS1_11target_archE942ELNS1_3gpuE9ELNS1_3repE0EEENS1_30default_config_static_selectorELNS0_4arch9wavefront6targetE1EEEvT1_,@function
_ZN7rocprim17ROCPRIM_400000_NS6detail17trampoline_kernelINS0_14default_configENS1_25partition_config_selectorILNS1_17partition_subalgoE8EsNS0_10empty_typeEbEEZZNS1_14partition_implILS5_8ELb0ES3_jPKsPS6_PKS6_NS0_5tupleIJPsS6_EEENSE_IJSB_SB_EEENS0_18inequality_wrapperIN6hipcub16HIPCUB_304000_NS8EqualityEEEPlJS6_EEE10hipError_tPvRmT3_T4_T5_T6_T7_T9_mT8_P12ihipStream_tbDpT10_ENKUlT_T0_E_clISt17integral_constantIbLb1EES16_IbLb0EEEEDaS12_S13_EUlS12_E_NS1_11comp_targetILNS1_3genE5ELNS1_11target_archE942ELNS1_3gpuE9ELNS1_3repE0EEENS1_30default_config_static_selectorELNS0_4arch9wavefront6targetE1EEEvT1_: ; @_ZN7rocprim17ROCPRIM_400000_NS6detail17trampoline_kernelINS0_14default_configENS1_25partition_config_selectorILNS1_17partition_subalgoE8EsNS0_10empty_typeEbEEZZNS1_14partition_implILS5_8ELb0ES3_jPKsPS6_PKS6_NS0_5tupleIJPsS6_EEENSE_IJSB_SB_EEENS0_18inequality_wrapperIN6hipcub16HIPCUB_304000_NS8EqualityEEEPlJS6_EEE10hipError_tPvRmT3_T4_T5_T6_T7_T9_mT8_P12ihipStream_tbDpT10_ENKUlT_T0_E_clISt17integral_constantIbLb1EES16_IbLb0EEEEDaS12_S13_EUlS12_E_NS1_11comp_targetILNS1_3genE5ELNS1_11target_archE942ELNS1_3gpuE9ELNS1_3repE0EEENS1_30default_config_static_selectorELNS0_4arch9wavefront6targetE1EEEvT1_
; %bb.0:
	s_load_dwordx2 s[8:9], s[0:1], 0x50
	s_load_dwordx4 s[4:7], s[0:1], 0x8
	s_load_dwordx4 s[64:67], s[0:1], 0x40
	s_load_dword s3, s[0:1], 0x68
	s_waitcnt lgkmcnt(0)
	v_mov_b32_e32 v3, s9
	s_lshl_b64 s[10:11], s[6:7], 1
	s_add_u32 s10, s4, s10
	s_mul_i32 s9, s3, 0x3c00
	s_addc_u32 s11, s5, s11
	s_add_i32 s12, s3, -1
	s_add_i32 s3, s9, s6
	s_sub_i32 s3, s8, s3
	v_mov_b32_e32 v2, s8
	s_add_u32 s8, s6, s9
	s_addc_u32 s9, s7, 0
	s_cmp_eq_u32 s2, s12
	s_load_dwordx2 s[66:67], s[66:67], 0x0
	v_cmp_ge_u64_e32 vcc, s[8:9], v[2:3]
	s_cselect_b64 s[68:69], -1, 0
	s_mul_i32 s4, s2, 0x3c00
	s_mov_b32 s5, 0
	s_and_b64 s[72:73], s[68:69], vcc
	s_xor_b64 s[70:71], s[72:73], -1
	s_lshl_b64 s[4:5], s[4:5], 1
	s_add_u32 s4, s10, s4
	s_mov_b64 s[8:9], -1
	s_addc_u32 s5, s11, s5
	s_and_b64 vcc, exec, s[70:71]
	s_cbranch_vccz .LBB565_2
; %bb.1:
	v_lshlrev_b32_e32 v2, 1, v0
	v_mov_b32_e32 v3, 0
	v_lshl_add_u64 v[4:5], s[4:5], 0, v[2:3]
	v_add_co_u32_e32 v6, vcc, 0x1000, v4
	global_load_ushort v1, v2, s[4:5]
	global_load_ushort v3, v2, s[4:5] offset:1024
	global_load_ushort v10, v2, s[4:5] offset:2048
	;; [unrolled: 1-line block ×3, first 2 shown]
	v_addc_co_u32_e32 v7, vcc, 0, v5, vcc
	v_add_co_u32_e32 v8, vcc, 0x2000, v4
	s_mov_b64 s[8:9], 0
	s_nop 0
	v_addc_co_u32_e32 v9, vcc, 0, v5, vcc
	global_load_ushort v12, v[6:7], off
	global_load_ushort v13, v[6:7], off offset:1024
	global_load_ushort v14, v[6:7], off offset:2048
	;; [unrolled: 1-line block ×3, first 2 shown]
	global_load_ushort v16, v[8:9], off
	global_load_ushort v17, v[8:9], off offset:1024
	global_load_ushort v18, v[8:9], off offset:2048
	;; [unrolled: 1-line block ×3, first 2 shown]
	v_add_co_u32_e32 v6, vcc, 0x3000, v4
	s_nop 1
	v_addc_co_u32_e32 v7, vcc, 0, v5, vcc
	v_add_co_u32_e32 v8, vcc, 0x4000, v4
	s_nop 1
	v_addc_co_u32_e32 v9, vcc, 0, v5, vcc
	global_load_ushort v20, v[6:7], off
	global_load_ushort v21, v[6:7], off offset:1024
	global_load_ushort v22, v[6:7], off offset:2048
	;; [unrolled: 1-line block ×3, first 2 shown]
	global_load_ushort v24, v[8:9], off
	global_load_ushort v25, v[8:9], off offset:1024
	global_load_ushort v26, v[8:9], off offset:2048
	global_load_ushort v27, v[8:9], off offset:3072
	v_add_co_u32_e32 v6, vcc, 0x5000, v4
	s_nop 1
	v_addc_co_u32_e32 v7, vcc, 0, v5, vcc
	v_add_co_u32_e32 v8, vcc, 0x6000, v4
	s_nop 1
	v_addc_co_u32_e32 v9, vcc, 0, v5, vcc
	v_add_co_u32_e32 v4, vcc, 0x7000, v4
	global_load_ushort v28, v[6:7], off
	global_load_ushort v29, v[6:7], off offset:1024
	global_load_ushort v30, v[6:7], off offset:2048
	;; [unrolled: 1-line block ×3, first 2 shown]
	global_load_ushort v32, v[8:9], off
	global_load_ushort v33, v[8:9], off offset:1024
	global_load_ushort v34, v[8:9], off offset:2048
	;; [unrolled: 1-line block ×3, first 2 shown]
	v_addc_co_u32_e32 v5, vcc, 0, v5, vcc
	global_load_ushort v6, v[4:5], off
	global_load_ushort v7, v[4:5], off offset:1024
	s_waitcnt vmcnt(29)
	ds_write_b16 v2, v1
	s_waitcnt vmcnt(28)
	ds_write_b16 v2, v3 offset:1024
	s_waitcnt vmcnt(27)
	ds_write_b16 v2, v10 offset:2048
	;; [unrolled: 2-line block ×29, first 2 shown]
	s_waitcnt lgkmcnt(0)
	s_barrier
.LBB565_2:
	s_andn2_b64 vcc, exec, s[8:9]
	s_addk_i32 s3, 0x3c00
	s_cbranch_vccnz .LBB565_64
; %bb.3:
	v_cmp_gt_u32_e32 vcc, s3, v0
                                        ; implicit-def: $vgpr1
	s_and_saveexec_b64 s[8:9], vcc
	s_cbranch_execz .LBB565_5
; %bb.4:
	v_lshlrev_b32_e32 v1, 1, v0
	global_load_ushort v1, v1, s[4:5]
.LBB565_5:
	s_or_b64 exec, exec, s[8:9]
	v_or_b32_e32 v2, 0x200, v0
	v_cmp_gt_u32_e32 vcc, s3, v2
                                        ; implicit-def: $vgpr2
	s_and_saveexec_b64 s[8:9], vcc
	s_cbranch_execz .LBB565_7
; %bb.6:
	v_lshlrev_b32_e32 v2, 1, v0
	global_load_ushort v2, v2, s[4:5] offset:1024
.LBB565_7:
	s_or_b64 exec, exec, s[8:9]
	v_or_b32_e32 v3, 0x400, v0
	v_cmp_gt_u32_e32 vcc, s3, v3
                                        ; implicit-def: $vgpr3
	s_and_saveexec_b64 s[8:9], vcc
	s_cbranch_execz .LBB565_9
; %bb.8:
	v_lshlrev_b32_e32 v3, 1, v0
	global_load_ushort v3, v3, s[4:5] offset:2048
.LBB565_9:
	s_or_b64 exec, exec, s[8:9]
	v_or_b32_e32 v4, 0x600, v0
	v_cmp_gt_u32_e32 vcc, s3, v4
                                        ; implicit-def: $vgpr4
	s_and_saveexec_b64 s[8:9], vcc
	s_cbranch_execz .LBB565_11
; %bb.10:
	v_lshlrev_b32_e32 v4, 1, v0
	global_load_ushort v4, v4, s[4:5] offset:3072
.LBB565_11:
	s_or_b64 exec, exec, s[8:9]
	v_or_b32_e32 v6, 0x800, v0
	v_cmp_gt_u32_e32 vcc, s3, v6
                                        ; implicit-def: $vgpr5
	s_and_saveexec_b64 s[8:9], vcc
	s_cbranch_execz .LBB565_13
; %bb.12:
	v_lshlrev_b32_e32 v5, 1, v6
	global_load_ushort v5, v5, s[4:5]
.LBB565_13:
	s_or_b64 exec, exec, s[8:9]
	v_or_b32_e32 v7, 0xa00, v0
	v_cmp_gt_u32_e32 vcc, s3, v7
                                        ; implicit-def: $vgpr6
	s_and_saveexec_b64 s[8:9], vcc
	s_cbranch_execz .LBB565_15
; %bb.14:
	v_lshlrev_b32_e32 v6, 1, v7
	global_load_ushort v6, v6, s[4:5]
.LBB565_15:
	s_or_b64 exec, exec, s[8:9]
	v_or_b32_e32 v8, 0xc00, v0
	v_cmp_gt_u32_e32 vcc, s3, v8
                                        ; implicit-def: $vgpr7
	s_and_saveexec_b64 s[8:9], vcc
	s_cbranch_execz .LBB565_17
; %bb.16:
	v_lshlrev_b32_e32 v7, 1, v8
	global_load_ushort v7, v7, s[4:5]
.LBB565_17:
	s_or_b64 exec, exec, s[8:9]
	v_or_b32_e32 v9, 0xe00, v0
	v_cmp_gt_u32_e32 vcc, s3, v9
                                        ; implicit-def: $vgpr8
	s_and_saveexec_b64 s[8:9], vcc
	s_cbranch_execz .LBB565_19
; %bb.18:
	v_lshlrev_b32_e32 v8, 1, v9
	global_load_ushort v8, v8, s[4:5]
.LBB565_19:
	s_or_b64 exec, exec, s[8:9]
	v_or_b32_e32 v10, 0x1000, v0
	v_cmp_gt_u32_e32 vcc, s3, v10
                                        ; implicit-def: $vgpr9
	s_and_saveexec_b64 s[8:9], vcc
	s_cbranch_execz .LBB565_21
; %bb.20:
	v_lshlrev_b32_e32 v9, 1, v10
	global_load_ushort v9, v9, s[4:5]
.LBB565_21:
	s_or_b64 exec, exec, s[8:9]
	v_or_b32_e32 v11, 0x1200, v0
	v_cmp_gt_u32_e32 vcc, s3, v11
                                        ; implicit-def: $vgpr10
	s_and_saveexec_b64 s[8:9], vcc
	s_cbranch_execz .LBB565_23
; %bb.22:
	v_lshlrev_b32_e32 v10, 1, v11
	global_load_ushort v10, v10, s[4:5]
.LBB565_23:
	s_or_b64 exec, exec, s[8:9]
	v_or_b32_e32 v12, 0x1400, v0
	v_cmp_gt_u32_e32 vcc, s3, v12
                                        ; implicit-def: $vgpr11
	s_and_saveexec_b64 s[8:9], vcc
	s_cbranch_execz .LBB565_25
; %bb.24:
	v_lshlrev_b32_e32 v11, 1, v12
	global_load_ushort v11, v11, s[4:5]
.LBB565_25:
	s_or_b64 exec, exec, s[8:9]
	v_or_b32_e32 v13, 0x1600, v0
	v_cmp_gt_u32_e32 vcc, s3, v13
                                        ; implicit-def: $vgpr12
	s_and_saveexec_b64 s[8:9], vcc
	s_cbranch_execz .LBB565_27
; %bb.26:
	v_lshlrev_b32_e32 v12, 1, v13
	global_load_ushort v12, v12, s[4:5]
.LBB565_27:
	s_or_b64 exec, exec, s[8:9]
	v_or_b32_e32 v14, 0x1800, v0
	v_cmp_gt_u32_e32 vcc, s3, v14
                                        ; implicit-def: $vgpr13
	s_and_saveexec_b64 s[8:9], vcc
	s_cbranch_execz .LBB565_29
; %bb.28:
	v_lshlrev_b32_e32 v13, 1, v14
	global_load_ushort v13, v13, s[4:5]
.LBB565_29:
	s_or_b64 exec, exec, s[8:9]
	v_or_b32_e32 v15, 0x1a00, v0
	v_cmp_gt_u32_e32 vcc, s3, v15
                                        ; implicit-def: $vgpr14
	s_and_saveexec_b64 s[8:9], vcc
	s_cbranch_execz .LBB565_31
; %bb.30:
	v_lshlrev_b32_e32 v14, 1, v15
	global_load_ushort v14, v14, s[4:5]
.LBB565_31:
	s_or_b64 exec, exec, s[8:9]
	v_or_b32_e32 v16, 0x1c00, v0
	v_cmp_gt_u32_e32 vcc, s3, v16
                                        ; implicit-def: $vgpr15
	s_and_saveexec_b64 s[8:9], vcc
	s_cbranch_execz .LBB565_33
; %bb.32:
	v_lshlrev_b32_e32 v15, 1, v16
	global_load_ushort v15, v15, s[4:5]
.LBB565_33:
	s_or_b64 exec, exec, s[8:9]
	v_or_b32_e32 v17, 0x1e00, v0
	v_cmp_gt_u32_e32 vcc, s3, v17
                                        ; implicit-def: $vgpr16
	s_and_saveexec_b64 s[8:9], vcc
	s_cbranch_execz .LBB565_35
; %bb.34:
	v_lshlrev_b32_e32 v16, 1, v17
	global_load_ushort v16, v16, s[4:5]
.LBB565_35:
	s_or_b64 exec, exec, s[8:9]
	v_or_b32_e32 v18, 0x2000, v0
	v_cmp_gt_u32_e32 vcc, s3, v18
                                        ; implicit-def: $vgpr17
	s_and_saveexec_b64 s[8:9], vcc
	s_cbranch_execz .LBB565_37
; %bb.36:
	v_lshlrev_b32_e32 v17, 1, v18
	global_load_ushort v17, v17, s[4:5]
.LBB565_37:
	s_or_b64 exec, exec, s[8:9]
	v_or_b32_e32 v19, 0x2200, v0
	v_cmp_gt_u32_e32 vcc, s3, v19
                                        ; implicit-def: $vgpr18
	s_and_saveexec_b64 s[8:9], vcc
	s_cbranch_execz .LBB565_39
; %bb.38:
	v_lshlrev_b32_e32 v18, 1, v19
	global_load_ushort v18, v18, s[4:5]
.LBB565_39:
	s_or_b64 exec, exec, s[8:9]
	v_or_b32_e32 v20, 0x2400, v0
	v_cmp_gt_u32_e32 vcc, s3, v20
                                        ; implicit-def: $vgpr19
	s_and_saveexec_b64 s[8:9], vcc
	s_cbranch_execz .LBB565_41
; %bb.40:
	v_lshlrev_b32_e32 v19, 1, v20
	global_load_ushort v19, v19, s[4:5]
.LBB565_41:
	s_or_b64 exec, exec, s[8:9]
	v_or_b32_e32 v21, 0x2600, v0
	v_cmp_gt_u32_e32 vcc, s3, v21
                                        ; implicit-def: $vgpr20
	s_and_saveexec_b64 s[8:9], vcc
	s_cbranch_execz .LBB565_43
; %bb.42:
	v_lshlrev_b32_e32 v20, 1, v21
	global_load_ushort v20, v20, s[4:5]
.LBB565_43:
	s_or_b64 exec, exec, s[8:9]
	v_or_b32_e32 v22, 0x2800, v0
	v_cmp_gt_u32_e32 vcc, s3, v22
                                        ; implicit-def: $vgpr21
	s_and_saveexec_b64 s[8:9], vcc
	s_cbranch_execz .LBB565_45
; %bb.44:
	v_lshlrev_b32_e32 v21, 1, v22
	global_load_ushort v21, v21, s[4:5]
.LBB565_45:
	s_or_b64 exec, exec, s[8:9]
	v_or_b32_e32 v23, 0x2a00, v0
	v_cmp_gt_u32_e32 vcc, s3, v23
                                        ; implicit-def: $vgpr22
	s_and_saveexec_b64 s[8:9], vcc
	s_cbranch_execz .LBB565_47
; %bb.46:
	v_lshlrev_b32_e32 v22, 1, v23
	global_load_ushort v22, v22, s[4:5]
.LBB565_47:
	s_or_b64 exec, exec, s[8:9]
	v_or_b32_e32 v24, 0x2c00, v0
	v_cmp_gt_u32_e32 vcc, s3, v24
                                        ; implicit-def: $vgpr23
	s_and_saveexec_b64 s[8:9], vcc
	s_cbranch_execz .LBB565_49
; %bb.48:
	v_lshlrev_b32_e32 v23, 1, v24
	global_load_ushort v23, v23, s[4:5]
.LBB565_49:
	s_or_b64 exec, exec, s[8:9]
	v_or_b32_e32 v25, 0x2e00, v0
	v_cmp_gt_u32_e32 vcc, s3, v25
                                        ; implicit-def: $vgpr24
	s_and_saveexec_b64 s[8:9], vcc
	s_cbranch_execz .LBB565_51
; %bb.50:
	v_lshlrev_b32_e32 v24, 1, v25
	global_load_ushort v24, v24, s[4:5]
.LBB565_51:
	s_or_b64 exec, exec, s[8:9]
	v_or_b32_e32 v26, 0x3000, v0
	v_cmp_gt_u32_e32 vcc, s3, v26
                                        ; implicit-def: $vgpr25
	s_and_saveexec_b64 s[8:9], vcc
	s_cbranch_execz .LBB565_53
; %bb.52:
	v_lshlrev_b32_e32 v25, 1, v26
	global_load_ushort v25, v25, s[4:5]
.LBB565_53:
	s_or_b64 exec, exec, s[8:9]
	v_or_b32_e32 v27, 0x3200, v0
	v_cmp_gt_u32_e32 vcc, s3, v27
                                        ; implicit-def: $vgpr26
	s_and_saveexec_b64 s[8:9], vcc
	s_cbranch_execz .LBB565_55
; %bb.54:
	v_lshlrev_b32_e32 v26, 1, v27
	global_load_ushort v26, v26, s[4:5]
.LBB565_55:
	s_or_b64 exec, exec, s[8:9]
	v_or_b32_e32 v28, 0x3400, v0
	v_cmp_gt_u32_e32 vcc, s3, v28
                                        ; implicit-def: $vgpr27
	s_and_saveexec_b64 s[8:9], vcc
	s_cbranch_execz .LBB565_57
; %bb.56:
	v_lshlrev_b32_e32 v27, 1, v28
	global_load_ushort v27, v27, s[4:5]
.LBB565_57:
	s_or_b64 exec, exec, s[8:9]
	v_or_b32_e32 v29, 0x3600, v0
	v_cmp_gt_u32_e32 vcc, s3, v29
                                        ; implicit-def: $vgpr28
	s_and_saveexec_b64 s[8:9], vcc
	s_cbranch_execz .LBB565_59
; %bb.58:
	v_lshlrev_b32_e32 v28, 1, v29
	global_load_ushort v28, v28, s[4:5]
.LBB565_59:
	s_or_b64 exec, exec, s[8:9]
	v_or_b32_e32 v30, 0x3800, v0
	v_cmp_gt_u32_e32 vcc, s3, v30
                                        ; implicit-def: $vgpr29
	s_and_saveexec_b64 s[8:9], vcc
	s_cbranch_execz .LBB565_61
; %bb.60:
	v_lshlrev_b32_e32 v29, 1, v30
	global_load_ushort v29, v29, s[4:5]
.LBB565_61:
	s_or_b64 exec, exec, s[8:9]
	v_or_b32_e32 v31, 0x3a00, v0
	v_cmp_gt_u32_e32 vcc, s3, v31
                                        ; implicit-def: $vgpr30
	s_and_saveexec_b64 s[8:9], vcc
	s_cbranch_execz .LBB565_63
; %bb.62:
	v_lshlrev_b32_e32 v30, 1, v31
	global_load_ushort v30, v30, s[4:5]
.LBB565_63:
	s_or_b64 exec, exec, s[8:9]
	v_lshlrev_b32_e32 v31, 1, v0
	s_waitcnt vmcnt(0)
	ds_write_b16 v31, v1
	ds_write_b16 v31, v2 offset:1024
	ds_write_b16 v31, v3 offset:2048
	ds_write_b16 v31, v4 offset:3072
	ds_write_b16 v31, v5 offset:4096
	ds_write_b16 v31, v6 offset:5120
	ds_write_b16 v31, v7 offset:6144
	ds_write_b16 v31, v8 offset:7168
	ds_write_b16 v31, v9 offset:8192
	ds_write_b16 v31, v10 offset:9216
	ds_write_b16 v31, v11 offset:10240
	ds_write_b16 v31, v12 offset:11264
	ds_write_b16 v31, v13 offset:12288
	ds_write_b16 v31, v14 offset:13312
	ds_write_b16 v31, v15 offset:14336
	ds_write_b16 v31, v16 offset:15360
	ds_write_b16 v31, v17 offset:16384
	ds_write_b16 v31, v18 offset:17408
	ds_write_b16 v31, v19 offset:18432
	ds_write_b16 v31, v20 offset:19456
	ds_write_b16 v31, v21 offset:20480
	ds_write_b16 v31, v22 offset:21504
	ds_write_b16 v31, v23 offset:22528
	ds_write_b16 v31, v24 offset:23552
	ds_write_b16 v31, v25 offset:24576
	ds_write_b16 v31, v26 offset:25600
	ds_write_b16 v31, v27 offset:26624
	ds_write_b16 v31, v28 offset:27648
	ds_write_b16 v31, v29 offset:28672
	ds_write_b16 v31, v30 offset:29696
	s_waitcnt lgkmcnt(0)
	s_barrier
.LBB565_64:
	v_mul_u32_u24_e32 v23, 30, v0
	v_lshlrev_b32_e32 v46, 1, v23
	s_waitcnt lgkmcnt(0)
	ds_read_b32 v80, v46 offset:56
	ds_read2_b32 v[2:3], v46 offset0:12 offset1:13
	ds_read2_b32 v[4:5], v46 offset0:10 offset1:11
	;; [unrolled: 1-line block ×3, first 2 shown]
	ds_read2_b32 v[14:15], v46 offset1:1
	ds_read2_b32 v[12:13], v46 offset0:2 offset1:3
	ds_read2_b32 v[10:11], v46 offset0:4 offset1:5
	;; [unrolled: 1-line block ×3, first 2 shown]
	s_cmp_lg_u32 s2, 0
	s_cselect_b64 s[74:75], -1, 0
	s_cmp_lg_u64 s[6:7], 0
	s_cselect_b64 s[6:7], -1, 0
	s_or_b64 s[6:7], s[74:75], s[6:7]
	v_mad_u32_u24 v16, v0, 30, 29
	v_mad_u32_u24 v17, v0, 30, 28
	s_waitcnt lgkmcnt(7)
	v_lshrrev_b32_e32 v1, 16, v80
	v_mad_u32_u24 v18, v0, 30, 27
	s_waitcnt lgkmcnt(6)
	v_lshrrev_b32_e32 v82, 16, v2
	v_lshrrev_b32_e32 v81, 16, v3
	v_mad_u32_u24 v19, v0, 30, 26
	v_mad_u32_u24 v20, v0, 30, 25
	;; [unrolled: 1-line block ×4, first 2 shown]
	s_waitcnt lgkmcnt(5)
	v_lshrrev_b32_e32 v84, 16, v4
	v_lshrrev_b32_e32 v83, 16, v5
	v_mad_u32_u24 v24, v0, 30, 22
	s_waitcnt lgkmcnt(3)
	v_lshrrev_b32_e32 v100, 16, v14
	v_lshrrev_b32_e32 v98, 16, v15
	v_or_b32_e32 v45, 1, v23
	v_mad_u32_u24 v44, v0, 30, 2
	v_mad_u32_u24 v42, v0, 30, 3
	v_mad_u32_u24 v40, v0, 30, 4
	s_waitcnt lgkmcnt(2)
	v_lshrrev_b32_e32 v96, 16, v12
	v_lshrrev_b32_e32 v94, 16, v13
	v_mad_u32_u24 v43, v0, 30, 5
	v_mad_u32_u24 v41, v0, 30, 6
	v_mad_u32_u24 v38, v0, 30, 7
	v_mad_u32_u24 v36, v0, 30, 8
	s_waitcnt lgkmcnt(1)
	v_lshrrev_b32_e32 v92, 16, v10
	v_lshrrev_b32_e32 v90, 16, v11
	v_mad_u32_u24 v39, v0, 30, 9
	;; [unrolled: 7-line block ×3, first 2 shown]
	v_mad_u32_u24 v33, v0, 30, 14
	v_mad_u32_u24 v30, v0, 30, 15
	;; [unrolled: 1-line block ×3, first 2 shown]
	v_lshrrev_b32_e32 v86, 16, v6
	v_lshrrev_b32_e32 v85, 16, v7
	v_mad_u32_u24 v31, v0, 30, 17
	v_mad_u32_u24 v29, v0, 30, 18
	;; [unrolled: 1-line block ×5, first 2 shown]
	s_mov_b64 s[76:77], 0
	s_and_b64 vcc, exec, s[6:7]
	s_barrier
	s_cbranch_vccz .LBB565_69
; %bb.65:
	v_mov_b32_e32 v47, 0
	global_load_ushort v47, v47, s[4:5] offset:-2
	v_lshlrev_b32_e32 v48, 1, v0
	s_and_b64 vcc, exec, s[70:71]
	ds_write_b16 v48, v1
	s_cbranch_vccz .LBB565_71
; %bb.66:
	v_cmp_ne_u32_e32 vcc, 0, v0
	s_waitcnt vmcnt(0)
	v_mov_b32_e32 v49, v47
	s_waitcnt lgkmcnt(0)
	s_barrier
	s_and_saveexec_b64 s[4:5], vcc
	s_cbranch_execz .LBB565_68
; %bb.67:
	v_add_u32_e32 v49, -2, v48
	ds_read_u16 v49, v49
.LBB565_68:
	s_or_b64 exec, exec, s[4:5]
	v_cmp_ne_u16_e32 vcc, v80, v1
	s_waitcnt lgkmcnt(0)
	v_cmp_ne_u16_e64 s[4:5], v49, v14
	v_cndmask_b32_e64 v89, 0, 1, vcc
	v_cmp_ne_u16_e32 vcc, v81, v80
	s_nop 1
	v_cndmask_b32_e64 v91, 0, 1, vcc
	v_cmp_ne_u16_e32 vcc, v3, v81
	s_nop 1
	;; [unrolled: 3-line block ×28, first 2 shown]
	v_cndmask_b32_e64 v123, 0, 1, vcc
	s_branch .LBB565_75
.LBB565_69:
                                        ; implicit-def: $sgpr4_sgpr5
                                        ; implicit-def: $vgpr123
                                        ; implicit-def: $vgpr122
                                        ; implicit-def: $vgpr121
                                        ; implicit-def: $vgpr120
                                        ; implicit-def: $vgpr119
                                        ; implicit-def: $vgpr118
                                        ; implicit-def: $vgpr117
                                        ; implicit-def: $vgpr116
                                        ; implicit-def: $vgpr115
                                        ; implicit-def: $vgpr114
                                        ; implicit-def: $vgpr113
                                        ; implicit-def: $vgpr112
                                        ; implicit-def: $vgpr111
                                        ; implicit-def: $vgpr110
                                        ; implicit-def: $vgpr109
                                        ; implicit-def: $vgpr108
                                        ; implicit-def: $vgpr107
                                        ; implicit-def: $vgpr106
                                        ; implicit-def: $vgpr105
                                        ; implicit-def: $vgpr104
                                        ; implicit-def: $vgpr103
                                        ; implicit-def: $vgpr102
                                        ; implicit-def: $vgpr101
                                        ; implicit-def: $vgpr99
                                        ; implicit-def: $vgpr97
                                        ; implicit-def: $vgpr95
                                        ; implicit-def: $vgpr93
                                        ; implicit-def: $vgpr91
                                        ; implicit-def: $vgpr89
	s_branch .LBB565_76
.LBB565_70:
                                        ; implicit-def: $sgpr8
	s_branch .LBB565_84
.LBB565_71:
                                        ; implicit-def: $sgpr4_sgpr5
                                        ; implicit-def: $vgpr123
                                        ; implicit-def: $vgpr122
                                        ; implicit-def: $vgpr121
                                        ; implicit-def: $vgpr120
                                        ; implicit-def: $vgpr119
                                        ; implicit-def: $vgpr118
                                        ; implicit-def: $vgpr117
                                        ; implicit-def: $vgpr116
                                        ; implicit-def: $vgpr115
                                        ; implicit-def: $vgpr114
                                        ; implicit-def: $vgpr113
                                        ; implicit-def: $vgpr112
                                        ; implicit-def: $vgpr111
                                        ; implicit-def: $vgpr110
                                        ; implicit-def: $vgpr109
                                        ; implicit-def: $vgpr108
                                        ; implicit-def: $vgpr107
                                        ; implicit-def: $vgpr106
                                        ; implicit-def: $vgpr105
                                        ; implicit-def: $vgpr104
                                        ; implicit-def: $vgpr103
                                        ; implicit-def: $vgpr102
                                        ; implicit-def: $vgpr101
                                        ; implicit-def: $vgpr99
                                        ; implicit-def: $vgpr97
                                        ; implicit-def: $vgpr95
                                        ; implicit-def: $vgpr93
                                        ; implicit-def: $vgpr91
                                        ; implicit-def: $vgpr89
	s_cbranch_execz .LBB565_75
; %bb.72:
	v_cmp_ne_u32_e32 vcc, 0, v0
	s_waitcnt lgkmcnt(0)
	s_barrier
	s_and_saveexec_b64 s[4:5], vcc
	s_cbranch_execz .LBB565_74
; %bb.73:
	s_waitcnt vmcnt(0)
	v_add_u32_e32 v47, -2, v48
	ds_read_u16 v47, v47
.LBB565_74:
	s_or_b64 exec, exec, s[4:5]
	v_cmp_gt_u32_e32 vcc, s3, v16
	v_cmp_ne_u16_e64 s[4:5], v80, v1
	s_and_b64 s[4:5], vcc, s[4:5]
	v_cmp_gt_u32_e32 vcc, s3, v17
	v_cndmask_b32_e64 v89, 0, 1, s[4:5]
	v_cmp_ne_u16_e64 s[4:5], v81, v80
	s_and_b64 s[4:5], vcc, s[4:5]
	v_cmp_gt_u32_e32 vcc, s3, v18
	v_cndmask_b32_e64 v91, 0, 1, s[4:5]
	;; [unrolled: 4-line block ×29, first 2 shown]
	s_waitcnt vmcnt(0) lgkmcnt(0)
	v_cmp_ne_u16_e64 s[4:5], v47, v14
	s_and_b64 s[4:5], vcc, s[4:5]
.LBB565_75:
	s_mov_b64 s[76:77], -1
	s_cbranch_execnz .LBB565_70
.LBB565_76:
	s_movk_i32 s4, 0xffc6
	v_mad_i32_i24 v46, v0, s4, v46
	s_and_b64 vcc, exec, s[70:71]
	v_cmp_ne_u16_e64 s[62:63], v80, v1
	v_cmp_ne_u16_e64 s[4:5], v81, v80
	;; [unrolled: 1-line block ×29, first 2 shown]
	ds_write_b16 v46, v1
	s_cbranch_vccz .LBB565_80
; %bb.77:
	v_cndmask_b32_e64 v89, 0, 1, s[62:63]
	v_cndmask_b32_e64 v91, 0, 1, s[4:5]
	;; [unrolled: 1-line block ×29, first 2 shown]
	v_cmp_ne_u32_e32 vcc, 0, v0
	s_waitcnt lgkmcnt(0)
	s_barrier
	s_waitcnt lgkmcnt(0)
                                        ; implicit-def: $sgpr4_sgpr5
	s_and_saveexec_b64 s[6:7], vcc
	s_xor_b64 s[6:7], exec, s[6:7]
	s_cbranch_execz .LBB565_79
; %bb.78:
	s_waitcnt vmcnt(0)
	v_add_u32_e32 v47, -2, v46
	ds_read_u16 v47, v47
	s_or_b64 s[76:77], s[76:77], exec
	s_waitcnt lgkmcnt(0)
	v_cmp_ne_u16_e32 vcc, v47, v14
	s_and_b64 s[4:5], vcc, exec
.LBB565_79:
	s_or_b64 exec, exec, s[6:7]
	s_mov_b32 s8, 1
	s_branch .LBB565_84
.LBB565_80:
                                        ; implicit-def: $sgpr4_sgpr5
                                        ; implicit-def: $vgpr123
                                        ; implicit-def: $vgpr122
                                        ; implicit-def: $vgpr121
                                        ; implicit-def: $vgpr120
                                        ; implicit-def: $vgpr119
                                        ; implicit-def: $vgpr118
                                        ; implicit-def: $vgpr117
                                        ; implicit-def: $vgpr116
                                        ; implicit-def: $vgpr115
                                        ; implicit-def: $vgpr114
                                        ; implicit-def: $vgpr113
                                        ; implicit-def: $vgpr112
                                        ; implicit-def: $vgpr111
                                        ; implicit-def: $vgpr110
                                        ; implicit-def: $vgpr109
                                        ; implicit-def: $vgpr108
                                        ; implicit-def: $vgpr107
                                        ; implicit-def: $vgpr106
                                        ; implicit-def: $vgpr105
                                        ; implicit-def: $vgpr104
                                        ; implicit-def: $vgpr103
                                        ; implicit-def: $vgpr102
                                        ; implicit-def: $vgpr101
                                        ; implicit-def: $vgpr99
                                        ; implicit-def: $vgpr97
                                        ; implicit-def: $vgpr95
                                        ; implicit-def: $vgpr93
                                        ; implicit-def: $vgpr91
                                        ; implicit-def: $vgpr89
                                        ; implicit-def: $sgpr8
	s_cbranch_execz .LBB565_84
; %bb.81:
	v_cmp_gt_u32_e32 vcc, s3, v16
	v_cmp_ne_u16_e64 s[4:5], v80, v1
	s_and_b64 s[4:5], vcc, s[4:5]
	v_cmp_gt_u32_e32 vcc, s3, v17
	v_cndmask_b32_e64 v89, 0, 1, s[4:5]
	v_cmp_ne_u16_e64 s[4:5], v81, v80
	s_and_b64 s[4:5], vcc, s[4:5]
	v_cmp_gt_u32_e32 vcc, s3, v18
	v_cndmask_b32_e64 v91, 0, 1, s[4:5]
	;; [unrolled: 4-line block ×28, first 2 shown]
	v_cmp_ne_u16_e64 s[4:5], v14, v100
	s_and_b64 s[4:5], vcc, s[4:5]
	v_cmp_ne_u32_e32 vcc, 0, v0
	v_cndmask_b32_e64 v123, 0, 1, s[4:5]
	s_waitcnt lgkmcnt(0)
	s_barrier
	s_waitcnt lgkmcnt(0)
                                        ; implicit-def: $sgpr4_sgpr5
	s_and_saveexec_b64 s[6:7], vcc
	s_cbranch_execz .LBB565_83
; %bb.82:
	v_add_u32_e32 v46, -2, v46
	ds_read_u16 v46, v46
	v_cmp_gt_u32_e32 vcc, s3, v23
	s_or_b64 s[76:77], s[76:77], exec
	s_waitcnt lgkmcnt(0)
	v_cmp_ne_u16_e64 s[4:5], v46, v14
	s_and_b64 s[4:5], vcc, s[4:5]
	s_and_b64 s[4:5], s[4:5], exec
.LBB565_83:
	s_or_b64 exec, exec, s[6:7]
	s_mov_b32 s8, 1
.LBB565_84:
	v_mov_b32_e32 v124, s8
	s_and_saveexec_b64 s[6:7], s[76:77]
; %bb.85:
	v_cndmask_b32_e64 v124, 0, 1, s[4:5]
; %bb.86:
	s_or_b64 exec, exec, s[6:7]
	s_load_dwordx2 s[20:21], s[0:1], 0x60
	s_andn2_b64 vcc, exec, s[72:73]
	s_cbranch_vccnz .LBB565_88
; %bb.87:
	v_cmp_gt_u32_e32 vcc, s3, v23
	s_nop 1
	v_cndmask_b32_e32 v124, 0, v124, vcc
	v_cmp_gt_u32_e32 vcc, s3, v45
	s_nop 1
	v_cndmask_b32_e32 v123, 0, v123, vcc
	;; [unrolled: 3-line block ×30, first 2 shown]
.LBB565_88:
	v_and_b32_e32 v61, 0xff, v95
	v_and_b32_e32 v63, 0xff, v93
	v_add_u32_sdwa v16, v91, v89 dst_sel:DWORD dst_unused:UNUSED_PAD src0_sel:BYTE_0 src1_sel:BYTE_0
	v_and_b32_e32 v57, 0xff, v99
	v_and_b32_e32 v59, 0xff, v97
	v_add3_u32 v16, v16, v63, v61
	v_and_b32_e32 v53, 0xff, v102
	v_and_b32_e32 v55, 0xff, v101
	v_add3_u32 v16, v16, v59, v57
	;; [unrolled: 3-line block ×3, first 2 shown]
	v_and_b32_e32 v45, 0xff, v106
	s_waitcnt vmcnt(0)
	v_and_b32_e32 v47, 0xff, v105
	v_add3_u32 v16, v16, v51, v49
	v_and_b32_e32 v42, 0xff, v108
	v_and_b32_e32 v43, 0xff, v107
	v_add3_u32 v16, v16, v47, v45
	v_and_b32_e32 v40, 0xff, v110
	;; [unrolled: 3-line block ×9, first 2 shown]
	v_and_b32_e32 v27, 0xff, v123
	v_add3_u32 v16, v16, v29, v28
	v_add3_u32 v48, v16, v27, v26
	v_mbcnt_lo_u32_b32 v16, -1, 0
	v_mbcnt_hi_u32_b32 v44, -1, v16
	v_and_b32_e32 v16, 15, v44
	v_cmp_eq_u32_e64 s[14:15], 0, v16
	v_cmp_lt_u32_e64 s[12:13], 1, v16
	v_cmp_lt_u32_e64 s[10:11], 3, v16
	;; [unrolled: 1-line block ×3, first 2 shown]
	v_and_b32_e32 v16, 16, v44
	v_cmp_eq_u32_e64 s[6:7], 0, v16
	v_or_b32_e32 v16, 63, v0
	v_cmp_lt_u32_e64 s[18:19], 31, v44
	v_lshrrev_b32_e32 v46, 6, v0
	v_cmp_eq_u32_e64 s[4:5], v16, v0
	s_and_b64 vcc, exec, s[74:75]
	s_waitcnt lgkmcnt(0)
	s_barrier
	s_cbranch_vccz .LBB565_119
; %bb.89:
	v_mov_b32_dpp v16, v48 row_shr:1 row_mask:0xf bank_mask:0xf
	v_cndmask_b32_e64 v16, v16, 0, s[14:15]
	v_add_u32_e32 v16, v16, v48
	s_nop 1
	v_mov_b32_dpp v17, v16 row_shr:2 row_mask:0xf bank_mask:0xf
	v_cndmask_b32_e64 v17, 0, v17, s[12:13]
	v_add_u32_e32 v16, v16, v17
	s_nop 1
	;; [unrolled: 4-line block ×4, first 2 shown]
	v_mov_b32_dpp v17, v16 row_bcast:15 row_mask:0xf bank_mask:0xf
	v_cndmask_b32_e64 v17, v17, 0, s[6:7]
	v_add_u32_e32 v16, v16, v17
	s_nop 1
	v_mov_b32_dpp v17, v16 row_bcast:31 row_mask:0xf bank_mask:0xf
	v_cndmask_b32_e64 v17, 0, v17, s[18:19]
	v_add_u32_e32 v16, v16, v17
	s_and_saveexec_b64 s[16:17], s[4:5]
	s_cbranch_execz .LBB565_91
; %bb.90:
	v_lshlrev_b32_e32 v17, 2, v46
	ds_write_b32 v17, v16
.LBB565_91:
	s_or_b64 exec, exec, s[16:17]
	v_cmp_gt_u32_e32 vcc, 8, v0
	s_waitcnt lgkmcnt(0)
	s_barrier
	s_and_saveexec_b64 s[16:17], vcc
	s_cbranch_execz .LBB565_93
; %bb.92:
	v_lshlrev_b32_e32 v17, 2, v0
	ds_read_b32 v18, v17
	v_and_b32_e32 v19, 7, v44
	v_cmp_ne_u32_e32 vcc, 0, v19
	s_waitcnt lgkmcnt(0)
	v_mov_b32_dpp v20, v18 row_shr:1 row_mask:0xf bank_mask:0xf
	v_cndmask_b32_e32 v20, 0, v20, vcc
	v_add_u32_e32 v18, v20, v18
	v_cmp_lt_u32_e32 vcc, 1, v19
	s_nop 0
	v_mov_b32_dpp v20, v18 row_shr:2 row_mask:0xf bank_mask:0xf
	v_cndmask_b32_e32 v20, 0, v20, vcc
	v_add_u32_e32 v18, v18, v20
	v_cmp_lt_u32_e32 vcc, 3, v19
	s_nop 0
	v_mov_b32_dpp v20, v18 row_shr:4 row_mask:0xf bank_mask:0xf
	v_cndmask_b32_e32 v19, 0, v20, vcc
	v_add_u32_e32 v18, v18, v19
	ds_write_b32 v17, v18
.LBB565_93:
	s_or_b64 exec, exec, s[16:17]
	v_cmp_gt_u32_e32 vcc, 64, v0
	v_cmp_lt_u32_e64 s[16:17], 63, v0
	s_waitcnt lgkmcnt(0)
	s_barrier
	s_waitcnt lgkmcnt(0)
                                        ; implicit-def: $vgpr50
	s_and_saveexec_b64 s[22:23], s[16:17]
	s_cbranch_execz .LBB565_95
; %bb.94:
	v_lshl_add_u32 v17, v46, 2, -4
	ds_read_b32 v50, v17
	s_waitcnt lgkmcnt(0)
	v_add_u32_e32 v16, v50, v16
.LBB565_95:
	s_or_b64 exec, exec, s[22:23]
	v_add_u32_e32 v17, -1, v44
	v_and_b32_e32 v18, 64, v44
	v_cmp_lt_i32_e64 s[16:17], v17, v18
	s_nop 1
	v_cndmask_b32_e64 v17, v17, v44, s[16:17]
	v_lshlrev_b32_e32 v17, 2, v17
	ds_bpermute_b32 v52, v17, v16
	v_cmp_eq_u32_e64 s[16:17], 0, v44
	s_and_saveexec_b64 s[22:23], vcc
	s_cbranch_execz .LBB565_118
; %bb.96:
	v_mov_b32_e32 v25, 0
	ds_read_b32 v16, v25 offset:28
	s_and_saveexec_b64 s[24:25], s[16:17]
	s_cbranch_execz .LBB565_98
; %bb.97:
	s_add_i32 s26, s2, 64
	s_mov_b32 s27, 0
	s_lshl_b64 s[26:27], s[26:27], 3
	s_add_u32 s26, s20, s26
	v_mov_b32_e32 v17, 1
	s_addc_u32 s27, s21, s27
	s_waitcnt lgkmcnt(0)
	global_store_dwordx2 v25, v[16:17], s[26:27] sc1
.LBB565_98:
	s_or_b64 exec, exec, s[24:25]
	v_xad_u32 v18, v44, -1, s2
	v_add_u32_e32 v24, 64, v18
	v_lshl_add_u64 v[20:21], v[24:25], 3, s[20:21]
	global_load_dwordx2 v[22:23], v[20:21], off sc1
	s_waitcnt vmcnt(0)
	v_cmp_eq_u16_sdwa s[26:27], v23, v25 src0_sel:BYTE_0 src1_sel:DWORD
	s_and_saveexec_b64 s[24:25], s[26:27]
	s_cbranch_execz .LBB565_104
; %bb.99:
	s_mov_b32 s3, 1
	s_mov_b64 s[26:27], 0
	v_mov_b32_e32 v17, 0
.LBB565_100:                            ; =>This Loop Header: Depth=1
                                        ;     Child Loop BB565_101 Depth 2
	s_max_u32 s28, s3, 1
.LBB565_101:                            ;   Parent Loop BB565_100 Depth=1
                                        ; =>  This Inner Loop Header: Depth=2
	s_add_i32 s28, s28, -1
	s_cmp_eq_u32 s28, 0
	s_sleep 1
	s_cbranch_scc0 .LBB565_101
; %bb.102:                              ;   in Loop: Header=BB565_100 Depth=1
	global_load_dwordx2 v[22:23], v[20:21], off sc1
	s_cmp_lt_u32 s3, 32
	s_cselect_b64 s[28:29], -1, 0
	s_cmp_lg_u64 s[28:29], 0
	s_addc_u32 s3, s3, 0
	s_waitcnt vmcnt(0)
	v_cmp_ne_u16_sdwa s[28:29], v23, v17 src0_sel:BYTE_0 src1_sel:DWORD
	s_or_b64 s[26:27], s[28:29], s[26:27]
	s_andn2_b64 exec, exec, s[26:27]
	s_cbranch_execnz .LBB565_100
; %bb.103:
	s_or_b64 exec, exec, s[26:27]
.LBB565_104:
	s_or_b64 exec, exec, s[24:25]
	v_and_b32_e32 v56, 63, v44
	v_mov_b32_e32 v54, 2
	v_cmp_ne_u32_e32 vcc, 63, v56
	v_cmp_eq_u16_sdwa s[24:25], v23, v54 src0_sel:BYTE_0 src1_sel:DWORD
	v_lshlrev_b64 v[20:21], v44, -1
	v_addc_co_u32_e32 v24, vcc, 0, v44, vcc
	v_and_b32_e32 v17, s25, v21
	v_lshlrev_b32_e32 v58, 2, v24
	v_or_b32_e32 v17, 0x80000000, v17
	ds_bpermute_b32 v24, v58, v22
	v_and_b32_e32 v19, s24, v20
	v_ffbl_b32_e32 v17, v17
	v_add_u32_e32 v17, 32, v17
	v_ffbl_b32_e32 v19, v19
	v_min_u32_e32 v17, v19, v17
	v_cmp_lt_u32_e32 vcc, v56, v17
	v_add_u32_e32 v62, 2, v56
	v_add_u32_e32 v65, 4, v56
	s_waitcnt lgkmcnt(0)
	v_cndmask_b32_e32 v19, 0, v24, vcc
	v_cmp_gt_u32_e32 vcc, 62, v56
	v_add_u32_e32 v19, v19, v22
	v_add_u32_e32 v67, 8, v56
	v_cndmask_b32_e64 v22, 0, 1, vcc
	v_lshlrev_b32_e32 v22, 1, v22
	v_add_lshl_u32 v60, v22, v44, 2
	ds_bpermute_b32 v22, v60, v19
	v_cmp_le_u32_e32 vcc, v62, v17
	v_add_u32_e32 v69, 16, v56
	v_add_u32_e32 v71, 32, v56
	s_waitcnt lgkmcnt(0)
	v_cndmask_b32_e32 v22, 0, v22, vcc
	v_cmp_gt_u32_e32 vcc, 60, v56
	v_add_u32_e32 v19, v19, v22
	s_nop 0
	v_cndmask_b32_e64 v22, 0, 1, vcc
	v_lshlrev_b32_e32 v22, 2, v22
	v_add_lshl_u32 v64, v22, v44, 2
	ds_bpermute_b32 v22, v64, v19
	v_cmp_le_u32_e32 vcc, v65, v17
	s_waitcnt lgkmcnt(0)
	s_nop 0
	v_cndmask_b32_e32 v22, 0, v22, vcc
	v_cmp_gt_u32_e32 vcc, 56, v56
	v_add_u32_e32 v19, v19, v22
	s_nop 0
	v_cndmask_b32_e64 v22, 0, 1, vcc
	v_lshlrev_b32_e32 v22, 3, v22
	v_add_lshl_u32 v66, v22, v44, 2
	ds_bpermute_b32 v22, v66, v19
	v_cmp_le_u32_e32 vcc, v67, v17
	s_waitcnt lgkmcnt(0)
	s_nop 0
	;; [unrolled: 11-line block ×4, first 2 shown]
	v_cndmask_b32_e32 v17, 0, v22, vcc
	v_add_u32_e32 v22, v19, v17
	v_mov_b32_e32 v19, 0
	s_branch .LBB565_106
.LBB565_105:                            ;   in Loop: Header=BB565_106 Depth=1
	s_or_b64 exec, exec, s[24:25]
	v_cmp_eq_u16_sdwa s[24:25], v23, v54 src0_sel:BYTE_0 src1_sel:DWORD
	ds_bpermute_b32 v72, v58, v22
	v_subrev_u32_e32 v18, 64, v18
	v_and_b32_e32 v24, s25, v21
	v_or_b32_e32 v24, 0x80000000, v24
	v_and_b32_e32 v25, s24, v20
	v_ffbl_b32_e32 v24, v24
	v_add_u32_e32 v24, 32, v24
	v_ffbl_b32_e32 v25, v25
	v_min_u32_e32 v24, v25, v24
	v_cmp_lt_u32_e32 vcc, v56, v24
	s_waitcnt lgkmcnt(0)
	s_nop 0
	v_cndmask_b32_e32 v25, 0, v72, vcc
	v_add_u32_e32 v22, v25, v22
	ds_bpermute_b32 v25, v60, v22
	v_cmp_le_u32_e32 vcc, v62, v24
	s_waitcnt lgkmcnt(0)
	s_nop 0
	v_cndmask_b32_e32 v25, 0, v25, vcc
	v_add_u32_e32 v22, v22, v25
	ds_bpermute_b32 v25, v64, v22
	v_cmp_le_u32_e32 vcc, v65, v24
	;; [unrolled: 6-line block ×5, first 2 shown]
	s_waitcnt lgkmcnt(0)
	s_nop 0
	v_cndmask_b32_e32 v24, 0, v25, vcc
	v_add3_u32 v22, v24, v17, v22
.LBB565_106:                            ; =>This Loop Header: Depth=1
                                        ;     Child Loop BB565_109 Depth 2
                                        ;       Child Loop BB565_110 Depth 3
	v_cmp_ne_u16_sdwa s[24:25], v23, v54 src0_sel:BYTE_0 src1_sel:DWORD
	s_nop 1
	v_cndmask_b32_e64 v17, 0, 1, s[24:25]
	;;#ASMSTART
	;;#ASMEND
	s_nop 0
	v_cmp_ne_u32_e32 vcc, 0, v17
	s_cmp_lg_u64 vcc, exec
	v_mov_b32_e32 v17, v22
	s_cbranch_scc1 .LBB565_113
; %bb.107:                              ;   in Loop: Header=BB565_106 Depth=1
	v_lshl_add_u64 v[24:25], v[18:19], 3, s[20:21]
	global_load_dwordx2 v[22:23], v[24:25], off sc1
	s_waitcnt vmcnt(0)
	v_cmp_eq_u16_sdwa s[26:27], v23, v19 src0_sel:BYTE_0 src1_sel:DWORD
	s_and_saveexec_b64 s[24:25], s[26:27]
	s_cbranch_execz .LBB565_105
; %bb.108:                              ;   in Loop: Header=BB565_106 Depth=1
	s_mov_b32 s3, 1
	s_mov_b64 s[26:27], 0
.LBB565_109:                            ;   Parent Loop BB565_106 Depth=1
                                        ; =>  This Loop Header: Depth=2
                                        ;       Child Loop BB565_110 Depth 3
	s_max_u32 s28, s3, 1
.LBB565_110:                            ;   Parent Loop BB565_106 Depth=1
                                        ;     Parent Loop BB565_109 Depth=2
                                        ; =>    This Inner Loop Header: Depth=3
	s_add_i32 s28, s28, -1
	s_cmp_eq_u32 s28, 0
	s_sleep 1
	s_cbranch_scc0 .LBB565_110
; %bb.111:                              ;   in Loop: Header=BB565_109 Depth=2
	global_load_dwordx2 v[22:23], v[24:25], off sc1
	s_cmp_lt_u32 s3, 32
	s_cselect_b64 s[28:29], -1, 0
	s_cmp_lg_u64 s[28:29], 0
	s_addc_u32 s3, s3, 0
	s_waitcnt vmcnt(0)
	v_cmp_ne_u16_sdwa s[28:29], v23, v19 src0_sel:BYTE_0 src1_sel:DWORD
	s_or_b64 s[26:27], s[28:29], s[26:27]
	s_andn2_b64 exec, exec, s[26:27]
	s_cbranch_execnz .LBB565_109
; %bb.112:                              ;   in Loop: Header=BB565_106 Depth=1
	s_or_b64 exec, exec, s[26:27]
	s_branch .LBB565_105
.LBB565_113:                            ;   in Loop: Header=BB565_106 Depth=1
                                        ; implicit-def: $vgpr22
                                        ; implicit-def: $vgpr23
	s_cbranch_execz .LBB565_106
; %bb.114:
	s_and_saveexec_b64 s[24:25], s[16:17]
	s_cbranch_execz .LBB565_116
; %bb.115:
	s_add_i32 s2, s2, 64
	s_mov_b32 s3, 0
	s_lshl_b64 s[2:3], s[2:3], 3
	s_add_u32 s2, s20, s2
	v_add_u32_e32 v18, v17, v16
	v_mov_b32_e32 v19, 2
	s_addc_u32 s3, s21, s3
	v_mov_b32_e32 v20, 0
	global_store_dwordx2 v20, v[18:19], s[2:3] sc1
	ds_write_b64 v20, v[16:17] offset:30720
.LBB565_116:
	s_or_b64 exec, exec, s[24:25]
	v_cmp_eq_u32_e32 vcc, 0, v0
	s_and_b64 exec, exec, vcc
	s_cbranch_execz .LBB565_118
; %bb.117:
	v_mov_b32_e32 v16, 0
	ds_write_b32 v16, v17 offset:28
.LBB565_118:
	s_or_b64 exec, exec, s[22:23]
	v_mov_b32_e32 v16, 0
	s_waitcnt lgkmcnt(0)
	s_barrier
	ds_read_b32 v19, v16 offset:28
	s_waitcnt lgkmcnt(0)
	s_barrier
	ds_read_b64 v[16:17], v16 offset:30720
	v_cndmask_b32_e64 v18, v52, v50, s[16:17]
	v_cmp_ne_u32_e32 vcc, 0, v0
	s_nop 1
	v_cndmask_b32_e32 v18, 0, v18, vcc
	v_add_u32_e32 v72, v19, v18
	s_waitcnt lgkmcnt(0)
	v_mov_b32_e32 v18, v17
	s_load_dwordx2 s[2:3], s[0:1], 0x28
	s_branch .LBB565_129
.LBB565_119:
                                        ; implicit-def: $vgpr18
                                        ; implicit-def: $vgpr16
                                        ; implicit-def: $vgpr72
	s_load_dwordx2 s[2:3], s[0:1], 0x28
	s_cbranch_execz .LBB565_129
; %bb.120:
	v_mov_b32_dpp v16, v48 row_shr:1 row_mask:0xf bank_mask:0xf
	v_cndmask_b32_e64 v16, v16, 0, s[14:15]
	v_add_u32_e32 v16, v16, v48
	s_nop 1
	v_mov_b32_dpp v17, v16 row_shr:2 row_mask:0xf bank_mask:0xf
	v_cndmask_b32_e64 v17, 0, v17, s[12:13]
	v_add_u32_e32 v16, v16, v17
	s_nop 1
	;; [unrolled: 4-line block ×4, first 2 shown]
	v_mov_b32_dpp v17, v16 row_bcast:15 row_mask:0xf bank_mask:0xf
	v_cndmask_b32_e64 v17, v17, 0, s[6:7]
	v_add_u32_e32 v16, v16, v17
	s_nop 1
	v_mov_b32_dpp v17, v16 row_bcast:31 row_mask:0xf bank_mask:0xf
	v_cndmask_b32_e64 v17, 0, v17, s[18:19]
	v_add_u32_e32 v16, v16, v17
	s_and_saveexec_b64 s[0:1], s[4:5]
	s_cbranch_execz .LBB565_122
; %bb.121:
	v_lshlrev_b32_e32 v17, 2, v46
	ds_write_b32 v17, v16
.LBB565_122:
	s_or_b64 exec, exec, s[0:1]
	v_cmp_gt_u32_e32 vcc, 8, v0
	s_waitcnt lgkmcnt(0)
	s_barrier
	s_and_saveexec_b64 s[0:1], vcc
	s_cbranch_execz .LBB565_124
; %bb.123:
	v_lshlrev_b32_e32 v17, 2, v0
	ds_read_b32 v18, v17
	v_and_b32_e32 v19, 7, v44
	v_cmp_ne_u32_e32 vcc, 0, v19
	s_waitcnt lgkmcnt(0)
	v_mov_b32_dpp v20, v18 row_shr:1 row_mask:0xf bank_mask:0xf
	v_cndmask_b32_e32 v20, 0, v20, vcc
	v_add_u32_e32 v18, v20, v18
	v_cmp_lt_u32_e32 vcc, 1, v19
	s_nop 0
	v_mov_b32_dpp v20, v18 row_shr:2 row_mask:0xf bank_mask:0xf
	v_cndmask_b32_e32 v20, 0, v20, vcc
	v_add_u32_e32 v18, v18, v20
	v_cmp_lt_u32_e32 vcc, 3, v19
	s_nop 0
	v_mov_b32_dpp v20, v18 row_shr:4 row_mask:0xf bank_mask:0xf
	v_cndmask_b32_e32 v19, 0, v20, vcc
	v_add_u32_e32 v18, v18, v19
	ds_write_b32 v17, v18
.LBB565_124:
	s_or_b64 exec, exec, s[0:1]
	v_cmp_lt_u32_e32 vcc, 63, v0
	v_mov_b32_e32 v17, 0
	v_mov_b32_e32 v18, 0
	s_waitcnt lgkmcnt(0)
	s_barrier
	s_and_saveexec_b64 s[0:1], vcc
	s_cbranch_execz .LBB565_126
; %bb.125:
	v_lshl_add_u32 v18, v46, 2, -4
	ds_read_b32 v18, v18
.LBB565_126:
	s_or_b64 exec, exec, s[0:1]
	v_add_u32_e32 v19, -1, v44
	v_and_b32_e32 v20, 64, v44
	v_cmp_lt_i32_e32 vcc, v19, v20
	s_waitcnt lgkmcnt(0)
	v_add_u32_e32 v16, v18, v16
	v_cndmask_b32_e32 v19, v19, v44, vcc
	v_lshlrev_b32_e32 v19, 2, v19
	ds_bpermute_b32 v19, v19, v16
	ds_read_b32 v16, v17 offset:28
	v_cmp_eq_u32_e32 vcc, 0, v0
	s_and_saveexec_b64 s[0:1], vcc
	s_cbranch_execz .LBB565_128
; %bb.127:
	v_mov_b32_e32 v20, 0
	v_mov_b32_e32 v17, 2
	s_waitcnt lgkmcnt(0)
	global_store_dwordx2 v20, v[16:17], s[20:21] offset:512 sc1
.LBB565_128:
	s_or_b64 exec, exec, s[0:1]
	v_cmp_eq_u32_e64 s[0:1], 0, v44
	s_waitcnt lgkmcnt(0)
	s_barrier
	v_cndmask_b32_e64 v17, v19, v18, s[0:1]
	v_mov_b32_e32 v18, 0
	v_cndmask_b32_e64 v72, v17, 0, vcc
.LBB565_129:
	v_add_u32_e32 v78, v72, v26
	v_add_u32_e32 v76, v78, v27
	;; [unrolled: 1-line block ×27, first 2 shown]
	s_movk_i32 s0, 0x201
	v_add_u32_e32 v22, v24, v63
	v_cmp_gt_u32_e32 vcc, s0, v16
	v_add_u32_sdwa v20, v22, v91 dst_sel:DWORD dst_unused:UNUSED_PAD src0_sel:DWORD src1_sel:BYTE_0
	s_mov_b64 s[0:1], -1
	s_cbranch_vccnz .LBB565_133
; %bb.130:
	s_and_b64 vcc, exec, s[0:1]
	s_cbranch_vccnz .LBB565_224
.LBB565_131:
	v_cmp_eq_u32_e32 vcc, 0, v0
	s_and_b64 s[0:1], vcc, s[68:69]
	s_waitcnt lgkmcnt(0)
	s_and_saveexec_b64 s[2:3], s[0:1]
	s_cbranch_execnz .LBB565_298
.LBB565_132:
	s_endpgm
.LBB565_133:
	v_add_u32_e32 v17, v18, v16
	s_lshl_b64 s[0:1], s[66:67], 1
	s_waitcnt lgkmcnt(0)
	s_add_u32 s0, s2, s0
	v_cmp_lt_u32_e32 vcc, v72, v17
	s_addc_u32 s1, s3, s1
	s_or_b64 s[6:7], s[70:71], vcc
	s_and_saveexec_b64 s[4:5], s[6:7]
	s_cbranch_execz .LBB565_136
; %bb.134:
	v_and_b32_e32 v19, 1, v124
	v_cmp_eq_u32_e32 vcc, 1, v19
	s_and_b64 exec, exec, vcc
	s_cbranch_execz .LBB565_136
; %bb.135:
	v_mov_b32_e32 v73, 0
	v_lshl_add_u64 v[126:127], v[72:73], 1, s[0:1]
	global_store_short v[126:127], v14, off
.LBB565_136:
	s_or_b64 exec, exec, s[4:5]
	v_cmp_lt_u32_e32 vcc, v78, v17
	s_or_b64 s[6:7], s[70:71], vcc
	s_and_saveexec_b64 s[4:5], s[6:7]
	s_cbranch_execz .LBB565_139
; %bb.137:
	v_and_b32_e32 v19, 1, v123
	v_cmp_eq_u32_e32 vcc, 1, v19
	s_and_b64 exec, exec, vcc
	s_cbranch_execz .LBB565_139
; %bb.138:
	v_mov_b32_e32 v79, 0
	v_lshl_add_u64 v[126:127], v[78:79], 1, s[0:1]
	global_store_short v[126:127], v100, off
.LBB565_139:
	s_or_b64 exec, exec, s[4:5]
	v_cmp_lt_u32_e32 vcc, v76, v17
	;; [unrolled: 15-line block ×29, first 2 shown]
	s_or_b64 s[6:7], s[70:71], vcc
	s_and_saveexec_b64 s[4:5], s[6:7]
	s_cbranch_execz .LBB565_223
; %bb.221:
	v_and_b32_e32 v17, 1, v89
	v_cmp_eq_u32_e32 vcc, 1, v17
	s_and_b64 exec, exec, vcc
	s_cbranch_execz .LBB565_223
; %bb.222:
	v_mov_b32_e32 v21, 0
	v_lshl_add_u64 v[126:127], v[20:21], 1, s[0:1]
	global_store_short v[126:127], v1, off
.LBB565_223:
	s_or_b64 exec, exec, s[4:5]
	s_branch .LBB565_131
.LBB565_224:
	v_and_b32_e32 v17, 1, v124
	v_cmp_eq_u32_e32 vcc, 1, v17
	s_and_saveexec_b64 s[0:1], vcc
	s_cbranch_execz .LBB565_226
; %bb.225:
	v_sub_u32_e32 v17, v72, v18
	v_lshlrev_b32_e32 v17, 1, v17
	ds_write_b16 v17, v14
.LBB565_226:
	s_or_b64 exec, exec, s[0:1]
	v_and_b32_e32 v14, 1, v123
	v_cmp_eq_u32_e32 vcc, 1, v14
	s_and_saveexec_b64 s[0:1], vcc
	s_cbranch_execz .LBB565_228
; %bb.227:
	v_sub_u32_e32 v14, v78, v18
	v_lshlrev_b32_e32 v14, 1, v14
	ds_write_b16 v14, v100
.LBB565_228:
	s_or_b64 exec, exec, s[0:1]
	;; [unrolled: 10-line block ×30, first 2 shown]
	v_cmp_lt_u32_e32 vcc, v0, v16
	s_waitcnt lgkmcnt(0)
	s_barrier
	s_and_saveexec_b64 s[0:1], vcc
	s_cbranch_execz .LBB565_297
; %bb.285:
	s_lshl_b64 s[4:5], s[66:67], 1
	v_mov_b32_e32 v19, 0
	s_add_u32 s2, s2, s4
	s_addc_u32 s3, s3, s5
	v_lshlrev_b64 v[2:3], 1, v[18:19]
	v_lshl_add_u64 v[8:9], s[2:3], 0, v[2:3]
	v_xad_u32 v1, v0, -1, v16
	s_movk_i32 s2, 0x5ff
	v_cmp_lt_u32_e32 vcc, s2, v1
	s_mov_b64 s[4:5], -1
	v_mov_b32_e32 v2, v0
	s_and_saveexec_b64 s[2:3], vcc
	s_cbranch_execz .LBB565_294
; %bb.286:
	v_lshrrev_b32_e32 v12, 9, v1
	v_add_u32_e32 v4, -3, v12
	v_or_b32_e32 v3, 0x600, v0
	v_or_b32_e32 v2, 0x400, v0
	v_lshrrev_b32_e32 v5, 2, v4
	v_or_b32_e32 v1, 0x200, v0
	v_add_u32_e32 v14, 1, v5
	v_cmp_lt_u32_e32 vcc, 11, v4
	v_mov_b64_e32 v[6:7], v[2:3]
	v_lshlrev_b32_e32 v13, 1, v0
	v_mov_b64_e32 v[4:5], v[0:1]
	s_and_saveexec_b64 s[4:5], vcc
	s_cbranch_execz .LBB565_290
; %bb.287:
	v_mov_b64_e32 v[6:7], v[2:3]
	v_and_b32_e32 v15, 0x7ffffffc, v14
	s_mov_b32 s8, 0
	s_mov_b64 s[6:7], 0
	v_mov_b32_e32 v11, 0
	v_mov_b32_e32 v17, v13
	v_mov_b64_e32 v[4:5], v[0:1]
.LBB565_288:                            ; =>This Inner Loop Header: Depth=1
	v_mov_b32_e32 v10, v4
	ds_read_u16 v1, v17
	ds_read_u16 v44, v17 offset:1024
	ds_read_u16 v45, v17 offset:2048
	ds_read_u16 v46, v17 offset:3072
	ds_read_u16 v47, v17 offset:4096
	ds_read_u16 v48, v17 offset:5120
	ds_read_u16 v49, v17 offset:6144
	ds_read_u16 v50, v17 offset:7168
	v_lshl_add_u64 v[36:37], v[10:11], 1, v[8:9]
	v_mov_b32_e32 v10, v5
	v_lshl_add_u64 v[38:39], v[10:11], 1, v[8:9]
	v_mov_b32_e32 v10, v6
	ds_read_u16 v51, v17 offset:8192
	ds_read_u16 v52, v17 offset:9216
	ds_read_u16 v53, v17 offset:10240
	ds_read_u16 v54, v17 offset:11264
	ds_read_u16 v55, v17 offset:12288
	ds_read_u16 v56, v17 offset:13312
	ds_read_u16 v57, v17 offset:14336
	ds_read_u16 v58, v17 offset:15360
	v_lshl_add_u64 v[40:41], v[10:11], 1, v[8:9]
	v_mov_b32_e32 v10, v7
	v_add_u32_e32 v2, 0x800, v7
	v_mov_b32_e32 v3, v11
	v_lshl_add_u64 v[42:43], v[10:11], 1, v[8:9]
	v_add_u32_e32 v10, 0x800, v4
	v_add_u32_e32 v20, 0x800, v6
	;; [unrolled: 1-line block ×3, first 2 shown]
	v_mov_b32_e32 v23, v11
	v_mov_b32_e32 v21, v11
	v_add_u32_e32 v15, -4, v15
	v_lshl_add_u64 v[2:3], v[2:3], 1, v[8:9]
	s_waitcnt lgkmcnt(14)
	global_store_short v[36:37], v1, off
	global_store_short v[38:39], v44, off
	s_waitcnt lgkmcnt(13)
	global_store_short v[40:41], v45, off
	s_waitcnt lgkmcnt(12)
	global_store_short v[42:43], v46, off
	v_lshl_add_u64 v[36:37], v[10:11], 1, v[8:9]
	v_add_u32_e32 v10, 0x1000, v4
	v_add_u32_e32 v24, 0x1000, v7
	;; [unrolled: 1-line block ×4, first 2 shown]
	v_mov_b32_e32 v29, v11
	v_mov_b32_e32 v27, v11
	;; [unrolled: 1-line block ×3, first 2 shown]
	s_add_i32 s8, s8, 16
	v_lshl_add_u64 v[22:23], v[22:23], 1, v[8:9]
	v_lshl_add_u64 v[20:21], v[20:21], 1, v[8:9]
	v_cmp_eq_u32_e32 vcc, 0, v15
	s_waitcnt lgkmcnt(11)
	global_store_short v[36:37], v47, off
	s_waitcnt lgkmcnt(10)
	global_store_short v[22:23], v48, off
	;; [unrolled: 2-line block ×4, first 2 shown]
	v_lshl_add_u64 v[2:3], v[10:11], 1, v[8:9]
	v_add_u32_e32 v10, 0x1800, v4
	v_add_u32_e32 v30, 0x1800, v7
	;; [unrolled: 1-line block ×4, first 2 shown]
	v_mov_b32_e32 v35, v11
	v_mov_b32_e32 v33, v11
	;; [unrolled: 1-line block ×3, first 2 shown]
	v_add_u32_e32 v17, 0x4000, v17
	v_lshl_add_u64 v[28:29], v[28:29], 1, v[8:9]
	v_lshl_add_u64 v[26:27], v[26:27], 1, v[8:9]
	;; [unrolled: 1-line block ×3, first 2 shown]
	v_add_u32_e32 v5, 0x2000, v5
	v_mov_b32_e32 v19, s8
	v_add_u32_e32 v6, 0x2000, v6
	s_or_b64 s[6:7], vcc, s[6:7]
	v_add_u32_e32 v7, 0x2000, v7
	v_add_u32_e32 v4, 0x2000, v4
	s_waitcnt lgkmcnt(7)
	global_store_short v[2:3], v51, off
	s_waitcnt lgkmcnt(6)
	global_store_short v[28:29], v52, off
	;; [unrolled: 2-line block ×4, first 2 shown]
	v_lshl_add_u64 v[2:3], v[10:11], 1, v[8:9]
	v_lshl_add_u64 v[34:35], v[34:35], 1, v[8:9]
	;; [unrolled: 1-line block ×4, first 2 shown]
	s_waitcnt lgkmcnt(3)
	global_store_short v[2:3], v55, off
	s_waitcnt lgkmcnt(2)
	global_store_short v[34:35], v56, off
	;; [unrolled: 2-line block ×4, first 2 shown]
	s_andn2_b64 exec, exec, s[6:7]
	s_cbranch_execnz .LBB565_288
; %bb.289:
	s_or_b64 exec, exec, s[6:7]
.LBB565_290:
	s_or_b64 exec, exec, s[4:5]
	v_and_b32_e32 v1, 3, v14
	v_cmp_ne_u32_e32 vcc, 0, v1
	s_and_saveexec_b64 s[4:5], vcc
	s_cbranch_execz .LBB565_293
; %bb.291:
	v_lshl_or_b32 v10, v19, 10, v13
	s_mov_b64 s[6:7], 0
	v_mov_b32_e32 v3, 0
.LBB565_292:                            ; =>This Inner Loop Header: Depth=1
	ds_read_u16 v11, v10
	ds_read_u16 v13, v10 offset:1024
	ds_read_u16 v17, v10 offset:2048
	;; [unrolled: 1-line block ×3, first 2 shown]
	v_mov_b32_e32 v2, v4
	v_add_u32_e32 v1, -1, v1
	v_lshl_add_u64 v[14:15], v[2:3], 1, v[8:9]
	v_mov_b32_e32 v2, v5
	v_cmp_eq_u32_e32 vcc, 0, v1
	v_lshl_add_u64 v[20:21], v[2:3], 1, v[8:9]
	v_mov_b32_e32 v2, v6
	v_add_u32_e32 v4, 0x800, v4
	v_add_u32_e32 v10, 0x1000, v10
	v_add_u32_e32 v5, 0x800, v5
	v_add_u32_e32 v6, 0x800, v6
	s_or_b64 s[6:7], vcc, s[6:7]
	v_lshl_add_u64 v[22:23], v[2:3], 1, v[8:9]
	v_mov_b32_e32 v2, v7
	v_add_u32_e32 v7, 0x800, v7
	v_lshl_add_u64 v[24:25], v[2:3], 1, v[8:9]
	s_waitcnt lgkmcnt(3)
	global_store_short v[14:15], v11, off
	s_waitcnt lgkmcnt(2)
	global_store_short v[20:21], v13, off
	;; [unrolled: 2-line block ×4, first 2 shown]
	s_andn2_b64 exec, exec, s[6:7]
	s_cbranch_execnz .LBB565_292
.LBB565_293:
	s_or_b64 exec, exec, s[4:5]
	v_add_u32_e32 v1, 1, v12
	v_and_b32_e32 v3, 0xfffffc, v1
	v_cmp_ne_u32_e32 vcc, v1, v3
	v_lshl_or_b32 v2, v3, 9, v0
	s_orn2_b64 s[4:5], vcc, exec
.LBB565_294:
	s_or_b64 exec, exec, s[2:3]
	s_and_b64 exec, exec, s[4:5]
	s_cbranch_execz .LBB565_297
; %bb.295:
	v_lshlrev_b32_e32 v1, 1, v2
	s_mov_b64 s[2:3], 0
	v_mov_b32_e32 v3, 0
.LBB565_296:                            ; =>This Inner Loop Header: Depth=1
	ds_read_u16 v6, v1
	v_lshl_add_u64 v[4:5], v[2:3], 1, v[8:9]
	v_add_u32_e32 v2, 0x200, v2
	v_cmp_ge_u32_e32 vcc, v2, v16
	v_add_u32_e32 v1, 0x400, v1
	s_or_b64 s[2:3], vcc, s[2:3]
	s_waitcnt lgkmcnt(0)
	global_store_short v[4:5], v6, off
	s_andn2_b64 exec, exec, s[2:3]
	s_cbranch_execnz .LBB565_296
.LBB565_297:
	s_or_b64 exec, exec, s[0:1]
	v_cmp_eq_u32_e32 vcc, 0, v0
	s_and_b64 s[0:1], vcc, s[68:69]
	s_and_saveexec_b64 s[2:3], s[0:1]
	s_cbranch_execz .LBB565_132
.LBB565_298:
	v_mov_b32_e32 v17, 0
	v_lshl_add_u64 v[0:1], s[66:67], 0, v[16:17]
	v_mov_b32_e32 v19, v17
	v_lshl_add_u64 v[0:1], v[0:1], 0, v[18:19]
	global_store_dwordx2 v17, v[0:1], s[64:65]
	s_endpgm
	.section	.rodata,"a",@progbits
	.p2align	6, 0x0
	.amdhsa_kernel _ZN7rocprim17ROCPRIM_400000_NS6detail17trampoline_kernelINS0_14default_configENS1_25partition_config_selectorILNS1_17partition_subalgoE8EsNS0_10empty_typeEbEEZZNS1_14partition_implILS5_8ELb0ES3_jPKsPS6_PKS6_NS0_5tupleIJPsS6_EEENSE_IJSB_SB_EEENS0_18inequality_wrapperIN6hipcub16HIPCUB_304000_NS8EqualityEEEPlJS6_EEE10hipError_tPvRmT3_T4_T5_T6_T7_T9_mT8_P12ihipStream_tbDpT10_ENKUlT_T0_E_clISt17integral_constantIbLb1EES16_IbLb0EEEEDaS12_S13_EUlS12_E_NS1_11comp_targetILNS1_3genE5ELNS1_11target_archE942ELNS1_3gpuE9ELNS1_3repE0EEENS1_30default_config_static_selectorELNS0_4arch9wavefront6targetE1EEEvT1_
		.amdhsa_group_segment_fixed_size 30728
		.amdhsa_private_segment_fixed_size 0
		.amdhsa_kernarg_size 112
		.amdhsa_user_sgpr_count 2
		.amdhsa_user_sgpr_dispatch_ptr 0
		.amdhsa_user_sgpr_queue_ptr 0
		.amdhsa_user_sgpr_kernarg_segment_ptr 1
		.amdhsa_user_sgpr_dispatch_id 0
		.amdhsa_user_sgpr_kernarg_preload_length 0
		.amdhsa_user_sgpr_kernarg_preload_offset 0
		.amdhsa_user_sgpr_private_segment_size 0
		.amdhsa_uses_dynamic_stack 0
		.amdhsa_enable_private_segment 0
		.amdhsa_system_sgpr_workgroup_id_x 1
		.amdhsa_system_sgpr_workgroup_id_y 0
		.amdhsa_system_sgpr_workgroup_id_z 0
		.amdhsa_system_sgpr_workgroup_info 0
		.amdhsa_system_vgpr_workitem_id 0
		.amdhsa_next_free_vgpr 128
		.amdhsa_next_free_sgpr 78
		.amdhsa_accum_offset 128
		.amdhsa_reserve_vcc 1
		.amdhsa_float_round_mode_32 0
		.amdhsa_float_round_mode_16_64 0
		.amdhsa_float_denorm_mode_32 3
		.amdhsa_float_denorm_mode_16_64 3
		.amdhsa_dx10_clamp 1
		.amdhsa_ieee_mode 1
		.amdhsa_fp16_overflow 0
		.amdhsa_tg_split 0
		.amdhsa_exception_fp_ieee_invalid_op 0
		.amdhsa_exception_fp_denorm_src 0
		.amdhsa_exception_fp_ieee_div_zero 0
		.amdhsa_exception_fp_ieee_overflow 0
		.amdhsa_exception_fp_ieee_underflow 0
		.amdhsa_exception_fp_ieee_inexact 0
		.amdhsa_exception_int_div_zero 0
	.end_amdhsa_kernel
	.section	.text._ZN7rocprim17ROCPRIM_400000_NS6detail17trampoline_kernelINS0_14default_configENS1_25partition_config_selectorILNS1_17partition_subalgoE8EsNS0_10empty_typeEbEEZZNS1_14partition_implILS5_8ELb0ES3_jPKsPS6_PKS6_NS0_5tupleIJPsS6_EEENSE_IJSB_SB_EEENS0_18inequality_wrapperIN6hipcub16HIPCUB_304000_NS8EqualityEEEPlJS6_EEE10hipError_tPvRmT3_T4_T5_T6_T7_T9_mT8_P12ihipStream_tbDpT10_ENKUlT_T0_E_clISt17integral_constantIbLb1EES16_IbLb0EEEEDaS12_S13_EUlS12_E_NS1_11comp_targetILNS1_3genE5ELNS1_11target_archE942ELNS1_3gpuE9ELNS1_3repE0EEENS1_30default_config_static_selectorELNS0_4arch9wavefront6targetE1EEEvT1_,"axG",@progbits,_ZN7rocprim17ROCPRIM_400000_NS6detail17trampoline_kernelINS0_14default_configENS1_25partition_config_selectorILNS1_17partition_subalgoE8EsNS0_10empty_typeEbEEZZNS1_14partition_implILS5_8ELb0ES3_jPKsPS6_PKS6_NS0_5tupleIJPsS6_EEENSE_IJSB_SB_EEENS0_18inequality_wrapperIN6hipcub16HIPCUB_304000_NS8EqualityEEEPlJS6_EEE10hipError_tPvRmT3_T4_T5_T6_T7_T9_mT8_P12ihipStream_tbDpT10_ENKUlT_T0_E_clISt17integral_constantIbLb1EES16_IbLb0EEEEDaS12_S13_EUlS12_E_NS1_11comp_targetILNS1_3genE5ELNS1_11target_archE942ELNS1_3gpuE9ELNS1_3repE0EEENS1_30default_config_static_selectorELNS0_4arch9wavefront6targetE1EEEvT1_,comdat
.Lfunc_end565:
	.size	_ZN7rocprim17ROCPRIM_400000_NS6detail17trampoline_kernelINS0_14default_configENS1_25partition_config_selectorILNS1_17partition_subalgoE8EsNS0_10empty_typeEbEEZZNS1_14partition_implILS5_8ELb0ES3_jPKsPS6_PKS6_NS0_5tupleIJPsS6_EEENSE_IJSB_SB_EEENS0_18inequality_wrapperIN6hipcub16HIPCUB_304000_NS8EqualityEEEPlJS6_EEE10hipError_tPvRmT3_T4_T5_T6_T7_T9_mT8_P12ihipStream_tbDpT10_ENKUlT_T0_E_clISt17integral_constantIbLb1EES16_IbLb0EEEEDaS12_S13_EUlS12_E_NS1_11comp_targetILNS1_3genE5ELNS1_11target_archE942ELNS1_3gpuE9ELNS1_3repE0EEENS1_30default_config_static_selectorELNS0_4arch9wavefront6targetE1EEEvT1_, .Lfunc_end565-_ZN7rocprim17ROCPRIM_400000_NS6detail17trampoline_kernelINS0_14default_configENS1_25partition_config_selectorILNS1_17partition_subalgoE8EsNS0_10empty_typeEbEEZZNS1_14partition_implILS5_8ELb0ES3_jPKsPS6_PKS6_NS0_5tupleIJPsS6_EEENSE_IJSB_SB_EEENS0_18inequality_wrapperIN6hipcub16HIPCUB_304000_NS8EqualityEEEPlJS6_EEE10hipError_tPvRmT3_T4_T5_T6_T7_T9_mT8_P12ihipStream_tbDpT10_ENKUlT_T0_E_clISt17integral_constantIbLb1EES16_IbLb0EEEEDaS12_S13_EUlS12_E_NS1_11comp_targetILNS1_3genE5ELNS1_11target_archE942ELNS1_3gpuE9ELNS1_3repE0EEENS1_30default_config_static_selectorELNS0_4arch9wavefront6targetE1EEEvT1_
                                        ; -- End function
	.section	.AMDGPU.csdata,"",@progbits
; Kernel info:
; codeLenInByte = 12352
; NumSgprs: 84
; NumVgprs: 128
; NumAgprs: 0
; TotalNumVgprs: 128
; ScratchSize: 0
; MemoryBound: 0
; FloatMode: 240
; IeeeMode: 1
; LDSByteSize: 30728 bytes/workgroup (compile time only)
; SGPRBlocks: 10
; VGPRBlocks: 15
; NumSGPRsForWavesPerEU: 84
; NumVGPRsForWavesPerEU: 128
; AccumOffset: 128
; Occupancy: 4
; WaveLimiterHint : 1
; COMPUTE_PGM_RSRC2:SCRATCH_EN: 0
; COMPUTE_PGM_RSRC2:USER_SGPR: 2
; COMPUTE_PGM_RSRC2:TRAP_HANDLER: 0
; COMPUTE_PGM_RSRC2:TGID_X_EN: 1
; COMPUTE_PGM_RSRC2:TGID_Y_EN: 0
; COMPUTE_PGM_RSRC2:TGID_Z_EN: 0
; COMPUTE_PGM_RSRC2:TIDIG_COMP_CNT: 0
; COMPUTE_PGM_RSRC3_GFX90A:ACCUM_OFFSET: 31
; COMPUTE_PGM_RSRC3_GFX90A:TG_SPLIT: 0
	.section	.text._ZN7rocprim17ROCPRIM_400000_NS6detail17trampoline_kernelINS0_14default_configENS1_25partition_config_selectorILNS1_17partition_subalgoE8EsNS0_10empty_typeEbEEZZNS1_14partition_implILS5_8ELb0ES3_jPKsPS6_PKS6_NS0_5tupleIJPsS6_EEENSE_IJSB_SB_EEENS0_18inequality_wrapperIN6hipcub16HIPCUB_304000_NS8EqualityEEEPlJS6_EEE10hipError_tPvRmT3_T4_T5_T6_T7_T9_mT8_P12ihipStream_tbDpT10_ENKUlT_T0_E_clISt17integral_constantIbLb1EES16_IbLb0EEEEDaS12_S13_EUlS12_E_NS1_11comp_targetILNS1_3genE4ELNS1_11target_archE910ELNS1_3gpuE8ELNS1_3repE0EEENS1_30default_config_static_selectorELNS0_4arch9wavefront6targetE1EEEvT1_,"axG",@progbits,_ZN7rocprim17ROCPRIM_400000_NS6detail17trampoline_kernelINS0_14default_configENS1_25partition_config_selectorILNS1_17partition_subalgoE8EsNS0_10empty_typeEbEEZZNS1_14partition_implILS5_8ELb0ES3_jPKsPS6_PKS6_NS0_5tupleIJPsS6_EEENSE_IJSB_SB_EEENS0_18inequality_wrapperIN6hipcub16HIPCUB_304000_NS8EqualityEEEPlJS6_EEE10hipError_tPvRmT3_T4_T5_T6_T7_T9_mT8_P12ihipStream_tbDpT10_ENKUlT_T0_E_clISt17integral_constantIbLb1EES16_IbLb0EEEEDaS12_S13_EUlS12_E_NS1_11comp_targetILNS1_3genE4ELNS1_11target_archE910ELNS1_3gpuE8ELNS1_3repE0EEENS1_30default_config_static_selectorELNS0_4arch9wavefront6targetE1EEEvT1_,comdat
	.protected	_ZN7rocprim17ROCPRIM_400000_NS6detail17trampoline_kernelINS0_14default_configENS1_25partition_config_selectorILNS1_17partition_subalgoE8EsNS0_10empty_typeEbEEZZNS1_14partition_implILS5_8ELb0ES3_jPKsPS6_PKS6_NS0_5tupleIJPsS6_EEENSE_IJSB_SB_EEENS0_18inequality_wrapperIN6hipcub16HIPCUB_304000_NS8EqualityEEEPlJS6_EEE10hipError_tPvRmT3_T4_T5_T6_T7_T9_mT8_P12ihipStream_tbDpT10_ENKUlT_T0_E_clISt17integral_constantIbLb1EES16_IbLb0EEEEDaS12_S13_EUlS12_E_NS1_11comp_targetILNS1_3genE4ELNS1_11target_archE910ELNS1_3gpuE8ELNS1_3repE0EEENS1_30default_config_static_selectorELNS0_4arch9wavefront6targetE1EEEvT1_ ; -- Begin function _ZN7rocprim17ROCPRIM_400000_NS6detail17trampoline_kernelINS0_14default_configENS1_25partition_config_selectorILNS1_17partition_subalgoE8EsNS0_10empty_typeEbEEZZNS1_14partition_implILS5_8ELb0ES3_jPKsPS6_PKS6_NS0_5tupleIJPsS6_EEENSE_IJSB_SB_EEENS0_18inequality_wrapperIN6hipcub16HIPCUB_304000_NS8EqualityEEEPlJS6_EEE10hipError_tPvRmT3_T4_T5_T6_T7_T9_mT8_P12ihipStream_tbDpT10_ENKUlT_T0_E_clISt17integral_constantIbLb1EES16_IbLb0EEEEDaS12_S13_EUlS12_E_NS1_11comp_targetILNS1_3genE4ELNS1_11target_archE910ELNS1_3gpuE8ELNS1_3repE0EEENS1_30default_config_static_selectorELNS0_4arch9wavefront6targetE1EEEvT1_
	.globl	_ZN7rocprim17ROCPRIM_400000_NS6detail17trampoline_kernelINS0_14default_configENS1_25partition_config_selectorILNS1_17partition_subalgoE8EsNS0_10empty_typeEbEEZZNS1_14partition_implILS5_8ELb0ES3_jPKsPS6_PKS6_NS0_5tupleIJPsS6_EEENSE_IJSB_SB_EEENS0_18inequality_wrapperIN6hipcub16HIPCUB_304000_NS8EqualityEEEPlJS6_EEE10hipError_tPvRmT3_T4_T5_T6_T7_T9_mT8_P12ihipStream_tbDpT10_ENKUlT_T0_E_clISt17integral_constantIbLb1EES16_IbLb0EEEEDaS12_S13_EUlS12_E_NS1_11comp_targetILNS1_3genE4ELNS1_11target_archE910ELNS1_3gpuE8ELNS1_3repE0EEENS1_30default_config_static_selectorELNS0_4arch9wavefront6targetE1EEEvT1_
	.p2align	8
	.type	_ZN7rocprim17ROCPRIM_400000_NS6detail17trampoline_kernelINS0_14default_configENS1_25partition_config_selectorILNS1_17partition_subalgoE8EsNS0_10empty_typeEbEEZZNS1_14partition_implILS5_8ELb0ES3_jPKsPS6_PKS6_NS0_5tupleIJPsS6_EEENSE_IJSB_SB_EEENS0_18inequality_wrapperIN6hipcub16HIPCUB_304000_NS8EqualityEEEPlJS6_EEE10hipError_tPvRmT3_T4_T5_T6_T7_T9_mT8_P12ihipStream_tbDpT10_ENKUlT_T0_E_clISt17integral_constantIbLb1EES16_IbLb0EEEEDaS12_S13_EUlS12_E_NS1_11comp_targetILNS1_3genE4ELNS1_11target_archE910ELNS1_3gpuE8ELNS1_3repE0EEENS1_30default_config_static_selectorELNS0_4arch9wavefront6targetE1EEEvT1_,@function
_ZN7rocprim17ROCPRIM_400000_NS6detail17trampoline_kernelINS0_14default_configENS1_25partition_config_selectorILNS1_17partition_subalgoE8EsNS0_10empty_typeEbEEZZNS1_14partition_implILS5_8ELb0ES3_jPKsPS6_PKS6_NS0_5tupleIJPsS6_EEENSE_IJSB_SB_EEENS0_18inequality_wrapperIN6hipcub16HIPCUB_304000_NS8EqualityEEEPlJS6_EEE10hipError_tPvRmT3_T4_T5_T6_T7_T9_mT8_P12ihipStream_tbDpT10_ENKUlT_T0_E_clISt17integral_constantIbLb1EES16_IbLb0EEEEDaS12_S13_EUlS12_E_NS1_11comp_targetILNS1_3genE4ELNS1_11target_archE910ELNS1_3gpuE8ELNS1_3repE0EEENS1_30default_config_static_selectorELNS0_4arch9wavefront6targetE1EEEvT1_: ; @_ZN7rocprim17ROCPRIM_400000_NS6detail17trampoline_kernelINS0_14default_configENS1_25partition_config_selectorILNS1_17partition_subalgoE8EsNS0_10empty_typeEbEEZZNS1_14partition_implILS5_8ELb0ES3_jPKsPS6_PKS6_NS0_5tupleIJPsS6_EEENSE_IJSB_SB_EEENS0_18inequality_wrapperIN6hipcub16HIPCUB_304000_NS8EqualityEEEPlJS6_EEE10hipError_tPvRmT3_T4_T5_T6_T7_T9_mT8_P12ihipStream_tbDpT10_ENKUlT_T0_E_clISt17integral_constantIbLb1EES16_IbLb0EEEEDaS12_S13_EUlS12_E_NS1_11comp_targetILNS1_3genE4ELNS1_11target_archE910ELNS1_3gpuE8ELNS1_3repE0EEENS1_30default_config_static_selectorELNS0_4arch9wavefront6targetE1EEEvT1_
; %bb.0:
	.section	.rodata,"a",@progbits
	.p2align	6, 0x0
	.amdhsa_kernel _ZN7rocprim17ROCPRIM_400000_NS6detail17trampoline_kernelINS0_14default_configENS1_25partition_config_selectorILNS1_17partition_subalgoE8EsNS0_10empty_typeEbEEZZNS1_14partition_implILS5_8ELb0ES3_jPKsPS6_PKS6_NS0_5tupleIJPsS6_EEENSE_IJSB_SB_EEENS0_18inequality_wrapperIN6hipcub16HIPCUB_304000_NS8EqualityEEEPlJS6_EEE10hipError_tPvRmT3_T4_T5_T6_T7_T9_mT8_P12ihipStream_tbDpT10_ENKUlT_T0_E_clISt17integral_constantIbLb1EES16_IbLb0EEEEDaS12_S13_EUlS12_E_NS1_11comp_targetILNS1_3genE4ELNS1_11target_archE910ELNS1_3gpuE8ELNS1_3repE0EEENS1_30default_config_static_selectorELNS0_4arch9wavefront6targetE1EEEvT1_
		.amdhsa_group_segment_fixed_size 0
		.amdhsa_private_segment_fixed_size 0
		.amdhsa_kernarg_size 112
		.amdhsa_user_sgpr_count 2
		.amdhsa_user_sgpr_dispatch_ptr 0
		.amdhsa_user_sgpr_queue_ptr 0
		.amdhsa_user_sgpr_kernarg_segment_ptr 1
		.amdhsa_user_sgpr_dispatch_id 0
		.amdhsa_user_sgpr_kernarg_preload_length 0
		.amdhsa_user_sgpr_kernarg_preload_offset 0
		.amdhsa_user_sgpr_private_segment_size 0
		.amdhsa_uses_dynamic_stack 0
		.amdhsa_enable_private_segment 0
		.amdhsa_system_sgpr_workgroup_id_x 1
		.amdhsa_system_sgpr_workgroup_id_y 0
		.amdhsa_system_sgpr_workgroup_id_z 0
		.amdhsa_system_sgpr_workgroup_info 0
		.amdhsa_system_vgpr_workitem_id 0
		.amdhsa_next_free_vgpr 1
		.amdhsa_next_free_sgpr 0
		.amdhsa_accum_offset 4
		.amdhsa_reserve_vcc 0
		.amdhsa_float_round_mode_32 0
		.amdhsa_float_round_mode_16_64 0
		.amdhsa_float_denorm_mode_32 3
		.amdhsa_float_denorm_mode_16_64 3
		.amdhsa_dx10_clamp 1
		.amdhsa_ieee_mode 1
		.amdhsa_fp16_overflow 0
		.amdhsa_tg_split 0
		.amdhsa_exception_fp_ieee_invalid_op 0
		.amdhsa_exception_fp_denorm_src 0
		.amdhsa_exception_fp_ieee_div_zero 0
		.amdhsa_exception_fp_ieee_overflow 0
		.amdhsa_exception_fp_ieee_underflow 0
		.amdhsa_exception_fp_ieee_inexact 0
		.amdhsa_exception_int_div_zero 0
	.end_amdhsa_kernel
	.section	.text._ZN7rocprim17ROCPRIM_400000_NS6detail17trampoline_kernelINS0_14default_configENS1_25partition_config_selectorILNS1_17partition_subalgoE8EsNS0_10empty_typeEbEEZZNS1_14partition_implILS5_8ELb0ES3_jPKsPS6_PKS6_NS0_5tupleIJPsS6_EEENSE_IJSB_SB_EEENS0_18inequality_wrapperIN6hipcub16HIPCUB_304000_NS8EqualityEEEPlJS6_EEE10hipError_tPvRmT3_T4_T5_T6_T7_T9_mT8_P12ihipStream_tbDpT10_ENKUlT_T0_E_clISt17integral_constantIbLb1EES16_IbLb0EEEEDaS12_S13_EUlS12_E_NS1_11comp_targetILNS1_3genE4ELNS1_11target_archE910ELNS1_3gpuE8ELNS1_3repE0EEENS1_30default_config_static_selectorELNS0_4arch9wavefront6targetE1EEEvT1_,"axG",@progbits,_ZN7rocprim17ROCPRIM_400000_NS6detail17trampoline_kernelINS0_14default_configENS1_25partition_config_selectorILNS1_17partition_subalgoE8EsNS0_10empty_typeEbEEZZNS1_14partition_implILS5_8ELb0ES3_jPKsPS6_PKS6_NS0_5tupleIJPsS6_EEENSE_IJSB_SB_EEENS0_18inequality_wrapperIN6hipcub16HIPCUB_304000_NS8EqualityEEEPlJS6_EEE10hipError_tPvRmT3_T4_T5_T6_T7_T9_mT8_P12ihipStream_tbDpT10_ENKUlT_T0_E_clISt17integral_constantIbLb1EES16_IbLb0EEEEDaS12_S13_EUlS12_E_NS1_11comp_targetILNS1_3genE4ELNS1_11target_archE910ELNS1_3gpuE8ELNS1_3repE0EEENS1_30default_config_static_selectorELNS0_4arch9wavefront6targetE1EEEvT1_,comdat
.Lfunc_end566:
	.size	_ZN7rocprim17ROCPRIM_400000_NS6detail17trampoline_kernelINS0_14default_configENS1_25partition_config_selectorILNS1_17partition_subalgoE8EsNS0_10empty_typeEbEEZZNS1_14partition_implILS5_8ELb0ES3_jPKsPS6_PKS6_NS0_5tupleIJPsS6_EEENSE_IJSB_SB_EEENS0_18inequality_wrapperIN6hipcub16HIPCUB_304000_NS8EqualityEEEPlJS6_EEE10hipError_tPvRmT3_T4_T5_T6_T7_T9_mT8_P12ihipStream_tbDpT10_ENKUlT_T0_E_clISt17integral_constantIbLb1EES16_IbLb0EEEEDaS12_S13_EUlS12_E_NS1_11comp_targetILNS1_3genE4ELNS1_11target_archE910ELNS1_3gpuE8ELNS1_3repE0EEENS1_30default_config_static_selectorELNS0_4arch9wavefront6targetE1EEEvT1_, .Lfunc_end566-_ZN7rocprim17ROCPRIM_400000_NS6detail17trampoline_kernelINS0_14default_configENS1_25partition_config_selectorILNS1_17partition_subalgoE8EsNS0_10empty_typeEbEEZZNS1_14partition_implILS5_8ELb0ES3_jPKsPS6_PKS6_NS0_5tupleIJPsS6_EEENSE_IJSB_SB_EEENS0_18inequality_wrapperIN6hipcub16HIPCUB_304000_NS8EqualityEEEPlJS6_EEE10hipError_tPvRmT3_T4_T5_T6_T7_T9_mT8_P12ihipStream_tbDpT10_ENKUlT_T0_E_clISt17integral_constantIbLb1EES16_IbLb0EEEEDaS12_S13_EUlS12_E_NS1_11comp_targetILNS1_3genE4ELNS1_11target_archE910ELNS1_3gpuE8ELNS1_3repE0EEENS1_30default_config_static_selectorELNS0_4arch9wavefront6targetE1EEEvT1_
                                        ; -- End function
	.section	.AMDGPU.csdata,"",@progbits
; Kernel info:
; codeLenInByte = 0
; NumSgprs: 6
; NumVgprs: 0
; NumAgprs: 0
; TotalNumVgprs: 0
; ScratchSize: 0
; MemoryBound: 0
; FloatMode: 240
; IeeeMode: 1
; LDSByteSize: 0 bytes/workgroup (compile time only)
; SGPRBlocks: 0
; VGPRBlocks: 0
; NumSGPRsForWavesPerEU: 6
; NumVGPRsForWavesPerEU: 1
; AccumOffset: 4
; Occupancy: 8
; WaveLimiterHint : 0
; COMPUTE_PGM_RSRC2:SCRATCH_EN: 0
; COMPUTE_PGM_RSRC2:USER_SGPR: 2
; COMPUTE_PGM_RSRC2:TRAP_HANDLER: 0
; COMPUTE_PGM_RSRC2:TGID_X_EN: 1
; COMPUTE_PGM_RSRC2:TGID_Y_EN: 0
; COMPUTE_PGM_RSRC2:TGID_Z_EN: 0
; COMPUTE_PGM_RSRC2:TIDIG_COMP_CNT: 0
; COMPUTE_PGM_RSRC3_GFX90A:ACCUM_OFFSET: 0
; COMPUTE_PGM_RSRC3_GFX90A:TG_SPLIT: 0
	.section	.text._ZN7rocprim17ROCPRIM_400000_NS6detail17trampoline_kernelINS0_14default_configENS1_25partition_config_selectorILNS1_17partition_subalgoE8EsNS0_10empty_typeEbEEZZNS1_14partition_implILS5_8ELb0ES3_jPKsPS6_PKS6_NS0_5tupleIJPsS6_EEENSE_IJSB_SB_EEENS0_18inequality_wrapperIN6hipcub16HIPCUB_304000_NS8EqualityEEEPlJS6_EEE10hipError_tPvRmT3_T4_T5_T6_T7_T9_mT8_P12ihipStream_tbDpT10_ENKUlT_T0_E_clISt17integral_constantIbLb1EES16_IbLb0EEEEDaS12_S13_EUlS12_E_NS1_11comp_targetILNS1_3genE3ELNS1_11target_archE908ELNS1_3gpuE7ELNS1_3repE0EEENS1_30default_config_static_selectorELNS0_4arch9wavefront6targetE1EEEvT1_,"axG",@progbits,_ZN7rocprim17ROCPRIM_400000_NS6detail17trampoline_kernelINS0_14default_configENS1_25partition_config_selectorILNS1_17partition_subalgoE8EsNS0_10empty_typeEbEEZZNS1_14partition_implILS5_8ELb0ES3_jPKsPS6_PKS6_NS0_5tupleIJPsS6_EEENSE_IJSB_SB_EEENS0_18inequality_wrapperIN6hipcub16HIPCUB_304000_NS8EqualityEEEPlJS6_EEE10hipError_tPvRmT3_T4_T5_T6_T7_T9_mT8_P12ihipStream_tbDpT10_ENKUlT_T0_E_clISt17integral_constantIbLb1EES16_IbLb0EEEEDaS12_S13_EUlS12_E_NS1_11comp_targetILNS1_3genE3ELNS1_11target_archE908ELNS1_3gpuE7ELNS1_3repE0EEENS1_30default_config_static_selectorELNS0_4arch9wavefront6targetE1EEEvT1_,comdat
	.protected	_ZN7rocprim17ROCPRIM_400000_NS6detail17trampoline_kernelINS0_14default_configENS1_25partition_config_selectorILNS1_17partition_subalgoE8EsNS0_10empty_typeEbEEZZNS1_14partition_implILS5_8ELb0ES3_jPKsPS6_PKS6_NS0_5tupleIJPsS6_EEENSE_IJSB_SB_EEENS0_18inequality_wrapperIN6hipcub16HIPCUB_304000_NS8EqualityEEEPlJS6_EEE10hipError_tPvRmT3_T4_T5_T6_T7_T9_mT8_P12ihipStream_tbDpT10_ENKUlT_T0_E_clISt17integral_constantIbLb1EES16_IbLb0EEEEDaS12_S13_EUlS12_E_NS1_11comp_targetILNS1_3genE3ELNS1_11target_archE908ELNS1_3gpuE7ELNS1_3repE0EEENS1_30default_config_static_selectorELNS0_4arch9wavefront6targetE1EEEvT1_ ; -- Begin function _ZN7rocprim17ROCPRIM_400000_NS6detail17trampoline_kernelINS0_14default_configENS1_25partition_config_selectorILNS1_17partition_subalgoE8EsNS0_10empty_typeEbEEZZNS1_14partition_implILS5_8ELb0ES3_jPKsPS6_PKS6_NS0_5tupleIJPsS6_EEENSE_IJSB_SB_EEENS0_18inequality_wrapperIN6hipcub16HIPCUB_304000_NS8EqualityEEEPlJS6_EEE10hipError_tPvRmT3_T4_T5_T6_T7_T9_mT8_P12ihipStream_tbDpT10_ENKUlT_T0_E_clISt17integral_constantIbLb1EES16_IbLb0EEEEDaS12_S13_EUlS12_E_NS1_11comp_targetILNS1_3genE3ELNS1_11target_archE908ELNS1_3gpuE7ELNS1_3repE0EEENS1_30default_config_static_selectorELNS0_4arch9wavefront6targetE1EEEvT1_
	.globl	_ZN7rocprim17ROCPRIM_400000_NS6detail17trampoline_kernelINS0_14default_configENS1_25partition_config_selectorILNS1_17partition_subalgoE8EsNS0_10empty_typeEbEEZZNS1_14partition_implILS5_8ELb0ES3_jPKsPS6_PKS6_NS0_5tupleIJPsS6_EEENSE_IJSB_SB_EEENS0_18inequality_wrapperIN6hipcub16HIPCUB_304000_NS8EqualityEEEPlJS6_EEE10hipError_tPvRmT3_T4_T5_T6_T7_T9_mT8_P12ihipStream_tbDpT10_ENKUlT_T0_E_clISt17integral_constantIbLb1EES16_IbLb0EEEEDaS12_S13_EUlS12_E_NS1_11comp_targetILNS1_3genE3ELNS1_11target_archE908ELNS1_3gpuE7ELNS1_3repE0EEENS1_30default_config_static_selectorELNS0_4arch9wavefront6targetE1EEEvT1_
	.p2align	8
	.type	_ZN7rocprim17ROCPRIM_400000_NS6detail17trampoline_kernelINS0_14default_configENS1_25partition_config_selectorILNS1_17partition_subalgoE8EsNS0_10empty_typeEbEEZZNS1_14partition_implILS5_8ELb0ES3_jPKsPS6_PKS6_NS0_5tupleIJPsS6_EEENSE_IJSB_SB_EEENS0_18inequality_wrapperIN6hipcub16HIPCUB_304000_NS8EqualityEEEPlJS6_EEE10hipError_tPvRmT3_T4_T5_T6_T7_T9_mT8_P12ihipStream_tbDpT10_ENKUlT_T0_E_clISt17integral_constantIbLb1EES16_IbLb0EEEEDaS12_S13_EUlS12_E_NS1_11comp_targetILNS1_3genE3ELNS1_11target_archE908ELNS1_3gpuE7ELNS1_3repE0EEENS1_30default_config_static_selectorELNS0_4arch9wavefront6targetE1EEEvT1_,@function
_ZN7rocprim17ROCPRIM_400000_NS6detail17trampoline_kernelINS0_14default_configENS1_25partition_config_selectorILNS1_17partition_subalgoE8EsNS0_10empty_typeEbEEZZNS1_14partition_implILS5_8ELb0ES3_jPKsPS6_PKS6_NS0_5tupleIJPsS6_EEENSE_IJSB_SB_EEENS0_18inequality_wrapperIN6hipcub16HIPCUB_304000_NS8EqualityEEEPlJS6_EEE10hipError_tPvRmT3_T4_T5_T6_T7_T9_mT8_P12ihipStream_tbDpT10_ENKUlT_T0_E_clISt17integral_constantIbLb1EES16_IbLb0EEEEDaS12_S13_EUlS12_E_NS1_11comp_targetILNS1_3genE3ELNS1_11target_archE908ELNS1_3gpuE7ELNS1_3repE0EEENS1_30default_config_static_selectorELNS0_4arch9wavefront6targetE1EEEvT1_: ; @_ZN7rocprim17ROCPRIM_400000_NS6detail17trampoline_kernelINS0_14default_configENS1_25partition_config_selectorILNS1_17partition_subalgoE8EsNS0_10empty_typeEbEEZZNS1_14partition_implILS5_8ELb0ES3_jPKsPS6_PKS6_NS0_5tupleIJPsS6_EEENSE_IJSB_SB_EEENS0_18inequality_wrapperIN6hipcub16HIPCUB_304000_NS8EqualityEEEPlJS6_EEE10hipError_tPvRmT3_T4_T5_T6_T7_T9_mT8_P12ihipStream_tbDpT10_ENKUlT_T0_E_clISt17integral_constantIbLb1EES16_IbLb0EEEEDaS12_S13_EUlS12_E_NS1_11comp_targetILNS1_3genE3ELNS1_11target_archE908ELNS1_3gpuE7ELNS1_3repE0EEENS1_30default_config_static_selectorELNS0_4arch9wavefront6targetE1EEEvT1_
; %bb.0:
	.section	.rodata,"a",@progbits
	.p2align	6, 0x0
	.amdhsa_kernel _ZN7rocprim17ROCPRIM_400000_NS6detail17trampoline_kernelINS0_14default_configENS1_25partition_config_selectorILNS1_17partition_subalgoE8EsNS0_10empty_typeEbEEZZNS1_14partition_implILS5_8ELb0ES3_jPKsPS6_PKS6_NS0_5tupleIJPsS6_EEENSE_IJSB_SB_EEENS0_18inequality_wrapperIN6hipcub16HIPCUB_304000_NS8EqualityEEEPlJS6_EEE10hipError_tPvRmT3_T4_T5_T6_T7_T9_mT8_P12ihipStream_tbDpT10_ENKUlT_T0_E_clISt17integral_constantIbLb1EES16_IbLb0EEEEDaS12_S13_EUlS12_E_NS1_11comp_targetILNS1_3genE3ELNS1_11target_archE908ELNS1_3gpuE7ELNS1_3repE0EEENS1_30default_config_static_selectorELNS0_4arch9wavefront6targetE1EEEvT1_
		.amdhsa_group_segment_fixed_size 0
		.amdhsa_private_segment_fixed_size 0
		.amdhsa_kernarg_size 112
		.amdhsa_user_sgpr_count 2
		.amdhsa_user_sgpr_dispatch_ptr 0
		.amdhsa_user_sgpr_queue_ptr 0
		.amdhsa_user_sgpr_kernarg_segment_ptr 1
		.amdhsa_user_sgpr_dispatch_id 0
		.amdhsa_user_sgpr_kernarg_preload_length 0
		.amdhsa_user_sgpr_kernarg_preload_offset 0
		.amdhsa_user_sgpr_private_segment_size 0
		.amdhsa_uses_dynamic_stack 0
		.amdhsa_enable_private_segment 0
		.amdhsa_system_sgpr_workgroup_id_x 1
		.amdhsa_system_sgpr_workgroup_id_y 0
		.amdhsa_system_sgpr_workgroup_id_z 0
		.amdhsa_system_sgpr_workgroup_info 0
		.amdhsa_system_vgpr_workitem_id 0
		.amdhsa_next_free_vgpr 1
		.amdhsa_next_free_sgpr 0
		.amdhsa_accum_offset 4
		.amdhsa_reserve_vcc 0
		.amdhsa_float_round_mode_32 0
		.amdhsa_float_round_mode_16_64 0
		.amdhsa_float_denorm_mode_32 3
		.amdhsa_float_denorm_mode_16_64 3
		.amdhsa_dx10_clamp 1
		.amdhsa_ieee_mode 1
		.amdhsa_fp16_overflow 0
		.amdhsa_tg_split 0
		.amdhsa_exception_fp_ieee_invalid_op 0
		.amdhsa_exception_fp_denorm_src 0
		.amdhsa_exception_fp_ieee_div_zero 0
		.amdhsa_exception_fp_ieee_overflow 0
		.amdhsa_exception_fp_ieee_underflow 0
		.amdhsa_exception_fp_ieee_inexact 0
		.amdhsa_exception_int_div_zero 0
	.end_amdhsa_kernel
	.section	.text._ZN7rocprim17ROCPRIM_400000_NS6detail17trampoline_kernelINS0_14default_configENS1_25partition_config_selectorILNS1_17partition_subalgoE8EsNS0_10empty_typeEbEEZZNS1_14partition_implILS5_8ELb0ES3_jPKsPS6_PKS6_NS0_5tupleIJPsS6_EEENSE_IJSB_SB_EEENS0_18inequality_wrapperIN6hipcub16HIPCUB_304000_NS8EqualityEEEPlJS6_EEE10hipError_tPvRmT3_T4_T5_T6_T7_T9_mT8_P12ihipStream_tbDpT10_ENKUlT_T0_E_clISt17integral_constantIbLb1EES16_IbLb0EEEEDaS12_S13_EUlS12_E_NS1_11comp_targetILNS1_3genE3ELNS1_11target_archE908ELNS1_3gpuE7ELNS1_3repE0EEENS1_30default_config_static_selectorELNS0_4arch9wavefront6targetE1EEEvT1_,"axG",@progbits,_ZN7rocprim17ROCPRIM_400000_NS6detail17trampoline_kernelINS0_14default_configENS1_25partition_config_selectorILNS1_17partition_subalgoE8EsNS0_10empty_typeEbEEZZNS1_14partition_implILS5_8ELb0ES3_jPKsPS6_PKS6_NS0_5tupleIJPsS6_EEENSE_IJSB_SB_EEENS0_18inequality_wrapperIN6hipcub16HIPCUB_304000_NS8EqualityEEEPlJS6_EEE10hipError_tPvRmT3_T4_T5_T6_T7_T9_mT8_P12ihipStream_tbDpT10_ENKUlT_T0_E_clISt17integral_constantIbLb1EES16_IbLb0EEEEDaS12_S13_EUlS12_E_NS1_11comp_targetILNS1_3genE3ELNS1_11target_archE908ELNS1_3gpuE7ELNS1_3repE0EEENS1_30default_config_static_selectorELNS0_4arch9wavefront6targetE1EEEvT1_,comdat
.Lfunc_end567:
	.size	_ZN7rocprim17ROCPRIM_400000_NS6detail17trampoline_kernelINS0_14default_configENS1_25partition_config_selectorILNS1_17partition_subalgoE8EsNS0_10empty_typeEbEEZZNS1_14partition_implILS5_8ELb0ES3_jPKsPS6_PKS6_NS0_5tupleIJPsS6_EEENSE_IJSB_SB_EEENS0_18inequality_wrapperIN6hipcub16HIPCUB_304000_NS8EqualityEEEPlJS6_EEE10hipError_tPvRmT3_T4_T5_T6_T7_T9_mT8_P12ihipStream_tbDpT10_ENKUlT_T0_E_clISt17integral_constantIbLb1EES16_IbLb0EEEEDaS12_S13_EUlS12_E_NS1_11comp_targetILNS1_3genE3ELNS1_11target_archE908ELNS1_3gpuE7ELNS1_3repE0EEENS1_30default_config_static_selectorELNS0_4arch9wavefront6targetE1EEEvT1_, .Lfunc_end567-_ZN7rocprim17ROCPRIM_400000_NS6detail17trampoline_kernelINS0_14default_configENS1_25partition_config_selectorILNS1_17partition_subalgoE8EsNS0_10empty_typeEbEEZZNS1_14partition_implILS5_8ELb0ES3_jPKsPS6_PKS6_NS0_5tupleIJPsS6_EEENSE_IJSB_SB_EEENS0_18inequality_wrapperIN6hipcub16HIPCUB_304000_NS8EqualityEEEPlJS6_EEE10hipError_tPvRmT3_T4_T5_T6_T7_T9_mT8_P12ihipStream_tbDpT10_ENKUlT_T0_E_clISt17integral_constantIbLb1EES16_IbLb0EEEEDaS12_S13_EUlS12_E_NS1_11comp_targetILNS1_3genE3ELNS1_11target_archE908ELNS1_3gpuE7ELNS1_3repE0EEENS1_30default_config_static_selectorELNS0_4arch9wavefront6targetE1EEEvT1_
                                        ; -- End function
	.section	.AMDGPU.csdata,"",@progbits
; Kernel info:
; codeLenInByte = 0
; NumSgprs: 6
; NumVgprs: 0
; NumAgprs: 0
; TotalNumVgprs: 0
; ScratchSize: 0
; MemoryBound: 0
; FloatMode: 240
; IeeeMode: 1
; LDSByteSize: 0 bytes/workgroup (compile time only)
; SGPRBlocks: 0
; VGPRBlocks: 0
; NumSGPRsForWavesPerEU: 6
; NumVGPRsForWavesPerEU: 1
; AccumOffset: 4
; Occupancy: 8
; WaveLimiterHint : 0
; COMPUTE_PGM_RSRC2:SCRATCH_EN: 0
; COMPUTE_PGM_RSRC2:USER_SGPR: 2
; COMPUTE_PGM_RSRC2:TRAP_HANDLER: 0
; COMPUTE_PGM_RSRC2:TGID_X_EN: 1
; COMPUTE_PGM_RSRC2:TGID_Y_EN: 0
; COMPUTE_PGM_RSRC2:TGID_Z_EN: 0
; COMPUTE_PGM_RSRC2:TIDIG_COMP_CNT: 0
; COMPUTE_PGM_RSRC3_GFX90A:ACCUM_OFFSET: 0
; COMPUTE_PGM_RSRC3_GFX90A:TG_SPLIT: 0
	.section	.text._ZN7rocprim17ROCPRIM_400000_NS6detail17trampoline_kernelINS0_14default_configENS1_25partition_config_selectorILNS1_17partition_subalgoE8EsNS0_10empty_typeEbEEZZNS1_14partition_implILS5_8ELb0ES3_jPKsPS6_PKS6_NS0_5tupleIJPsS6_EEENSE_IJSB_SB_EEENS0_18inequality_wrapperIN6hipcub16HIPCUB_304000_NS8EqualityEEEPlJS6_EEE10hipError_tPvRmT3_T4_T5_T6_T7_T9_mT8_P12ihipStream_tbDpT10_ENKUlT_T0_E_clISt17integral_constantIbLb1EES16_IbLb0EEEEDaS12_S13_EUlS12_E_NS1_11comp_targetILNS1_3genE2ELNS1_11target_archE906ELNS1_3gpuE6ELNS1_3repE0EEENS1_30default_config_static_selectorELNS0_4arch9wavefront6targetE1EEEvT1_,"axG",@progbits,_ZN7rocprim17ROCPRIM_400000_NS6detail17trampoline_kernelINS0_14default_configENS1_25partition_config_selectorILNS1_17partition_subalgoE8EsNS0_10empty_typeEbEEZZNS1_14partition_implILS5_8ELb0ES3_jPKsPS6_PKS6_NS0_5tupleIJPsS6_EEENSE_IJSB_SB_EEENS0_18inequality_wrapperIN6hipcub16HIPCUB_304000_NS8EqualityEEEPlJS6_EEE10hipError_tPvRmT3_T4_T5_T6_T7_T9_mT8_P12ihipStream_tbDpT10_ENKUlT_T0_E_clISt17integral_constantIbLb1EES16_IbLb0EEEEDaS12_S13_EUlS12_E_NS1_11comp_targetILNS1_3genE2ELNS1_11target_archE906ELNS1_3gpuE6ELNS1_3repE0EEENS1_30default_config_static_selectorELNS0_4arch9wavefront6targetE1EEEvT1_,comdat
	.protected	_ZN7rocprim17ROCPRIM_400000_NS6detail17trampoline_kernelINS0_14default_configENS1_25partition_config_selectorILNS1_17partition_subalgoE8EsNS0_10empty_typeEbEEZZNS1_14partition_implILS5_8ELb0ES3_jPKsPS6_PKS6_NS0_5tupleIJPsS6_EEENSE_IJSB_SB_EEENS0_18inequality_wrapperIN6hipcub16HIPCUB_304000_NS8EqualityEEEPlJS6_EEE10hipError_tPvRmT3_T4_T5_T6_T7_T9_mT8_P12ihipStream_tbDpT10_ENKUlT_T0_E_clISt17integral_constantIbLb1EES16_IbLb0EEEEDaS12_S13_EUlS12_E_NS1_11comp_targetILNS1_3genE2ELNS1_11target_archE906ELNS1_3gpuE6ELNS1_3repE0EEENS1_30default_config_static_selectorELNS0_4arch9wavefront6targetE1EEEvT1_ ; -- Begin function _ZN7rocprim17ROCPRIM_400000_NS6detail17trampoline_kernelINS0_14default_configENS1_25partition_config_selectorILNS1_17partition_subalgoE8EsNS0_10empty_typeEbEEZZNS1_14partition_implILS5_8ELb0ES3_jPKsPS6_PKS6_NS0_5tupleIJPsS6_EEENSE_IJSB_SB_EEENS0_18inequality_wrapperIN6hipcub16HIPCUB_304000_NS8EqualityEEEPlJS6_EEE10hipError_tPvRmT3_T4_T5_T6_T7_T9_mT8_P12ihipStream_tbDpT10_ENKUlT_T0_E_clISt17integral_constantIbLb1EES16_IbLb0EEEEDaS12_S13_EUlS12_E_NS1_11comp_targetILNS1_3genE2ELNS1_11target_archE906ELNS1_3gpuE6ELNS1_3repE0EEENS1_30default_config_static_selectorELNS0_4arch9wavefront6targetE1EEEvT1_
	.globl	_ZN7rocprim17ROCPRIM_400000_NS6detail17trampoline_kernelINS0_14default_configENS1_25partition_config_selectorILNS1_17partition_subalgoE8EsNS0_10empty_typeEbEEZZNS1_14partition_implILS5_8ELb0ES3_jPKsPS6_PKS6_NS0_5tupleIJPsS6_EEENSE_IJSB_SB_EEENS0_18inequality_wrapperIN6hipcub16HIPCUB_304000_NS8EqualityEEEPlJS6_EEE10hipError_tPvRmT3_T4_T5_T6_T7_T9_mT8_P12ihipStream_tbDpT10_ENKUlT_T0_E_clISt17integral_constantIbLb1EES16_IbLb0EEEEDaS12_S13_EUlS12_E_NS1_11comp_targetILNS1_3genE2ELNS1_11target_archE906ELNS1_3gpuE6ELNS1_3repE0EEENS1_30default_config_static_selectorELNS0_4arch9wavefront6targetE1EEEvT1_
	.p2align	8
	.type	_ZN7rocprim17ROCPRIM_400000_NS6detail17trampoline_kernelINS0_14default_configENS1_25partition_config_selectorILNS1_17partition_subalgoE8EsNS0_10empty_typeEbEEZZNS1_14partition_implILS5_8ELb0ES3_jPKsPS6_PKS6_NS0_5tupleIJPsS6_EEENSE_IJSB_SB_EEENS0_18inequality_wrapperIN6hipcub16HIPCUB_304000_NS8EqualityEEEPlJS6_EEE10hipError_tPvRmT3_T4_T5_T6_T7_T9_mT8_P12ihipStream_tbDpT10_ENKUlT_T0_E_clISt17integral_constantIbLb1EES16_IbLb0EEEEDaS12_S13_EUlS12_E_NS1_11comp_targetILNS1_3genE2ELNS1_11target_archE906ELNS1_3gpuE6ELNS1_3repE0EEENS1_30default_config_static_selectorELNS0_4arch9wavefront6targetE1EEEvT1_,@function
_ZN7rocprim17ROCPRIM_400000_NS6detail17trampoline_kernelINS0_14default_configENS1_25partition_config_selectorILNS1_17partition_subalgoE8EsNS0_10empty_typeEbEEZZNS1_14partition_implILS5_8ELb0ES3_jPKsPS6_PKS6_NS0_5tupleIJPsS6_EEENSE_IJSB_SB_EEENS0_18inequality_wrapperIN6hipcub16HIPCUB_304000_NS8EqualityEEEPlJS6_EEE10hipError_tPvRmT3_T4_T5_T6_T7_T9_mT8_P12ihipStream_tbDpT10_ENKUlT_T0_E_clISt17integral_constantIbLb1EES16_IbLb0EEEEDaS12_S13_EUlS12_E_NS1_11comp_targetILNS1_3genE2ELNS1_11target_archE906ELNS1_3gpuE6ELNS1_3repE0EEENS1_30default_config_static_selectorELNS0_4arch9wavefront6targetE1EEEvT1_: ; @_ZN7rocprim17ROCPRIM_400000_NS6detail17trampoline_kernelINS0_14default_configENS1_25partition_config_selectorILNS1_17partition_subalgoE8EsNS0_10empty_typeEbEEZZNS1_14partition_implILS5_8ELb0ES3_jPKsPS6_PKS6_NS0_5tupleIJPsS6_EEENSE_IJSB_SB_EEENS0_18inequality_wrapperIN6hipcub16HIPCUB_304000_NS8EqualityEEEPlJS6_EEE10hipError_tPvRmT3_T4_T5_T6_T7_T9_mT8_P12ihipStream_tbDpT10_ENKUlT_T0_E_clISt17integral_constantIbLb1EES16_IbLb0EEEEDaS12_S13_EUlS12_E_NS1_11comp_targetILNS1_3genE2ELNS1_11target_archE906ELNS1_3gpuE6ELNS1_3repE0EEENS1_30default_config_static_selectorELNS0_4arch9wavefront6targetE1EEEvT1_
; %bb.0:
	.section	.rodata,"a",@progbits
	.p2align	6, 0x0
	.amdhsa_kernel _ZN7rocprim17ROCPRIM_400000_NS6detail17trampoline_kernelINS0_14default_configENS1_25partition_config_selectorILNS1_17partition_subalgoE8EsNS0_10empty_typeEbEEZZNS1_14partition_implILS5_8ELb0ES3_jPKsPS6_PKS6_NS0_5tupleIJPsS6_EEENSE_IJSB_SB_EEENS0_18inequality_wrapperIN6hipcub16HIPCUB_304000_NS8EqualityEEEPlJS6_EEE10hipError_tPvRmT3_T4_T5_T6_T7_T9_mT8_P12ihipStream_tbDpT10_ENKUlT_T0_E_clISt17integral_constantIbLb1EES16_IbLb0EEEEDaS12_S13_EUlS12_E_NS1_11comp_targetILNS1_3genE2ELNS1_11target_archE906ELNS1_3gpuE6ELNS1_3repE0EEENS1_30default_config_static_selectorELNS0_4arch9wavefront6targetE1EEEvT1_
		.amdhsa_group_segment_fixed_size 0
		.amdhsa_private_segment_fixed_size 0
		.amdhsa_kernarg_size 112
		.amdhsa_user_sgpr_count 2
		.amdhsa_user_sgpr_dispatch_ptr 0
		.amdhsa_user_sgpr_queue_ptr 0
		.amdhsa_user_sgpr_kernarg_segment_ptr 1
		.amdhsa_user_sgpr_dispatch_id 0
		.amdhsa_user_sgpr_kernarg_preload_length 0
		.amdhsa_user_sgpr_kernarg_preload_offset 0
		.amdhsa_user_sgpr_private_segment_size 0
		.amdhsa_uses_dynamic_stack 0
		.amdhsa_enable_private_segment 0
		.amdhsa_system_sgpr_workgroup_id_x 1
		.amdhsa_system_sgpr_workgroup_id_y 0
		.amdhsa_system_sgpr_workgroup_id_z 0
		.amdhsa_system_sgpr_workgroup_info 0
		.amdhsa_system_vgpr_workitem_id 0
		.amdhsa_next_free_vgpr 1
		.amdhsa_next_free_sgpr 0
		.amdhsa_accum_offset 4
		.amdhsa_reserve_vcc 0
		.amdhsa_float_round_mode_32 0
		.amdhsa_float_round_mode_16_64 0
		.amdhsa_float_denorm_mode_32 3
		.amdhsa_float_denorm_mode_16_64 3
		.amdhsa_dx10_clamp 1
		.amdhsa_ieee_mode 1
		.amdhsa_fp16_overflow 0
		.amdhsa_tg_split 0
		.amdhsa_exception_fp_ieee_invalid_op 0
		.amdhsa_exception_fp_denorm_src 0
		.amdhsa_exception_fp_ieee_div_zero 0
		.amdhsa_exception_fp_ieee_overflow 0
		.amdhsa_exception_fp_ieee_underflow 0
		.amdhsa_exception_fp_ieee_inexact 0
		.amdhsa_exception_int_div_zero 0
	.end_amdhsa_kernel
	.section	.text._ZN7rocprim17ROCPRIM_400000_NS6detail17trampoline_kernelINS0_14default_configENS1_25partition_config_selectorILNS1_17partition_subalgoE8EsNS0_10empty_typeEbEEZZNS1_14partition_implILS5_8ELb0ES3_jPKsPS6_PKS6_NS0_5tupleIJPsS6_EEENSE_IJSB_SB_EEENS0_18inequality_wrapperIN6hipcub16HIPCUB_304000_NS8EqualityEEEPlJS6_EEE10hipError_tPvRmT3_T4_T5_T6_T7_T9_mT8_P12ihipStream_tbDpT10_ENKUlT_T0_E_clISt17integral_constantIbLb1EES16_IbLb0EEEEDaS12_S13_EUlS12_E_NS1_11comp_targetILNS1_3genE2ELNS1_11target_archE906ELNS1_3gpuE6ELNS1_3repE0EEENS1_30default_config_static_selectorELNS0_4arch9wavefront6targetE1EEEvT1_,"axG",@progbits,_ZN7rocprim17ROCPRIM_400000_NS6detail17trampoline_kernelINS0_14default_configENS1_25partition_config_selectorILNS1_17partition_subalgoE8EsNS0_10empty_typeEbEEZZNS1_14partition_implILS5_8ELb0ES3_jPKsPS6_PKS6_NS0_5tupleIJPsS6_EEENSE_IJSB_SB_EEENS0_18inequality_wrapperIN6hipcub16HIPCUB_304000_NS8EqualityEEEPlJS6_EEE10hipError_tPvRmT3_T4_T5_T6_T7_T9_mT8_P12ihipStream_tbDpT10_ENKUlT_T0_E_clISt17integral_constantIbLb1EES16_IbLb0EEEEDaS12_S13_EUlS12_E_NS1_11comp_targetILNS1_3genE2ELNS1_11target_archE906ELNS1_3gpuE6ELNS1_3repE0EEENS1_30default_config_static_selectorELNS0_4arch9wavefront6targetE1EEEvT1_,comdat
.Lfunc_end568:
	.size	_ZN7rocprim17ROCPRIM_400000_NS6detail17trampoline_kernelINS0_14default_configENS1_25partition_config_selectorILNS1_17partition_subalgoE8EsNS0_10empty_typeEbEEZZNS1_14partition_implILS5_8ELb0ES3_jPKsPS6_PKS6_NS0_5tupleIJPsS6_EEENSE_IJSB_SB_EEENS0_18inequality_wrapperIN6hipcub16HIPCUB_304000_NS8EqualityEEEPlJS6_EEE10hipError_tPvRmT3_T4_T5_T6_T7_T9_mT8_P12ihipStream_tbDpT10_ENKUlT_T0_E_clISt17integral_constantIbLb1EES16_IbLb0EEEEDaS12_S13_EUlS12_E_NS1_11comp_targetILNS1_3genE2ELNS1_11target_archE906ELNS1_3gpuE6ELNS1_3repE0EEENS1_30default_config_static_selectorELNS0_4arch9wavefront6targetE1EEEvT1_, .Lfunc_end568-_ZN7rocprim17ROCPRIM_400000_NS6detail17trampoline_kernelINS0_14default_configENS1_25partition_config_selectorILNS1_17partition_subalgoE8EsNS0_10empty_typeEbEEZZNS1_14partition_implILS5_8ELb0ES3_jPKsPS6_PKS6_NS0_5tupleIJPsS6_EEENSE_IJSB_SB_EEENS0_18inequality_wrapperIN6hipcub16HIPCUB_304000_NS8EqualityEEEPlJS6_EEE10hipError_tPvRmT3_T4_T5_T6_T7_T9_mT8_P12ihipStream_tbDpT10_ENKUlT_T0_E_clISt17integral_constantIbLb1EES16_IbLb0EEEEDaS12_S13_EUlS12_E_NS1_11comp_targetILNS1_3genE2ELNS1_11target_archE906ELNS1_3gpuE6ELNS1_3repE0EEENS1_30default_config_static_selectorELNS0_4arch9wavefront6targetE1EEEvT1_
                                        ; -- End function
	.section	.AMDGPU.csdata,"",@progbits
; Kernel info:
; codeLenInByte = 0
; NumSgprs: 6
; NumVgprs: 0
; NumAgprs: 0
; TotalNumVgprs: 0
; ScratchSize: 0
; MemoryBound: 0
; FloatMode: 240
; IeeeMode: 1
; LDSByteSize: 0 bytes/workgroup (compile time only)
; SGPRBlocks: 0
; VGPRBlocks: 0
; NumSGPRsForWavesPerEU: 6
; NumVGPRsForWavesPerEU: 1
; AccumOffset: 4
; Occupancy: 8
; WaveLimiterHint : 0
; COMPUTE_PGM_RSRC2:SCRATCH_EN: 0
; COMPUTE_PGM_RSRC2:USER_SGPR: 2
; COMPUTE_PGM_RSRC2:TRAP_HANDLER: 0
; COMPUTE_PGM_RSRC2:TGID_X_EN: 1
; COMPUTE_PGM_RSRC2:TGID_Y_EN: 0
; COMPUTE_PGM_RSRC2:TGID_Z_EN: 0
; COMPUTE_PGM_RSRC2:TIDIG_COMP_CNT: 0
; COMPUTE_PGM_RSRC3_GFX90A:ACCUM_OFFSET: 0
; COMPUTE_PGM_RSRC3_GFX90A:TG_SPLIT: 0
	.section	.text._ZN7rocprim17ROCPRIM_400000_NS6detail17trampoline_kernelINS0_14default_configENS1_25partition_config_selectorILNS1_17partition_subalgoE8EsNS0_10empty_typeEbEEZZNS1_14partition_implILS5_8ELb0ES3_jPKsPS6_PKS6_NS0_5tupleIJPsS6_EEENSE_IJSB_SB_EEENS0_18inequality_wrapperIN6hipcub16HIPCUB_304000_NS8EqualityEEEPlJS6_EEE10hipError_tPvRmT3_T4_T5_T6_T7_T9_mT8_P12ihipStream_tbDpT10_ENKUlT_T0_E_clISt17integral_constantIbLb1EES16_IbLb0EEEEDaS12_S13_EUlS12_E_NS1_11comp_targetILNS1_3genE10ELNS1_11target_archE1200ELNS1_3gpuE4ELNS1_3repE0EEENS1_30default_config_static_selectorELNS0_4arch9wavefront6targetE1EEEvT1_,"axG",@progbits,_ZN7rocprim17ROCPRIM_400000_NS6detail17trampoline_kernelINS0_14default_configENS1_25partition_config_selectorILNS1_17partition_subalgoE8EsNS0_10empty_typeEbEEZZNS1_14partition_implILS5_8ELb0ES3_jPKsPS6_PKS6_NS0_5tupleIJPsS6_EEENSE_IJSB_SB_EEENS0_18inequality_wrapperIN6hipcub16HIPCUB_304000_NS8EqualityEEEPlJS6_EEE10hipError_tPvRmT3_T4_T5_T6_T7_T9_mT8_P12ihipStream_tbDpT10_ENKUlT_T0_E_clISt17integral_constantIbLb1EES16_IbLb0EEEEDaS12_S13_EUlS12_E_NS1_11comp_targetILNS1_3genE10ELNS1_11target_archE1200ELNS1_3gpuE4ELNS1_3repE0EEENS1_30default_config_static_selectorELNS0_4arch9wavefront6targetE1EEEvT1_,comdat
	.protected	_ZN7rocprim17ROCPRIM_400000_NS6detail17trampoline_kernelINS0_14default_configENS1_25partition_config_selectorILNS1_17partition_subalgoE8EsNS0_10empty_typeEbEEZZNS1_14partition_implILS5_8ELb0ES3_jPKsPS6_PKS6_NS0_5tupleIJPsS6_EEENSE_IJSB_SB_EEENS0_18inequality_wrapperIN6hipcub16HIPCUB_304000_NS8EqualityEEEPlJS6_EEE10hipError_tPvRmT3_T4_T5_T6_T7_T9_mT8_P12ihipStream_tbDpT10_ENKUlT_T0_E_clISt17integral_constantIbLb1EES16_IbLb0EEEEDaS12_S13_EUlS12_E_NS1_11comp_targetILNS1_3genE10ELNS1_11target_archE1200ELNS1_3gpuE4ELNS1_3repE0EEENS1_30default_config_static_selectorELNS0_4arch9wavefront6targetE1EEEvT1_ ; -- Begin function _ZN7rocprim17ROCPRIM_400000_NS6detail17trampoline_kernelINS0_14default_configENS1_25partition_config_selectorILNS1_17partition_subalgoE8EsNS0_10empty_typeEbEEZZNS1_14partition_implILS5_8ELb0ES3_jPKsPS6_PKS6_NS0_5tupleIJPsS6_EEENSE_IJSB_SB_EEENS0_18inequality_wrapperIN6hipcub16HIPCUB_304000_NS8EqualityEEEPlJS6_EEE10hipError_tPvRmT3_T4_T5_T6_T7_T9_mT8_P12ihipStream_tbDpT10_ENKUlT_T0_E_clISt17integral_constantIbLb1EES16_IbLb0EEEEDaS12_S13_EUlS12_E_NS1_11comp_targetILNS1_3genE10ELNS1_11target_archE1200ELNS1_3gpuE4ELNS1_3repE0EEENS1_30default_config_static_selectorELNS0_4arch9wavefront6targetE1EEEvT1_
	.globl	_ZN7rocprim17ROCPRIM_400000_NS6detail17trampoline_kernelINS0_14default_configENS1_25partition_config_selectorILNS1_17partition_subalgoE8EsNS0_10empty_typeEbEEZZNS1_14partition_implILS5_8ELb0ES3_jPKsPS6_PKS6_NS0_5tupleIJPsS6_EEENSE_IJSB_SB_EEENS0_18inequality_wrapperIN6hipcub16HIPCUB_304000_NS8EqualityEEEPlJS6_EEE10hipError_tPvRmT3_T4_T5_T6_T7_T9_mT8_P12ihipStream_tbDpT10_ENKUlT_T0_E_clISt17integral_constantIbLb1EES16_IbLb0EEEEDaS12_S13_EUlS12_E_NS1_11comp_targetILNS1_3genE10ELNS1_11target_archE1200ELNS1_3gpuE4ELNS1_3repE0EEENS1_30default_config_static_selectorELNS0_4arch9wavefront6targetE1EEEvT1_
	.p2align	8
	.type	_ZN7rocprim17ROCPRIM_400000_NS6detail17trampoline_kernelINS0_14default_configENS1_25partition_config_selectorILNS1_17partition_subalgoE8EsNS0_10empty_typeEbEEZZNS1_14partition_implILS5_8ELb0ES3_jPKsPS6_PKS6_NS0_5tupleIJPsS6_EEENSE_IJSB_SB_EEENS0_18inequality_wrapperIN6hipcub16HIPCUB_304000_NS8EqualityEEEPlJS6_EEE10hipError_tPvRmT3_T4_T5_T6_T7_T9_mT8_P12ihipStream_tbDpT10_ENKUlT_T0_E_clISt17integral_constantIbLb1EES16_IbLb0EEEEDaS12_S13_EUlS12_E_NS1_11comp_targetILNS1_3genE10ELNS1_11target_archE1200ELNS1_3gpuE4ELNS1_3repE0EEENS1_30default_config_static_selectorELNS0_4arch9wavefront6targetE1EEEvT1_,@function
_ZN7rocprim17ROCPRIM_400000_NS6detail17trampoline_kernelINS0_14default_configENS1_25partition_config_selectorILNS1_17partition_subalgoE8EsNS0_10empty_typeEbEEZZNS1_14partition_implILS5_8ELb0ES3_jPKsPS6_PKS6_NS0_5tupleIJPsS6_EEENSE_IJSB_SB_EEENS0_18inequality_wrapperIN6hipcub16HIPCUB_304000_NS8EqualityEEEPlJS6_EEE10hipError_tPvRmT3_T4_T5_T6_T7_T9_mT8_P12ihipStream_tbDpT10_ENKUlT_T0_E_clISt17integral_constantIbLb1EES16_IbLb0EEEEDaS12_S13_EUlS12_E_NS1_11comp_targetILNS1_3genE10ELNS1_11target_archE1200ELNS1_3gpuE4ELNS1_3repE0EEENS1_30default_config_static_selectorELNS0_4arch9wavefront6targetE1EEEvT1_: ; @_ZN7rocprim17ROCPRIM_400000_NS6detail17trampoline_kernelINS0_14default_configENS1_25partition_config_selectorILNS1_17partition_subalgoE8EsNS0_10empty_typeEbEEZZNS1_14partition_implILS5_8ELb0ES3_jPKsPS6_PKS6_NS0_5tupleIJPsS6_EEENSE_IJSB_SB_EEENS0_18inequality_wrapperIN6hipcub16HIPCUB_304000_NS8EqualityEEEPlJS6_EEE10hipError_tPvRmT3_T4_T5_T6_T7_T9_mT8_P12ihipStream_tbDpT10_ENKUlT_T0_E_clISt17integral_constantIbLb1EES16_IbLb0EEEEDaS12_S13_EUlS12_E_NS1_11comp_targetILNS1_3genE10ELNS1_11target_archE1200ELNS1_3gpuE4ELNS1_3repE0EEENS1_30default_config_static_selectorELNS0_4arch9wavefront6targetE1EEEvT1_
; %bb.0:
	.section	.rodata,"a",@progbits
	.p2align	6, 0x0
	.amdhsa_kernel _ZN7rocprim17ROCPRIM_400000_NS6detail17trampoline_kernelINS0_14default_configENS1_25partition_config_selectorILNS1_17partition_subalgoE8EsNS0_10empty_typeEbEEZZNS1_14partition_implILS5_8ELb0ES3_jPKsPS6_PKS6_NS0_5tupleIJPsS6_EEENSE_IJSB_SB_EEENS0_18inequality_wrapperIN6hipcub16HIPCUB_304000_NS8EqualityEEEPlJS6_EEE10hipError_tPvRmT3_T4_T5_T6_T7_T9_mT8_P12ihipStream_tbDpT10_ENKUlT_T0_E_clISt17integral_constantIbLb1EES16_IbLb0EEEEDaS12_S13_EUlS12_E_NS1_11comp_targetILNS1_3genE10ELNS1_11target_archE1200ELNS1_3gpuE4ELNS1_3repE0EEENS1_30default_config_static_selectorELNS0_4arch9wavefront6targetE1EEEvT1_
		.amdhsa_group_segment_fixed_size 0
		.amdhsa_private_segment_fixed_size 0
		.amdhsa_kernarg_size 112
		.amdhsa_user_sgpr_count 2
		.amdhsa_user_sgpr_dispatch_ptr 0
		.amdhsa_user_sgpr_queue_ptr 0
		.amdhsa_user_sgpr_kernarg_segment_ptr 1
		.amdhsa_user_sgpr_dispatch_id 0
		.amdhsa_user_sgpr_kernarg_preload_length 0
		.amdhsa_user_sgpr_kernarg_preload_offset 0
		.amdhsa_user_sgpr_private_segment_size 0
		.amdhsa_uses_dynamic_stack 0
		.amdhsa_enable_private_segment 0
		.amdhsa_system_sgpr_workgroup_id_x 1
		.amdhsa_system_sgpr_workgroup_id_y 0
		.amdhsa_system_sgpr_workgroup_id_z 0
		.amdhsa_system_sgpr_workgroup_info 0
		.amdhsa_system_vgpr_workitem_id 0
		.amdhsa_next_free_vgpr 1
		.amdhsa_next_free_sgpr 0
		.amdhsa_accum_offset 4
		.amdhsa_reserve_vcc 0
		.amdhsa_float_round_mode_32 0
		.amdhsa_float_round_mode_16_64 0
		.amdhsa_float_denorm_mode_32 3
		.amdhsa_float_denorm_mode_16_64 3
		.amdhsa_dx10_clamp 1
		.amdhsa_ieee_mode 1
		.amdhsa_fp16_overflow 0
		.amdhsa_tg_split 0
		.amdhsa_exception_fp_ieee_invalid_op 0
		.amdhsa_exception_fp_denorm_src 0
		.amdhsa_exception_fp_ieee_div_zero 0
		.amdhsa_exception_fp_ieee_overflow 0
		.amdhsa_exception_fp_ieee_underflow 0
		.amdhsa_exception_fp_ieee_inexact 0
		.amdhsa_exception_int_div_zero 0
	.end_amdhsa_kernel
	.section	.text._ZN7rocprim17ROCPRIM_400000_NS6detail17trampoline_kernelINS0_14default_configENS1_25partition_config_selectorILNS1_17partition_subalgoE8EsNS0_10empty_typeEbEEZZNS1_14partition_implILS5_8ELb0ES3_jPKsPS6_PKS6_NS0_5tupleIJPsS6_EEENSE_IJSB_SB_EEENS0_18inequality_wrapperIN6hipcub16HIPCUB_304000_NS8EqualityEEEPlJS6_EEE10hipError_tPvRmT3_T4_T5_T6_T7_T9_mT8_P12ihipStream_tbDpT10_ENKUlT_T0_E_clISt17integral_constantIbLb1EES16_IbLb0EEEEDaS12_S13_EUlS12_E_NS1_11comp_targetILNS1_3genE10ELNS1_11target_archE1200ELNS1_3gpuE4ELNS1_3repE0EEENS1_30default_config_static_selectorELNS0_4arch9wavefront6targetE1EEEvT1_,"axG",@progbits,_ZN7rocprim17ROCPRIM_400000_NS6detail17trampoline_kernelINS0_14default_configENS1_25partition_config_selectorILNS1_17partition_subalgoE8EsNS0_10empty_typeEbEEZZNS1_14partition_implILS5_8ELb0ES3_jPKsPS6_PKS6_NS0_5tupleIJPsS6_EEENSE_IJSB_SB_EEENS0_18inequality_wrapperIN6hipcub16HIPCUB_304000_NS8EqualityEEEPlJS6_EEE10hipError_tPvRmT3_T4_T5_T6_T7_T9_mT8_P12ihipStream_tbDpT10_ENKUlT_T0_E_clISt17integral_constantIbLb1EES16_IbLb0EEEEDaS12_S13_EUlS12_E_NS1_11comp_targetILNS1_3genE10ELNS1_11target_archE1200ELNS1_3gpuE4ELNS1_3repE0EEENS1_30default_config_static_selectorELNS0_4arch9wavefront6targetE1EEEvT1_,comdat
.Lfunc_end569:
	.size	_ZN7rocprim17ROCPRIM_400000_NS6detail17trampoline_kernelINS0_14default_configENS1_25partition_config_selectorILNS1_17partition_subalgoE8EsNS0_10empty_typeEbEEZZNS1_14partition_implILS5_8ELb0ES3_jPKsPS6_PKS6_NS0_5tupleIJPsS6_EEENSE_IJSB_SB_EEENS0_18inequality_wrapperIN6hipcub16HIPCUB_304000_NS8EqualityEEEPlJS6_EEE10hipError_tPvRmT3_T4_T5_T6_T7_T9_mT8_P12ihipStream_tbDpT10_ENKUlT_T0_E_clISt17integral_constantIbLb1EES16_IbLb0EEEEDaS12_S13_EUlS12_E_NS1_11comp_targetILNS1_3genE10ELNS1_11target_archE1200ELNS1_3gpuE4ELNS1_3repE0EEENS1_30default_config_static_selectorELNS0_4arch9wavefront6targetE1EEEvT1_, .Lfunc_end569-_ZN7rocprim17ROCPRIM_400000_NS6detail17trampoline_kernelINS0_14default_configENS1_25partition_config_selectorILNS1_17partition_subalgoE8EsNS0_10empty_typeEbEEZZNS1_14partition_implILS5_8ELb0ES3_jPKsPS6_PKS6_NS0_5tupleIJPsS6_EEENSE_IJSB_SB_EEENS0_18inequality_wrapperIN6hipcub16HIPCUB_304000_NS8EqualityEEEPlJS6_EEE10hipError_tPvRmT3_T4_T5_T6_T7_T9_mT8_P12ihipStream_tbDpT10_ENKUlT_T0_E_clISt17integral_constantIbLb1EES16_IbLb0EEEEDaS12_S13_EUlS12_E_NS1_11comp_targetILNS1_3genE10ELNS1_11target_archE1200ELNS1_3gpuE4ELNS1_3repE0EEENS1_30default_config_static_selectorELNS0_4arch9wavefront6targetE1EEEvT1_
                                        ; -- End function
	.section	.AMDGPU.csdata,"",@progbits
; Kernel info:
; codeLenInByte = 0
; NumSgprs: 6
; NumVgprs: 0
; NumAgprs: 0
; TotalNumVgprs: 0
; ScratchSize: 0
; MemoryBound: 0
; FloatMode: 240
; IeeeMode: 1
; LDSByteSize: 0 bytes/workgroup (compile time only)
; SGPRBlocks: 0
; VGPRBlocks: 0
; NumSGPRsForWavesPerEU: 6
; NumVGPRsForWavesPerEU: 1
; AccumOffset: 4
; Occupancy: 8
; WaveLimiterHint : 0
; COMPUTE_PGM_RSRC2:SCRATCH_EN: 0
; COMPUTE_PGM_RSRC2:USER_SGPR: 2
; COMPUTE_PGM_RSRC2:TRAP_HANDLER: 0
; COMPUTE_PGM_RSRC2:TGID_X_EN: 1
; COMPUTE_PGM_RSRC2:TGID_Y_EN: 0
; COMPUTE_PGM_RSRC2:TGID_Z_EN: 0
; COMPUTE_PGM_RSRC2:TIDIG_COMP_CNT: 0
; COMPUTE_PGM_RSRC3_GFX90A:ACCUM_OFFSET: 0
; COMPUTE_PGM_RSRC3_GFX90A:TG_SPLIT: 0
	.section	.text._ZN7rocprim17ROCPRIM_400000_NS6detail17trampoline_kernelINS0_14default_configENS1_25partition_config_selectorILNS1_17partition_subalgoE8EsNS0_10empty_typeEbEEZZNS1_14partition_implILS5_8ELb0ES3_jPKsPS6_PKS6_NS0_5tupleIJPsS6_EEENSE_IJSB_SB_EEENS0_18inequality_wrapperIN6hipcub16HIPCUB_304000_NS8EqualityEEEPlJS6_EEE10hipError_tPvRmT3_T4_T5_T6_T7_T9_mT8_P12ihipStream_tbDpT10_ENKUlT_T0_E_clISt17integral_constantIbLb1EES16_IbLb0EEEEDaS12_S13_EUlS12_E_NS1_11comp_targetILNS1_3genE9ELNS1_11target_archE1100ELNS1_3gpuE3ELNS1_3repE0EEENS1_30default_config_static_selectorELNS0_4arch9wavefront6targetE1EEEvT1_,"axG",@progbits,_ZN7rocprim17ROCPRIM_400000_NS6detail17trampoline_kernelINS0_14default_configENS1_25partition_config_selectorILNS1_17partition_subalgoE8EsNS0_10empty_typeEbEEZZNS1_14partition_implILS5_8ELb0ES3_jPKsPS6_PKS6_NS0_5tupleIJPsS6_EEENSE_IJSB_SB_EEENS0_18inequality_wrapperIN6hipcub16HIPCUB_304000_NS8EqualityEEEPlJS6_EEE10hipError_tPvRmT3_T4_T5_T6_T7_T9_mT8_P12ihipStream_tbDpT10_ENKUlT_T0_E_clISt17integral_constantIbLb1EES16_IbLb0EEEEDaS12_S13_EUlS12_E_NS1_11comp_targetILNS1_3genE9ELNS1_11target_archE1100ELNS1_3gpuE3ELNS1_3repE0EEENS1_30default_config_static_selectorELNS0_4arch9wavefront6targetE1EEEvT1_,comdat
	.protected	_ZN7rocprim17ROCPRIM_400000_NS6detail17trampoline_kernelINS0_14default_configENS1_25partition_config_selectorILNS1_17partition_subalgoE8EsNS0_10empty_typeEbEEZZNS1_14partition_implILS5_8ELb0ES3_jPKsPS6_PKS6_NS0_5tupleIJPsS6_EEENSE_IJSB_SB_EEENS0_18inequality_wrapperIN6hipcub16HIPCUB_304000_NS8EqualityEEEPlJS6_EEE10hipError_tPvRmT3_T4_T5_T6_T7_T9_mT8_P12ihipStream_tbDpT10_ENKUlT_T0_E_clISt17integral_constantIbLb1EES16_IbLb0EEEEDaS12_S13_EUlS12_E_NS1_11comp_targetILNS1_3genE9ELNS1_11target_archE1100ELNS1_3gpuE3ELNS1_3repE0EEENS1_30default_config_static_selectorELNS0_4arch9wavefront6targetE1EEEvT1_ ; -- Begin function _ZN7rocprim17ROCPRIM_400000_NS6detail17trampoline_kernelINS0_14default_configENS1_25partition_config_selectorILNS1_17partition_subalgoE8EsNS0_10empty_typeEbEEZZNS1_14partition_implILS5_8ELb0ES3_jPKsPS6_PKS6_NS0_5tupleIJPsS6_EEENSE_IJSB_SB_EEENS0_18inequality_wrapperIN6hipcub16HIPCUB_304000_NS8EqualityEEEPlJS6_EEE10hipError_tPvRmT3_T4_T5_T6_T7_T9_mT8_P12ihipStream_tbDpT10_ENKUlT_T0_E_clISt17integral_constantIbLb1EES16_IbLb0EEEEDaS12_S13_EUlS12_E_NS1_11comp_targetILNS1_3genE9ELNS1_11target_archE1100ELNS1_3gpuE3ELNS1_3repE0EEENS1_30default_config_static_selectorELNS0_4arch9wavefront6targetE1EEEvT1_
	.globl	_ZN7rocprim17ROCPRIM_400000_NS6detail17trampoline_kernelINS0_14default_configENS1_25partition_config_selectorILNS1_17partition_subalgoE8EsNS0_10empty_typeEbEEZZNS1_14partition_implILS5_8ELb0ES3_jPKsPS6_PKS6_NS0_5tupleIJPsS6_EEENSE_IJSB_SB_EEENS0_18inequality_wrapperIN6hipcub16HIPCUB_304000_NS8EqualityEEEPlJS6_EEE10hipError_tPvRmT3_T4_T5_T6_T7_T9_mT8_P12ihipStream_tbDpT10_ENKUlT_T0_E_clISt17integral_constantIbLb1EES16_IbLb0EEEEDaS12_S13_EUlS12_E_NS1_11comp_targetILNS1_3genE9ELNS1_11target_archE1100ELNS1_3gpuE3ELNS1_3repE0EEENS1_30default_config_static_selectorELNS0_4arch9wavefront6targetE1EEEvT1_
	.p2align	8
	.type	_ZN7rocprim17ROCPRIM_400000_NS6detail17trampoline_kernelINS0_14default_configENS1_25partition_config_selectorILNS1_17partition_subalgoE8EsNS0_10empty_typeEbEEZZNS1_14partition_implILS5_8ELb0ES3_jPKsPS6_PKS6_NS0_5tupleIJPsS6_EEENSE_IJSB_SB_EEENS0_18inequality_wrapperIN6hipcub16HIPCUB_304000_NS8EqualityEEEPlJS6_EEE10hipError_tPvRmT3_T4_T5_T6_T7_T9_mT8_P12ihipStream_tbDpT10_ENKUlT_T0_E_clISt17integral_constantIbLb1EES16_IbLb0EEEEDaS12_S13_EUlS12_E_NS1_11comp_targetILNS1_3genE9ELNS1_11target_archE1100ELNS1_3gpuE3ELNS1_3repE0EEENS1_30default_config_static_selectorELNS0_4arch9wavefront6targetE1EEEvT1_,@function
_ZN7rocprim17ROCPRIM_400000_NS6detail17trampoline_kernelINS0_14default_configENS1_25partition_config_selectorILNS1_17partition_subalgoE8EsNS0_10empty_typeEbEEZZNS1_14partition_implILS5_8ELb0ES3_jPKsPS6_PKS6_NS0_5tupleIJPsS6_EEENSE_IJSB_SB_EEENS0_18inequality_wrapperIN6hipcub16HIPCUB_304000_NS8EqualityEEEPlJS6_EEE10hipError_tPvRmT3_T4_T5_T6_T7_T9_mT8_P12ihipStream_tbDpT10_ENKUlT_T0_E_clISt17integral_constantIbLb1EES16_IbLb0EEEEDaS12_S13_EUlS12_E_NS1_11comp_targetILNS1_3genE9ELNS1_11target_archE1100ELNS1_3gpuE3ELNS1_3repE0EEENS1_30default_config_static_selectorELNS0_4arch9wavefront6targetE1EEEvT1_: ; @_ZN7rocprim17ROCPRIM_400000_NS6detail17trampoline_kernelINS0_14default_configENS1_25partition_config_selectorILNS1_17partition_subalgoE8EsNS0_10empty_typeEbEEZZNS1_14partition_implILS5_8ELb0ES3_jPKsPS6_PKS6_NS0_5tupleIJPsS6_EEENSE_IJSB_SB_EEENS0_18inequality_wrapperIN6hipcub16HIPCUB_304000_NS8EqualityEEEPlJS6_EEE10hipError_tPvRmT3_T4_T5_T6_T7_T9_mT8_P12ihipStream_tbDpT10_ENKUlT_T0_E_clISt17integral_constantIbLb1EES16_IbLb0EEEEDaS12_S13_EUlS12_E_NS1_11comp_targetILNS1_3genE9ELNS1_11target_archE1100ELNS1_3gpuE3ELNS1_3repE0EEENS1_30default_config_static_selectorELNS0_4arch9wavefront6targetE1EEEvT1_
; %bb.0:
	.section	.rodata,"a",@progbits
	.p2align	6, 0x0
	.amdhsa_kernel _ZN7rocprim17ROCPRIM_400000_NS6detail17trampoline_kernelINS0_14default_configENS1_25partition_config_selectorILNS1_17partition_subalgoE8EsNS0_10empty_typeEbEEZZNS1_14partition_implILS5_8ELb0ES3_jPKsPS6_PKS6_NS0_5tupleIJPsS6_EEENSE_IJSB_SB_EEENS0_18inequality_wrapperIN6hipcub16HIPCUB_304000_NS8EqualityEEEPlJS6_EEE10hipError_tPvRmT3_T4_T5_T6_T7_T9_mT8_P12ihipStream_tbDpT10_ENKUlT_T0_E_clISt17integral_constantIbLb1EES16_IbLb0EEEEDaS12_S13_EUlS12_E_NS1_11comp_targetILNS1_3genE9ELNS1_11target_archE1100ELNS1_3gpuE3ELNS1_3repE0EEENS1_30default_config_static_selectorELNS0_4arch9wavefront6targetE1EEEvT1_
		.amdhsa_group_segment_fixed_size 0
		.amdhsa_private_segment_fixed_size 0
		.amdhsa_kernarg_size 112
		.amdhsa_user_sgpr_count 2
		.amdhsa_user_sgpr_dispatch_ptr 0
		.amdhsa_user_sgpr_queue_ptr 0
		.amdhsa_user_sgpr_kernarg_segment_ptr 1
		.amdhsa_user_sgpr_dispatch_id 0
		.amdhsa_user_sgpr_kernarg_preload_length 0
		.amdhsa_user_sgpr_kernarg_preload_offset 0
		.amdhsa_user_sgpr_private_segment_size 0
		.amdhsa_uses_dynamic_stack 0
		.amdhsa_enable_private_segment 0
		.amdhsa_system_sgpr_workgroup_id_x 1
		.amdhsa_system_sgpr_workgroup_id_y 0
		.amdhsa_system_sgpr_workgroup_id_z 0
		.amdhsa_system_sgpr_workgroup_info 0
		.amdhsa_system_vgpr_workitem_id 0
		.amdhsa_next_free_vgpr 1
		.amdhsa_next_free_sgpr 0
		.amdhsa_accum_offset 4
		.amdhsa_reserve_vcc 0
		.amdhsa_float_round_mode_32 0
		.amdhsa_float_round_mode_16_64 0
		.amdhsa_float_denorm_mode_32 3
		.amdhsa_float_denorm_mode_16_64 3
		.amdhsa_dx10_clamp 1
		.amdhsa_ieee_mode 1
		.amdhsa_fp16_overflow 0
		.amdhsa_tg_split 0
		.amdhsa_exception_fp_ieee_invalid_op 0
		.amdhsa_exception_fp_denorm_src 0
		.amdhsa_exception_fp_ieee_div_zero 0
		.amdhsa_exception_fp_ieee_overflow 0
		.amdhsa_exception_fp_ieee_underflow 0
		.amdhsa_exception_fp_ieee_inexact 0
		.amdhsa_exception_int_div_zero 0
	.end_amdhsa_kernel
	.section	.text._ZN7rocprim17ROCPRIM_400000_NS6detail17trampoline_kernelINS0_14default_configENS1_25partition_config_selectorILNS1_17partition_subalgoE8EsNS0_10empty_typeEbEEZZNS1_14partition_implILS5_8ELb0ES3_jPKsPS6_PKS6_NS0_5tupleIJPsS6_EEENSE_IJSB_SB_EEENS0_18inequality_wrapperIN6hipcub16HIPCUB_304000_NS8EqualityEEEPlJS6_EEE10hipError_tPvRmT3_T4_T5_T6_T7_T9_mT8_P12ihipStream_tbDpT10_ENKUlT_T0_E_clISt17integral_constantIbLb1EES16_IbLb0EEEEDaS12_S13_EUlS12_E_NS1_11comp_targetILNS1_3genE9ELNS1_11target_archE1100ELNS1_3gpuE3ELNS1_3repE0EEENS1_30default_config_static_selectorELNS0_4arch9wavefront6targetE1EEEvT1_,"axG",@progbits,_ZN7rocprim17ROCPRIM_400000_NS6detail17trampoline_kernelINS0_14default_configENS1_25partition_config_selectorILNS1_17partition_subalgoE8EsNS0_10empty_typeEbEEZZNS1_14partition_implILS5_8ELb0ES3_jPKsPS6_PKS6_NS0_5tupleIJPsS6_EEENSE_IJSB_SB_EEENS0_18inequality_wrapperIN6hipcub16HIPCUB_304000_NS8EqualityEEEPlJS6_EEE10hipError_tPvRmT3_T4_T5_T6_T7_T9_mT8_P12ihipStream_tbDpT10_ENKUlT_T0_E_clISt17integral_constantIbLb1EES16_IbLb0EEEEDaS12_S13_EUlS12_E_NS1_11comp_targetILNS1_3genE9ELNS1_11target_archE1100ELNS1_3gpuE3ELNS1_3repE0EEENS1_30default_config_static_selectorELNS0_4arch9wavefront6targetE1EEEvT1_,comdat
.Lfunc_end570:
	.size	_ZN7rocprim17ROCPRIM_400000_NS6detail17trampoline_kernelINS0_14default_configENS1_25partition_config_selectorILNS1_17partition_subalgoE8EsNS0_10empty_typeEbEEZZNS1_14partition_implILS5_8ELb0ES3_jPKsPS6_PKS6_NS0_5tupleIJPsS6_EEENSE_IJSB_SB_EEENS0_18inequality_wrapperIN6hipcub16HIPCUB_304000_NS8EqualityEEEPlJS6_EEE10hipError_tPvRmT3_T4_T5_T6_T7_T9_mT8_P12ihipStream_tbDpT10_ENKUlT_T0_E_clISt17integral_constantIbLb1EES16_IbLb0EEEEDaS12_S13_EUlS12_E_NS1_11comp_targetILNS1_3genE9ELNS1_11target_archE1100ELNS1_3gpuE3ELNS1_3repE0EEENS1_30default_config_static_selectorELNS0_4arch9wavefront6targetE1EEEvT1_, .Lfunc_end570-_ZN7rocprim17ROCPRIM_400000_NS6detail17trampoline_kernelINS0_14default_configENS1_25partition_config_selectorILNS1_17partition_subalgoE8EsNS0_10empty_typeEbEEZZNS1_14partition_implILS5_8ELb0ES3_jPKsPS6_PKS6_NS0_5tupleIJPsS6_EEENSE_IJSB_SB_EEENS0_18inequality_wrapperIN6hipcub16HIPCUB_304000_NS8EqualityEEEPlJS6_EEE10hipError_tPvRmT3_T4_T5_T6_T7_T9_mT8_P12ihipStream_tbDpT10_ENKUlT_T0_E_clISt17integral_constantIbLb1EES16_IbLb0EEEEDaS12_S13_EUlS12_E_NS1_11comp_targetILNS1_3genE9ELNS1_11target_archE1100ELNS1_3gpuE3ELNS1_3repE0EEENS1_30default_config_static_selectorELNS0_4arch9wavefront6targetE1EEEvT1_
                                        ; -- End function
	.section	.AMDGPU.csdata,"",@progbits
; Kernel info:
; codeLenInByte = 0
; NumSgprs: 6
; NumVgprs: 0
; NumAgprs: 0
; TotalNumVgprs: 0
; ScratchSize: 0
; MemoryBound: 0
; FloatMode: 240
; IeeeMode: 1
; LDSByteSize: 0 bytes/workgroup (compile time only)
; SGPRBlocks: 0
; VGPRBlocks: 0
; NumSGPRsForWavesPerEU: 6
; NumVGPRsForWavesPerEU: 1
; AccumOffset: 4
; Occupancy: 8
; WaveLimiterHint : 0
; COMPUTE_PGM_RSRC2:SCRATCH_EN: 0
; COMPUTE_PGM_RSRC2:USER_SGPR: 2
; COMPUTE_PGM_RSRC2:TRAP_HANDLER: 0
; COMPUTE_PGM_RSRC2:TGID_X_EN: 1
; COMPUTE_PGM_RSRC2:TGID_Y_EN: 0
; COMPUTE_PGM_RSRC2:TGID_Z_EN: 0
; COMPUTE_PGM_RSRC2:TIDIG_COMP_CNT: 0
; COMPUTE_PGM_RSRC3_GFX90A:ACCUM_OFFSET: 0
; COMPUTE_PGM_RSRC3_GFX90A:TG_SPLIT: 0
	.section	.text._ZN7rocprim17ROCPRIM_400000_NS6detail17trampoline_kernelINS0_14default_configENS1_25partition_config_selectorILNS1_17partition_subalgoE8EsNS0_10empty_typeEbEEZZNS1_14partition_implILS5_8ELb0ES3_jPKsPS6_PKS6_NS0_5tupleIJPsS6_EEENSE_IJSB_SB_EEENS0_18inequality_wrapperIN6hipcub16HIPCUB_304000_NS8EqualityEEEPlJS6_EEE10hipError_tPvRmT3_T4_T5_T6_T7_T9_mT8_P12ihipStream_tbDpT10_ENKUlT_T0_E_clISt17integral_constantIbLb1EES16_IbLb0EEEEDaS12_S13_EUlS12_E_NS1_11comp_targetILNS1_3genE8ELNS1_11target_archE1030ELNS1_3gpuE2ELNS1_3repE0EEENS1_30default_config_static_selectorELNS0_4arch9wavefront6targetE1EEEvT1_,"axG",@progbits,_ZN7rocprim17ROCPRIM_400000_NS6detail17trampoline_kernelINS0_14default_configENS1_25partition_config_selectorILNS1_17partition_subalgoE8EsNS0_10empty_typeEbEEZZNS1_14partition_implILS5_8ELb0ES3_jPKsPS6_PKS6_NS0_5tupleIJPsS6_EEENSE_IJSB_SB_EEENS0_18inequality_wrapperIN6hipcub16HIPCUB_304000_NS8EqualityEEEPlJS6_EEE10hipError_tPvRmT3_T4_T5_T6_T7_T9_mT8_P12ihipStream_tbDpT10_ENKUlT_T0_E_clISt17integral_constantIbLb1EES16_IbLb0EEEEDaS12_S13_EUlS12_E_NS1_11comp_targetILNS1_3genE8ELNS1_11target_archE1030ELNS1_3gpuE2ELNS1_3repE0EEENS1_30default_config_static_selectorELNS0_4arch9wavefront6targetE1EEEvT1_,comdat
	.protected	_ZN7rocprim17ROCPRIM_400000_NS6detail17trampoline_kernelINS0_14default_configENS1_25partition_config_selectorILNS1_17partition_subalgoE8EsNS0_10empty_typeEbEEZZNS1_14partition_implILS5_8ELb0ES3_jPKsPS6_PKS6_NS0_5tupleIJPsS6_EEENSE_IJSB_SB_EEENS0_18inequality_wrapperIN6hipcub16HIPCUB_304000_NS8EqualityEEEPlJS6_EEE10hipError_tPvRmT3_T4_T5_T6_T7_T9_mT8_P12ihipStream_tbDpT10_ENKUlT_T0_E_clISt17integral_constantIbLb1EES16_IbLb0EEEEDaS12_S13_EUlS12_E_NS1_11comp_targetILNS1_3genE8ELNS1_11target_archE1030ELNS1_3gpuE2ELNS1_3repE0EEENS1_30default_config_static_selectorELNS0_4arch9wavefront6targetE1EEEvT1_ ; -- Begin function _ZN7rocprim17ROCPRIM_400000_NS6detail17trampoline_kernelINS0_14default_configENS1_25partition_config_selectorILNS1_17partition_subalgoE8EsNS0_10empty_typeEbEEZZNS1_14partition_implILS5_8ELb0ES3_jPKsPS6_PKS6_NS0_5tupleIJPsS6_EEENSE_IJSB_SB_EEENS0_18inequality_wrapperIN6hipcub16HIPCUB_304000_NS8EqualityEEEPlJS6_EEE10hipError_tPvRmT3_T4_T5_T6_T7_T9_mT8_P12ihipStream_tbDpT10_ENKUlT_T0_E_clISt17integral_constantIbLb1EES16_IbLb0EEEEDaS12_S13_EUlS12_E_NS1_11comp_targetILNS1_3genE8ELNS1_11target_archE1030ELNS1_3gpuE2ELNS1_3repE0EEENS1_30default_config_static_selectorELNS0_4arch9wavefront6targetE1EEEvT1_
	.globl	_ZN7rocprim17ROCPRIM_400000_NS6detail17trampoline_kernelINS0_14default_configENS1_25partition_config_selectorILNS1_17partition_subalgoE8EsNS0_10empty_typeEbEEZZNS1_14partition_implILS5_8ELb0ES3_jPKsPS6_PKS6_NS0_5tupleIJPsS6_EEENSE_IJSB_SB_EEENS0_18inequality_wrapperIN6hipcub16HIPCUB_304000_NS8EqualityEEEPlJS6_EEE10hipError_tPvRmT3_T4_T5_T6_T7_T9_mT8_P12ihipStream_tbDpT10_ENKUlT_T0_E_clISt17integral_constantIbLb1EES16_IbLb0EEEEDaS12_S13_EUlS12_E_NS1_11comp_targetILNS1_3genE8ELNS1_11target_archE1030ELNS1_3gpuE2ELNS1_3repE0EEENS1_30default_config_static_selectorELNS0_4arch9wavefront6targetE1EEEvT1_
	.p2align	8
	.type	_ZN7rocprim17ROCPRIM_400000_NS6detail17trampoline_kernelINS0_14default_configENS1_25partition_config_selectorILNS1_17partition_subalgoE8EsNS0_10empty_typeEbEEZZNS1_14partition_implILS5_8ELb0ES3_jPKsPS6_PKS6_NS0_5tupleIJPsS6_EEENSE_IJSB_SB_EEENS0_18inequality_wrapperIN6hipcub16HIPCUB_304000_NS8EqualityEEEPlJS6_EEE10hipError_tPvRmT3_T4_T5_T6_T7_T9_mT8_P12ihipStream_tbDpT10_ENKUlT_T0_E_clISt17integral_constantIbLb1EES16_IbLb0EEEEDaS12_S13_EUlS12_E_NS1_11comp_targetILNS1_3genE8ELNS1_11target_archE1030ELNS1_3gpuE2ELNS1_3repE0EEENS1_30default_config_static_selectorELNS0_4arch9wavefront6targetE1EEEvT1_,@function
_ZN7rocprim17ROCPRIM_400000_NS6detail17trampoline_kernelINS0_14default_configENS1_25partition_config_selectorILNS1_17partition_subalgoE8EsNS0_10empty_typeEbEEZZNS1_14partition_implILS5_8ELb0ES3_jPKsPS6_PKS6_NS0_5tupleIJPsS6_EEENSE_IJSB_SB_EEENS0_18inequality_wrapperIN6hipcub16HIPCUB_304000_NS8EqualityEEEPlJS6_EEE10hipError_tPvRmT3_T4_T5_T6_T7_T9_mT8_P12ihipStream_tbDpT10_ENKUlT_T0_E_clISt17integral_constantIbLb1EES16_IbLb0EEEEDaS12_S13_EUlS12_E_NS1_11comp_targetILNS1_3genE8ELNS1_11target_archE1030ELNS1_3gpuE2ELNS1_3repE0EEENS1_30default_config_static_selectorELNS0_4arch9wavefront6targetE1EEEvT1_: ; @_ZN7rocprim17ROCPRIM_400000_NS6detail17trampoline_kernelINS0_14default_configENS1_25partition_config_selectorILNS1_17partition_subalgoE8EsNS0_10empty_typeEbEEZZNS1_14partition_implILS5_8ELb0ES3_jPKsPS6_PKS6_NS0_5tupleIJPsS6_EEENSE_IJSB_SB_EEENS0_18inequality_wrapperIN6hipcub16HIPCUB_304000_NS8EqualityEEEPlJS6_EEE10hipError_tPvRmT3_T4_T5_T6_T7_T9_mT8_P12ihipStream_tbDpT10_ENKUlT_T0_E_clISt17integral_constantIbLb1EES16_IbLb0EEEEDaS12_S13_EUlS12_E_NS1_11comp_targetILNS1_3genE8ELNS1_11target_archE1030ELNS1_3gpuE2ELNS1_3repE0EEENS1_30default_config_static_selectorELNS0_4arch9wavefront6targetE1EEEvT1_
; %bb.0:
	.section	.rodata,"a",@progbits
	.p2align	6, 0x0
	.amdhsa_kernel _ZN7rocprim17ROCPRIM_400000_NS6detail17trampoline_kernelINS0_14default_configENS1_25partition_config_selectorILNS1_17partition_subalgoE8EsNS0_10empty_typeEbEEZZNS1_14partition_implILS5_8ELb0ES3_jPKsPS6_PKS6_NS0_5tupleIJPsS6_EEENSE_IJSB_SB_EEENS0_18inequality_wrapperIN6hipcub16HIPCUB_304000_NS8EqualityEEEPlJS6_EEE10hipError_tPvRmT3_T4_T5_T6_T7_T9_mT8_P12ihipStream_tbDpT10_ENKUlT_T0_E_clISt17integral_constantIbLb1EES16_IbLb0EEEEDaS12_S13_EUlS12_E_NS1_11comp_targetILNS1_3genE8ELNS1_11target_archE1030ELNS1_3gpuE2ELNS1_3repE0EEENS1_30default_config_static_selectorELNS0_4arch9wavefront6targetE1EEEvT1_
		.amdhsa_group_segment_fixed_size 0
		.amdhsa_private_segment_fixed_size 0
		.amdhsa_kernarg_size 112
		.amdhsa_user_sgpr_count 2
		.amdhsa_user_sgpr_dispatch_ptr 0
		.amdhsa_user_sgpr_queue_ptr 0
		.amdhsa_user_sgpr_kernarg_segment_ptr 1
		.amdhsa_user_sgpr_dispatch_id 0
		.amdhsa_user_sgpr_kernarg_preload_length 0
		.amdhsa_user_sgpr_kernarg_preload_offset 0
		.amdhsa_user_sgpr_private_segment_size 0
		.amdhsa_uses_dynamic_stack 0
		.amdhsa_enable_private_segment 0
		.amdhsa_system_sgpr_workgroup_id_x 1
		.amdhsa_system_sgpr_workgroup_id_y 0
		.amdhsa_system_sgpr_workgroup_id_z 0
		.amdhsa_system_sgpr_workgroup_info 0
		.amdhsa_system_vgpr_workitem_id 0
		.amdhsa_next_free_vgpr 1
		.amdhsa_next_free_sgpr 0
		.amdhsa_accum_offset 4
		.amdhsa_reserve_vcc 0
		.amdhsa_float_round_mode_32 0
		.amdhsa_float_round_mode_16_64 0
		.amdhsa_float_denorm_mode_32 3
		.amdhsa_float_denorm_mode_16_64 3
		.amdhsa_dx10_clamp 1
		.amdhsa_ieee_mode 1
		.amdhsa_fp16_overflow 0
		.amdhsa_tg_split 0
		.amdhsa_exception_fp_ieee_invalid_op 0
		.amdhsa_exception_fp_denorm_src 0
		.amdhsa_exception_fp_ieee_div_zero 0
		.amdhsa_exception_fp_ieee_overflow 0
		.amdhsa_exception_fp_ieee_underflow 0
		.amdhsa_exception_fp_ieee_inexact 0
		.amdhsa_exception_int_div_zero 0
	.end_amdhsa_kernel
	.section	.text._ZN7rocprim17ROCPRIM_400000_NS6detail17trampoline_kernelINS0_14default_configENS1_25partition_config_selectorILNS1_17partition_subalgoE8EsNS0_10empty_typeEbEEZZNS1_14partition_implILS5_8ELb0ES3_jPKsPS6_PKS6_NS0_5tupleIJPsS6_EEENSE_IJSB_SB_EEENS0_18inequality_wrapperIN6hipcub16HIPCUB_304000_NS8EqualityEEEPlJS6_EEE10hipError_tPvRmT3_T4_T5_T6_T7_T9_mT8_P12ihipStream_tbDpT10_ENKUlT_T0_E_clISt17integral_constantIbLb1EES16_IbLb0EEEEDaS12_S13_EUlS12_E_NS1_11comp_targetILNS1_3genE8ELNS1_11target_archE1030ELNS1_3gpuE2ELNS1_3repE0EEENS1_30default_config_static_selectorELNS0_4arch9wavefront6targetE1EEEvT1_,"axG",@progbits,_ZN7rocprim17ROCPRIM_400000_NS6detail17trampoline_kernelINS0_14default_configENS1_25partition_config_selectorILNS1_17partition_subalgoE8EsNS0_10empty_typeEbEEZZNS1_14partition_implILS5_8ELb0ES3_jPKsPS6_PKS6_NS0_5tupleIJPsS6_EEENSE_IJSB_SB_EEENS0_18inequality_wrapperIN6hipcub16HIPCUB_304000_NS8EqualityEEEPlJS6_EEE10hipError_tPvRmT3_T4_T5_T6_T7_T9_mT8_P12ihipStream_tbDpT10_ENKUlT_T0_E_clISt17integral_constantIbLb1EES16_IbLb0EEEEDaS12_S13_EUlS12_E_NS1_11comp_targetILNS1_3genE8ELNS1_11target_archE1030ELNS1_3gpuE2ELNS1_3repE0EEENS1_30default_config_static_selectorELNS0_4arch9wavefront6targetE1EEEvT1_,comdat
.Lfunc_end571:
	.size	_ZN7rocprim17ROCPRIM_400000_NS6detail17trampoline_kernelINS0_14default_configENS1_25partition_config_selectorILNS1_17partition_subalgoE8EsNS0_10empty_typeEbEEZZNS1_14partition_implILS5_8ELb0ES3_jPKsPS6_PKS6_NS0_5tupleIJPsS6_EEENSE_IJSB_SB_EEENS0_18inequality_wrapperIN6hipcub16HIPCUB_304000_NS8EqualityEEEPlJS6_EEE10hipError_tPvRmT3_T4_T5_T6_T7_T9_mT8_P12ihipStream_tbDpT10_ENKUlT_T0_E_clISt17integral_constantIbLb1EES16_IbLb0EEEEDaS12_S13_EUlS12_E_NS1_11comp_targetILNS1_3genE8ELNS1_11target_archE1030ELNS1_3gpuE2ELNS1_3repE0EEENS1_30default_config_static_selectorELNS0_4arch9wavefront6targetE1EEEvT1_, .Lfunc_end571-_ZN7rocprim17ROCPRIM_400000_NS6detail17trampoline_kernelINS0_14default_configENS1_25partition_config_selectorILNS1_17partition_subalgoE8EsNS0_10empty_typeEbEEZZNS1_14partition_implILS5_8ELb0ES3_jPKsPS6_PKS6_NS0_5tupleIJPsS6_EEENSE_IJSB_SB_EEENS0_18inequality_wrapperIN6hipcub16HIPCUB_304000_NS8EqualityEEEPlJS6_EEE10hipError_tPvRmT3_T4_T5_T6_T7_T9_mT8_P12ihipStream_tbDpT10_ENKUlT_T0_E_clISt17integral_constantIbLb1EES16_IbLb0EEEEDaS12_S13_EUlS12_E_NS1_11comp_targetILNS1_3genE8ELNS1_11target_archE1030ELNS1_3gpuE2ELNS1_3repE0EEENS1_30default_config_static_selectorELNS0_4arch9wavefront6targetE1EEEvT1_
                                        ; -- End function
	.section	.AMDGPU.csdata,"",@progbits
; Kernel info:
; codeLenInByte = 0
; NumSgprs: 6
; NumVgprs: 0
; NumAgprs: 0
; TotalNumVgprs: 0
; ScratchSize: 0
; MemoryBound: 0
; FloatMode: 240
; IeeeMode: 1
; LDSByteSize: 0 bytes/workgroup (compile time only)
; SGPRBlocks: 0
; VGPRBlocks: 0
; NumSGPRsForWavesPerEU: 6
; NumVGPRsForWavesPerEU: 1
; AccumOffset: 4
; Occupancy: 8
; WaveLimiterHint : 0
; COMPUTE_PGM_RSRC2:SCRATCH_EN: 0
; COMPUTE_PGM_RSRC2:USER_SGPR: 2
; COMPUTE_PGM_RSRC2:TRAP_HANDLER: 0
; COMPUTE_PGM_RSRC2:TGID_X_EN: 1
; COMPUTE_PGM_RSRC2:TGID_Y_EN: 0
; COMPUTE_PGM_RSRC2:TGID_Z_EN: 0
; COMPUTE_PGM_RSRC2:TIDIG_COMP_CNT: 0
; COMPUTE_PGM_RSRC3_GFX90A:ACCUM_OFFSET: 0
; COMPUTE_PGM_RSRC3_GFX90A:TG_SPLIT: 0
	.section	.text._ZN7rocprim17ROCPRIM_400000_NS6detail17trampoline_kernelINS0_14default_configENS1_25partition_config_selectorILNS1_17partition_subalgoE8EsNS0_10empty_typeEbEEZZNS1_14partition_implILS5_8ELb0ES3_jPKsPS6_PKS6_NS0_5tupleIJPsS6_EEENSE_IJSB_SB_EEENS0_18inequality_wrapperIN6hipcub16HIPCUB_304000_NS8EqualityEEEPlJS6_EEE10hipError_tPvRmT3_T4_T5_T6_T7_T9_mT8_P12ihipStream_tbDpT10_ENKUlT_T0_E_clISt17integral_constantIbLb0EES16_IbLb1EEEEDaS12_S13_EUlS12_E_NS1_11comp_targetILNS1_3genE0ELNS1_11target_archE4294967295ELNS1_3gpuE0ELNS1_3repE0EEENS1_30default_config_static_selectorELNS0_4arch9wavefront6targetE1EEEvT1_,"axG",@progbits,_ZN7rocprim17ROCPRIM_400000_NS6detail17trampoline_kernelINS0_14default_configENS1_25partition_config_selectorILNS1_17partition_subalgoE8EsNS0_10empty_typeEbEEZZNS1_14partition_implILS5_8ELb0ES3_jPKsPS6_PKS6_NS0_5tupleIJPsS6_EEENSE_IJSB_SB_EEENS0_18inequality_wrapperIN6hipcub16HIPCUB_304000_NS8EqualityEEEPlJS6_EEE10hipError_tPvRmT3_T4_T5_T6_T7_T9_mT8_P12ihipStream_tbDpT10_ENKUlT_T0_E_clISt17integral_constantIbLb0EES16_IbLb1EEEEDaS12_S13_EUlS12_E_NS1_11comp_targetILNS1_3genE0ELNS1_11target_archE4294967295ELNS1_3gpuE0ELNS1_3repE0EEENS1_30default_config_static_selectorELNS0_4arch9wavefront6targetE1EEEvT1_,comdat
	.protected	_ZN7rocprim17ROCPRIM_400000_NS6detail17trampoline_kernelINS0_14default_configENS1_25partition_config_selectorILNS1_17partition_subalgoE8EsNS0_10empty_typeEbEEZZNS1_14partition_implILS5_8ELb0ES3_jPKsPS6_PKS6_NS0_5tupleIJPsS6_EEENSE_IJSB_SB_EEENS0_18inequality_wrapperIN6hipcub16HIPCUB_304000_NS8EqualityEEEPlJS6_EEE10hipError_tPvRmT3_T4_T5_T6_T7_T9_mT8_P12ihipStream_tbDpT10_ENKUlT_T0_E_clISt17integral_constantIbLb0EES16_IbLb1EEEEDaS12_S13_EUlS12_E_NS1_11comp_targetILNS1_3genE0ELNS1_11target_archE4294967295ELNS1_3gpuE0ELNS1_3repE0EEENS1_30default_config_static_selectorELNS0_4arch9wavefront6targetE1EEEvT1_ ; -- Begin function _ZN7rocprim17ROCPRIM_400000_NS6detail17trampoline_kernelINS0_14default_configENS1_25partition_config_selectorILNS1_17partition_subalgoE8EsNS0_10empty_typeEbEEZZNS1_14partition_implILS5_8ELb0ES3_jPKsPS6_PKS6_NS0_5tupleIJPsS6_EEENSE_IJSB_SB_EEENS0_18inequality_wrapperIN6hipcub16HIPCUB_304000_NS8EqualityEEEPlJS6_EEE10hipError_tPvRmT3_T4_T5_T6_T7_T9_mT8_P12ihipStream_tbDpT10_ENKUlT_T0_E_clISt17integral_constantIbLb0EES16_IbLb1EEEEDaS12_S13_EUlS12_E_NS1_11comp_targetILNS1_3genE0ELNS1_11target_archE4294967295ELNS1_3gpuE0ELNS1_3repE0EEENS1_30default_config_static_selectorELNS0_4arch9wavefront6targetE1EEEvT1_
	.globl	_ZN7rocprim17ROCPRIM_400000_NS6detail17trampoline_kernelINS0_14default_configENS1_25partition_config_selectorILNS1_17partition_subalgoE8EsNS0_10empty_typeEbEEZZNS1_14partition_implILS5_8ELb0ES3_jPKsPS6_PKS6_NS0_5tupleIJPsS6_EEENSE_IJSB_SB_EEENS0_18inequality_wrapperIN6hipcub16HIPCUB_304000_NS8EqualityEEEPlJS6_EEE10hipError_tPvRmT3_T4_T5_T6_T7_T9_mT8_P12ihipStream_tbDpT10_ENKUlT_T0_E_clISt17integral_constantIbLb0EES16_IbLb1EEEEDaS12_S13_EUlS12_E_NS1_11comp_targetILNS1_3genE0ELNS1_11target_archE4294967295ELNS1_3gpuE0ELNS1_3repE0EEENS1_30default_config_static_selectorELNS0_4arch9wavefront6targetE1EEEvT1_
	.p2align	8
	.type	_ZN7rocprim17ROCPRIM_400000_NS6detail17trampoline_kernelINS0_14default_configENS1_25partition_config_selectorILNS1_17partition_subalgoE8EsNS0_10empty_typeEbEEZZNS1_14partition_implILS5_8ELb0ES3_jPKsPS6_PKS6_NS0_5tupleIJPsS6_EEENSE_IJSB_SB_EEENS0_18inequality_wrapperIN6hipcub16HIPCUB_304000_NS8EqualityEEEPlJS6_EEE10hipError_tPvRmT3_T4_T5_T6_T7_T9_mT8_P12ihipStream_tbDpT10_ENKUlT_T0_E_clISt17integral_constantIbLb0EES16_IbLb1EEEEDaS12_S13_EUlS12_E_NS1_11comp_targetILNS1_3genE0ELNS1_11target_archE4294967295ELNS1_3gpuE0ELNS1_3repE0EEENS1_30default_config_static_selectorELNS0_4arch9wavefront6targetE1EEEvT1_,@function
_ZN7rocprim17ROCPRIM_400000_NS6detail17trampoline_kernelINS0_14default_configENS1_25partition_config_selectorILNS1_17partition_subalgoE8EsNS0_10empty_typeEbEEZZNS1_14partition_implILS5_8ELb0ES3_jPKsPS6_PKS6_NS0_5tupleIJPsS6_EEENSE_IJSB_SB_EEENS0_18inequality_wrapperIN6hipcub16HIPCUB_304000_NS8EqualityEEEPlJS6_EEE10hipError_tPvRmT3_T4_T5_T6_T7_T9_mT8_P12ihipStream_tbDpT10_ENKUlT_T0_E_clISt17integral_constantIbLb0EES16_IbLb1EEEEDaS12_S13_EUlS12_E_NS1_11comp_targetILNS1_3genE0ELNS1_11target_archE4294967295ELNS1_3gpuE0ELNS1_3repE0EEENS1_30default_config_static_selectorELNS0_4arch9wavefront6targetE1EEEvT1_: ; @_ZN7rocprim17ROCPRIM_400000_NS6detail17trampoline_kernelINS0_14default_configENS1_25partition_config_selectorILNS1_17partition_subalgoE8EsNS0_10empty_typeEbEEZZNS1_14partition_implILS5_8ELb0ES3_jPKsPS6_PKS6_NS0_5tupleIJPsS6_EEENSE_IJSB_SB_EEENS0_18inequality_wrapperIN6hipcub16HIPCUB_304000_NS8EqualityEEEPlJS6_EEE10hipError_tPvRmT3_T4_T5_T6_T7_T9_mT8_P12ihipStream_tbDpT10_ENKUlT_T0_E_clISt17integral_constantIbLb0EES16_IbLb1EEEEDaS12_S13_EUlS12_E_NS1_11comp_targetILNS1_3genE0ELNS1_11target_archE4294967295ELNS1_3gpuE0ELNS1_3repE0EEENS1_30default_config_static_selectorELNS0_4arch9wavefront6targetE1EEEvT1_
; %bb.0:
	.section	.rodata,"a",@progbits
	.p2align	6, 0x0
	.amdhsa_kernel _ZN7rocprim17ROCPRIM_400000_NS6detail17trampoline_kernelINS0_14default_configENS1_25partition_config_selectorILNS1_17partition_subalgoE8EsNS0_10empty_typeEbEEZZNS1_14partition_implILS5_8ELb0ES3_jPKsPS6_PKS6_NS0_5tupleIJPsS6_EEENSE_IJSB_SB_EEENS0_18inequality_wrapperIN6hipcub16HIPCUB_304000_NS8EqualityEEEPlJS6_EEE10hipError_tPvRmT3_T4_T5_T6_T7_T9_mT8_P12ihipStream_tbDpT10_ENKUlT_T0_E_clISt17integral_constantIbLb0EES16_IbLb1EEEEDaS12_S13_EUlS12_E_NS1_11comp_targetILNS1_3genE0ELNS1_11target_archE4294967295ELNS1_3gpuE0ELNS1_3repE0EEENS1_30default_config_static_selectorELNS0_4arch9wavefront6targetE1EEEvT1_
		.amdhsa_group_segment_fixed_size 0
		.amdhsa_private_segment_fixed_size 0
		.amdhsa_kernarg_size 128
		.amdhsa_user_sgpr_count 2
		.amdhsa_user_sgpr_dispatch_ptr 0
		.amdhsa_user_sgpr_queue_ptr 0
		.amdhsa_user_sgpr_kernarg_segment_ptr 1
		.amdhsa_user_sgpr_dispatch_id 0
		.amdhsa_user_sgpr_kernarg_preload_length 0
		.amdhsa_user_sgpr_kernarg_preload_offset 0
		.amdhsa_user_sgpr_private_segment_size 0
		.amdhsa_uses_dynamic_stack 0
		.amdhsa_enable_private_segment 0
		.amdhsa_system_sgpr_workgroup_id_x 1
		.amdhsa_system_sgpr_workgroup_id_y 0
		.amdhsa_system_sgpr_workgroup_id_z 0
		.amdhsa_system_sgpr_workgroup_info 0
		.amdhsa_system_vgpr_workitem_id 0
		.amdhsa_next_free_vgpr 1
		.amdhsa_next_free_sgpr 0
		.amdhsa_accum_offset 4
		.amdhsa_reserve_vcc 0
		.amdhsa_float_round_mode_32 0
		.amdhsa_float_round_mode_16_64 0
		.amdhsa_float_denorm_mode_32 3
		.amdhsa_float_denorm_mode_16_64 3
		.amdhsa_dx10_clamp 1
		.amdhsa_ieee_mode 1
		.amdhsa_fp16_overflow 0
		.amdhsa_tg_split 0
		.amdhsa_exception_fp_ieee_invalid_op 0
		.amdhsa_exception_fp_denorm_src 0
		.amdhsa_exception_fp_ieee_div_zero 0
		.amdhsa_exception_fp_ieee_overflow 0
		.amdhsa_exception_fp_ieee_underflow 0
		.amdhsa_exception_fp_ieee_inexact 0
		.amdhsa_exception_int_div_zero 0
	.end_amdhsa_kernel
	.section	.text._ZN7rocprim17ROCPRIM_400000_NS6detail17trampoline_kernelINS0_14default_configENS1_25partition_config_selectorILNS1_17partition_subalgoE8EsNS0_10empty_typeEbEEZZNS1_14partition_implILS5_8ELb0ES3_jPKsPS6_PKS6_NS0_5tupleIJPsS6_EEENSE_IJSB_SB_EEENS0_18inequality_wrapperIN6hipcub16HIPCUB_304000_NS8EqualityEEEPlJS6_EEE10hipError_tPvRmT3_T4_T5_T6_T7_T9_mT8_P12ihipStream_tbDpT10_ENKUlT_T0_E_clISt17integral_constantIbLb0EES16_IbLb1EEEEDaS12_S13_EUlS12_E_NS1_11comp_targetILNS1_3genE0ELNS1_11target_archE4294967295ELNS1_3gpuE0ELNS1_3repE0EEENS1_30default_config_static_selectorELNS0_4arch9wavefront6targetE1EEEvT1_,"axG",@progbits,_ZN7rocprim17ROCPRIM_400000_NS6detail17trampoline_kernelINS0_14default_configENS1_25partition_config_selectorILNS1_17partition_subalgoE8EsNS0_10empty_typeEbEEZZNS1_14partition_implILS5_8ELb0ES3_jPKsPS6_PKS6_NS0_5tupleIJPsS6_EEENSE_IJSB_SB_EEENS0_18inequality_wrapperIN6hipcub16HIPCUB_304000_NS8EqualityEEEPlJS6_EEE10hipError_tPvRmT3_T4_T5_T6_T7_T9_mT8_P12ihipStream_tbDpT10_ENKUlT_T0_E_clISt17integral_constantIbLb0EES16_IbLb1EEEEDaS12_S13_EUlS12_E_NS1_11comp_targetILNS1_3genE0ELNS1_11target_archE4294967295ELNS1_3gpuE0ELNS1_3repE0EEENS1_30default_config_static_selectorELNS0_4arch9wavefront6targetE1EEEvT1_,comdat
.Lfunc_end572:
	.size	_ZN7rocprim17ROCPRIM_400000_NS6detail17trampoline_kernelINS0_14default_configENS1_25partition_config_selectorILNS1_17partition_subalgoE8EsNS0_10empty_typeEbEEZZNS1_14partition_implILS5_8ELb0ES3_jPKsPS6_PKS6_NS0_5tupleIJPsS6_EEENSE_IJSB_SB_EEENS0_18inequality_wrapperIN6hipcub16HIPCUB_304000_NS8EqualityEEEPlJS6_EEE10hipError_tPvRmT3_T4_T5_T6_T7_T9_mT8_P12ihipStream_tbDpT10_ENKUlT_T0_E_clISt17integral_constantIbLb0EES16_IbLb1EEEEDaS12_S13_EUlS12_E_NS1_11comp_targetILNS1_3genE0ELNS1_11target_archE4294967295ELNS1_3gpuE0ELNS1_3repE0EEENS1_30default_config_static_selectorELNS0_4arch9wavefront6targetE1EEEvT1_, .Lfunc_end572-_ZN7rocprim17ROCPRIM_400000_NS6detail17trampoline_kernelINS0_14default_configENS1_25partition_config_selectorILNS1_17partition_subalgoE8EsNS0_10empty_typeEbEEZZNS1_14partition_implILS5_8ELb0ES3_jPKsPS6_PKS6_NS0_5tupleIJPsS6_EEENSE_IJSB_SB_EEENS0_18inequality_wrapperIN6hipcub16HIPCUB_304000_NS8EqualityEEEPlJS6_EEE10hipError_tPvRmT3_T4_T5_T6_T7_T9_mT8_P12ihipStream_tbDpT10_ENKUlT_T0_E_clISt17integral_constantIbLb0EES16_IbLb1EEEEDaS12_S13_EUlS12_E_NS1_11comp_targetILNS1_3genE0ELNS1_11target_archE4294967295ELNS1_3gpuE0ELNS1_3repE0EEENS1_30default_config_static_selectorELNS0_4arch9wavefront6targetE1EEEvT1_
                                        ; -- End function
	.section	.AMDGPU.csdata,"",@progbits
; Kernel info:
; codeLenInByte = 0
; NumSgprs: 6
; NumVgprs: 0
; NumAgprs: 0
; TotalNumVgprs: 0
; ScratchSize: 0
; MemoryBound: 0
; FloatMode: 240
; IeeeMode: 1
; LDSByteSize: 0 bytes/workgroup (compile time only)
; SGPRBlocks: 0
; VGPRBlocks: 0
; NumSGPRsForWavesPerEU: 6
; NumVGPRsForWavesPerEU: 1
; AccumOffset: 4
; Occupancy: 8
; WaveLimiterHint : 0
; COMPUTE_PGM_RSRC2:SCRATCH_EN: 0
; COMPUTE_PGM_RSRC2:USER_SGPR: 2
; COMPUTE_PGM_RSRC2:TRAP_HANDLER: 0
; COMPUTE_PGM_RSRC2:TGID_X_EN: 1
; COMPUTE_PGM_RSRC2:TGID_Y_EN: 0
; COMPUTE_PGM_RSRC2:TGID_Z_EN: 0
; COMPUTE_PGM_RSRC2:TIDIG_COMP_CNT: 0
; COMPUTE_PGM_RSRC3_GFX90A:ACCUM_OFFSET: 0
; COMPUTE_PGM_RSRC3_GFX90A:TG_SPLIT: 0
	.section	.text._ZN7rocprim17ROCPRIM_400000_NS6detail17trampoline_kernelINS0_14default_configENS1_25partition_config_selectorILNS1_17partition_subalgoE8EsNS0_10empty_typeEbEEZZNS1_14partition_implILS5_8ELb0ES3_jPKsPS6_PKS6_NS0_5tupleIJPsS6_EEENSE_IJSB_SB_EEENS0_18inequality_wrapperIN6hipcub16HIPCUB_304000_NS8EqualityEEEPlJS6_EEE10hipError_tPvRmT3_T4_T5_T6_T7_T9_mT8_P12ihipStream_tbDpT10_ENKUlT_T0_E_clISt17integral_constantIbLb0EES16_IbLb1EEEEDaS12_S13_EUlS12_E_NS1_11comp_targetILNS1_3genE5ELNS1_11target_archE942ELNS1_3gpuE9ELNS1_3repE0EEENS1_30default_config_static_selectorELNS0_4arch9wavefront6targetE1EEEvT1_,"axG",@progbits,_ZN7rocprim17ROCPRIM_400000_NS6detail17trampoline_kernelINS0_14default_configENS1_25partition_config_selectorILNS1_17partition_subalgoE8EsNS0_10empty_typeEbEEZZNS1_14partition_implILS5_8ELb0ES3_jPKsPS6_PKS6_NS0_5tupleIJPsS6_EEENSE_IJSB_SB_EEENS0_18inequality_wrapperIN6hipcub16HIPCUB_304000_NS8EqualityEEEPlJS6_EEE10hipError_tPvRmT3_T4_T5_T6_T7_T9_mT8_P12ihipStream_tbDpT10_ENKUlT_T0_E_clISt17integral_constantIbLb0EES16_IbLb1EEEEDaS12_S13_EUlS12_E_NS1_11comp_targetILNS1_3genE5ELNS1_11target_archE942ELNS1_3gpuE9ELNS1_3repE0EEENS1_30default_config_static_selectorELNS0_4arch9wavefront6targetE1EEEvT1_,comdat
	.protected	_ZN7rocprim17ROCPRIM_400000_NS6detail17trampoline_kernelINS0_14default_configENS1_25partition_config_selectorILNS1_17partition_subalgoE8EsNS0_10empty_typeEbEEZZNS1_14partition_implILS5_8ELb0ES3_jPKsPS6_PKS6_NS0_5tupleIJPsS6_EEENSE_IJSB_SB_EEENS0_18inequality_wrapperIN6hipcub16HIPCUB_304000_NS8EqualityEEEPlJS6_EEE10hipError_tPvRmT3_T4_T5_T6_T7_T9_mT8_P12ihipStream_tbDpT10_ENKUlT_T0_E_clISt17integral_constantIbLb0EES16_IbLb1EEEEDaS12_S13_EUlS12_E_NS1_11comp_targetILNS1_3genE5ELNS1_11target_archE942ELNS1_3gpuE9ELNS1_3repE0EEENS1_30default_config_static_selectorELNS0_4arch9wavefront6targetE1EEEvT1_ ; -- Begin function _ZN7rocprim17ROCPRIM_400000_NS6detail17trampoline_kernelINS0_14default_configENS1_25partition_config_selectorILNS1_17partition_subalgoE8EsNS0_10empty_typeEbEEZZNS1_14partition_implILS5_8ELb0ES3_jPKsPS6_PKS6_NS0_5tupleIJPsS6_EEENSE_IJSB_SB_EEENS0_18inequality_wrapperIN6hipcub16HIPCUB_304000_NS8EqualityEEEPlJS6_EEE10hipError_tPvRmT3_T4_T5_T6_T7_T9_mT8_P12ihipStream_tbDpT10_ENKUlT_T0_E_clISt17integral_constantIbLb0EES16_IbLb1EEEEDaS12_S13_EUlS12_E_NS1_11comp_targetILNS1_3genE5ELNS1_11target_archE942ELNS1_3gpuE9ELNS1_3repE0EEENS1_30default_config_static_selectorELNS0_4arch9wavefront6targetE1EEEvT1_
	.globl	_ZN7rocprim17ROCPRIM_400000_NS6detail17trampoline_kernelINS0_14default_configENS1_25partition_config_selectorILNS1_17partition_subalgoE8EsNS0_10empty_typeEbEEZZNS1_14partition_implILS5_8ELb0ES3_jPKsPS6_PKS6_NS0_5tupleIJPsS6_EEENSE_IJSB_SB_EEENS0_18inequality_wrapperIN6hipcub16HIPCUB_304000_NS8EqualityEEEPlJS6_EEE10hipError_tPvRmT3_T4_T5_T6_T7_T9_mT8_P12ihipStream_tbDpT10_ENKUlT_T0_E_clISt17integral_constantIbLb0EES16_IbLb1EEEEDaS12_S13_EUlS12_E_NS1_11comp_targetILNS1_3genE5ELNS1_11target_archE942ELNS1_3gpuE9ELNS1_3repE0EEENS1_30default_config_static_selectorELNS0_4arch9wavefront6targetE1EEEvT1_
	.p2align	8
	.type	_ZN7rocprim17ROCPRIM_400000_NS6detail17trampoline_kernelINS0_14default_configENS1_25partition_config_selectorILNS1_17partition_subalgoE8EsNS0_10empty_typeEbEEZZNS1_14partition_implILS5_8ELb0ES3_jPKsPS6_PKS6_NS0_5tupleIJPsS6_EEENSE_IJSB_SB_EEENS0_18inequality_wrapperIN6hipcub16HIPCUB_304000_NS8EqualityEEEPlJS6_EEE10hipError_tPvRmT3_T4_T5_T6_T7_T9_mT8_P12ihipStream_tbDpT10_ENKUlT_T0_E_clISt17integral_constantIbLb0EES16_IbLb1EEEEDaS12_S13_EUlS12_E_NS1_11comp_targetILNS1_3genE5ELNS1_11target_archE942ELNS1_3gpuE9ELNS1_3repE0EEENS1_30default_config_static_selectorELNS0_4arch9wavefront6targetE1EEEvT1_,@function
_ZN7rocprim17ROCPRIM_400000_NS6detail17trampoline_kernelINS0_14default_configENS1_25partition_config_selectorILNS1_17partition_subalgoE8EsNS0_10empty_typeEbEEZZNS1_14partition_implILS5_8ELb0ES3_jPKsPS6_PKS6_NS0_5tupleIJPsS6_EEENSE_IJSB_SB_EEENS0_18inequality_wrapperIN6hipcub16HIPCUB_304000_NS8EqualityEEEPlJS6_EEE10hipError_tPvRmT3_T4_T5_T6_T7_T9_mT8_P12ihipStream_tbDpT10_ENKUlT_T0_E_clISt17integral_constantIbLb0EES16_IbLb1EEEEDaS12_S13_EUlS12_E_NS1_11comp_targetILNS1_3genE5ELNS1_11target_archE942ELNS1_3gpuE9ELNS1_3repE0EEENS1_30default_config_static_selectorELNS0_4arch9wavefront6targetE1EEEvT1_: ; @_ZN7rocprim17ROCPRIM_400000_NS6detail17trampoline_kernelINS0_14default_configENS1_25partition_config_selectorILNS1_17partition_subalgoE8EsNS0_10empty_typeEbEEZZNS1_14partition_implILS5_8ELb0ES3_jPKsPS6_PKS6_NS0_5tupleIJPsS6_EEENSE_IJSB_SB_EEENS0_18inequality_wrapperIN6hipcub16HIPCUB_304000_NS8EqualityEEEPlJS6_EEE10hipError_tPvRmT3_T4_T5_T6_T7_T9_mT8_P12ihipStream_tbDpT10_ENKUlT_T0_E_clISt17integral_constantIbLb0EES16_IbLb1EEEEDaS12_S13_EUlS12_E_NS1_11comp_targetILNS1_3genE5ELNS1_11target_archE942ELNS1_3gpuE9ELNS1_3repE0EEENS1_30default_config_static_selectorELNS0_4arch9wavefront6targetE1EEEvT1_
; %bb.0:
	s_load_dwordx4 s[64:67], s[0:1], 0x40
	s_load_dwordx2 s[8:9], s[0:1], 0x50
	s_load_dwordx2 s[72:73], s[0:1], 0x60
	v_cmp_ne_u32_e64 s[2:3], 0, v0
	v_cmp_eq_u32_e64 s[18:19], 0, v0
	s_and_saveexec_b64 s[4:5], s[18:19]
	s_cbranch_execz .LBB573_4
; %bb.1:
	s_mov_b64 s[10:11], exec
	v_mbcnt_lo_u32_b32 v1, s10, 0
	v_mbcnt_hi_u32_b32 v1, s11, v1
	v_cmp_eq_u32_e32 vcc, 0, v1
                                        ; implicit-def: $vgpr2
	s_and_saveexec_b64 s[6:7], vcc
	s_cbranch_execz .LBB573_3
; %bb.2:
	s_load_dwordx2 s[12:13], s[0:1], 0x70
	s_bcnt1_i32_b64 s10, s[10:11]
	v_mov_b32_e32 v2, 0
	v_mov_b32_e32 v3, s10
	s_waitcnt lgkmcnt(0)
	global_atomic_add v2, v2, v3, s[12:13] sc0
.LBB573_3:
	s_or_b64 exec, exec, s[6:7]
	s_waitcnt vmcnt(0)
	v_readfirstlane_b32 s6, v2
	v_mov_b32_e32 v2, 0
	s_nop 0
	v_add_u32_e32 v1, s6, v1
	ds_write_b32 v2, v1
.LBB573_4:
	s_or_b64 exec, exec, s[4:5]
	v_mov_b32_e32 v3, 0
	s_load_dwordx4 s[4:7], s[0:1], 0x8
	s_load_dwordx2 s[68:69], s[0:1], 0x28
	s_load_dword s10, s[0:1], 0x68
	s_waitcnt lgkmcnt(0)
	s_barrier
	ds_read_b32 v1, v3
	s_waitcnt lgkmcnt(0)
	s_barrier
	global_load_dwordx2 v[8:9], v3, s[66:67]
	s_lshl_b64 s[0:1], s[6:7], 1
	s_add_u32 s4, s4, s0
	s_movk_i32 s0, 0x3c00
	v_mul_lo_u32 v2, v1, s0
	s_mul_i32 s0, s10, 0x3c00
	s_addc_u32 s5, s5, s1
	s_add_i32 s1, s0, s6
	v_mov_b32_e32 v5, s9
	s_add_i32 s9, s10, -1
	s_sub_i32 s80, s8, s1
	s_add_u32 s0, s6, s0
	v_readfirstlane_b32 s33, v1
	s_addc_u32 s1, s7, 0
	v_mov_b32_e32 v4, s8
	s_cmp_eq_u32 s33, s9
	v_cmp_ge_u64_e32 vcc, s[0:1], v[4:5]
	s_cselect_b64 s[66:67], -1, 0
	s_and_b64 s[74:75], vcc, s[66:67]
	s_xor_b64 s[70:71], s[74:75], -1
	v_lshlrev_b64 v[4:5], 1, v[2:3]
	s_mov_b64 s[0:1], -1
	v_lshl_add_u64 v[18:19], s[4:5], 0, v[4:5]
	s_and_b64 vcc, exec, s[70:71]
	s_cbranch_vccz .LBB573_6
; %bb.5:
	v_lshlrev_b32_e32 v2, 1, v0
	v_lshl_add_u64 v[4:5], v[18:19], 0, v[2:3]
	v_add_co_u32_e32 v6, vcc, 0x1000, v4
	v_readfirstlane_b32 s0, v18
	s_nop 0
	v_addc_co_u32_e32 v7, vcc, 0, v5, vcc
	v_add_co_u32_e32 v10, vcc, 0x2000, v4
	v_readfirstlane_b32 s1, v19
	s_nop 0
	v_addc_co_u32_e32 v11, vcc, 0, v5, vcc
	s_nop 2
	global_load_ushort v1, v2, s[0:1]
	global_load_ushort v3, v2, s[0:1] offset:1024
	global_load_ushort v12, v2, s[0:1] offset:2048
	;; [unrolled: 1-line block ×3, first 2 shown]
	global_load_ushort v14, v[6:7], off
	global_load_ushort v15, v[6:7], off offset:1024
	global_load_ushort v16, v[6:7], off offset:2048
	;; [unrolled: 1-line block ×3, first 2 shown]
	global_load_ushort v20, v[10:11], off
	global_load_ushort v21, v[10:11], off offset:1024
	global_load_ushort v22, v[10:11], off offset:2048
	;; [unrolled: 1-line block ×3, first 2 shown]
	v_add_co_u32_e32 v6, vcc, 0x3000, v4
	s_mov_b64 s[0:1], 0
	s_nop 0
	v_addc_co_u32_e32 v7, vcc, 0, v5, vcc
	v_add_co_u32_e32 v10, vcc, 0x4000, v4
	s_nop 1
	v_addc_co_u32_e32 v11, vcc, 0, v5, vcc
	global_load_ushort v24, v[6:7], off
	global_load_ushort v25, v[6:7], off offset:1024
	global_load_ushort v26, v[6:7], off offset:2048
	;; [unrolled: 1-line block ×3, first 2 shown]
	global_load_ushort v28, v[10:11], off
	global_load_ushort v29, v[10:11], off offset:1024
	global_load_ushort v30, v[10:11], off offset:2048
	global_load_ushort v31, v[10:11], off offset:3072
	v_add_co_u32_e32 v6, vcc, 0x5000, v4
	s_nop 1
	v_addc_co_u32_e32 v7, vcc, 0, v5, vcc
	v_add_co_u32_e32 v10, vcc, 0x6000, v4
	s_nop 1
	v_addc_co_u32_e32 v11, vcc, 0, v5, vcc
	v_add_co_u32_e32 v4, vcc, 0x7000, v4
	global_load_ushort v32, v[6:7], off
	global_load_ushort v33, v[6:7], off offset:1024
	global_load_ushort v34, v[6:7], off offset:2048
	;; [unrolled: 1-line block ×3, first 2 shown]
	global_load_ushort v36, v[10:11], off
	global_load_ushort v37, v[10:11], off offset:1024
	global_load_ushort v38, v[10:11], off offset:2048
	;; [unrolled: 1-line block ×3, first 2 shown]
	v_addc_co_u32_e32 v5, vcc, 0, v5, vcc
	global_load_ushort v6, v[4:5], off
	global_load_ushort v7, v[4:5], off offset:1024
	s_waitcnt vmcnt(29)
	ds_write_b16 v2, v1
	s_waitcnt vmcnt(28)
	ds_write_b16 v2, v3 offset:1024
	s_waitcnt vmcnt(27)
	ds_write_b16 v2, v12 offset:2048
	;; [unrolled: 2-line block ×29, first 2 shown]
	s_waitcnt lgkmcnt(0)
	s_barrier
.LBB573_6:
	s_andn2_b64 vcc, exec, s[0:1]
	s_addk_i32 s80, 0x3c00
	s_cbranch_vccnz .LBB573_68
; %bb.7:
	v_cmp_gt_u32_e32 vcc, s80, v0
                                        ; implicit-def: $vgpr1
	s_and_saveexec_b64 s[0:1], vcc
	s_cbranch_execz .LBB573_9
; %bb.8:
	v_lshlrev_b32_e32 v1, 1, v0
	v_readfirstlane_b32 s4, v18
	v_readfirstlane_b32 s5, v19
	s_nop 4
	global_load_ushort v1, v1, s[4:5]
.LBB573_9:
	s_or_b64 exec, exec, s[0:1]
	v_or_b32_e32 v2, 0x200, v0
	v_cmp_gt_u32_e32 vcc, s80, v2
                                        ; implicit-def: $vgpr2
	s_and_saveexec_b64 s[0:1], vcc
	s_cbranch_execz .LBB573_11
; %bb.10:
	v_lshlrev_b32_e32 v2, 1, v0
	v_readfirstlane_b32 s4, v18
	v_readfirstlane_b32 s5, v19
	s_nop 4
	global_load_ushort v2, v2, s[4:5] offset:1024
.LBB573_11:
	s_or_b64 exec, exec, s[0:1]
	v_or_b32_e32 v3, 0x400, v0
	v_cmp_gt_u32_e32 vcc, s80, v3
                                        ; implicit-def: $vgpr3
	s_and_saveexec_b64 s[0:1], vcc
	s_cbranch_execz .LBB573_13
; %bb.12:
	v_lshlrev_b32_e32 v3, 1, v0
	v_readfirstlane_b32 s4, v18
	v_readfirstlane_b32 s5, v19
	s_nop 4
	global_load_ushort v3, v3, s[4:5] offset:2048
.LBB573_13:
	s_or_b64 exec, exec, s[0:1]
	v_or_b32_e32 v4, 0x600, v0
	v_cmp_gt_u32_e32 vcc, s80, v4
                                        ; implicit-def: $vgpr4
	s_and_saveexec_b64 s[0:1], vcc
	s_cbranch_execz .LBB573_15
; %bb.14:
	v_lshlrev_b32_e32 v4, 1, v0
	v_readfirstlane_b32 s4, v18
	v_readfirstlane_b32 s5, v19
	s_nop 4
	global_load_ushort v4, v4, s[4:5] offset:3072
.LBB573_15:
	s_or_b64 exec, exec, s[0:1]
	v_or_b32_e32 v6, 0x800, v0
	v_cmp_gt_u32_e32 vcc, s80, v6
                                        ; implicit-def: $vgpr5
	s_and_saveexec_b64 s[0:1], vcc
	s_cbranch_execz .LBB573_17
; %bb.16:
	v_lshlrev_b32_e32 v5, 1, v6
	v_readfirstlane_b32 s4, v18
	v_readfirstlane_b32 s5, v19
	s_nop 4
	global_load_ushort v5, v5, s[4:5]
.LBB573_17:
	s_or_b64 exec, exec, s[0:1]
	v_or_b32_e32 v7, 0xa00, v0
	v_cmp_gt_u32_e32 vcc, s80, v7
                                        ; implicit-def: $vgpr6
	s_and_saveexec_b64 s[0:1], vcc
	s_cbranch_execz .LBB573_19
; %bb.18:
	v_lshlrev_b32_e32 v6, 1, v7
	v_readfirstlane_b32 s4, v18
	v_readfirstlane_b32 s5, v19
	s_nop 4
	global_load_ushort v6, v6, s[4:5]
.LBB573_19:
	s_or_b64 exec, exec, s[0:1]
	v_or_b32_e32 v10, 0xc00, v0
	v_cmp_gt_u32_e32 vcc, s80, v10
                                        ; implicit-def: $vgpr7
	s_and_saveexec_b64 s[0:1], vcc
	s_cbranch_execz .LBB573_21
; %bb.20:
	v_lshlrev_b32_e32 v7, 1, v10
	v_readfirstlane_b32 s4, v18
	v_readfirstlane_b32 s5, v19
	s_nop 4
	global_load_ushort v7, v7, s[4:5]
.LBB573_21:
	s_or_b64 exec, exec, s[0:1]
	v_or_b32_e32 v11, 0xe00, v0
	v_cmp_gt_u32_e32 vcc, s80, v11
                                        ; implicit-def: $vgpr10
	s_and_saveexec_b64 s[0:1], vcc
	s_cbranch_execz .LBB573_23
; %bb.22:
	v_lshlrev_b32_e32 v10, 1, v11
	v_readfirstlane_b32 s4, v18
	v_readfirstlane_b32 s5, v19
	s_nop 4
	global_load_ushort v10, v10, s[4:5]
.LBB573_23:
	s_or_b64 exec, exec, s[0:1]
	v_or_b32_e32 v12, 0x1000, v0
	v_cmp_gt_u32_e32 vcc, s80, v12
                                        ; implicit-def: $vgpr11
	s_and_saveexec_b64 s[0:1], vcc
	s_cbranch_execz .LBB573_25
; %bb.24:
	v_lshlrev_b32_e32 v11, 1, v12
	v_readfirstlane_b32 s4, v18
	v_readfirstlane_b32 s5, v19
	s_nop 4
	global_load_ushort v11, v11, s[4:5]
.LBB573_25:
	s_or_b64 exec, exec, s[0:1]
	v_or_b32_e32 v13, 0x1200, v0
	v_cmp_gt_u32_e32 vcc, s80, v13
                                        ; implicit-def: $vgpr12
	s_and_saveexec_b64 s[0:1], vcc
	s_cbranch_execz .LBB573_27
; %bb.26:
	v_lshlrev_b32_e32 v12, 1, v13
	v_readfirstlane_b32 s4, v18
	v_readfirstlane_b32 s5, v19
	s_nop 4
	global_load_ushort v12, v12, s[4:5]
.LBB573_27:
	s_or_b64 exec, exec, s[0:1]
	v_or_b32_e32 v14, 0x1400, v0
	v_cmp_gt_u32_e32 vcc, s80, v14
                                        ; implicit-def: $vgpr13
	s_and_saveexec_b64 s[0:1], vcc
	s_cbranch_execz .LBB573_29
; %bb.28:
	v_lshlrev_b32_e32 v13, 1, v14
	v_readfirstlane_b32 s4, v18
	v_readfirstlane_b32 s5, v19
	s_nop 4
	global_load_ushort v13, v13, s[4:5]
.LBB573_29:
	s_or_b64 exec, exec, s[0:1]
	v_or_b32_e32 v15, 0x1600, v0
	v_cmp_gt_u32_e32 vcc, s80, v15
                                        ; implicit-def: $vgpr14
	s_and_saveexec_b64 s[0:1], vcc
	s_cbranch_execz .LBB573_31
; %bb.30:
	v_lshlrev_b32_e32 v14, 1, v15
	v_readfirstlane_b32 s4, v18
	v_readfirstlane_b32 s5, v19
	s_nop 4
	global_load_ushort v14, v14, s[4:5]
.LBB573_31:
	s_or_b64 exec, exec, s[0:1]
	v_or_b32_e32 v16, 0x1800, v0
	v_cmp_gt_u32_e32 vcc, s80, v16
                                        ; implicit-def: $vgpr15
	s_and_saveexec_b64 s[0:1], vcc
	s_cbranch_execz .LBB573_33
; %bb.32:
	v_lshlrev_b32_e32 v15, 1, v16
	v_readfirstlane_b32 s4, v18
	v_readfirstlane_b32 s5, v19
	s_nop 4
	global_load_ushort v15, v15, s[4:5]
.LBB573_33:
	s_or_b64 exec, exec, s[0:1]
	v_or_b32_e32 v17, 0x1a00, v0
	v_cmp_gt_u32_e32 vcc, s80, v17
                                        ; implicit-def: $vgpr16
	s_and_saveexec_b64 s[0:1], vcc
	s_cbranch_execz .LBB573_35
; %bb.34:
	v_lshlrev_b32_e32 v16, 1, v17
	v_readfirstlane_b32 s4, v18
	v_readfirstlane_b32 s5, v19
	s_nop 4
	global_load_ushort v16, v16, s[4:5]
.LBB573_35:
	s_or_b64 exec, exec, s[0:1]
	v_or_b32_e32 v20, 0x1c00, v0
	v_cmp_gt_u32_e32 vcc, s80, v20
                                        ; implicit-def: $vgpr17
	s_and_saveexec_b64 s[0:1], vcc
	s_cbranch_execz .LBB573_37
; %bb.36:
	v_lshlrev_b32_e32 v17, 1, v20
	v_readfirstlane_b32 s4, v18
	v_readfirstlane_b32 s5, v19
	s_nop 4
	global_load_ushort v17, v17, s[4:5]
.LBB573_37:
	s_or_b64 exec, exec, s[0:1]
	v_or_b32_e32 v21, 0x1e00, v0
	v_cmp_gt_u32_e32 vcc, s80, v21
                                        ; implicit-def: $vgpr20
	s_and_saveexec_b64 s[0:1], vcc
	s_cbranch_execz .LBB573_39
; %bb.38:
	v_lshlrev_b32_e32 v20, 1, v21
	v_readfirstlane_b32 s4, v18
	v_readfirstlane_b32 s5, v19
	s_nop 4
	global_load_ushort v20, v20, s[4:5]
.LBB573_39:
	s_or_b64 exec, exec, s[0:1]
	v_or_b32_e32 v22, 0x2000, v0
	v_cmp_gt_u32_e32 vcc, s80, v22
                                        ; implicit-def: $vgpr21
	s_and_saveexec_b64 s[0:1], vcc
	s_cbranch_execz .LBB573_41
; %bb.40:
	v_lshlrev_b32_e32 v21, 1, v22
	v_readfirstlane_b32 s4, v18
	v_readfirstlane_b32 s5, v19
	s_nop 4
	global_load_ushort v21, v21, s[4:5]
.LBB573_41:
	s_or_b64 exec, exec, s[0:1]
	v_or_b32_e32 v23, 0x2200, v0
	v_cmp_gt_u32_e32 vcc, s80, v23
                                        ; implicit-def: $vgpr22
	s_and_saveexec_b64 s[0:1], vcc
	s_cbranch_execz .LBB573_43
; %bb.42:
	v_lshlrev_b32_e32 v22, 1, v23
	v_readfirstlane_b32 s4, v18
	v_readfirstlane_b32 s5, v19
	s_nop 4
	global_load_ushort v22, v22, s[4:5]
.LBB573_43:
	s_or_b64 exec, exec, s[0:1]
	v_or_b32_e32 v24, 0x2400, v0
	v_cmp_gt_u32_e32 vcc, s80, v24
                                        ; implicit-def: $vgpr23
	s_and_saveexec_b64 s[0:1], vcc
	s_cbranch_execz .LBB573_45
; %bb.44:
	v_lshlrev_b32_e32 v23, 1, v24
	v_readfirstlane_b32 s4, v18
	v_readfirstlane_b32 s5, v19
	s_nop 4
	global_load_ushort v23, v23, s[4:5]
.LBB573_45:
	s_or_b64 exec, exec, s[0:1]
	v_or_b32_e32 v25, 0x2600, v0
	v_cmp_gt_u32_e32 vcc, s80, v25
                                        ; implicit-def: $vgpr24
	s_and_saveexec_b64 s[0:1], vcc
	s_cbranch_execz .LBB573_47
; %bb.46:
	v_lshlrev_b32_e32 v24, 1, v25
	v_readfirstlane_b32 s4, v18
	v_readfirstlane_b32 s5, v19
	s_nop 4
	global_load_ushort v24, v24, s[4:5]
.LBB573_47:
	s_or_b64 exec, exec, s[0:1]
	v_or_b32_e32 v26, 0x2800, v0
	v_cmp_gt_u32_e32 vcc, s80, v26
                                        ; implicit-def: $vgpr25
	s_and_saveexec_b64 s[0:1], vcc
	s_cbranch_execz .LBB573_49
; %bb.48:
	v_lshlrev_b32_e32 v25, 1, v26
	v_readfirstlane_b32 s4, v18
	v_readfirstlane_b32 s5, v19
	s_nop 4
	global_load_ushort v25, v25, s[4:5]
.LBB573_49:
	s_or_b64 exec, exec, s[0:1]
	v_or_b32_e32 v27, 0x2a00, v0
	v_cmp_gt_u32_e32 vcc, s80, v27
                                        ; implicit-def: $vgpr26
	s_and_saveexec_b64 s[0:1], vcc
	s_cbranch_execz .LBB573_51
; %bb.50:
	v_lshlrev_b32_e32 v26, 1, v27
	v_readfirstlane_b32 s4, v18
	v_readfirstlane_b32 s5, v19
	s_nop 4
	global_load_ushort v26, v26, s[4:5]
.LBB573_51:
	s_or_b64 exec, exec, s[0:1]
	v_or_b32_e32 v28, 0x2c00, v0
	v_cmp_gt_u32_e32 vcc, s80, v28
                                        ; implicit-def: $vgpr27
	s_and_saveexec_b64 s[0:1], vcc
	s_cbranch_execz .LBB573_53
; %bb.52:
	v_lshlrev_b32_e32 v27, 1, v28
	v_readfirstlane_b32 s4, v18
	v_readfirstlane_b32 s5, v19
	s_nop 4
	global_load_ushort v27, v27, s[4:5]
.LBB573_53:
	s_or_b64 exec, exec, s[0:1]
	v_or_b32_e32 v29, 0x2e00, v0
	v_cmp_gt_u32_e32 vcc, s80, v29
                                        ; implicit-def: $vgpr28
	s_and_saveexec_b64 s[0:1], vcc
	s_cbranch_execz .LBB573_55
; %bb.54:
	v_lshlrev_b32_e32 v28, 1, v29
	v_readfirstlane_b32 s4, v18
	v_readfirstlane_b32 s5, v19
	s_nop 4
	global_load_ushort v28, v28, s[4:5]
.LBB573_55:
	s_or_b64 exec, exec, s[0:1]
	v_or_b32_e32 v30, 0x3000, v0
	v_cmp_gt_u32_e32 vcc, s80, v30
                                        ; implicit-def: $vgpr29
	s_and_saveexec_b64 s[0:1], vcc
	s_cbranch_execz .LBB573_57
; %bb.56:
	v_lshlrev_b32_e32 v29, 1, v30
	v_readfirstlane_b32 s4, v18
	v_readfirstlane_b32 s5, v19
	s_nop 4
	global_load_ushort v29, v29, s[4:5]
.LBB573_57:
	s_or_b64 exec, exec, s[0:1]
	v_or_b32_e32 v31, 0x3200, v0
	v_cmp_gt_u32_e32 vcc, s80, v31
                                        ; implicit-def: $vgpr30
	s_and_saveexec_b64 s[0:1], vcc
	s_cbranch_execz .LBB573_59
; %bb.58:
	v_lshlrev_b32_e32 v30, 1, v31
	v_readfirstlane_b32 s4, v18
	v_readfirstlane_b32 s5, v19
	s_nop 4
	global_load_ushort v30, v30, s[4:5]
.LBB573_59:
	s_or_b64 exec, exec, s[0:1]
	v_or_b32_e32 v32, 0x3400, v0
	v_cmp_gt_u32_e32 vcc, s80, v32
                                        ; implicit-def: $vgpr31
	s_and_saveexec_b64 s[0:1], vcc
	s_cbranch_execz .LBB573_61
; %bb.60:
	v_lshlrev_b32_e32 v31, 1, v32
	v_readfirstlane_b32 s4, v18
	v_readfirstlane_b32 s5, v19
	s_nop 4
	global_load_ushort v31, v31, s[4:5]
.LBB573_61:
	s_or_b64 exec, exec, s[0:1]
	v_or_b32_e32 v33, 0x3600, v0
	v_cmp_gt_u32_e32 vcc, s80, v33
                                        ; implicit-def: $vgpr32
	s_and_saveexec_b64 s[0:1], vcc
	s_cbranch_execz .LBB573_63
; %bb.62:
	v_lshlrev_b32_e32 v32, 1, v33
	v_readfirstlane_b32 s4, v18
	v_readfirstlane_b32 s5, v19
	s_nop 4
	global_load_ushort v32, v32, s[4:5]
.LBB573_63:
	s_or_b64 exec, exec, s[0:1]
	v_or_b32_e32 v34, 0x3800, v0
	v_cmp_gt_u32_e32 vcc, s80, v34
                                        ; implicit-def: $vgpr33
	s_and_saveexec_b64 s[0:1], vcc
	s_cbranch_execz .LBB573_65
; %bb.64:
	v_lshlrev_b32_e32 v33, 1, v34
	v_readfirstlane_b32 s4, v18
	v_readfirstlane_b32 s5, v19
	s_nop 4
	global_load_ushort v33, v33, s[4:5]
.LBB573_65:
	s_or_b64 exec, exec, s[0:1]
	v_or_b32_e32 v35, 0x3a00, v0
	v_cmp_gt_u32_e32 vcc, s80, v35
                                        ; implicit-def: $vgpr34
	s_and_saveexec_b64 s[0:1], vcc
	s_cbranch_execz .LBB573_67
; %bb.66:
	v_lshlrev_b32_e32 v34, 1, v35
	v_readfirstlane_b32 s4, v18
	v_readfirstlane_b32 s5, v19
	s_nop 4
	global_load_ushort v34, v34, s[4:5]
.LBB573_67:
	s_or_b64 exec, exec, s[0:1]
	v_lshlrev_b32_e32 v35, 1, v0
	s_waitcnt vmcnt(0)
	ds_write_b16 v35, v1
	ds_write_b16 v35, v2 offset:1024
	ds_write_b16 v35, v3 offset:2048
	;; [unrolled: 1-line block ×29, first 2 shown]
	s_waitcnt lgkmcnt(0)
	s_barrier
.LBB573_68:
	v_mul_u32_u24_e32 v27, 30, v0
	v_lshlrev_b32_e32 v50, 1, v27
	ds_read_b32 v84, v50 offset:56
	ds_read2_b32 v[2:3], v50 offset0:12 offset1:13
	ds_read2_b32 v[4:5], v50 offset0:10 offset1:11
	;; [unrolled: 1-line block ×3, first 2 shown]
	ds_read2_b32 v[16:17], v50 offset1:1
	ds_read2_b32 v[14:15], v50 offset0:2 offset1:3
	ds_read2_b32 v[12:13], v50 offset0:4 offset1:5
	;; [unrolled: 1-line block ×3, first 2 shown]
	s_cmp_lg_u32 s33, 0
	s_cselect_b64 s[76:77], -1, 0
	s_cmp_lg_u64 s[6:7], 0
	s_cselect_b64 s[0:1], -1, 0
	s_or_b64 s[0:1], s[0:1], s[76:77]
	v_mad_u32_u24 v20, v0, 30, 29
	v_mad_u32_u24 v21, v0, 30, 28
	s_waitcnt lgkmcnt(7)
	v_lshrrev_b32_e32 v1, 16, v84
	v_mad_u32_u24 v22, v0, 30, 27
	s_waitcnt lgkmcnt(6)
	v_lshrrev_b32_e32 v86, 16, v2
	v_lshrrev_b32_e32 v85, 16, v3
	v_mad_u32_u24 v23, v0, 30, 26
	v_mad_u32_u24 v24, v0, 30, 25
	;; [unrolled: 1-line block ×4, first 2 shown]
	s_waitcnt lgkmcnt(5)
	v_lshrrev_b32_e32 v88, 16, v4
	v_lshrrev_b32_e32 v87, 16, v5
	v_mad_u32_u24 v28, v0, 30, 22
	s_waitcnt lgkmcnt(3)
	v_lshrrev_b32_e32 v105, 16, v16
	v_lshrrev_b32_e32 v102, 16, v17
	v_or_b32_e32 v49, 1, v27
	v_mad_u32_u24 v48, v0, 30, 2
	v_mad_u32_u24 v46, v0, 30, 3
	v_mad_u32_u24 v44, v0, 30, 4
	s_waitcnt lgkmcnt(2)
	v_lshrrev_b32_e32 v100, 16, v14
	v_lshrrev_b32_e32 v98, 16, v15
	v_mad_u32_u24 v47, v0, 30, 5
	v_mad_u32_u24 v45, v0, 30, 6
	v_mad_u32_u24 v42, v0, 30, 7
	v_mad_u32_u24 v40, v0, 30, 8
	s_waitcnt lgkmcnt(1)
	v_lshrrev_b32_e32 v96, 16, v12
	v_lshrrev_b32_e32 v94, 16, v13
	v_mad_u32_u24 v43, v0, 30, 9
	;; [unrolled: 7-line block ×3, first 2 shown]
	v_mad_u32_u24 v37, v0, 30, 14
	v_mad_u32_u24 v34, v0, 30, 15
	;; [unrolled: 1-line block ×3, first 2 shown]
	v_lshrrev_b32_e32 v90, 16, v6
	v_lshrrev_b32_e32 v89, 16, v7
	v_mad_u32_u24 v35, v0, 30, 17
	v_mad_u32_u24 v33, v0, 30, 18
	;; [unrolled: 1-line block ×5, first 2 shown]
	s_mov_b64 s[78:79], 0
	s_and_b64 vcc, exec, s[0:1]
	s_barrier
	s_cbranch_vccz .LBB573_73
; %bb.69:
	global_load_ushort v18, v[18:19], off offset:-2
	v_lshlrev_b32_e32 v19, 1, v0
	s_and_b64 vcc, exec, s[70:71]
	ds_write_b16 v19, v1
	s_cbranch_vccz .LBB573_75
; %bb.70:
	s_waitcnt vmcnt(0)
	v_mov_b32_e32 v51, v18
	s_waitcnt lgkmcnt(0)
	s_barrier
	s_and_saveexec_b64 s[0:1], s[2:3]
	s_cbranch_execz .LBB573_72
; %bb.71:
	v_add_u32_e32 v51, -2, v19
	ds_read_u16 v51, v51
.LBB573_72:
	s_or_b64 exec, exec, s[0:1]
	v_cmp_ne_u16_e32 vcc, v84, v1
	s_waitcnt lgkmcnt(0)
	v_cmp_ne_u16_e64 s[0:1], v51, v16
	v_cndmask_b32_e64 v93, 0, 1, vcc
	v_cmp_ne_u16_e32 vcc, v85, v84
	s_nop 1
	v_cndmask_b32_e64 v95, 0, 1, vcc
	v_cmp_ne_u16_e32 vcc, v3, v85
	s_nop 1
	;; [unrolled: 3-line block ×28, first 2 shown]
	v_cndmask_b32_e64 v127, 0, 1, vcc
	s_branch .LBB573_79
.LBB573_73:
                                        ; implicit-def: $sgpr0_sgpr1
                                        ; implicit-def: $vgpr127
                                        ; implicit-def: $vgpr126
                                        ; implicit-def: $vgpr125
                                        ; implicit-def: $vgpr124
                                        ; implicit-def: $vgpr123
                                        ; implicit-def: $vgpr122
                                        ; implicit-def: $vgpr121
                                        ; implicit-def: $vgpr120
                                        ; implicit-def: $vgpr119
                                        ; implicit-def: $vgpr118
                                        ; implicit-def: $vgpr117
                                        ; implicit-def: $vgpr116
                                        ; implicit-def: $vgpr115
                                        ; implicit-def: $vgpr114
                                        ; implicit-def: $vgpr113
                                        ; implicit-def: $vgpr112
                                        ; implicit-def: $vgpr111
                                        ; implicit-def: $vgpr110
                                        ; implicit-def: $vgpr109
                                        ; implicit-def: $vgpr108
                                        ; implicit-def: $vgpr107
                                        ; implicit-def: $vgpr106
                                        ; implicit-def: $vgpr104
                                        ; implicit-def: $vgpr103
                                        ; implicit-def: $vgpr101
                                        ; implicit-def: $vgpr99
                                        ; implicit-def: $vgpr97
                                        ; implicit-def: $vgpr95
                                        ; implicit-def: $vgpr93
	s_branch .LBB573_80
.LBB573_74:
                                        ; implicit-def: $sgpr6
	s_branch .LBB573_88
.LBB573_75:
                                        ; implicit-def: $sgpr0_sgpr1
                                        ; implicit-def: $vgpr127
                                        ; implicit-def: $vgpr126
                                        ; implicit-def: $vgpr125
                                        ; implicit-def: $vgpr124
                                        ; implicit-def: $vgpr123
                                        ; implicit-def: $vgpr122
                                        ; implicit-def: $vgpr121
                                        ; implicit-def: $vgpr120
                                        ; implicit-def: $vgpr119
                                        ; implicit-def: $vgpr118
                                        ; implicit-def: $vgpr117
                                        ; implicit-def: $vgpr116
                                        ; implicit-def: $vgpr115
                                        ; implicit-def: $vgpr114
                                        ; implicit-def: $vgpr113
                                        ; implicit-def: $vgpr112
                                        ; implicit-def: $vgpr111
                                        ; implicit-def: $vgpr110
                                        ; implicit-def: $vgpr109
                                        ; implicit-def: $vgpr108
                                        ; implicit-def: $vgpr107
                                        ; implicit-def: $vgpr106
                                        ; implicit-def: $vgpr104
                                        ; implicit-def: $vgpr103
                                        ; implicit-def: $vgpr101
                                        ; implicit-def: $vgpr99
                                        ; implicit-def: $vgpr97
                                        ; implicit-def: $vgpr95
                                        ; implicit-def: $vgpr93
	s_cbranch_execz .LBB573_79
; %bb.76:
	s_waitcnt lgkmcnt(0)
	s_barrier
	s_and_saveexec_b64 s[0:1], s[2:3]
	s_cbranch_execz .LBB573_78
; %bb.77:
	s_waitcnt vmcnt(0)
	v_add_u32_e32 v18, -2, v19
	ds_read_u16 v18, v18
.LBB573_78:
	s_or_b64 exec, exec, s[0:1]
	v_cmp_gt_u32_e32 vcc, s80, v20
	v_cmp_ne_u16_e64 s[0:1], v84, v1
	s_and_b64 s[0:1], vcc, s[0:1]
	v_cmp_gt_u32_e32 vcc, s80, v21
	v_cndmask_b32_e64 v93, 0, 1, s[0:1]
	v_cmp_ne_u16_e64 s[0:1], v85, v84
	s_and_b64 s[0:1], vcc, s[0:1]
	v_cmp_gt_u32_e32 vcc, s80, v22
	v_cndmask_b32_e64 v95, 0, 1, s[0:1]
	;; [unrolled: 4-line block ×29, first 2 shown]
	s_waitcnt vmcnt(0) lgkmcnt(0)
	v_cmp_ne_u16_e64 s[0:1], v18, v16
	s_and_b64 s[0:1], vcc, s[0:1]
.LBB573_79:
	s_mov_b64 s[78:79], -1
	s_cbranch_execnz .LBB573_74
.LBB573_80:
	s_movk_i32 s0, 0xffc6
	s_waitcnt vmcnt(0)
	v_mad_i32_i24 v18, v0, s0, v50
	s_and_b64 vcc, exec, s[70:71]
	v_cmp_ne_u16_e64 s[0:1], v84, v1
	v_cmp_ne_u16_e64 s[4:5], v85, v84
	;; [unrolled: 1-line block ×29, first 2 shown]
	ds_write_b16 v18, v1
	s_cbranch_vccz .LBB573_84
; %bb.81:
	v_cndmask_b32_e64 v93, 0, 1, s[0:1]
	v_cndmask_b32_e64 v95, 0, 1, s[4:5]
	;; [unrolled: 1-line block ×29, first 2 shown]
	s_waitcnt lgkmcnt(0)
	s_barrier
	s_waitcnt lgkmcnt(0)
                                        ; implicit-def: $sgpr0_sgpr1
	s_and_saveexec_b64 s[4:5], s[2:3]
	s_xor_b64 s[4:5], exec, s[4:5]
	s_cbranch_execz .LBB573_83
; %bb.82:
	v_add_u32_e32 v19, -2, v18
	ds_read_u16 v19, v19
	s_or_b64 s[78:79], s[78:79], exec
	s_waitcnt lgkmcnt(0)
	v_cmp_ne_u16_e32 vcc, v19, v16
	s_and_b64 s[0:1], vcc, exec
.LBB573_83:
	s_or_b64 exec, exec, s[4:5]
	s_mov_b32 s6, 1
	s_branch .LBB573_88
.LBB573_84:
                                        ; implicit-def: $sgpr0_sgpr1
                                        ; implicit-def: $vgpr127
                                        ; implicit-def: $vgpr126
                                        ; implicit-def: $vgpr125
                                        ; implicit-def: $vgpr124
                                        ; implicit-def: $vgpr123
                                        ; implicit-def: $vgpr122
                                        ; implicit-def: $vgpr121
                                        ; implicit-def: $vgpr120
                                        ; implicit-def: $vgpr119
                                        ; implicit-def: $vgpr118
                                        ; implicit-def: $vgpr117
                                        ; implicit-def: $vgpr116
                                        ; implicit-def: $vgpr115
                                        ; implicit-def: $vgpr114
                                        ; implicit-def: $vgpr113
                                        ; implicit-def: $vgpr112
                                        ; implicit-def: $vgpr111
                                        ; implicit-def: $vgpr110
                                        ; implicit-def: $vgpr109
                                        ; implicit-def: $vgpr108
                                        ; implicit-def: $vgpr107
                                        ; implicit-def: $vgpr106
                                        ; implicit-def: $vgpr104
                                        ; implicit-def: $vgpr103
                                        ; implicit-def: $vgpr101
                                        ; implicit-def: $vgpr99
                                        ; implicit-def: $vgpr97
                                        ; implicit-def: $vgpr95
                                        ; implicit-def: $vgpr93
                                        ; implicit-def: $sgpr6
	s_cbranch_execz .LBB573_88
; %bb.85:
	v_cmp_gt_u32_e32 vcc, s80, v20
	v_cmp_ne_u16_e64 s[0:1], v84, v1
	s_and_b64 s[0:1], vcc, s[0:1]
	v_cmp_gt_u32_e32 vcc, s80, v21
	v_cndmask_b32_e64 v93, 0, 1, s[0:1]
	v_cmp_ne_u16_e64 s[0:1], v85, v84
	s_and_b64 s[0:1], vcc, s[0:1]
	v_cmp_gt_u32_e32 vcc, s80, v22
	v_cndmask_b32_e64 v95, 0, 1, s[0:1]
	;; [unrolled: 4-line block ×28, first 2 shown]
	v_cmp_ne_u16_e64 s[0:1], v16, v105
	s_and_b64 s[0:1], vcc, s[0:1]
	s_waitcnt lgkmcnt(0)
	v_cndmask_b32_e64 v127, 0, 1, s[0:1]
	s_barrier
	s_waitcnt lgkmcnt(0)
                                        ; implicit-def: $sgpr0_sgpr1
	s_and_saveexec_b64 s[4:5], s[2:3]
	s_cbranch_execz .LBB573_87
; %bb.86:
	v_add_u32_e32 v18, -2, v18
	ds_read_u16 v18, v18
	v_cmp_gt_u32_e32 vcc, s80, v27
	s_or_b64 s[78:79], s[78:79], exec
	s_waitcnt lgkmcnt(0)
	v_cmp_ne_u16_e64 s[0:1], v18, v16
	s_and_b64 s[0:1], vcc, s[0:1]
	s_and_b64 s[0:1], s[0:1], exec
.LBB573_87:
	s_or_b64 exec, exec, s[4:5]
	s_mov_b32 s6, 1
.LBB573_88:
	v_mov_b32_e32 v128, s6
	s_and_saveexec_b64 s[2:3], s[78:79]
; %bb.89:
	v_cndmask_b32_e64 v128, 0, 1, s[0:1]
; %bb.90:
	s_or_b64 exec, exec, s[2:3]
	s_andn2_b64 vcc, exec, s[74:75]
	s_cbranch_vccnz .LBB573_92
; %bb.91:
	v_cmp_gt_u32_e32 vcc, s80, v27
	s_nop 1
	v_cndmask_b32_e32 v128, 0, v128, vcc
	v_cmp_gt_u32_e32 vcc, s80, v49
	s_nop 1
	v_cndmask_b32_e32 v127, 0, v127, vcc
	;; [unrolled: 3-line block ×30, first 2 shown]
.LBB573_92:
	v_and_b32_e32 v63, 0xff, v99
	v_and_b32_e32 v65, 0xff, v97
	s_waitcnt vmcnt(0)
	v_add_u32_sdwa v18, v95, v93 dst_sel:DWORD dst_unused:UNUSED_PAD src0_sel:BYTE_0 src1_sel:BYTE_0
	v_and_b32_e32 v59, 0xff, v103
	v_and_b32_e32 v61, 0xff, v101
	v_add3_u32 v18, v18, v65, v63
	v_and_b32_e32 v55, 0xff, v106
	v_and_b32_e32 v57, 0xff, v104
	v_add3_u32 v18, v18, v61, v59
	;; [unrolled: 3-line block ×13, first 2 shown]
	v_add3_u32 v50, v18, v29, v28
	v_mbcnt_lo_u32_b32 v18, -1, 0
	v_mbcnt_hi_u32_b32 v46, -1, v18
	v_and_b32_e32 v18, 15, v46
	v_cmp_eq_u32_e64 s[14:15], 0, v18
	v_cmp_lt_u32_e64 s[12:13], 1, v18
	v_cmp_lt_u32_e64 s[10:11], 3, v18
	;; [unrolled: 1-line block ×3, first 2 shown]
	v_and_b32_e32 v18, 16, v46
	v_cmp_eq_u32_e64 s[6:7], 0, v18
	v_or_b32_e32 v18, 63, v0
	v_cmp_lt_u32_e64 s[2:3], 31, v46
	v_lshrrev_b32_e32 v48, 6, v0
	v_cmp_eq_u32_e64 s[4:5], v18, v0
	s_and_b64 vcc, exec, s[76:77]
	s_waitcnt lgkmcnt(0)
	s_barrier
	s_cbranch_vccz .LBB573_119
; %bb.93:
	v_mov_b32_dpp v18, v50 row_shr:1 row_mask:0xf bank_mask:0xf
	v_cndmask_b32_e64 v18, v18, 0, s[14:15]
	v_add_u32_e32 v18, v18, v50
	s_nop 1
	v_mov_b32_dpp v19, v18 row_shr:2 row_mask:0xf bank_mask:0xf
	v_cndmask_b32_e64 v19, 0, v19, s[12:13]
	v_add_u32_e32 v18, v18, v19
	s_nop 1
	;; [unrolled: 4-line block ×4, first 2 shown]
	v_mov_b32_dpp v19, v18 row_bcast:15 row_mask:0xf bank_mask:0xf
	v_cndmask_b32_e64 v19, v19, 0, s[6:7]
	v_add_u32_e32 v18, v18, v19
	s_nop 1
	v_mov_b32_dpp v19, v18 row_bcast:31 row_mask:0xf bank_mask:0xf
	v_cndmask_b32_e64 v19, 0, v19, s[2:3]
	v_add_u32_e32 v18, v18, v19
	s_and_saveexec_b64 s[0:1], s[4:5]
	s_cbranch_execz .LBB573_95
; %bb.94:
	v_lshlrev_b32_e32 v19, 2, v48
	ds_write_b32 v19, v18
.LBB573_95:
	s_or_b64 exec, exec, s[0:1]
	v_cmp_gt_u32_e32 vcc, 8, v0
	s_waitcnt lgkmcnt(0)
	s_barrier
	s_and_saveexec_b64 s[0:1], vcc
	s_cbranch_execz .LBB573_97
; %bb.96:
	v_lshlrev_b32_e32 v19, 2, v0
	ds_read_b32 v20, v19
	v_and_b32_e32 v21, 7, v46
	v_cmp_ne_u32_e32 vcc, 0, v21
	s_waitcnt lgkmcnt(0)
	v_mov_b32_dpp v22, v20 row_shr:1 row_mask:0xf bank_mask:0xf
	v_cndmask_b32_e32 v22, 0, v22, vcc
	v_add_u32_e32 v20, v22, v20
	v_cmp_lt_u32_e32 vcc, 1, v21
	s_nop 0
	v_mov_b32_dpp v22, v20 row_shr:2 row_mask:0xf bank_mask:0xf
	v_cndmask_b32_e32 v22, 0, v22, vcc
	v_add_u32_e32 v20, v20, v22
	v_cmp_lt_u32_e32 vcc, 3, v21
	s_nop 0
	v_mov_b32_dpp v22, v20 row_shr:4 row_mask:0xf bank_mask:0xf
	v_cndmask_b32_e32 v21, 0, v22, vcc
	v_add_u32_e32 v20, v20, v21
	ds_write_b32 v19, v20
.LBB573_97:
	s_or_b64 exec, exec, s[0:1]
	v_cmp_gt_u32_e32 vcc, 64, v0
	v_cmp_lt_u32_e64 s[0:1], 63, v0
	s_waitcnt lgkmcnt(0)
	s_barrier
	s_waitcnt lgkmcnt(0)
                                        ; implicit-def: $vgpr52
	s_and_saveexec_b64 s[16:17], s[0:1]
	s_cbranch_execz .LBB573_99
; %bb.98:
	v_lshl_add_u32 v19, v48, 2, -4
	ds_read_b32 v52, v19
	s_waitcnt lgkmcnt(0)
	v_add_u32_e32 v18, v52, v18
.LBB573_99:
	s_or_b64 exec, exec, s[16:17]
	v_add_u32_e32 v19, -1, v46
	v_and_b32_e32 v20, 64, v46
	v_cmp_lt_i32_e64 s[0:1], v19, v20
	v_cmp_eq_u32_e64 s[16:17], 0, v46
	s_nop 0
	v_cndmask_b32_e64 v19, v19, v46, s[0:1]
	v_lshlrev_b32_e32 v19, 2, v19
	ds_bpermute_b32 v54, v19, v18
	s_and_saveexec_b64 s[0:1], vcc
	s_cbranch_execz .LBB573_118
; %bb.100:
	v_mov_b32_e32 v25, 0
	ds_read_b32 v18, v25 offset:28
	s_and_saveexec_b64 s[20:21], s[16:17]
	s_cbranch_execz .LBB573_102
; %bb.101:
	s_add_i32 s22, s33, 64
	s_mov_b32 s23, 0
	s_lshl_b64 s[22:23], s[22:23], 3
	s_add_u32 s22, s72, s22
	v_mov_b32_e32 v19, 1
	s_addc_u32 s23, s73, s23
	s_waitcnt lgkmcnt(0)
	global_store_dwordx2 v25, v[18:19], s[22:23] sc1
.LBB573_102:
	s_or_b64 exec, exec, s[20:21]
	v_xad_u32 v20, v46, -1, s33
	v_add_u32_e32 v24, 64, v20
	v_lshl_add_u64 v[26:27], v[24:25], 3, s[72:73]
	global_load_dwordx2 v[22:23], v[26:27], off sc1
	s_waitcnt vmcnt(0)
	v_cmp_eq_u16_sdwa s[22:23], v23, v25 src0_sel:BYTE_0 src1_sel:DWORD
	s_and_saveexec_b64 s[20:21], s[22:23]
	s_cbranch_execz .LBB573_106
; %bb.103:
	s_mov_b64 s[22:23], 0
	v_mov_b32_e32 v19, 0
.LBB573_104:                            ; =>This Inner Loop Header: Depth=1
	global_load_dwordx2 v[22:23], v[26:27], off sc1
	s_waitcnt vmcnt(0)
	v_cmp_ne_u16_sdwa s[24:25], v23, v19 src0_sel:BYTE_0 src1_sel:DWORD
	s_or_b64 s[22:23], s[24:25], s[22:23]
	s_andn2_b64 exec, exec, s[22:23]
	s_cbranch_execnz .LBB573_104
; %bb.105:
	s_or_b64 exec, exec, s[22:23]
.LBB573_106:
	s_or_b64 exec, exec, s[20:21]
	v_and_b32_e32 v58, 63, v46
	v_mov_b32_e32 v56, 2
	v_cmp_ne_u32_e32 vcc, 63, v58
	v_cmp_eq_u16_sdwa s[20:21], v23, v56 src0_sel:BYTE_0 src1_sel:DWORD
	v_lshlrev_b64 v[24:25], v46, -1
	v_addc_co_u32_e32 v26, vcc, 0, v46, vcc
	v_and_b32_e32 v19, s21, v25
	v_lshlrev_b32_e32 v60, 2, v26
	v_or_b32_e32 v19, 0x80000000, v19
	ds_bpermute_b32 v26, v60, v22
	v_and_b32_e32 v21, s20, v24
	v_ffbl_b32_e32 v19, v19
	v_add_u32_e32 v19, 32, v19
	v_ffbl_b32_e32 v21, v21
	v_min_u32_e32 v19, v21, v19
	v_cmp_lt_u32_e32 vcc, v58, v19
	v_add_u32_e32 v64, 2, v58
	v_add_u32_e32 v67, 4, v58
	s_waitcnt lgkmcnt(0)
	v_cndmask_b32_e32 v21, 0, v26, vcc
	v_cmp_gt_u32_e32 vcc, 62, v58
	v_add_u32_e32 v21, v21, v22
	v_add_u32_e32 v69, 8, v58
	v_cndmask_b32_e64 v22, 0, 1, vcc
	v_lshlrev_b32_e32 v22, 1, v22
	v_add_lshl_u32 v62, v22, v46, 2
	ds_bpermute_b32 v22, v62, v21
	v_cmp_le_u32_e32 vcc, v64, v19
	v_add_u32_e32 v71, 16, v58
	v_add_u32_e32 v73, 32, v58
	s_waitcnt lgkmcnt(0)
	v_cndmask_b32_e32 v22, 0, v22, vcc
	v_cmp_gt_u32_e32 vcc, 60, v58
	v_add_u32_e32 v21, v21, v22
	s_nop 0
	v_cndmask_b32_e64 v22, 0, 1, vcc
	v_lshlrev_b32_e32 v22, 2, v22
	v_add_lshl_u32 v66, v22, v46, 2
	ds_bpermute_b32 v22, v66, v21
	v_cmp_le_u32_e32 vcc, v67, v19
	s_waitcnt lgkmcnt(0)
	s_nop 0
	v_cndmask_b32_e32 v22, 0, v22, vcc
	v_cmp_gt_u32_e32 vcc, 56, v58
	v_add_u32_e32 v21, v21, v22
	s_nop 0
	v_cndmask_b32_e64 v22, 0, 1, vcc
	v_lshlrev_b32_e32 v22, 3, v22
	v_add_lshl_u32 v68, v22, v46, 2
	ds_bpermute_b32 v22, v68, v21
	v_cmp_le_u32_e32 vcc, v69, v19
	s_waitcnt lgkmcnt(0)
	s_nop 0
	;; [unrolled: 11-line block ×4, first 2 shown]
	v_cndmask_b32_e32 v19, 0, v22, vcc
	v_add_u32_e32 v22, v21, v19
	v_mov_b32_e32 v21, 0
	s_branch .LBB573_108
.LBB573_107:                            ;   in Loop: Header=BB573_108 Depth=1
	s_or_b64 exec, exec, s[20:21]
	v_cmp_eq_u16_sdwa s[20:21], v23, v56 src0_sel:BYTE_0 src1_sel:DWORD
	ds_bpermute_b32 v74, v60, v22
	v_subrev_u32_e32 v20, 64, v20
	v_and_b32_e32 v26, s21, v25
	v_or_b32_e32 v26, 0x80000000, v26
	v_and_b32_e32 v27, s20, v24
	v_ffbl_b32_e32 v26, v26
	v_add_u32_e32 v26, 32, v26
	v_ffbl_b32_e32 v27, v27
	v_min_u32_e32 v26, v27, v26
	v_cmp_lt_u32_e32 vcc, v58, v26
	s_waitcnt lgkmcnt(0)
	s_nop 0
	v_cndmask_b32_e32 v27, 0, v74, vcc
	v_add_u32_e32 v22, v27, v22
	ds_bpermute_b32 v27, v62, v22
	v_cmp_le_u32_e32 vcc, v64, v26
	s_waitcnt lgkmcnt(0)
	s_nop 0
	v_cndmask_b32_e32 v27, 0, v27, vcc
	v_add_u32_e32 v22, v22, v27
	ds_bpermute_b32 v27, v66, v22
	v_cmp_le_u32_e32 vcc, v67, v26
	;; [unrolled: 6-line block ×5, first 2 shown]
	s_waitcnt lgkmcnt(0)
	s_nop 0
	v_cndmask_b32_e32 v26, 0, v27, vcc
	v_add3_u32 v22, v26, v19, v22
.LBB573_108:                            ; =>This Loop Header: Depth=1
                                        ;     Child Loop BB573_111 Depth 2
	v_cmp_ne_u16_sdwa s[20:21], v23, v56 src0_sel:BYTE_0 src1_sel:DWORD
	s_nop 1
	v_cndmask_b32_e64 v19, 0, 1, s[20:21]
	;;#ASMSTART
	;;#ASMEND
	s_nop 0
	v_cmp_ne_u32_e32 vcc, 0, v19
	s_cmp_lg_u64 vcc, exec
	v_mov_b32_e32 v19, v22
	s_cbranch_scc1 .LBB573_113
; %bb.109:                              ;   in Loop: Header=BB573_108 Depth=1
	v_lshl_add_u64 v[26:27], v[20:21], 3, s[72:73]
	global_load_dwordx2 v[22:23], v[26:27], off sc1
	s_waitcnt vmcnt(0)
	v_cmp_eq_u16_sdwa s[22:23], v23, v21 src0_sel:BYTE_0 src1_sel:DWORD
	s_and_saveexec_b64 s[20:21], s[22:23]
	s_cbranch_execz .LBB573_107
; %bb.110:                              ;   in Loop: Header=BB573_108 Depth=1
	s_mov_b64 s[22:23], 0
.LBB573_111:                            ;   Parent Loop BB573_108 Depth=1
                                        ; =>  This Inner Loop Header: Depth=2
	global_load_dwordx2 v[22:23], v[26:27], off sc1
	s_waitcnt vmcnt(0)
	v_cmp_ne_u16_sdwa s[24:25], v23, v21 src0_sel:BYTE_0 src1_sel:DWORD
	s_or_b64 s[22:23], s[24:25], s[22:23]
	s_andn2_b64 exec, exec, s[22:23]
	s_cbranch_execnz .LBB573_111
; %bb.112:                              ;   in Loop: Header=BB573_108 Depth=1
	s_or_b64 exec, exec, s[22:23]
	s_branch .LBB573_107
.LBB573_113:                            ;   in Loop: Header=BB573_108 Depth=1
                                        ; implicit-def: $vgpr22
                                        ; implicit-def: $vgpr23
	s_cbranch_execz .LBB573_108
; %bb.114:
	s_and_saveexec_b64 s[20:21], s[16:17]
	s_cbranch_execz .LBB573_116
; %bb.115:
	s_add_i32 s22, s33, 64
	s_mov_b32 s23, 0
	s_lshl_b64 s[22:23], s[22:23], 3
	s_add_u32 s22, s72, s22
	v_add_u32_e32 v20, v19, v18
	v_mov_b32_e32 v21, 2
	s_addc_u32 s23, s73, s23
	v_mov_b32_e32 v22, 0
	global_store_dwordx2 v22, v[20:21], s[22:23] sc1
	ds_write_b64 v22, v[18:19] offset:30720
.LBB573_116:
	s_or_b64 exec, exec, s[20:21]
	s_and_b64 exec, exec, s[18:19]
	s_cbranch_execz .LBB573_118
; %bb.117:
	v_mov_b32_e32 v18, 0
	ds_write_b32 v18, v19 offset:28
.LBB573_118:
	s_or_b64 exec, exec, s[0:1]
	v_mov_b32_e32 v18, 0
	s_waitcnt lgkmcnt(0)
	s_barrier
	ds_read_b32 v20, v18 offset:28
	s_waitcnt lgkmcnt(0)
	s_barrier
	ds_read_b64 v[18:19], v18 offset:30720
	v_cndmask_b32_e64 v21, v54, v52, s[16:17]
	v_cndmask_b32_e64 v21, v21, 0, s[18:19]
	v_add_u32_e32 v76, v20, v21
	s_waitcnt lgkmcnt(0)
	v_mov_b32_e32 v20, v19
	s_branch .LBB573_129
.LBB573_119:
                                        ; implicit-def: $vgpr20
                                        ; implicit-def: $vgpr18
                                        ; implicit-def: $vgpr76
	s_cbranch_execz .LBB573_129
; %bb.120:
	s_nop 0
	v_mov_b32_dpp v18, v50 row_shr:1 row_mask:0xf bank_mask:0xf
	v_cndmask_b32_e64 v18, v18, 0, s[14:15]
	v_add_u32_e32 v18, v18, v50
	s_nop 1
	v_mov_b32_dpp v19, v18 row_shr:2 row_mask:0xf bank_mask:0xf
	v_cndmask_b32_e64 v19, 0, v19, s[12:13]
	v_add_u32_e32 v18, v18, v19
	;; [unrolled: 4-line block ×4, first 2 shown]
	s_nop 1
	v_mov_b32_dpp v19, v18 row_bcast:15 row_mask:0xf bank_mask:0xf
	v_cndmask_b32_e64 v19, v19, 0, s[6:7]
	v_add_u32_e32 v18, v18, v19
	s_nop 1
	v_mov_b32_dpp v19, v18 row_bcast:31 row_mask:0xf bank_mask:0xf
	v_cndmask_b32_e64 v19, 0, v19, s[2:3]
	v_add_u32_e32 v18, v18, v19
	s_and_saveexec_b64 s[0:1], s[4:5]
	s_cbranch_execz .LBB573_122
; %bb.121:
	v_lshlrev_b32_e32 v19, 2, v48
	ds_write_b32 v19, v18
.LBB573_122:
	s_or_b64 exec, exec, s[0:1]
	v_cmp_gt_u32_e32 vcc, 8, v0
	s_waitcnt lgkmcnt(0)
	s_barrier
	s_and_saveexec_b64 s[0:1], vcc
	s_cbranch_execz .LBB573_124
; %bb.123:
	v_lshlrev_b32_e32 v19, 2, v0
	ds_read_b32 v20, v19
	v_and_b32_e32 v21, 7, v46
	v_cmp_ne_u32_e32 vcc, 0, v21
	s_waitcnt lgkmcnt(0)
	v_mov_b32_dpp v22, v20 row_shr:1 row_mask:0xf bank_mask:0xf
	v_cndmask_b32_e32 v22, 0, v22, vcc
	v_add_u32_e32 v20, v22, v20
	v_cmp_lt_u32_e32 vcc, 1, v21
	s_nop 0
	v_mov_b32_dpp v22, v20 row_shr:2 row_mask:0xf bank_mask:0xf
	v_cndmask_b32_e32 v22, 0, v22, vcc
	v_add_u32_e32 v20, v20, v22
	v_cmp_lt_u32_e32 vcc, 3, v21
	s_nop 0
	v_mov_b32_dpp v22, v20 row_shr:4 row_mask:0xf bank_mask:0xf
	v_cndmask_b32_e32 v21, 0, v22, vcc
	v_add_u32_e32 v20, v20, v21
	ds_write_b32 v19, v20
.LBB573_124:
	s_or_b64 exec, exec, s[0:1]
	v_cmp_lt_u32_e32 vcc, 63, v0
	v_mov_b32_e32 v19, 0
	v_mov_b32_e32 v20, 0
	s_waitcnt lgkmcnt(0)
	s_barrier
	s_and_saveexec_b64 s[0:1], vcc
	s_cbranch_execz .LBB573_126
; %bb.125:
	v_lshl_add_u32 v20, v48, 2, -4
	ds_read_b32 v20, v20
.LBB573_126:
	s_or_b64 exec, exec, s[0:1]
	v_add_u32_e32 v21, -1, v46
	v_and_b32_e32 v22, 64, v46
	v_cmp_lt_i32_e32 vcc, v21, v22
	s_waitcnt lgkmcnt(0)
	v_add_u32_e32 v18, v20, v18
	v_cndmask_b32_e32 v21, v21, v46, vcc
	v_lshlrev_b32_e32 v21, 2, v21
	ds_bpermute_b32 v21, v21, v18
	ds_read_b32 v18, v19 offset:28
	s_and_saveexec_b64 s[0:1], s[18:19]
	s_cbranch_execz .LBB573_128
; %bb.127:
	v_mov_b32_e32 v22, 0
	v_mov_b32_e32 v19, 2
	s_waitcnt lgkmcnt(0)
	global_store_dwordx2 v22, v[18:19], s[72:73] offset:512 sc1
.LBB573_128:
	s_or_b64 exec, exec, s[0:1]
	v_cmp_eq_u32_e32 vcc, 0, v46
	s_waitcnt lgkmcnt(0)
	s_barrier
	v_cndmask_b32_e32 v19, v21, v20, vcc
	v_mov_b32_e32 v20, 0
	v_cndmask_b32_e64 v76, v19, 0, s[18:19]
.LBB573_129:
	v_add_u32_e32 v80, v76, v28
	v_add_u32_e32 v78, v80, v29
	;; [unrolled: 1-line block ×27, first 2 shown]
	s_movk_i32 s0, 0x201
	v_add_u32_e32 v24, v26, v65
	v_cmp_gt_u32_e32 vcc, s0, v18
	v_add_u32_sdwa v22, v24, v95 dst_sel:DWORD dst_unused:UNUSED_PAD src0_sel:DWORD src1_sel:BYTE_0
	s_mov_b64 s[0:1], -1
	s_cbranch_vccnz .LBB573_133
; %bb.130:
	s_and_b64 vcc, exec, s[0:1]
	s_cbranch_vccnz .LBB573_224
.LBB573_131:
	s_and_b64 s[0:1], s[18:19], s[66:67]
	s_and_saveexec_b64 s[2:3], s[0:1]
	s_cbranch_execnz .LBB573_298
.LBB573_132:
	s_endpgm
.LBB573_133:
	v_add_u32_e32 v19, v20, v18
	v_lshlrev_b64 v[82:83], 1, v[8:9]
	v_cmp_lt_u32_e32 vcc, v76, v19
	v_lshl_add_u64 v[82:83], s[68:69], 0, v[82:83]
	s_or_b64 s[2:3], s[70:71], vcc
	s_and_saveexec_b64 s[0:1], s[2:3]
	s_cbranch_execz .LBB573_136
; %bb.134:
	v_and_b32_e32 v21, 1, v128
	v_cmp_eq_u32_e32 vcc, 1, v21
	s_and_b64 exec, exec, vcc
	s_cbranch_execz .LBB573_136
; %bb.135:
	v_mov_b32_e32 v77, 0
	v_lshl_add_u64 v[130:131], v[76:77], 1, v[82:83]
	global_store_short v[130:131], v16, off
.LBB573_136:
	s_or_b64 exec, exec, s[0:1]
	v_cmp_lt_u32_e32 vcc, v80, v19
	s_or_b64 s[2:3], s[70:71], vcc
	s_and_saveexec_b64 s[0:1], s[2:3]
	s_cbranch_execz .LBB573_139
; %bb.137:
	v_and_b32_e32 v21, 1, v127
	v_cmp_eq_u32_e32 vcc, 1, v21
	s_and_b64 exec, exec, vcc
	s_cbranch_execz .LBB573_139
; %bb.138:
	v_mov_b32_e32 v81, 0
	v_lshl_add_u64 v[130:131], v[80:81], 1, v[82:83]
	global_store_short v[130:131], v105, off
.LBB573_139:
	s_or_b64 exec, exec, s[0:1]
	v_cmp_lt_u32_e32 vcc, v78, v19
	;; [unrolled: 15-line block ×29, first 2 shown]
	s_or_b64 s[2:3], s[70:71], vcc
	s_and_saveexec_b64 s[0:1], s[2:3]
	s_cbranch_execz .LBB573_223
; %bb.221:
	v_and_b32_e32 v19, 1, v93
	v_cmp_eq_u32_e32 vcc, 1, v19
	s_and_b64 exec, exec, vcc
	s_cbranch_execz .LBB573_223
; %bb.222:
	v_mov_b32_e32 v23, 0
	v_lshl_add_u64 v[82:83], v[22:23], 1, v[82:83]
	global_store_short v[82:83], v1, off
.LBB573_223:
	s_or_b64 exec, exec, s[0:1]
	s_branch .LBB573_131
.LBB573_224:
	v_and_b32_e32 v19, 1, v128
	v_cmp_eq_u32_e32 vcc, 1, v19
	s_and_saveexec_b64 s[0:1], vcc
	s_cbranch_execz .LBB573_226
; %bb.225:
	v_sub_u32_e32 v19, v76, v20
	v_lshlrev_b32_e32 v19, 1, v19
	ds_write_b16 v19, v16
.LBB573_226:
	s_or_b64 exec, exec, s[0:1]
	v_and_b32_e32 v16, 1, v127
	v_cmp_eq_u32_e32 vcc, 1, v16
	s_and_saveexec_b64 s[0:1], vcc
	s_cbranch_execz .LBB573_228
; %bb.227:
	v_sub_u32_e32 v16, v80, v20
	v_lshlrev_b32_e32 v16, 1, v16
	ds_write_b16 v16, v105
.LBB573_228:
	s_or_b64 exec, exec, s[0:1]
	;; [unrolled: 10-line block ×30, first 2 shown]
	v_cmp_lt_u32_e32 vcc, v0, v18
	s_waitcnt lgkmcnt(0)
	s_barrier
	s_and_saveexec_b64 s[0:1], vcc
	s_cbranch_execz .LBB573_297
; %bb.285:
	v_mov_b32_e32 v21, 0
	v_lshlrev_b64 v[2:3], 1, v[8:9]
	v_lshl_add_u64 v[2:3], s[68:69], 0, v[2:3]
	v_lshlrev_b64 v[4:5], 1, v[20:21]
	v_xad_u32 v1, v0, -1, v18
	s_movk_i32 s2, 0x5ff
	v_lshl_add_u64 v[10:11], v[2:3], 0, v[4:5]
	v_cmp_lt_u32_e32 vcc, s2, v1
	s_mov_b64 s[4:5], -1
	s_and_saveexec_b64 s[2:3], vcc
	s_cbranch_execz .LBB573_294
; %bb.286:
	v_lshrrev_b32_e32 v14, 9, v1
	v_add_u32_e32 v4, -3, v14
	v_or_b32_e32 v3, 0x600, v0
	v_or_b32_e32 v2, 0x400, v0
	v_lshrrev_b32_e32 v5, 2, v4
	v_or_b32_e32 v1, 0x200, v0
	v_add_u32_e32 v16, 1, v5
	v_cmp_lt_u32_e32 vcc, 11, v4
	v_mov_b64_e32 v[6:7], v[2:3]
	v_lshlrev_b32_e32 v15, 1, v0
	v_mov_b64_e32 v[4:5], v[0:1]
	s_and_saveexec_b64 s[4:5], vcc
	s_cbranch_execz .LBB573_290
; %bb.287:
	v_mov_b64_e32 v[6:7], v[2:3]
	v_and_b32_e32 v17, 0x7ffffffc, v16
	s_mov_b32 s8, 0
	s_mov_b64 s[6:7], 0
	v_mov_b32_e32 v13, 0
	v_mov_b32_e32 v19, v15
	v_mov_b64_e32 v[4:5], v[0:1]
.LBB573_288:                            ; =>This Inner Loop Header: Depth=1
	v_mov_b32_e32 v12, v4
	ds_read_u16 v1, v19
	ds_read_u16 v46, v19 offset:1024
	ds_read_u16 v47, v19 offset:2048
	;; [unrolled: 1-line block ×7, first 2 shown]
	v_lshl_add_u64 v[38:39], v[12:13], 1, v[10:11]
	v_mov_b32_e32 v12, v5
	v_lshl_add_u64 v[40:41], v[12:13], 1, v[10:11]
	v_mov_b32_e32 v12, v6
	ds_read_u16 v53, v19 offset:8192
	ds_read_u16 v54, v19 offset:9216
	;; [unrolled: 1-line block ×8, first 2 shown]
	v_lshl_add_u64 v[42:43], v[12:13], 1, v[10:11]
	v_mov_b32_e32 v12, v7
	v_add_u32_e32 v2, 0x800, v7
	v_mov_b32_e32 v3, v13
	v_lshl_add_u64 v[44:45], v[12:13], 1, v[10:11]
	v_add_u32_e32 v12, 0x800, v4
	v_add_u32_e32 v22, 0x800, v6
	;; [unrolled: 1-line block ×3, first 2 shown]
	v_mov_b32_e32 v25, v13
	v_mov_b32_e32 v23, v13
	v_add_u32_e32 v17, -4, v17
	v_lshl_add_u64 v[2:3], v[2:3], 1, v[10:11]
	s_waitcnt lgkmcnt(14)
	global_store_short v[38:39], v1, off
	global_store_short v[40:41], v46, off
	s_waitcnt lgkmcnt(13)
	global_store_short v[42:43], v47, off
	s_waitcnt lgkmcnt(12)
	global_store_short v[44:45], v48, off
	v_lshl_add_u64 v[38:39], v[12:13], 1, v[10:11]
	v_add_u32_e32 v12, 0x1000, v4
	v_add_u32_e32 v26, 0x1000, v7
	;; [unrolled: 1-line block ×4, first 2 shown]
	v_mov_b32_e32 v31, v13
	v_mov_b32_e32 v29, v13
	;; [unrolled: 1-line block ×3, first 2 shown]
	s_add_i32 s8, s8, 16
	v_lshl_add_u64 v[24:25], v[24:25], 1, v[10:11]
	v_lshl_add_u64 v[22:23], v[22:23], 1, v[10:11]
	v_cmp_eq_u32_e32 vcc, 0, v17
	s_waitcnt lgkmcnt(11)
	global_store_short v[38:39], v49, off
	s_waitcnt lgkmcnt(10)
	global_store_short v[24:25], v50, off
	;; [unrolled: 2-line block ×4, first 2 shown]
	v_lshl_add_u64 v[2:3], v[12:13], 1, v[10:11]
	v_add_u32_e32 v12, 0x1800, v4
	v_add_u32_e32 v32, 0x1800, v7
	;; [unrolled: 1-line block ×4, first 2 shown]
	v_mov_b32_e32 v37, v13
	v_mov_b32_e32 v35, v13
	;; [unrolled: 1-line block ×3, first 2 shown]
	v_add_u32_e32 v19, 0x4000, v19
	v_lshl_add_u64 v[30:31], v[30:31], 1, v[10:11]
	v_lshl_add_u64 v[28:29], v[28:29], 1, v[10:11]
	;; [unrolled: 1-line block ×3, first 2 shown]
	v_add_u32_e32 v5, 0x2000, v5
	v_mov_b32_e32 v21, s8
	v_add_u32_e32 v6, 0x2000, v6
	s_or_b64 s[6:7], vcc, s[6:7]
	v_add_u32_e32 v7, 0x2000, v7
	v_add_u32_e32 v4, 0x2000, v4
	s_waitcnt lgkmcnt(7)
	global_store_short v[2:3], v53, off
	s_waitcnt lgkmcnt(6)
	global_store_short v[30:31], v54, off
	;; [unrolled: 2-line block ×4, first 2 shown]
	v_lshl_add_u64 v[2:3], v[12:13], 1, v[10:11]
	v_lshl_add_u64 v[36:37], v[36:37], 1, v[10:11]
	;; [unrolled: 1-line block ×4, first 2 shown]
	s_waitcnt lgkmcnt(3)
	global_store_short v[2:3], v57, off
	s_waitcnt lgkmcnt(2)
	global_store_short v[36:37], v58, off
	;; [unrolled: 2-line block ×4, first 2 shown]
	s_andn2_b64 exec, exec, s[6:7]
	s_cbranch_execnz .LBB573_288
; %bb.289:
	s_or_b64 exec, exec, s[6:7]
.LBB573_290:
	s_or_b64 exec, exec, s[4:5]
	v_and_b32_e32 v1, 3, v16
	v_cmp_ne_u32_e32 vcc, 0, v1
	s_and_saveexec_b64 s[4:5], vcc
	s_cbranch_execz .LBB573_293
; %bb.291:
	v_lshl_or_b32 v12, v21, 10, v15
	s_mov_b64 s[6:7], 0
	v_mov_b32_e32 v3, 0
.LBB573_292:                            ; =>This Inner Loop Header: Depth=1
	ds_read_u16 v13, v12
	ds_read_u16 v15, v12 offset:1024
	ds_read_u16 v19, v12 offset:2048
	;; [unrolled: 1-line block ×3, first 2 shown]
	v_mov_b32_e32 v2, v4
	v_add_u32_e32 v1, -1, v1
	v_lshl_add_u64 v[16:17], v[2:3], 1, v[10:11]
	v_mov_b32_e32 v2, v5
	v_cmp_eq_u32_e32 vcc, 0, v1
	v_lshl_add_u64 v[22:23], v[2:3], 1, v[10:11]
	v_mov_b32_e32 v2, v6
	v_add_u32_e32 v4, 0x800, v4
	v_add_u32_e32 v12, 0x1000, v12
	;; [unrolled: 1-line block ×4, first 2 shown]
	s_or_b64 s[6:7], vcc, s[6:7]
	v_lshl_add_u64 v[24:25], v[2:3], 1, v[10:11]
	v_mov_b32_e32 v2, v7
	v_add_u32_e32 v7, 0x800, v7
	v_lshl_add_u64 v[26:27], v[2:3], 1, v[10:11]
	s_waitcnt lgkmcnt(3)
	global_store_short v[16:17], v13, off
	s_waitcnt lgkmcnt(2)
	global_store_short v[22:23], v15, off
	;; [unrolled: 2-line block ×4, first 2 shown]
	s_andn2_b64 exec, exec, s[6:7]
	s_cbranch_execnz .LBB573_292
.LBB573_293:
	s_or_b64 exec, exec, s[4:5]
	v_add_u32_e32 v1, 1, v14
	v_and_b32_e32 v2, 0xfffffc, v1
	v_cmp_ne_u32_e32 vcc, v1, v2
	v_lshl_or_b32 v0, v2, 9, v0
	s_orn2_b64 s[4:5], vcc, exec
.LBB573_294:
	s_or_b64 exec, exec, s[2:3]
	s_and_b64 exec, exec, s[4:5]
	s_cbranch_execz .LBB573_297
; %bb.295:
	v_lshlrev_b32_e32 v2, 1, v0
	s_mov_b64 s[2:3], 0
	v_mov_b32_e32 v1, 0
.LBB573_296:                            ; =>This Inner Loop Header: Depth=1
	ds_read_u16 v3, v2
	v_lshl_add_u64 v[4:5], v[0:1], 1, v[10:11]
	v_add_u32_e32 v0, 0x200, v0
	v_cmp_ge_u32_e32 vcc, v0, v18
	v_add_u32_e32 v2, 0x400, v2
	s_or_b64 s[2:3], vcc, s[2:3]
	s_waitcnt lgkmcnt(0)
	global_store_short v[4:5], v3, off
	s_andn2_b64 exec, exec, s[2:3]
	s_cbranch_execnz .LBB573_296
.LBB573_297:
	s_or_b64 exec, exec, s[0:1]
	s_and_b64 s[0:1], s[18:19], s[66:67]
	s_and_saveexec_b64 s[2:3], s[0:1]
	s_cbranch_execz .LBB573_132
.LBB573_298:
	v_mov_b32_e32 v19, 0
	v_lshl_add_u64 v[0:1], v[8:9], 0, v[18:19]
	v_mov_b32_e32 v21, v19
	v_lshl_add_u64 v[0:1], v[0:1], 0, v[20:21]
	global_store_dwordx2 v19, v[0:1], s[64:65]
	s_endpgm
	.section	.rodata,"a",@progbits
	.p2align	6, 0x0
	.amdhsa_kernel _ZN7rocprim17ROCPRIM_400000_NS6detail17trampoline_kernelINS0_14default_configENS1_25partition_config_selectorILNS1_17partition_subalgoE8EsNS0_10empty_typeEbEEZZNS1_14partition_implILS5_8ELb0ES3_jPKsPS6_PKS6_NS0_5tupleIJPsS6_EEENSE_IJSB_SB_EEENS0_18inequality_wrapperIN6hipcub16HIPCUB_304000_NS8EqualityEEEPlJS6_EEE10hipError_tPvRmT3_T4_T5_T6_T7_T9_mT8_P12ihipStream_tbDpT10_ENKUlT_T0_E_clISt17integral_constantIbLb0EES16_IbLb1EEEEDaS12_S13_EUlS12_E_NS1_11comp_targetILNS1_3genE5ELNS1_11target_archE942ELNS1_3gpuE9ELNS1_3repE0EEENS1_30default_config_static_selectorELNS0_4arch9wavefront6targetE1EEEvT1_
		.amdhsa_group_segment_fixed_size 30728
		.amdhsa_private_segment_fixed_size 0
		.amdhsa_kernarg_size 128
		.amdhsa_user_sgpr_count 2
		.amdhsa_user_sgpr_dispatch_ptr 0
		.amdhsa_user_sgpr_queue_ptr 0
		.amdhsa_user_sgpr_kernarg_segment_ptr 1
		.amdhsa_user_sgpr_dispatch_id 0
		.amdhsa_user_sgpr_kernarg_preload_length 0
		.amdhsa_user_sgpr_kernarg_preload_offset 0
		.amdhsa_user_sgpr_private_segment_size 0
		.amdhsa_uses_dynamic_stack 0
		.amdhsa_enable_private_segment 0
		.amdhsa_system_sgpr_workgroup_id_x 1
		.amdhsa_system_sgpr_workgroup_id_y 0
		.amdhsa_system_sgpr_workgroup_id_z 0
		.amdhsa_system_sgpr_workgroup_info 0
		.amdhsa_system_vgpr_workitem_id 0
		.amdhsa_next_free_vgpr 132
		.amdhsa_next_free_sgpr 81
		.amdhsa_accum_offset 132
		.amdhsa_reserve_vcc 1
		.amdhsa_float_round_mode_32 0
		.amdhsa_float_round_mode_16_64 0
		.amdhsa_float_denorm_mode_32 3
		.amdhsa_float_denorm_mode_16_64 3
		.amdhsa_dx10_clamp 1
		.amdhsa_ieee_mode 1
		.amdhsa_fp16_overflow 0
		.amdhsa_tg_split 0
		.amdhsa_exception_fp_ieee_invalid_op 0
		.amdhsa_exception_fp_denorm_src 0
		.amdhsa_exception_fp_ieee_div_zero 0
		.amdhsa_exception_fp_ieee_overflow 0
		.amdhsa_exception_fp_ieee_underflow 0
		.amdhsa_exception_fp_ieee_inexact 0
		.amdhsa_exception_int_div_zero 0
	.end_amdhsa_kernel
	.section	.text._ZN7rocprim17ROCPRIM_400000_NS6detail17trampoline_kernelINS0_14default_configENS1_25partition_config_selectorILNS1_17partition_subalgoE8EsNS0_10empty_typeEbEEZZNS1_14partition_implILS5_8ELb0ES3_jPKsPS6_PKS6_NS0_5tupleIJPsS6_EEENSE_IJSB_SB_EEENS0_18inequality_wrapperIN6hipcub16HIPCUB_304000_NS8EqualityEEEPlJS6_EEE10hipError_tPvRmT3_T4_T5_T6_T7_T9_mT8_P12ihipStream_tbDpT10_ENKUlT_T0_E_clISt17integral_constantIbLb0EES16_IbLb1EEEEDaS12_S13_EUlS12_E_NS1_11comp_targetILNS1_3genE5ELNS1_11target_archE942ELNS1_3gpuE9ELNS1_3repE0EEENS1_30default_config_static_selectorELNS0_4arch9wavefront6targetE1EEEvT1_,"axG",@progbits,_ZN7rocprim17ROCPRIM_400000_NS6detail17trampoline_kernelINS0_14default_configENS1_25partition_config_selectorILNS1_17partition_subalgoE8EsNS0_10empty_typeEbEEZZNS1_14partition_implILS5_8ELb0ES3_jPKsPS6_PKS6_NS0_5tupleIJPsS6_EEENSE_IJSB_SB_EEENS0_18inequality_wrapperIN6hipcub16HIPCUB_304000_NS8EqualityEEEPlJS6_EEE10hipError_tPvRmT3_T4_T5_T6_T7_T9_mT8_P12ihipStream_tbDpT10_ENKUlT_T0_E_clISt17integral_constantIbLb0EES16_IbLb1EEEEDaS12_S13_EUlS12_E_NS1_11comp_targetILNS1_3genE5ELNS1_11target_archE942ELNS1_3gpuE9ELNS1_3repE0EEENS1_30default_config_static_selectorELNS0_4arch9wavefront6targetE1EEEvT1_,comdat
.Lfunc_end573:
	.size	_ZN7rocprim17ROCPRIM_400000_NS6detail17trampoline_kernelINS0_14default_configENS1_25partition_config_selectorILNS1_17partition_subalgoE8EsNS0_10empty_typeEbEEZZNS1_14partition_implILS5_8ELb0ES3_jPKsPS6_PKS6_NS0_5tupleIJPsS6_EEENSE_IJSB_SB_EEENS0_18inequality_wrapperIN6hipcub16HIPCUB_304000_NS8EqualityEEEPlJS6_EEE10hipError_tPvRmT3_T4_T5_T6_T7_T9_mT8_P12ihipStream_tbDpT10_ENKUlT_T0_E_clISt17integral_constantIbLb0EES16_IbLb1EEEEDaS12_S13_EUlS12_E_NS1_11comp_targetILNS1_3genE5ELNS1_11target_archE942ELNS1_3gpuE9ELNS1_3repE0EEENS1_30default_config_static_selectorELNS0_4arch9wavefront6targetE1EEEvT1_, .Lfunc_end573-_ZN7rocprim17ROCPRIM_400000_NS6detail17trampoline_kernelINS0_14default_configENS1_25partition_config_selectorILNS1_17partition_subalgoE8EsNS0_10empty_typeEbEEZZNS1_14partition_implILS5_8ELb0ES3_jPKsPS6_PKS6_NS0_5tupleIJPsS6_EEENSE_IJSB_SB_EEENS0_18inequality_wrapperIN6hipcub16HIPCUB_304000_NS8EqualityEEEPlJS6_EEE10hipError_tPvRmT3_T4_T5_T6_T7_T9_mT8_P12ihipStream_tbDpT10_ENKUlT_T0_E_clISt17integral_constantIbLb0EES16_IbLb1EEEEDaS12_S13_EUlS12_E_NS1_11comp_targetILNS1_3genE5ELNS1_11target_archE942ELNS1_3gpuE9ELNS1_3repE0EEENS1_30default_config_static_selectorELNS0_4arch9wavefront6targetE1EEEvT1_
                                        ; -- End function
	.section	.AMDGPU.csdata,"",@progbits
; Kernel info:
; codeLenInByte = 12740
; NumSgprs: 87
; NumVgprs: 132
; NumAgprs: 0
; TotalNumVgprs: 132
; ScratchSize: 0
; MemoryBound: 0
; FloatMode: 240
; IeeeMode: 1
; LDSByteSize: 30728 bytes/workgroup (compile time only)
; SGPRBlocks: 10
; VGPRBlocks: 16
; NumSGPRsForWavesPerEU: 87
; NumVGPRsForWavesPerEU: 132
; AccumOffset: 132
; Occupancy: 3
; WaveLimiterHint : 1
; COMPUTE_PGM_RSRC2:SCRATCH_EN: 0
; COMPUTE_PGM_RSRC2:USER_SGPR: 2
; COMPUTE_PGM_RSRC2:TRAP_HANDLER: 0
; COMPUTE_PGM_RSRC2:TGID_X_EN: 1
; COMPUTE_PGM_RSRC2:TGID_Y_EN: 0
; COMPUTE_PGM_RSRC2:TGID_Z_EN: 0
; COMPUTE_PGM_RSRC2:TIDIG_COMP_CNT: 0
; COMPUTE_PGM_RSRC3_GFX90A:ACCUM_OFFSET: 32
; COMPUTE_PGM_RSRC3_GFX90A:TG_SPLIT: 0
	.section	.text._ZN7rocprim17ROCPRIM_400000_NS6detail17trampoline_kernelINS0_14default_configENS1_25partition_config_selectorILNS1_17partition_subalgoE8EsNS0_10empty_typeEbEEZZNS1_14partition_implILS5_8ELb0ES3_jPKsPS6_PKS6_NS0_5tupleIJPsS6_EEENSE_IJSB_SB_EEENS0_18inequality_wrapperIN6hipcub16HIPCUB_304000_NS8EqualityEEEPlJS6_EEE10hipError_tPvRmT3_T4_T5_T6_T7_T9_mT8_P12ihipStream_tbDpT10_ENKUlT_T0_E_clISt17integral_constantIbLb0EES16_IbLb1EEEEDaS12_S13_EUlS12_E_NS1_11comp_targetILNS1_3genE4ELNS1_11target_archE910ELNS1_3gpuE8ELNS1_3repE0EEENS1_30default_config_static_selectorELNS0_4arch9wavefront6targetE1EEEvT1_,"axG",@progbits,_ZN7rocprim17ROCPRIM_400000_NS6detail17trampoline_kernelINS0_14default_configENS1_25partition_config_selectorILNS1_17partition_subalgoE8EsNS0_10empty_typeEbEEZZNS1_14partition_implILS5_8ELb0ES3_jPKsPS6_PKS6_NS0_5tupleIJPsS6_EEENSE_IJSB_SB_EEENS0_18inequality_wrapperIN6hipcub16HIPCUB_304000_NS8EqualityEEEPlJS6_EEE10hipError_tPvRmT3_T4_T5_T6_T7_T9_mT8_P12ihipStream_tbDpT10_ENKUlT_T0_E_clISt17integral_constantIbLb0EES16_IbLb1EEEEDaS12_S13_EUlS12_E_NS1_11comp_targetILNS1_3genE4ELNS1_11target_archE910ELNS1_3gpuE8ELNS1_3repE0EEENS1_30default_config_static_selectorELNS0_4arch9wavefront6targetE1EEEvT1_,comdat
	.protected	_ZN7rocprim17ROCPRIM_400000_NS6detail17trampoline_kernelINS0_14default_configENS1_25partition_config_selectorILNS1_17partition_subalgoE8EsNS0_10empty_typeEbEEZZNS1_14partition_implILS5_8ELb0ES3_jPKsPS6_PKS6_NS0_5tupleIJPsS6_EEENSE_IJSB_SB_EEENS0_18inequality_wrapperIN6hipcub16HIPCUB_304000_NS8EqualityEEEPlJS6_EEE10hipError_tPvRmT3_T4_T5_T6_T7_T9_mT8_P12ihipStream_tbDpT10_ENKUlT_T0_E_clISt17integral_constantIbLb0EES16_IbLb1EEEEDaS12_S13_EUlS12_E_NS1_11comp_targetILNS1_3genE4ELNS1_11target_archE910ELNS1_3gpuE8ELNS1_3repE0EEENS1_30default_config_static_selectorELNS0_4arch9wavefront6targetE1EEEvT1_ ; -- Begin function _ZN7rocprim17ROCPRIM_400000_NS6detail17trampoline_kernelINS0_14default_configENS1_25partition_config_selectorILNS1_17partition_subalgoE8EsNS0_10empty_typeEbEEZZNS1_14partition_implILS5_8ELb0ES3_jPKsPS6_PKS6_NS0_5tupleIJPsS6_EEENSE_IJSB_SB_EEENS0_18inequality_wrapperIN6hipcub16HIPCUB_304000_NS8EqualityEEEPlJS6_EEE10hipError_tPvRmT3_T4_T5_T6_T7_T9_mT8_P12ihipStream_tbDpT10_ENKUlT_T0_E_clISt17integral_constantIbLb0EES16_IbLb1EEEEDaS12_S13_EUlS12_E_NS1_11comp_targetILNS1_3genE4ELNS1_11target_archE910ELNS1_3gpuE8ELNS1_3repE0EEENS1_30default_config_static_selectorELNS0_4arch9wavefront6targetE1EEEvT1_
	.globl	_ZN7rocprim17ROCPRIM_400000_NS6detail17trampoline_kernelINS0_14default_configENS1_25partition_config_selectorILNS1_17partition_subalgoE8EsNS0_10empty_typeEbEEZZNS1_14partition_implILS5_8ELb0ES3_jPKsPS6_PKS6_NS0_5tupleIJPsS6_EEENSE_IJSB_SB_EEENS0_18inequality_wrapperIN6hipcub16HIPCUB_304000_NS8EqualityEEEPlJS6_EEE10hipError_tPvRmT3_T4_T5_T6_T7_T9_mT8_P12ihipStream_tbDpT10_ENKUlT_T0_E_clISt17integral_constantIbLb0EES16_IbLb1EEEEDaS12_S13_EUlS12_E_NS1_11comp_targetILNS1_3genE4ELNS1_11target_archE910ELNS1_3gpuE8ELNS1_3repE0EEENS1_30default_config_static_selectorELNS0_4arch9wavefront6targetE1EEEvT1_
	.p2align	8
	.type	_ZN7rocprim17ROCPRIM_400000_NS6detail17trampoline_kernelINS0_14default_configENS1_25partition_config_selectorILNS1_17partition_subalgoE8EsNS0_10empty_typeEbEEZZNS1_14partition_implILS5_8ELb0ES3_jPKsPS6_PKS6_NS0_5tupleIJPsS6_EEENSE_IJSB_SB_EEENS0_18inequality_wrapperIN6hipcub16HIPCUB_304000_NS8EqualityEEEPlJS6_EEE10hipError_tPvRmT3_T4_T5_T6_T7_T9_mT8_P12ihipStream_tbDpT10_ENKUlT_T0_E_clISt17integral_constantIbLb0EES16_IbLb1EEEEDaS12_S13_EUlS12_E_NS1_11comp_targetILNS1_3genE4ELNS1_11target_archE910ELNS1_3gpuE8ELNS1_3repE0EEENS1_30default_config_static_selectorELNS0_4arch9wavefront6targetE1EEEvT1_,@function
_ZN7rocprim17ROCPRIM_400000_NS6detail17trampoline_kernelINS0_14default_configENS1_25partition_config_selectorILNS1_17partition_subalgoE8EsNS0_10empty_typeEbEEZZNS1_14partition_implILS5_8ELb0ES3_jPKsPS6_PKS6_NS0_5tupleIJPsS6_EEENSE_IJSB_SB_EEENS0_18inequality_wrapperIN6hipcub16HIPCUB_304000_NS8EqualityEEEPlJS6_EEE10hipError_tPvRmT3_T4_T5_T6_T7_T9_mT8_P12ihipStream_tbDpT10_ENKUlT_T0_E_clISt17integral_constantIbLb0EES16_IbLb1EEEEDaS12_S13_EUlS12_E_NS1_11comp_targetILNS1_3genE4ELNS1_11target_archE910ELNS1_3gpuE8ELNS1_3repE0EEENS1_30default_config_static_selectorELNS0_4arch9wavefront6targetE1EEEvT1_: ; @_ZN7rocprim17ROCPRIM_400000_NS6detail17trampoline_kernelINS0_14default_configENS1_25partition_config_selectorILNS1_17partition_subalgoE8EsNS0_10empty_typeEbEEZZNS1_14partition_implILS5_8ELb0ES3_jPKsPS6_PKS6_NS0_5tupleIJPsS6_EEENSE_IJSB_SB_EEENS0_18inequality_wrapperIN6hipcub16HIPCUB_304000_NS8EqualityEEEPlJS6_EEE10hipError_tPvRmT3_T4_T5_T6_T7_T9_mT8_P12ihipStream_tbDpT10_ENKUlT_T0_E_clISt17integral_constantIbLb0EES16_IbLb1EEEEDaS12_S13_EUlS12_E_NS1_11comp_targetILNS1_3genE4ELNS1_11target_archE910ELNS1_3gpuE8ELNS1_3repE0EEENS1_30default_config_static_selectorELNS0_4arch9wavefront6targetE1EEEvT1_
; %bb.0:
	.section	.rodata,"a",@progbits
	.p2align	6, 0x0
	.amdhsa_kernel _ZN7rocprim17ROCPRIM_400000_NS6detail17trampoline_kernelINS0_14default_configENS1_25partition_config_selectorILNS1_17partition_subalgoE8EsNS0_10empty_typeEbEEZZNS1_14partition_implILS5_8ELb0ES3_jPKsPS6_PKS6_NS0_5tupleIJPsS6_EEENSE_IJSB_SB_EEENS0_18inequality_wrapperIN6hipcub16HIPCUB_304000_NS8EqualityEEEPlJS6_EEE10hipError_tPvRmT3_T4_T5_T6_T7_T9_mT8_P12ihipStream_tbDpT10_ENKUlT_T0_E_clISt17integral_constantIbLb0EES16_IbLb1EEEEDaS12_S13_EUlS12_E_NS1_11comp_targetILNS1_3genE4ELNS1_11target_archE910ELNS1_3gpuE8ELNS1_3repE0EEENS1_30default_config_static_selectorELNS0_4arch9wavefront6targetE1EEEvT1_
		.amdhsa_group_segment_fixed_size 0
		.amdhsa_private_segment_fixed_size 0
		.amdhsa_kernarg_size 128
		.amdhsa_user_sgpr_count 2
		.amdhsa_user_sgpr_dispatch_ptr 0
		.amdhsa_user_sgpr_queue_ptr 0
		.amdhsa_user_sgpr_kernarg_segment_ptr 1
		.amdhsa_user_sgpr_dispatch_id 0
		.amdhsa_user_sgpr_kernarg_preload_length 0
		.amdhsa_user_sgpr_kernarg_preload_offset 0
		.amdhsa_user_sgpr_private_segment_size 0
		.amdhsa_uses_dynamic_stack 0
		.amdhsa_enable_private_segment 0
		.amdhsa_system_sgpr_workgroup_id_x 1
		.amdhsa_system_sgpr_workgroup_id_y 0
		.amdhsa_system_sgpr_workgroup_id_z 0
		.amdhsa_system_sgpr_workgroup_info 0
		.amdhsa_system_vgpr_workitem_id 0
		.amdhsa_next_free_vgpr 1
		.amdhsa_next_free_sgpr 0
		.amdhsa_accum_offset 4
		.amdhsa_reserve_vcc 0
		.amdhsa_float_round_mode_32 0
		.amdhsa_float_round_mode_16_64 0
		.amdhsa_float_denorm_mode_32 3
		.amdhsa_float_denorm_mode_16_64 3
		.amdhsa_dx10_clamp 1
		.amdhsa_ieee_mode 1
		.amdhsa_fp16_overflow 0
		.amdhsa_tg_split 0
		.amdhsa_exception_fp_ieee_invalid_op 0
		.amdhsa_exception_fp_denorm_src 0
		.amdhsa_exception_fp_ieee_div_zero 0
		.amdhsa_exception_fp_ieee_overflow 0
		.amdhsa_exception_fp_ieee_underflow 0
		.amdhsa_exception_fp_ieee_inexact 0
		.amdhsa_exception_int_div_zero 0
	.end_amdhsa_kernel
	.section	.text._ZN7rocprim17ROCPRIM_400000_NS6detail17trampoline_kernelINS0_14default_configENS1_25partition_config_selectorILNS1_17partition_subalgoE8EsNS0_10empty_typeEbEEZZNS1_14partition_implILS5_8ELb0ES3_jPKsPS6_PKS6_NS0_5tupleIJPsS6_EEENSE_IJSB_SB_EEENS0_18inequality_wrapperIN6hipcub16HIPCUB_304000_NS8EqualityEEEPlJS6_EEE10hipError_tPvRmT3_T4_T5_T6_T7_T9_mT8_P12ihipStream_tbDpT10_ENKUlT_T0_E_clISt17integral_constantIbLb0EES16_IbLb1EEEEDaS12_S13_EUlS12_E_NS1_11comp_targetILNS1_3genE4ELNS1_11target_archE910ELNS1_3gpuE8ELNS1_3repE0EEENS1_30default_config_static_selectorELNS0_4arch9wavefront6targetE1EEEvT1_,"axG",@progbits,_ZN7rocprim17ROCPRIM_400000_NS6detail17trampoline_kernelINS0_14default_configENS1_25partition_config_selectorILNS1_17partition_subalgoE8EsNS0_10empty_typeEbEEZZNS1_14partition_implILS5_8ELb0ES3_jPKsPS6_PKS6_NS0_5tupleIJPsS6_EEENSE_IJSB_SB_EEENS0_18inequality_wrapperIN6hipcub16HIPCUB_304000_NS8EqualityEEEPlJS6_EEE10hipError_tPvRmT3_T4_T5_T6_T7_T9_mT8_P12ihipStream_tbDpT10_ENKUlT_T0_E_clISt17integral_constantIbLb0EES16_IbLb1EEEEDaS12_S13_EUlS12_E_NS1_11comp_targetILNS1_3genE4ELNS1_11target_archE910ELNS1_3gpuE8ELNS1_3repE0EEENS1_30default_config_static_selectorELNS0_4arch9wavefront6targetE1EEEvT1_,comdat
.Lfunc_end574:
	.size	_ZN7rocprim17ROCPRIM_400000_NS6detail17trampoline_kernelINS0_14default_configENS1_25partition_config_selectorILNS1_17partition_subalgoE8EsNS0_10empty_typeEbEEZZNS1_14partition_implILS5_8ELb0ES3_jPKsPS6_PKS6_NS0_5tupleIJPsS6_EEENSE_IJSB_SB_EEENS0_18inequality_wrapperIN6hipcub16HIPCUB_304000_NS8EqualityEEEPlJS6_EEE10hipError_tPvRmT3_T4_T5_T6_T7_T9_mT8_P12ihipStream_tbDpT10_ENKUlT_T0_E_clISt17integral_constantIbLb0EES16_IbLb1EEEEDaS12_S13_EUlS12_E_NS1_11comp_targetILNS1_3genE4ELNS1_11target_archE910ELNS1_3gpuE8ELNS1_3repE0EEENS1_30default_config_static_selectorELNS0_4arch9wavefront6targetE1EEEvT1_, .Lfunc_end574-_ZN7rocprim17ROCPRIM_400000_NS6detail17trampoline_kernelINS0_14default_configENS1_25partition_config_selectorILNS1_17partition_subalgoE8EsNS0_10empty_typeEbEEZZNS1_14partition_implILS5_8ELb0ES3_jPKsPS6_PKS6_NS0_5tupleIJPsS6_EEENSE_IJSB_SB_EEENS0_18inequality_wrapperIN6hipcub16HIPCUB_304000_NS8EqualityEEEPlJS6_EEE10hipError_tPvRmT3_T4_T5_T6_T7_T9_mT8_P12ihipStream_tbDpT10_ENKUlT_T0_E_clISt17integral_constantIbLb0EES16_IbLb1EEEEDaS12_S13_EUlS12_E_NS1_11comp_targetILNS1_3genE4ELNS1_11target_archE910ELNS1_3gpuE8ELNS1_3repE0EEENS1_30default_config_static_selectorELNS0_4arch9wavefront6targetE1EEEvT1_
                                        ; -- End function
	.section	.AMDGPU.csdata,"",@progbits
; Kernel info:
; codeLenInByte = 0
; NumSgprs: 6
; NumVgprs: 0
; NumAgprs: 0
; TotalNumVgprs: 0
; ScratchSize: 0
; MemoryBound: 0
; FloatMode: 240
; IeeeMode: 1
; LDSByteSize: 0 bytes/workgroup (compile time only)
; SGPRBlocks: 0
; VGPRBlocks: 0
; NumSGPRsForWavesPerEU: 6
; NumVGPRsForWavesPerEU: 1
; AccumOffset: 4
; Occupancy: 8
; WaveLimiterHint : 0
; COMPUTE_PGM_RSRC2:SCRATCH_EN: 0
; COMPUTE_PGM_RSRC2:USER_SGPR: 2
; COMPUTE_PGM_RSRC2:TRAP_HANDLER: 0
; COMPUTE_PGM_RSRC2:TGID_X_EN: 1
; COMPUTE_PGM_RSRC2:TGID_Y_EN: 0
; COMPUTE_PGM_RSRC2:TGID_Z_EN: 0
; COMPUTE_PGM_RSRC2:TIDIG_COMP_CNT: 0
; COMPUTE_PGM_RSRC3_GFX90A:ACCUM_OFFSET: 0
; COMPUTE_PGM_RSRC3_GFX90A:TG_SPLIT: 0
	.section	.text._ZN7rocprim17ROCPRIM_400000_NS6detail17trampoline_kernelINS0_14default_configENS1_25partition_config_selectorILNS1_17partition_subalgoE8EsNS0_10empty_typeEbEEZZNS1_14partition_implILS5_8ELb0ES3_jPKsPS6_PKS6_NS0_5tupleIJPsS6_EEENSE_IJSB_SB_EEENS0_18inequality_wrapperIN6hipcub16HIPCUB_304000_NS8EqualityEEEPlJS6_EEE10hipError_tPvRmT3_T4_T5_T6_T7_T9_mT8_P12ihipStream_tbDpT10_ENKUlT_T0_E_clISt17integral_constantIbLb0EES16_IbLb1EEEEDaS12_S13_EUlS12_E_NS1_11comp_targetILNS1_3genE3ELNS1_11target_archE908ELNS1_3gpuE7ELNS1_3repE0EEENS1_30default_config_static_selectorELNS0_4arch9wavefront6targetE1EEEvT1_,"axG",@progbits,_ZN7rocprim17ROCPRIM_400000_NS6detail17trampoline_kernelINS0_14default_configENS1_25partition_config_selectorILNS1_17partition_subalgoE8EsNS0_10empty_typeEbEEZZNS1_14partition_implILS5_8ELb0ES3_jPKsPS6_PKS6_NS0_5tupleIJPsS6_EEENSE_IJSB_SB_EEENS0_18inequality_wrapperIN6hipcub16HIPCUB_304000_NS8EqualityEEEPlJS6_EEE10hipError_tPvRmT3_T4_T5_T6_T7_T9_mT8_P12ihipStream_tbDpT10_ENKUlT_T0_E_clISt17integral_constantIbLb0EES16_IbLb1EEEEDaS12_S13_EUlS12_E_NS1_11comp_targetILNS1_3genE3ELNS1_11target_archE908ELNS1_3gpuE7ELNS1_3repE0EEENS1_30default_config_static_selectorELNS0_4arch9wavefront6targetE1EEEvT1_,comdat
	.protected	_ZN7rocprim17ROCPRIM_400000_NS6detail17trampoline_kernelINS0_14default_configENS1_25partition_config_selectorILNS1_17partition_subalgoE8EsNS0_10empty_typeEbEEZZNS1_14partition_implILS5_8ELb0ES3_jPKsPS6_PKS6_NS0_5tupleIJPsS6_EEENSE_IJSB_SB_EEENS0_18inequality_wrapperIN6hipcub16HIPCUB_304000_NS8EqualityEEEPlJS6_EEE10hipError_tPvRmT3_T4_T5_T6_T7_T9_mT8_P12ihipStream_tbDpT10_ENKUlT_T0_E_clISt17integral_constantIbLb0EES16_IbLb1EEEEDaS12_S13_EUlS12_E_NS1_11comp_targetILNS1_3genE3ELNS1_11target_archE908ELNS1_3gpuE7ELNS1_3repE0EEENS1_30default_config_static_selectorELNS0_4arch9wavefront6targetE1EEEvT1_ ; -- Begin function _ZN7rocprim17ROCPRIM_400000_NS6detail17trampoline_kernelINS0_14default_configENS1_25partition_config_selectorILNS1_17partition_subalgoE8EsNS0_10empty_typeEbEEZZNS1_14partition_implILS5_8ELb0ES3_jPKsPS6_PKS6_NS0_5tupleIJPsS6_EEENSE_IJSB_SB_EEENS0_18inequality_wrapperIN6hipcub16HIPCUB_304000_NS8EqualityEEEPlJS6_EEE10hipError_tPvRmT3_T4_T5_T6_T7_T9_mT8_P12ihipStream_tbDpT10_ENKUlT_T0_E_clISt17integral_constantIbLb0EES16_IbLb1EEEEDaS12_S13_EUlS12_E_NS1_11comp_targetILNS1_3genE3ELNS1_11target_archE908ELNS1_3gpuE7ELNS1_3repE0EEENS1_30default_config_static_selectorELNS0_4arch9wavefront6targetE1EEEvT1_
	.globl	_ZN7rocprim17ROCPRIM_400000_NS6detail17trampoline_kernelINS0_14default_configENS1_25partition_config_selectorILNS1_17partition_subalgoE8EsNS0_10empty_typeEbEEZZNS1_14partition_implILS5_8ELb0ES3_jPKsPS6_PKS6_NS0_5tupleIJPsS6_EEENSE_IJSB_SB_EEENS0_18inequality_wrapperIN6hipcub16HIPCUB_304000_NS8EqualityEEEPlJS6_EEE10hipError_tPvRmT3_T4_T5_T6_T7_T9_mT8_P12ihipStream_tbDpT10_ENKUlT_T0_E_clISt17integral_constantIbLb0EES16_IbLb1EEEEDaS12_S13_EUlS12_E_NS1_11comp_targetILNS1_3genE3ELNS1_11target_archE908ELNS1_3gpuE7ELNS1_3repE0EEENS1_30default_config_static_selectorELNS0_4arch9wavefront6targetE1EEEvT1_
	.p2align	8
	.type	_ZN7rocprim17ROCPRIM_400000_NS6detail17trampoline_kernelINS0_14default_configENS1_25partition_config_selectorILNS1_17partition_subalgoE8EsNS0_10empty_typeEbEEZZNS1_14partition_implILS5_8ELb0ES3_jPKsPS6_PKS6_NS0_5tupleIJPsS6_EEENSE_IJSB_SB_EEENS0_18inequality_wrapperIN6hipcub16HIPCUB_304000_NS8EqualityEEEPlJS6_EEE10hipError_tPvRmT3_T4_T5_T6_T7_T9_mT8_P12ihipStream_tbDpT10_ENKUlT_T0_E_clISt17integral_constantIbLb0EES16_IbLb1EEEEDaS12_S13_EUlS12_E_NS1_11comp_targetILNS1_3genE3ELNS1_11target_archE908ELNS1_3gpuE7ELNS1_3repE0EEENS1_30default_config_static_selectorELNS0_4arch9wavefront6targetE1EEEvT1_,@function
_ZN7rocprim17ROCPRIM_400000_NS6detail17trampoline_kernelINS0_14default_configENS1_25partition_config_selectorILNS1_17partition_subalgoE8EsNS0_10empty_typeEbEEZZNS1_14partition_implILS5_8ELb0ES3_jPKsPS6_PKS6_NS0_5tupleIJPsS6_EEENSE_IJSB_SB_EEENS0_18inequality_wrapperIN6hipcub16HIPCUB_304000_NS8EqualityEEEPlJS6_EEE10hipError_tPvRmT3_T4_T5_T6_T7_T9_mT8_P12ihipStream_tbDpT10_ENKUlT_T0_E_clISt17integral_constantIbLb0EES16_IbLb1EEEEDaS12_S13_EUlS12_E_NS1_11comp_targetILNS1_3genE3ELNS1_11target_archE908ELNS1_3gpuE7ELNS1_3repE0EEENS1_30default_config_static_selectorELNS0_4arch9wavefront6targetE1EEEvT1_: ; @_ZN7rocprim17ROCPRIM_400000_NS6detail17trampoline_kernelINS0_14default_configENS1_25partition_config_selectorILNS1_17partition_subalgoE8EsNS0_10empty_typeEbEEZZNS1_14partition_implILS5_8ELb0ES3_jPKsPS6_PKS6_NS0_5tupleIJPsS6_EEENSE_IJSB_SB_EEENS0_18inequality_wrapperIN6hipcub16HIPCUB_304000_NS8EqualityEEEPlJS6_EEE10hipError_tPvRmT3_T4_T5_T6_T7_T9_mT8_P12ihipStream_tbDpT10_ENKUlT_T0_E_clISt17integral_constantIbLb0EES16_IbLb1EEEEDaS12_S13_EUlS12_E_NS1_11comp_targetILNS1_3genE3ELNS1_11target_archE908ELNS1_3gpuE7ELNS1_3repE0EEENS1_30default_config_static_selectorELNS0_4arch9wavefront6targetE1EEEvT1_
; %bb.0:
	.section	.rodata,"a",@progbits
	.p2align	6, 0x0
	.amdhsa_kernel _ZN7rocprim17ROCPRIM_400000_NS6detail17trampoline_kernelINS0_14default_configENS1_25partition_config_selectorILNS1_17partition_subalgoE8EsNS0_10empty_typeEbEEZZNS1_14partition_implILS5_8ELb0ES3_jPKsPS6_PKS6_NS0_5tupleIJPsS6_EEENSE_IJSB_SB_EEENS0_18inequality_wrapperIN6hipcub16HIPCUB_304000_NS8EqualityEEEPlJS6_EEE10hipError_tPvRmT3_T4_T5_T6_T7_T9_mT8_P12ihipStream_tbDpT10_ENKUlT_T0_E_clISt17integral_constantIbLb0EES16_IbLb1EEEEDaS12_S13_EUlS12_E_NS1_11comp_targetILNS1_3genE3ELNS1_11target_archE908ELNS1_3gpuE7ELNS1_3repE0EEENS1_30default_config_static_selectorELNS0_4arch9wavefront6targetE1EEEvT1_
		.amdhsa_group_segment_fixed_size 0
		.amdhsa_private_segment_fixed_size 0
		.amdhsa_kernarg_size 128
		.amdhsa_user_sgpr_count 2
		.amdhsa_user_sgpr_dispatch_ptr 0
		.amdhsa_user_sgpr_queue_ptr 0
		.amdhsa_user_sgpr_kernarg_segment_ptr 1
		.amdhsa_user_sgpr_dispatch_id 0
		.amdhsa_user_sgpr_kernarg_preload_length 0
		.amdhsa_user_sgpr_kernarg_preload_offset 0
		.amdhsa_user_sgpr_private_segment_size 0
		.amdhsa_uses_dynamic_stack 0
		.amdhsa_enable_private_segment 0
		.amdhsa_system_sgpr_workgroup_id_x 1
		.amdhsa_system_sgpr_workgroup_id_y 0
		.amdhsa_system_sgpr_workgroup_id_z 0
		.amdhsa_system_sgpr_workgroup_info 0
		.amdhsa_system_vgpr_workitem_id 0
		.amdhsa_next_free_vgpr 1
		.amdhsa_next_free_sgpr 0
		.amdhsa_accum_offset 4
		.amdhsa_reserve_vcc 0
		.amdhsa_float_round_mode_32 0
		.amdhsa_float_round_mode_16_64 0
		.amdhsa_float_denorm_mode_32 3
		.amdhsa_float_denorm_mode_16_64 3
		.amdhsa_dx10_clamp 1
		.amdhsa_ieee_mode 1
		.amdhsa_fp16_overflow 0
		.amdhsa_tg_split 0
		.amdhsa_exception_fp_ieee_invalid_op 0
		.amdhsa_exception_fp_denorm_src 0
		.amdhsa_exception_fp_ieee_div_zero 0
		.amdhsa_exception_fp_ieee_overflow 0
		.amdhsa_exception_fp_ieee_underflow 0
		.amdhsa_exception_fp_ieee_inexact 0
		.amdhsa_exception_int_div_zero 0
	.end_amdhsa_kernel
	.section	.text._ZN7rocprim17ROCPRIM_400000_NS6detail17trampoline_kernelINS0_14default_configENS1_25partition_config_selectorILNS1_17partition_subalgoE8EsNS0_10empty_typeEbEEZZNS1_14partition_implILS5_8ELb0ES3_jPKsPS6_PKS6_NS0_5tupleIJPsS6_EEENSE_IJSB_SB_EEENS0_18inequality_wrapperIN6hipcub16HIPCUB_304000_NS8EqualityEEEPlJS6_EEE10hipError_tPvRmT3_T4_T5_T6_T7_T9_mT8_P12ihipStream_tbDpT10_ENKUlT_T0_E_clISt17integral_constantIbLb0EES16_IbLb1EEEEDaS12_S13_EUlS12_E_NS1_11comp_targetILNS1_3genE3ELNS1_11target_archE908ELNS1_3gpuE7ELNS1_3repE0EEENS1_30default_config_static_selectorELNS0_4arch9wavefront6targetE1EEEvT1_,"axG",@progbits,_ZN7rocprim17ROCPRIM_400000_NS6detail17trampoline_kernelINS0_14default_configENS1_25partition_config_selectorILNS1_17partition_subalgoE8EsNS0_10empty_typeEbEEZZNS1_14partition_implILS5_8ELb0ES3_jPKsPS6_PKS6_NS0_5tupleIJPsS6_EEENSE_IJSB_SB_EEENS0_18inequality_wrapperIN6hipcub16HIPCUB_304000_NS8EqualityEEEPlJS6_EEE10hipError_tPvRmT3_T4_T5_T6_T7_T9_mT8_P12ihipStream_tbDpT10_ENKUlT_T0_E_clISt17integral_constantIbLb0EES16_IbLb1EEEEDaS12_S13_EUlS12_E_NS1_11comp_targetILNS1_3genE3ELNS1_11target_archE908ELNS1_3gpuE7ELNS1_3repE0EEENS1_30default_config_static_selectorELNS0_4arch9wavefront6targetE1EEEvT1_,comdat
.Lfunc_end575:
	.size	_ZN7rocprim17ROCPRIM_400000_NS6detail17trampoline_kernelINS0_14default_configENS1_25partition_config_selectorILNS1_17partition_subalgoE8EsNS0_10empty_typeEbEEZZNS1_14partition_implILS5_8ELb0ES3_jPKsPS6_PKS6_NS0_5tupleIJPsS6_EEENSE_IJSB_SB_EEENS0_18inequality_wrapperIN6hipcub16HIPCUB_304000_NS8EqualityEEEPlJS6_EEE10hipError_tPvRmT3_T4_T5_T6_T7_T9_mT8_P12ihipStream_tbDpT10_ENKUlT_T0_E_clISt17integral_constantIbLb0EES16_IbLb1EEEEDaS12_S13_EUlS12_E_NS1_11comp_targetILNS1_3genE3ELNS1_11target_archE908ELNS1_3gpuE7ELNS1_3repE0EEENS1_30default_config_static_selectorELNS0_4arch9wavefront6targetE1EEEvT1_, .Lfunc_end575-_ZN7rocprim17ROCPRIM_400000_NS6detail17trampoline_kernelINS0_14default_configENS1_25partition_config_selectorILNS1_17partition_subalgoE8EsNS0_10empty_typeEbEEZZNS1_14partition_implILS5_8ELb0ES3_jPKsPS6_PKS6_NS0_5tupleIJPsS6_EEENSE_IJSB_SB_EEENS0_18inequality_wrapperIN6hipcub16HIPCUB_304000_NS8EqualityEEEPlJS6_EEE10hipError_tPvRmT3_T4_T5_T6_T7_T9_mT8_P12ihipStream_tbDpT10_ENKUlT_T0_E_clISt17integral_constantIbLb0EES16_IbLb1EEEEDaS12_S13_EUlS12_E_NS1_11comp_targetILNS1_3genE3ELNS1_11target_archE908ELNS1_3gpuE7ELNS1_3repE0EEENS1_30default_config_static_selectorELNS0_4arch9wavefront6targetE1EEEvT1_
                                        ; -- End function
	.section	.AMDGPU.csdata,"",@progbits
; Kernel info:
; codeLenInByte = 0
; NumSgprs: 6
; NumVgprs: 0
; NumAgprs: 0
; TotalNumVgprs: 0
; ScratchSize: 0
; MemoryBound: 0
; FloatMode: 240
; IeeeMode: 1
; LDSByteSize: 0 bytes/workgroup (compile time only)
; SGPRBlocks: 0
; VGPRBlocks: 0
; NumSGPRsForWavesPerEU: 6
; NumVGPRsForWavesPerEU: 1
; AccumOffset: 4
; Occupancy: 8
; WaveLimiterHint : 0
; COMPUTE_PGM_RSRC2:SCRATCH_EN: 0
; COMPUTE_PGM_RSRC2:USER_SGPR: 2
; COMPUTE_PGM_RSRC2:TRAP_HANDLER: 0
; COMPUTE_PGM_RSRC2:TGID_X_EN: 1
; COMPUTE_PGM_RSRC2:TGID_Y_EN: 0
; COMPUTE_PGM_RSRC2:TGID_Z_EN: 0
; COMPUTE_PGM_RSRC2:TIDIG_COMP_CNT: 0
; COMPUTE_PGM_RSRC3_GFX90A:ACCUM_OFFSET: 0
; COMPUTE_PGM_RSRC3_GFX90A:TG_SPLIT: 0
	.section	.text._ZN7rocprim17ROCPRIM_400000_NS6detail17trampoline_kernelINS0_14default_configENS1_25partition_config_selectorILNS1_17partition_subalgoE8EsNS0_10empty_typeEbEEZZNS1_14partition_implILS5_8ELb0ES3_jPKsPS6_PKS6_NS0_5tupleIJPsS6_EEENSE_IJSB_SB_EEENS0_18inequality_wrapperIN6hipcub16HIPCUB_304000_NS8EqualityEEEPlJS6_EEE10hipError_tPvRmT3_T4_T5_T6_T7_T9_mT8_P12ihipStream_tbDpT10_ENKUlT_T0_E_clISt17integral_constantIbLb0EES16_IbLb1EEEEDaS12_S13_EUlS12_E_NS1_11comp_targetILNS1_3genE2ELNS1_11target_archE906ELNS1_3gpuE6ELNS1_3repE0EEENS1_30default_config_static_selectorELNS0_4arch9wavefront6targetE1EEEvT1_,"axG",@progbits,_ZN7rocprim17ROCPRIM_400000_NS6detail17trampoline_kernelINS0_14default_configENS1_25partition_config_selectorILNS1_17partition_subalgoE8EsNS0_10empty_typeEbEEZZNS1_14partition_implILS5_8ELb0ES3_jPKsPS6_PKS6_NS0_5tupleIJPsS6_EEENSE_IJSB_SB_EEENS0_18inequality_wrapperIN6hipcub16HIPCUB_304000_NS8EqualityEEEPlJS6_EEE10hipError_tPvRmT3_T4_T5_T6_T7_T9_mT8_P12ihipStream_tbDpT10_ENKUlT_T0_E_clISt17integral_constantIbLb0EES16_IbLb1EEEEDaS12_S13_EUlS12_E_NS1_11comp_targetILNS1_3genE2ELNS1_11target_archE906ELNS1_3gpuE6ELNS1_3repE0EEENS1_30default_config_static_selectorELNS0_4arch9wavefront6targetE1EEEvT1_,comdat
	.protected	_ZN7rocprim17ROCPRIM_400000_NS6detail17trampoline_kernelINS0_14default_configENS1_25partition_config_selectorILNS1_17partition_subalgoE8EsNS0_10empty_typeEbEEZZNS1_14partition_implILS5_8ELb0ES3_jPKsPS6_PKS6_NS0_5tupleIJPsS6_EEENSE_IJSB_SB_EEENS0_18inequality_wrapperIN6hipcub16HIPCUB_304000_NS8EqualityEEEPlJS6_EEE10hipError_tPvRmT3_T4_T5_T6_T7_T9_mT8_P12ihipStream_tbDpT10_ENKUlT_T0_E_clISt17integral_constantIbLb0EES16_IbLb1EEEEDaS12_S13_EUlS12_E_NS1_11comp_targetILNS1_3genE2ELNS1_11target_archE906ELNS1_3gpuE6ELNS1_3repE0EEENS1_30default_config_static_selectorELNS0_4arch9wavefront6targetE1EEEvT1_ ; -- Begin function _ZN7rocprim17ROCPRIM_400000_NS6detail17trampoline_kernelINS0_14default_configENS1_25partition_config_selectorILNS1_17partition_subalgoE8EsNS0_10empty_typeEbEEZZNS1_14partition_implILS5_8ELb0ES3_jPKsPS6_PKS6_NS0_5tupleIJPsS6_EEENSE_IJSB_SB_EEENS0_18inequality_wrapperIN6hipcub16HIPCUB_304000_NS8EqualityEEEPlJS6_EEE10hipError_tPvRmT3_T4_T5_T6_T7_T9_mT8_P12ihipStream_tbDpT10_ENKUlT_T0_E_clISt17integral_constantIbLb0EES16_IbLb1EEEEDaS12_S13_EUlS12_E_NS1_11comp_targetILNS1_3genE2ELNS1_11target_archE906ELNS1_3gpuE6ELNS1_3repE0EEENS1_30default_config_static_selectorELNS0_4arch9wavefront6targetE1EEEvT1_
	.globl	_ZN7rocprim17ROCPRIM_400000_NS6detail17trampoline_kernelINS0_14default_configENS1_25partition_config_selectorILNS1_17partition_subalgoE8EsNS0_10empty_typeEbEEZZNS1_14partition_implILS5_8ELb0ES3_jPKsPS6_PKS6_NS0_5tupleIJPsS6_EEENSE_IJSB_SB_EEENS0_18inequality_wrapperIN6hipcub16HIPCUB_304000_NS8EqualityEEEPlJS6_EEE10hipError_tPvRmT3_T4_T5_T6_T7_T9_mT8_P12ihipStream_tbDpT10_ENKUlT_T0_E_clISt17integral_constantIbLb0EES16_IbLb1EEEEDaS12_S13_EUlS12_E_NS1_11comp_targetILNS1_3genE2ELNS1_11target_archE906ELNS1_3gpuE6ELNS1_3repE0EEENS1_30default_config_static_selectorELNS0_4arch9wavefront6targetE1EEEvT1_
	.p2align	8
	.type	_ZN7rocprim17ROCPRIM_400000_NS6detail17trampoline_kernelINS0_14default_configENS1_25partition_config_selectorILNS1_17partition_subalgoE8EsNS0_10empty_typeEbEEZZNS1_14partition_implILS5_8ELb0ES3_jPKsPS6_PKS6_NS0_5tupleIJPsS6_EEENSE_IJSB_SB_EEENS0_18inequality_wrapperIN6hipcub16HIPCUB_304000_NS8EqualityEEEPlJS6_EEE10hipError_tPvRmT3_T4_T5_T6_T7_T9_mT8_P12ihipStream_tbDpT10_ENKUlT_T0_E_clISt17integral_constantIbLb0EES16_IbLb1EEEEDaS12_S13_EUlS12_E_NS1_11comp_targetILNS1_3genE2ELNS1_11target_archE906ELNS1_3gpuE6ELNS1_3repE0EEENS1_30default_config_static_selectorELNS0_4arch9wavefront6targetE1EEEvT1_,@function
_ZN7rocprim17ROCPRIM_400000_NS6detail17trampoline_kernelINS0_14default_configENS1_25partition_config_selectorILNS1_17partition_subalgoE8EsNS0_10empty_typeEbEEZZNS1_14partition_implILS5_8ELb0ES3_jPKsPS6_PKS6_NS0_5tupleIJPsS6_EEENSE_IJSB_SB_EEENS0_18inequality_wrapperIN6hipcub16HIPCUB_304000_NS8EqualityEEEPlJS6_EEE10hipError_tPvRmT3_T4_T5_T6_T7_T9_mT8_P12ihipStream_tbDpT10_ENKUlT_T0_E_clISt17integral_constantIbLb0EES16_IbLb1EEEEDaS12_S13_EUlS12_E_NS1_11comp_targetILNS1_3genE2ELNS1_11target_archE906ELNS1_3gpuE6ELNS1_3repE0EEENS1_30default_config_static_selectorELNS0_4arch9wavefront6targetE1EEEvT1_: ; @_ZN7rocprim17ROCPRIM_400000_NS6detail17trampoline_kernelINS0_14default_configENS1_25partition_config_selectorILNS1_17partition_subalgoE8EsNS0_10empty_typeEbEEZZNS1_14partition_implILS5_8ELb0ES3_jPKsPS6_PKS6_NS0_5tupleIJPsS6_EEENSE_IJSB_SB_EEENS0_18inequality_wrapperIN6hipcub16HIPCUB_304000_NS8EqualityEEEPlJS6_EEE10hipError_tPvRmT3_T4_T5_T6_T7_T9_mT8_P12ihipStream_tbDpT10_ENKUlT_T0_E_clISt17integral_constantIbLb0EES16_IbLb1EEEEDaS12_S13_EUlS12_E_NS1_11comp_targetILNS1_3genE2ELNS1_11target_archE906ELNS1_3gpuE6ELNS1_3repE0EEENS1_30default_config_static_selectorELNS0_4arch9wavefront6targetE1EEEvT1_
; %bb.0:
	.section	.rodata,"a",@progbits
	.p2align	6, 0x0
	.amdhsa_kernel _ZN7rocprim17ROCPRIM_400000_NS6detail17trampoline_kernelINS0_14default_configENS1_25partition_config_selectorILNS1_17partition_subalgoE8EsNS0_10empty_typeEbEEZZNS1_14partition_implILS5_8ELb0ES3_jPKsPS6_PKS6_NS0_5tupleIJPsS6_EEENSE_IJSB_SB_EEENS0_18inequality_wrapperIN6hipcub16HIPCUB_304000_NS8EqualityEEEPlJS6_EEE10hipError_tPvRmT3_T4_T5_T6_T7_T9_mT8_P12ihipStream_tbDpT10_ENKUlT_T0_E_clISt17integral_constantIbLb0EES16_IbLb1EEEEDaS12_S13_EUlS12_E_NS1_11comp_targetILNS1_3genE2ELNS1_11target_archE906ELNS1_3gpuE6ELNS1_3repE0EEENS1_30default_config_static_selectorELNS0_4arch9wavefront6targetE1EEEvT1_
		.amdhsa_group_segment_fixed_size 0
		.amdhsa_private_segment_fixed_size 0
		.amdhsa_kernarg_size 128
		.amdhsa_user_sgpr_count 2
		.amdhsa_user_sgpr_dispatch_ptr 0
		.amdhsa_user_sgpr_queue_ptr 0
		.amdhsa_user_sgpr_kernarg_segment_ptr 1
		.amdhsa_user_sgpr_dispatch_id 0
		.amdhsa_user_sgpr_kernarg_preload_length 0
		.amdhsa_user_sgpr_kernarg_preload_offset 0
		.amdhsa_user_sgpr_private_segment_size 0
		.amdhsa_uses_dynamic_stack 0
		.amdhsa_enable_private_segment 0
		.amdhsa_system_sgpr_workgroup_id_x 1
		.amdhsa_system_sgpr_workgroup_id_y 0
		.amdhsa_system_sgpr_workgroup_id_z 0
		.amdhsa_system_sgpr_workgroup_info 0
		.amdhsa_system_vgpr_workitem_id 0
		.amdhsa_next_free_vgpr 1
		.amdhsa_next_free_sgpr 0
		.amdhsa_accum_offset 4
		.amdhsa_reserve_vcc 0
		.amdhsa_float_round_mode_32 0
		.amdhsa_float_round_mode_16_64 0
		.amdhsa_float_denorm_mode_32 3
		.amdhsa_float_denorm_mode_16_64 3
		.amdhsa_dx10_clamp 1
		.amdhsa_ieee_mode 1
		.amdhsa_fp16_overflow 0
		.amdhsa_tg_split 0
		.amdhsa_exception_fp_ieee_invalid_op 0
		.amdhsa_exception_fp_denorm_src 0
		.amdhsa_exception_fp_ieee_div_zero 0
		.amdhsa_exception_fp_ieee_overflow 0
		.amdhsa_exception_fp_ieee_underflow 0
		.amdhsa_exception_fp_ieee_inexact 0
		.amdhsa_exception_int_div_zero 0
	.end_amdhsa_kernel
	.section	.text._ZN7rocprim17ROCPRIM_400000_NS6detail17trampoline_kernelINS0_14default_configENS1_25partition_config_selectorILNS1_17partition_subalgoE8EsNS0_10empty_typeEbEEZZNS1_14partition_implILS5_8ELb0ES3_jPKsPS6_PKS6_NS0_5tupleIJPsS6_EEENSE_IJSB_SB_EEENS0_18inequality_wrapperIN6hipcub16HIPCUB_304000_NS8EqualityEEEPlJS6_EEE10hipError_tPvRmT3_T4_T5_T6_T7_T9_mT8_P12ihipStream_tbDpT10_ENKUlT_T0_E_clISt17integral_constantIbLb0EES16_IbLb1EEEEDaS12_S13_EUlS12_E_NS1_11comp_targetILNS1_3genE2ELNS1_11target_archE906ELNS1_3gpuE6ELNS1_3repE0EEENS1_30default_config_static_selectorELNS0_4arch9wavefront6targetE1EEEvT1_,"axG",@progbits,_ZN7rocprim17ROCPRIM_400000_NS6detail17trampoline_kernelINS0_14default_configENS1_25partition_config_selectorILNS1_17partition_subalgoE8EsNS0_10empty_typeEbEEZZNS1_14partition_implILS5_8ELb0ES3_jPKsPS6_PKS6_NS0_5tupleIJPsS6_EEENSE_IJSB_SB_EEENS0_18inequality_wrapperIN6hipcub16HIPCUB_304000_NS8EqualityEEEPlJS6_EEE10hipError_tPvRmT3_T4_T5_T6_T7_T9_mT8_P12ihipStream_tbDpT10_ENKUlT_T0_E_clISt17integral_constantIbLb0EES16_IbLb1EEEEDaS12_S13_EUlS12_E_NS1_11comp_targetILNS1_3genE2ELNS1_11target_archE906ELNS1_3gpuE6ELNS1_3repE0EEENS1_30default_config_static_selectorELNS0_4arch9wavefront6targetE1EEEvT1_,comdat
.Lfunc_end576:
	.size	_ZN7rocprim17ROCPRIM_400000_NS6detail17trampoline_kernelINS0_14default_configENS1_25partition_config_selectorILNS1_17partition_subalgoE8EsNS0_10empty_typeEbEEZZNS1_14partition_implILS5_8ELb0ES3_jPKsPS6_PKS6_NS0_5tupleIJPsS6_EEENSE_IJSB_SB_EEENS0_18inequality_wrapperIN6hipcub16HIPCUB_304000_NS8EqualityEEEPlJS6_EEE10hipError_tPvRmT3_T4_T5_T6_T7_T9_mT8_P12ihipStream_tbDpT10_ENKUlT_T0_E_clISt17integral_constantIbLb0EES16_IbLb1EEEEDaS12_S13_EUlS12_E_NS1_11comp_targetILNS1_3genE2ELNS1_11target_archE906ELNS1_3gpuE6ELNS1_3repE0EEENS1_30default_config_static_selectorELNS0_4arch9wavefront6targetE1EEEvT1_, .Lfunc_end576-_ZN7rocprim17ROCPRIM_400000_NS6detail17trampoline_kernelINS0_14default_configENS1_25partition_config_selectorILNS1_17partition_subalgoE8EsNS0_10empty_typeEbEEZZNS1_14partition_implILS5_8ELb0ES3_jPKsPS6_PKS6_NS0_5tupleIJPsS6_EEENSE_IJSB_SB_EEENS0_18inequality_wrapperIN6hipcub16HIPCUB_304000_NS8EqualityEEEPlJS6_EEE10hipError_tPvRmT3_T4_T5_T6_T7_T9_mT8_P12ihipStream_tbDpT10_ENKUlT_T0_E_clISt17integral_constantIbLb0EES16_IbLb1EEEEDaS12_S13_EUlS12_E_NS1_11comp_targetILNS1_3genE2ELNS1_11target_archE906ELNS1_3gpuE6ELNS1_3repE0EEENS1_30default_config_static_selectorELNS0_4arch9wavefront6targetE1EEEvT1_
                                        ; -- End function
	.section	.AMDGPU.csdata,"",@progbits
; Kernel info:
; codeLenInByte = 0
; NumSgprs: 6
; NumVgprs: 0
; NumAgprs: 0
; TotalNumVgprs: 0
; ScratchSize: 0
; MemoryBound: 0
; FloatMode: 240
; IeeeMode: 1
; LDSByteSize: 0 bytes/workgroup (compile time only)
; SGPRBlocks: 0
; VGPRBlocks: 0
; NumSGPRsForWavesPerEU: 6
; NumVGPRsForWavesPerEU: 1
; AccumOffset: 4
; Occupancy: 8
; WaveLimiterHint : 0
; COMPUTE_PGM_RSRC2:SCRATCH_EN: 0
; COMPUTE_PGM_RSRC2:USER_SGPR: 2
; COMPUTE_PGM_RSRC2:TRAP_HANDLER: 0
; COMPUTE_PGM_RSRC2:TGID_X_EN: 1
; COMPUTE_PGM_RSRC2:TGID_Y_EN: 0
; COMPUTE_PGM_RSRC2:TGID_Z_EN: 0
; COMPUTE_PGM_RSRC2:TIDIG_COMP_CNT: 0
; COMPUTE_PGM_RSRC3_GFX90A:ACCUM_OFFSET: 0
; COMPUTE_PGM_RSRC3_GFX90A:TG_SPLIT: 0
	.section	.text._ZN7rocprim17ROCPRIM_400000_NS6detail17trampoline_kernelINS0_14default_configENS1_25partition_config_selectorILNS1_17partition_subalgoE8EsNS0_10empty_typeEbEEZZNS1_14partition_implILS5_8ELb0ES3_jPKsPS6_PKS6_NS0_5tupleIJPsS6_EEENSE_IJSB_SB_EEENS0_18inequality_wrapperIN6hipcub16HIPCUB_304000_NS8EqualityEEEPlJS6_EEE10hipError_tPvRmT3_T4_T5_T6_T7_T9_mT8_P12ihipStream_tbDpT10_ENKUlT_T0_E_clISt17integral_constantIbLb0EES16_IbLb1EEEEDaS12_S13_EUlS12_E_NS1_11comp_targetILNS1_3genE10ELNS1_11target_archE1200ELNS1_3gpuE4ELNS1_3repE0EEENS1_30default_config_static_selectorELNS0_4arch9wavefront6targetE1EEEvT1_,"axG",@progbits,_ZN7rocprim17ROCPRIM_400000_NS6detail17trampoline_kernelINS0_14default_configENS1_25partition_config_selectorILNS1_17partition_subalgoE8EsNS0_10empty_typeEbEEZZNS1_14partition_implILS5_8ELb0ES3_jPKsPS6_PKS6_NS0_5tupleIJPsS6_EEENSE_IJSB_SB_EEENS0_18inequality_wrapperIN6hipcub16HIPCUB_304000_NS8EqualityEEEPlJS6_EEE10hipError_tPvRmT3_T4_T5_T6_T7_T9_mT8_P12ihipStream_tbDpT10_ENKUlT_T0_E_clISt17integral_constantIbLb0EES16_IbLb1EEEEDaS12_S13_EUlS12_E_NS1_11comp_targetILNS1_3genE10ELNS1_11target_archE1200ELNS1_3gpuE4ELNS1_3repE0EEENS1_30default_config_static_selectorELNS0_4arch9wavefront6targetE1EEEvT1_,comdat
	.protected	_ZN7rocprim17ROCPRIM_400000_NS6detail17trampoline_kernelINS0_14default_configENS1_25partition_config_selectorILNS1_17partition_subalgoE8EsNS0_10empty_typeEbEEZZNS1_14partition_implILS5_8ELb0ES3_jPKsPS6_PKS6_NS0_5tupleIJPsS6_EEENSE_IJSB_SB_EEENS0_18inequality_wrapperIN6hipcub16HIPCUB_304000_NS8EqualityEEEPlJS6_EEE10hipError_tPvRmT3_T4_T5_T6_T7_T9_mT8_P12ihipStream_tbDpT10_ENKUlT_T0_E_clISt17integral_constantIbLb0EES16_IbLb1EEEEDaS12_S13_EUlS12_E_NS1_11comp_targetILNS1_3genE10ELNS1_11target_archE1200ELNS1_3gpuE4ELNS1_3repE0EEENS1_30default_config_static_selectorELNS0_4arch9wavefront6targetE1EEEvT1_ ; -- Begin function _ZN7rocprim17ROCPRIM_400000_NS6detail17trampoline_kernelINS0_14default_configENS1_25partition_config_selectorILNS1_17partition_subalgoE8EsNS0_10empty_typeEbEEZZNS1_14partition_implILS5_8ELb0ES3_jPKsPS6_PKS6_NS0_5tupleIJPsS6_EEENSE_IJSB_SB_EEENS0_18inequality_wrapperIN6hipcub16HIPCUB_304000_NS8EqualityEEEPlJS6_EEE10hipError_tPvRmT3_T4_T5_T6_T7_T9_mT8_P12ihipStream_tbDpT10_ENKUlT_T0_E_clISt17integral_constantIbLb0EES16_IbLb1EEEEDaS12_S13_EUlS12_E_NS1_11comp_targetILNS1_3genE10ELNS1_11target_archE1200ELNS1_3gpuE4ELNS1_3repE0EEENS1_30default_config_static_selectorELNS0_4arch9wavefront6targetE1EEEvT1_
	.globl	_ZN7rocprim17ROCPRIM_400000_NS6detail17trampoline_kernelINS0_14default_configENS1_25partition_config_selectorILNS1_17partition_subalgoE8EsNS0_10empty_typeEbEEZZNS1_14partition_implILS5_8ELb0ES3_jPKsPS6_PKS6_NS0_5tupleIJPsS6_EEENSE_IJSB_SB_EEENS0_18inequality_wrapperIN6hipcub16HIPCUB_304000_NS8EqualityEEEPlJS6_EEE10hipError_tPvRmT3_T4_T5_T6_T7_T9_mT8_P12ihipStream_tbDpT10_ENKUlT_T0_E_clISt17integral_constantIbLb0EES16_IbLb1EEEEDaS12_S13_EUlS12_E_NS1_11comp_targetILNS1_3genE10ELNS1_11target_archE1200ELNS1_3gpuE4ELNS1_3repE0EEENS1_30default_config_static_selectorELNS0_4arch9wavefront6targetE1EEEvT1_
	.p2align	8
	.type	_ZN7rocprim17ROCPRIM_400000_NS6detail17trampoline_kernelINS0_14default_configENS1_25partition_config_selectorILNS1_17partition_subalgoE8EsNS0_10empty_typeEbEEZZNS1_14partition_implILS5_8ELb0ES3_jPKsPS6_PKS6_NS0_5tupleIJPsS6_EEENSE_IJSB_SB_EEENS0_18inequality_wrapperIN6hipcub16HIPCUB_304000_NS8EqualityEEEPlJS6_EEE10hipError_tPvRmT3_T4_T5_T6_T7_T9_mT8_P12ihipStream_tbDpT10_ENKUlT_T0_E_clISt17integral_constantIbLb0EES16_IbLb1EEEEDaS12_S13_EUlS12_E_NS1_11comp_targetILNS1_3genE10ELNS1_11target_archE1200ELNS1_3gpuE4ELNS1_3repE0EEENS1_30default_config_static_selectorELNS0_4arch9wavefront6targetE1EEEvT1_,@function
_ZN7rocprim17ROCPRIM_400000_NS6detail17trampoline_kernelINS0_14default_configENS1_25partition_config_selectorILNS1_17partition_subalgoE8EsNS0_10empty_typeEbEEZZNS1_14partition_implILS5_8ELb0ES3_jPKsPS6_PKS6_NS0_5tupleIJPsS6_EEENSE_IJSB_SB_EEENS0_18inequality_wrapperIN6hipcub16HIPCUB_304000_NS8EqualityEEEPlJS6_EEE10hipError_tPvRmT3_T4_T5_T6_T7_T9_mT8_P12ihipStream_tbDpT10_ENKUlT_T0_E_clISt17integral_constantIbLb0EES16_IbLb1EEEEDaS12_S13_EUlS12_E_NS1_11comp_targetILNS1_3genE10ELNS1_11target_archE1200ELNS1_3gpuE4ELNS1_3repE0EEENS1_30default_config_static_selectorELNS0_4arch9wavefront6targetE1EEEvT1_: ; @_ZN7rocprim17ROCPRIM_400000_NS6detail17trampoline_kernelINS0_14default_configENS1_25partition_config_selectorILNS1_17partition_subalgoE8EsNS0_10empty_typeEbEEZZNS1_14partition_implILS5_8ELb0ES3_jPKsPS6_PKS6_NS0_5tupleIJPsS6_EEENSE_IJSB_SB_EEENS0_18inequality_wrapperIN6hipcub16HIPCUB_304000_NS8EqualityEEEPlJS6_EEE10hipError_tPvRmT3_T4_T5_T6_T7_T9_mT8_P12ihipStream_tbDpT10_ENKUlT_T0_E_clISt17integral_constantIbLb0EES16_IbLb1EEEEDaS12_S13_EUlS12_E_NS1_11comp_targetILNS1_3genE10ELNS1_11target_archE1200ELNS1_3gpuE4ELNS1_3repE0EEENS1_30default_config_static_selectorELNS0_4arch9wavefront6targetE1EEEvT1_
; %bb.0:
	.section	.rodata,"a",@progbits
	.p2align	6, 0x0
	.amdhsa_kernel _ZN7rocprim17ROCPRIM_400000_NS6detail17trampoline_kernelINS0_14default_configENS1_25partition_config_selectorILNS1_17partition_subalgoE8EsNS0_10empty_typeEbEEZZNS1_14partition_implILS5_8ELb0ES3_jPKsPS6_PKS6_NS0_5tupleIJPsS6_EEENSE_IJSB_SB_EEENS0_18inequality_wrapperIN6hipcub16HIPCUB_304000_NS8EqualityEEEPlJS6_EEE10hipError_tPvRmT3_T4_T5_T6_T7_T9_mT8_P12ihipStream_tbDpT10_ENKUlT_T0_E_clISt17integral_constantIbLb0EES16_IbLb1EEEEDaS12_S13_EUlS12_E_NS1_11comp_targetILNS1_3genE10ELNS1_11target_archE1200ELNS1_3gpuE4ELNS1_3repE0EEENS1_30default_config_static_selectorELNS0_4arch9wavefront6targetE1EEEvT1_
		.amdhsa_group_segment_fixed_size 0
		.amdhsa_private_segment_fixed_size 0
		.amdhsa_kernarg_size 128
		.amdhsa_user_sgpr_count 2
		.amdhsa_user_sgpr_dispatch_ptr 0
		.amdhsa_user_sgpr_queue_ptr 0
		.amdhsa_user_sgpr_kernarg_segment_ptr 1
		.amdhsa_user_sgpr_dispatch_id 0
		.amdhsa_user_sgpr_kernarg_preload_length 0
		.amdhsa_user_sgpr_kernarg_preload_offset 0
		.amdhsa_user_sgpr_private_segment_size 0
		.amdhsa_uses_dynamic_stack 0
		.amdhsa_enable_private_segment 0
		.amdhsa_system_sgpr_workgroup_id_x 1
		.amdhsa_system_sgpr_workgroup_id_y 0
		.amdhsa_system_sgpr_workgroup_id_z 0
		.amdhsa_system_sgpr_workgroup_info 0
		.amdhsa_system_vgpr_workitem_id 0
		.amdhsa_next_free_vgpr 1
		.amdhsa_next_free_sgpr 0
		.amdhsa_accum_offset 4
		.amdhsa_reserve_vcc 0
		.amdhsa_float_round_mode_32 0
		.amdhsa_float_round_mode_16_64 0
		.amdhsa_float_denorm_mode_32 3
		.amdhsa_float_denorm_mode_16_64 3
		.amdhsa_dx10_clamp 1
		.amdhsa_ieee_mode 1
		.amdhsa_fp16_overflow 0
		.amdhsa_tg_split 0
		.amdhsa_exception_fp_ieee_invalid_op 0
		.amdhsa_exception_fp_denorm_src 0
		.amdhsa_exception_fp_ieee_div_zero 0
		.amdhsa_exception_fp_ieee_overflow 0
		.amdhsa_exception_fp_ieee_underflow 0
		.amdhsa_exception_fp_ieee_inexact 0
		.amdhsa_exception_int_div_zero 0
	.end_amdhsa_kernel
	.section	.text._ZN7rocprim17ROCPRIM_400000_NS6detail17trampoline_kernelINS0_14default_configENS1_25partition_config_selectorILNS1_17partition_subalgoE8EsNS0_10empty_typeEbEEZZNS1_14partition_implILS5_8ELb0ES3_jPKsPS6_PKS6_NS0_5tupleIJPsS6_EEENSE_IJSB_SB_EEENS0_18inequality_wrapperIN6hipcub16HIPCUB_304000_NS8EqualityEEEPlJS6_EEE10hipError_tPvRmT3_T4_T5_T6_T7_T9_mT8_P12ihipStream_tbDpT10_ENKUlT_T0_E_clISt17integral_constantIbLb0EES16_IbLb1EEEEDaS12_S13_EUlS12_E_NS1_11comp_targetILNS1_3genE10ELNS1_11target_archE1200ELNS1_3gpuE4ELNS1_3repE0EEENS1_30default_config_static_selectorELNS0_4arch9wavefront6targetE1EEEvT1_,"axG",@progbits,_ZN7rocprim17ROCPRIM_400000_NS6detail17trampoline_kernelINS0_14default_configENS1_25partition_config_selectorILNS1_17partition_subalgoE8EsNS0_10empty_typeEbEEZZNS1_14partition_implILS5_8ELb0ES3_jPKsPS6_PKS6_NS0_5tupleIJPsS6_EEENSE_IJSB_SB_EEENS0_18inequality_wrapperIN6hipcub16HIPCUB_304000_NS8EqualityEEEPlJS6_EEE10hipError_tPvRmT3_T4_T5_T6_T7_T9_mT8_P12ihipStream_tbDpT10_ENKUlT_T0_E_clISt17integral_constantIbLb0EES16_IbLb1EEEEDaS12_S13_EUlS12_E_NS1_11comp_targetILNS1_3genE10ELNS1_11target_archE1200ELNS1_3gpuE4ELNS1_3repE0EEENS1_30default_config_static_selectorELNS0_4arch9wavefront6targetE1EEEvT1_,comdat
.Lfunc_end577:
	.size	_ZN7rocprim17ROCPRIM_400000_NS6detail17trampoline_kernelINS0_14default_configENS1_25partition_config_selectorILNS1_17partition_subalgoE8EsNS0_10empty_typeEbEEZZNS1_14partition_implILS5_8ELb0ES3_jPKsPS6_PKS6_NS0_5tupleIJPsS6_EEENSE_IJSB_SB_EEENS0_18inequality_wrapperIN6hipcub16HIPCUB_304000_NS8EqualityEEEPlJS6_EEE10hipError_tPvRmT3_T4_T5_T6_T7_T9_mT8_P12ihipStream_tbDpT10_ENKUlT_T0_E_clISt17integral_constantIbLb0EES16_IbLb1EEEEDaS12_S13_EUlS12_E_NS1_11comp_targetILNS1_3genE10ELNS1_11target_archE1200ELNS1_3gpuE4ELNS1_3repE0EEENS1_30default_config_static_selectorELNS0_4arch9wavefront6targetE1EEEvT1_, .Lfunc_end577-_ZN7rocprim17ROCPRIM_400000_NS6detail17trampoline_kernelINS0_14default_configENS1_25partition_config_selectorILNS1_17partition_subalgoE8EsNS0_10empty_typeEbEEZZNS1_14partition_implILS5_8ELb0ES3_jPKsPS6_PKS6_NS0_5tupleIJPsS6_EEENSE_IJSB_SB_EEENS0_18inequality_wrapperIN6hipcub16HIPCUB_304000_NS8EqualityEEEPlJS6_EEE10hipError_tPvRmT3_T4_T5_T6_T7_T9_mT8_P12ihipStream_tbDpT10_ENKUlT_T0_E_clISt17integral_constantIbLb0EES16_IbLb1EEEEDaS12_S13_EUlS12_E_NS1_11comp_targetILNS1_3genE10ELNS1_11target_archE1200ELNS1_3gpuE4ELNS1_3repE0EEENS1_30default_config_static_selectorELNS0_4arch9wavefront6targetE1EEEvT1_
                                        ; -- End function
	.section	.AMDGPU.csdata,"",@progbits
; Kernel info:
; codeLenInByte = 0
; NumSgprs: 6
; NumVgprs: 0
; NumAgprs: 0
; TotalNumVgprs: 0
; ScratchSize: 0
; MemoryBound: 0
; FloatMode: 240
; IeeeMode: 1
; LDSByteSize: 0 bytes/workgroup (compile time only)
; SGPRBlocks: 0
; VGPRBlocks: 0
; NumSGPRsForWavesPerEU: 6
; NumVGPRsForWavesPerEU: 1
; AccumOffset: 4
; Occupancy: 8
; WaveLimiterHint : 0
; COMPUTE_PGM_RSRC2:SCRATCH_EN: 0
; COMPUTE_PGM_RSRC2:USER_SGPR: 2
; COMPUTE_PGM_RSRC2:TRAP_HANDLER: 0
; COMPUTE_PGM_RSRC2:TGID_X_EN: 1
; COMPUTE_PGM_RSRC2:TGID_Y_EN: 0
; COMPUTE_PGM_RSRC2:TGID_Z_EN: 0
; COMPUTE_PGM_RSRC2:TIDIG_COMP_CNT: 0
; COMPUTE_PGM_RSRC3_GFX90A:ACCUM_OFFSET: 0
; COMPUTE_PGM_RSRC3_GFX90A:TG_SPLIT: 0
	.section	.text._ZN7rocprim17ROCPRIM_400000_NS6detail17trampoline_kernelINS0_14default_configENS1_25partition_config_selectorILNS1_17partition_subalgoE8EsNS0_10empty_typeEbEEZZNS1_14partition_implILS5_8ELb0ES3_jPKsPS6_PKS6_NS0_5tupleIJPsS6_EEENSE_IJSB_SB_EEENS0_18inequality_wrapperIN6hipcub16HIPCUB_304000_NS8EqualityEEEPlJS6_EEE10hipError_tPvRmT3_T4_T5_T6_T7_T9_mT8_P12ihipStream_tbDpT10_ENKUlT_T0_E_clISt17integral_constantIbLb0EES16_IbLb1EEEEDaS12_S13_EUlS12_E_NS1_11comp_targetILNS1_3genE9ELNS1_11target_archE1100ELNS1_3gpuE3ELNS1_3repE0EEENS1_30default_config_static_selectorELNS0_4arch9wavefront6targetE1EEEvT1_,"axG",@progbits,_ZN7rocprim17ROCPRIM_400000_NS6detail17trampoline_kernelINS0_14default_configENS1_25partition_config_selectorILNS1_17partition_subalgoE8EsNS0_10empty_typeEbEEZZNS1_14partition_implILS5_8ELb0ES3_jPKsPS6_PKS6_NS0_5tupleIJPsS6_EEENSE_IJSB_SB_EEENS0_18inequality_wrapperIN6hipcub16HIPCUB_304000_NS8EqualityEEEPlJS6_EEE10hipError_tPvRmT3_T4_T5_T6_T7_T9_mT8_P12ihipStream_tbDpT10_ENKUlT_T0_E_clISt17integral_constantIbLb0EES16_IbLb1EEEEDaS12_S13_EUlS12_E_NS1_11comp_targetILNS1_3genE9ELNS1_11target_archE1100ELNS1_3gpuE3ELNS1_3repE0EEENS1_30default_config_static_selectorELNS0_4arch9wavefront6targetE1EEEvT1_,comdat
	.protected	_ZN7rocprim17ROCPRIM_400000_NS6detail17trampoline_kernelINS0_14default_configENS1_25partition_config_selectorILNS1_17partition_subalgoE8EsNS0_10empty_typeEbEEZZNS1_14partition_implILS5_8ELb0ES3_jPKsPS6_PKS6_NS0_5tupleIJPsS6_EEENSE_IJSB_SB_EEENS0_18inequality_wrapperIN6hipcub16HIPCUB_304000_NS8EqualityEEEPlJS6_EEE10hipError_tPvRmT3_T4_T5_T6_T7_T9_mT8_P12ihipStream_tbDpT10_ENKUlT_T0_E_clISt17integral_constantIbLb0EES16_IbLb1EEEEDaS12_S13_EUlS12_E_NS1_11comp_targetILNS1_3genE9ELNS1_11target_archE1100ELNS1_3gpuE3ELNS1_3repE0EEENS1_30default_config_static_selectorELNS0_4arch9wavefront6targetE1EEEvT1_ ; -- Begin function _ZN7rocprim17ROCPRIM_400000_NS6detail17trampoline_kernelINS0_14default_configENS1_25partition_config_selectorILNS1_17partition_subalgoE8EsNS0_10empty_typeEbEEZZNS1_14partition_implILS5_8ELb0ES3_jPKsPS6_PKS6_NS0_5tupleIJPsS6_EEENSE_IJSB_SB_EEENS0_18inequality_wrapperIN6hipcub16HIPCUB_304000_NS8EqualityEEEPlJS6_EEE10hipError_tPvRmT3_T4_T5_T6_T7_T9_mT8_P12ihipStream_tbDpT10_ENKUlT_T0_E_clISt17integral_constantIbLb0EES16_IbLb1EEEEDaS12_S13_EUlS12_E_NS1_11comp_targetILNS1_3genE9ELNS1_11target_archE1100ELNS1_3gpuE3ELNS1_3repE0EEENS1_30default_config_static_selectorELNS0_4arch9wavefront6targetE1EEEvT1_
	.globl	_ZN7rocprim17ROCPRIM_400000_NS6detail17trampoline_kernelINS0_14default_configENS1_25partition_config_selectorILNS1_17partition_subalgoE8EsNS0_10empty_typeEbEEZZNS1_14partition_implILS5_8ELb0ES3_jPKsPS6_PKS6_NS0_5tupleIJPsS6_EEENSE_IJSB_SB_EEENS0_18inequality_wrapperIN6hipcub16HIPCUB_304000_NS8EqualityEEEPlJS6_EEE10hipError_tPvRmT3_T4_T5_T6_T7_T9_mT8_P12ihipStream_tbDpT10_ENKUlT_T0_E_clISt17integral_constantIbLb0EES16_IbLb1EEEEDaS12_S13_EUlS12_E_NS1_11comp_targetILNS1_3genE9ELNS1_11target_archE1100ELNS1_3gpuE3ELNS1_3repE0EEENS1_30default_config_static_selectorELNS0_4arch9wavefront6targetE1EEEvT1_
	.p2align	8
	.type	_ZN7rocprim17ROCPRIM_400000_NS6detail17trampoline_kernelINS0_14default_configENS1_25partition_config_selectorILNS1_17partition_subalgoE8EsNS0_10empty_typeEbEEZZNS1_14partition_implILS5_8ELb0ES3_jPKsPS6_PKS6_NS0_5tupleIJPsS6_EEENSE_IJSB_SB_EEENS0_18inequality_wrapperIN6hipcub16HIPCUB_304000_NS8EqualityEEEPlJS6_EEE10hipError_tPvRmT3_T4_T5_T6_T7_T9_mT8_P12ihipStream_tbDpT10_ENKUlT_T0_E_clISt17integral_constantIbLb0EES16_IbLb1EEEEDaS12_S13_EUlS12_E_NS1_11comp_targetILNS1_3genE9ELNS1_11target_archE1100ELNS1_3gpuE3ELNS1_3repE0EEENS1_30default_config_static_selectorELNS0_4arch9wavefront6targetE1EEEvT1_,@function
_ZN7rocprim17ROCPRIM_400000_NS6detail17trampoline_kernelINS0_14default_configENS1_25partition_config_selectorILNS1_17partition_subalgoE8EsNS0_10empty_typeEbEEZZNS1_14partition_implILS5_8ELb0ES3_jPKsPS6_PKS6_NS0_5tupleIJPsS6_EEENSE_IJSB_SB_EEENS0_18inequality_wrapperIN6hipcub16HIPCUB_304000_NS8EqualityEEEPlJS6_EEE10hipError_tPvRmT3_T4_T5_T6_T7_T9_mT8_P12ihipStream_tbDpT10_ENKUlT_T0_E_clISt17integral_constantIbLb0EES16_IbLb1EEEEDaS12_S13_EUlS12_E_NS1_11comp_targetILNS1_3genE9ELNS1_11target_archE1100ELNS1_3gpuE3ELNS1_3repE0EEENS1_30default_config_static_selectorELNS0_4arch9wavefront6targetE1EEEvT1_: ; @_ZN7rocprim17ROCPRIM_400000_NS6detail17trampoline_kernelINS0_14default_configENS1_25partition_config_selectorILNS1_17partition_subalgoE8EsNS0_10empty_typeEbEEZZNS1_14partition_implILS5_8ELb0ES3_jPKsPS6_PKS6_NS0_5tupleIJPsS6_EEENSE_IJSB_SB_EEENS0_18inequality_wrapperIN6hipcub16HIPCUB_304000_NS8EqualityEEEPlJS6_EEE10hipError_tPvRmT3_T4_T5_T6_T7_T9_mT8_P12ihipStream_tbDpT10_ENKUlT_T0_E_clISt17integral_constantIbLb0EES16_IbLb1EEEEDaS12_S13_EUlS12_E_NS1_11comp_targetILNS1_3genE9ELNS1_11target_archE1100ELNS1_3gpuE3ELNS1_3repE0EEENS1_30default_config_static_selectorELNS0_4arch9wavefront6targetE1EEEvT1_
; %bb.0:
	.section	.rodata,"a",@progbits
	.p2align	6, 0x0
	.amdhsa_kernel _ZN7rocprim17ROCPRIM_400000_NS6detail17trampoline_kernelINS0_14default_configENS1_25partition_config_selectorILNS1_17partition_subalgoE8EsNS0_10empty_typeEbEEZZNS1_14partition_implILS5_8ELb0ES3_jPKsPS6_PKS6_NS0_5tupleIJPsS6_EEENSE_IJSB_SB_EEENS0_18inequality_wrapperIN6hipcub16HIPCUB_304000_NS8EqualityEEEPlJS6_EEE10hipError_tPvRmT3_T4_T5_T6_T7_T9_mT8_P12ihipStream_tbDpT10_ENKUlT_T0_E_clISt17integral_constantIbLb0EES16_IbLb1EEEEDaS12_S13_EUlS12_E_NS1_11comp_targetILNS1_3genE9ELNS1_11target_archE1100ELNS1_3gpuE3ELNS1_3repE0EEENS1_30default_config_static_selectorELNS0_4arch9wavefront6targetE1EEEvT1_
		.amdhsa_group_segment_fixed_size 0
		.amdhsa_private_segment_fixed_size 0
		.amdhsa_kernarg_size 128
		.amdhsa_user_sgpr_count 2
		.amdhsa_user_sgpr_dispatch_ptr 0
		.amdhsa_user_sgpr_queue_ptr 0
		.amdhsa_user_sgpr_kernarg_segment_ptr 1
		.amdhsa_user_sgpr_dispatch_id 0
		.amdhsa_user_sgpr_kernarg_preload_length 0
		.amdhsa_user_sgpr_kernarg_preload_offset 0
		.amdhsa_user_sgpr_private_segment_size 0
		.amdhsa_uses_dynamic_stack 0
		.amdhsa_enable_private_segment 0
		.amdhsa_system_sgpr_workgroup_id_x 1
		.amdhsa_system_sgpr_workgroup_id_y 0
		.amdhsa_system_sgpr_workgroup_id_z 0
		.amdhsa_system_sgpr_workgroup_info 0
		.amdhsa_system_vgpr_workitem_id 0
		.amdhsa_next_free_vgpr 1
		.amdhsa_next_free_sgpr 0
		.amdhsa_accum_offset 4
		.amdhsa_reserve_vcc 0
		.amdhsa_float_round_mode_32 0
		.amdhsa_float_round_mode_16_64 0
		.amdhsa_float_denorm_mode_32 3
		.amdhsa_float_denorm_mode_16_64 3
		.amdhsa_dx10_clamp 1
		.amdhsa_ieee_mode 1
		.amdhsa_fp16_overflow 0
		.amdhsa_tg_split 0
		.amdhsa_exception_fp_ieee_invalid_op 0
		.amdhsa_exception_fp_denorm_src 0
		.amdhsa_exception_fp_ieee_div_zero 0
		.amdhsa_exception_fp_ieee_overflow 0
		.amdhsa_exception_fp_ieee_underflow 0
		.amdhsa_exception_fp_ieee_inexact 0
		.amdhsa_exception_int_div_zero 0
	.end_amdhsa_kernel
	.section	.text._ZN7rocprim17ROCPRIM_400000_NS6detail17trampoline_kernelINS0_14default_configENS1_25partition_config_selectorILNS1_17partition_subalgoE8EsNS0_10empty_typeEbEEZZNS1_14partition_implILS5_8ELb0ES3_jPKsPS6_PKS6_NS0_5tupleIJPsS6_EEENSE_IJSB_SB_EEENS0_18inequality_wrapperIN6hipcub16HIPCUB_304000_NS8EqualityEEEPlJS6_EEE10hipError_tPvRmT3_T4_T5_T6_T7_T9_mT8_P12ihipStream_tbDpT10_ENKUlT_T0_E_clISt17integral_constantIbLb0EES16_IbLb1EEEEDaS12_S13_EUlS12_E_NS1_11comp_targetILNS1_3genE9ELNS1_11target_archE1100ELNS1_3gpuE3ELNS1_3repE0EEENS1_30default_config_static_selectorELNS0_4arch9wavefront6targetE1EEEvT1_,"axG",@progbits,_ZN7rocprim17ROCPRIM_400000_NS6detail17trampoline_kernelINS0_14default_configENS1_25partition_config_selectorILNS1_17partition_subalgoE8EsNS0_10empty_typeEbEEZZNS1_14partition_implILS5_8ELb0ES3_jPKsPS6_PKS6_NS0_5tupleIJPsS6_EEENSE_IJSB_SB_EEENS0_18inequality_wrapperIN6hipcub16HIPCUB_304000_NS8EqualityEEEPlJS6_EEE10hipError_tPvRmT3_T4_T5_T6_T7_T9_mT8_P12ihipStream_tbDpT10_ENKUlT_T0_E_clISt17integral_constantIbLb0EES16_IbLb1EEEEDaS12_S13_EUlS12_E_NS1_11comp_targetILNS1_3genE9ELNS1_11target_archE1100ELNS1_3gpuE3ELNS1_3repE0EEENS1_30default_config_static_selectorELNS0_4arch9wavefront6targetE1EEEvT1_,comdat
.Lfunc_end578:
	.size	_ZN7rocprim17ROCPRIM_400000_NS6detail17trampoline_kernelINS0_14default_configENS1_25partition_config_selectorILNS1_17partition_subalgoE8EsNS0_10empty_typeEbEEZZNS1_14partition_implILS5_8ELb0ES3_jPKsPS6_PKS6_NS0_5tupleIJPsS6_EEENSE_IJSB_SB_EEENS0_18inequality_wrapperIN6hipcub16HIPCUB_304000_NS8EqualityEEEPlJS6_EEE10hipError_tPvRmT3_T4_T5_T6_T7_T9_mT8_P12ihipStream_tbDpT10_ENKUlT_T0_E_clISt17integral_constantIbLb0EES16_IbLb1EEEEDaS12_S13_EUlS12_E_NS1_11comp_targetILNS1_3genE9ELNS1_11target_archE1100ELNS1_3gpuE3ELNS1_3repE0EEENS1_30default_config_static_selectorELNS0_4arch9wavefront6targetE1EEEvT1_, .Lfunc_end578-_ZN7rocprim17ROCPRIM_400000_NS6detail17trampoline_kernelINS0_14default_configENS1_25partition_config_selectorILNS1_17partition_subalgoE8EsNS0_10empty_typeEbEEZZNS1_14partition_implILS5_8ELb0ES3_jPKsPS6_PKS6_NS0_5tupleIJPsS6_EEENSE_IJSB_SB_EEENS0_18inequality_wrapperIN6hipcub16HIPCUB_304000_NS8EqualityEEEPlJS6_EEE10hipError_tPvRmT3_T4_T5_T6_T7_T9_mT8_P12ihipStream_tbDpT10_ENKUlT_T0_E_clISt17integral_constantIbLb0EES16_IbLb1EEEEDaS12_S13_EUlS12_E_NS1_11comp_targetILNS1_3genE9ELNS1_11target_archE1100ELNS1_3gpuE3ELNS1_3repE0EEENS1_30default_config_static_selectorELNS0_4arch9wavefront6targetE1EEEvT1_
                                        ; -- End function
	.section	.AMDGPU.csdata,"",@progbits
; Kernel info:
; codeLenInByte = 0
; NumSgprs: 6
; NumVgprs: 0
; NumAgprs: 0
; TotalNumVgprs: 0
; ScratchSize: 0
; MemoryBound: 0
; FloatMode: 240
; IeeeMode: 1
; LDSByteSize: 0 bytes/workgroup (compile time only)
; SGPRBlocks: 0
; VGPRBlocks: 0
; NumSGPRsForWavesPerEU: 6
; NumVGPRsForWavesPerEU: 1
; AccumOffset: 4
; Occupancy: 8
; WaveLimiterHint : 0
; COMPUTE_PGM_RSRC2:SCRATCH_EN: 0
; COMPUTE_PGM_RSRC2:USER_SGPR: 2
; COMPUTE_PGM_RSRC2:TRAP_HANDLER: 0
; COMPUTE_PGM_RSRC2:TGID_X_EN: 1
; COMPUTE_PGM_RSRC2:TGID_Y_EN: 0
; COMPUTE_PGM_RSRC2:TGID_Z_EN: 0
; COMPUTE_PGM_RSRC2:TIDIG_COMP_CNT: 0
; COMPUTE_PGM_RSRC3_GFX90A:ACCUM_OFFSET: 0
; COMPUTE_PGM_RSRC3_GFX90A:TG_SPLIT: 0
	.section	.text._ZN7rocprim17ROCPRIM_400000_NS6detail17trampoline_kernelINS0_14default_configENS1_25partition_config_selectorILNS1_17partition_subalgoE8EsNS0_10empty_typeEbEEZZNS1_14partition_implILS5_8ELb0ES3_jPKsPS6_PKS6_NS0_5tupleIJPsS6_EEENSE_IJSB_SB_EEENS0_18inequality_wrapperIN6hipcub16HIPCUB_304000_NS8EqualityEEEPlJS6_EEE10hipError_tPvRmT3_T4_T5_T6_T7_T9_mT8_P12ihipStream_tbDpT10_ENKUlT_T0_E_clISt17integral_constantIbLb0EES16_IbLb1EEEEDaS12_S13_EUlS12_E_NS1_11comp_targetILNS1_3genE8ELNS1_11target_archE1030ELNS1_3gpuE2ELNS1_3repE0EEENS1_30default_config_static_selectorELNS0_4arch9wavefront6targetE1EEEvT1_,"axG",@progbits,_ZN7rocprim17ROCPRIM_400000_NS6detail17trampoline_kernelINS0_14default_configENS1_25partition_config_selectorILNS1_17partition_subalgoE8EsNS0_10empty_typeEbEEZZNS1_14partition_implILS5_8ELb0ES3_jPKsPS6_PKS6_NS0_5tupleIJPsS6_EEENSE_IJSB_SB_EEENS0_18inequality_wrapperIN6hipcub16HIPCUB_304000_NS8EqualityEEEPlJS6_EEE10hipError_tPvRmT3_T4_T5_T6_T7_T9_mT8_P12ihipStream_tbDpT10_ENKUlT_T0_E_clISt17integral_constantIbLb0EES16_IbLb1EEEEDaS12_S13_EUlS12_E_NS1_11comp_targetILNS1_3genE8ELNS1_11target_archE1030ELNS1_3gpuE2ELNS1_3repE0EEENS1_30default_config_static_selectorELNS0_4arch9wavefront6targetE1EEEvT1_,comdat
	.protected	_ZN7rocprim17ROCPRIM_400000_NS6detail17trampoline_kernelINS0_14default_configENS1_25partition_config_selectorILNS1_17partition_subalgoE8EsNS0_10empty_typeEbEEZZNS1_14partition_implILS5_8ELb0ES3_jPKsPS6_PKS6_NS0_5tupleIJPsS6_EEENSE_IJSB_SB_EEENS0_18inequality_wrapperIN6hipcub16HIPCUB_304000_NS8EqualityEEEPlJS6_EEE10hipError_tPvRmT3_T4_T5_T6_T7_T9_mT8_P12ihipStream_tbDpT10_ENKUlT_T0_E_clISt17integral_constantIbLb0EES16_IbLb1EEEEDaS12_S13_EUlS12_E_NS1_11comp_targetILNS1_3genE8ELNS1_11target_archE1030ELNS1_3gpuE2ELNS1_3repE0EEENS1_30default_config_static_selectorELNS0_4arch9wavefront6targetE1EEEvT1_ ; -- Begin function _ZN7rocprim17ROCPRIM_400000_NS6detail17trampoline_kernelINS0_14default_configENS1_25partition_config_selectorILNS1_17partition_subalgoE8EsNS0_10empty_typeEbEEZZNS1_14partition_implILS5_8ELb0ES3_jPKsPS6_PKS6_NS0_5tupleIJPsS6_EEENSE_IJSB_SB_EEENS0_18inequality_wrapperIN6hipcub16HIPCUB_304000_NS8EqualityEEEPlJS6_EEE10hipError_tPvRmT3_T4_T5_T6_T7_T9_mT8_P12ihipStream_tbDpT10_ENKUlT_T0_E_clISt17integral_constantIbLb0EES16_IbLb1EEEEDaS12_S13_EUlS12_E_NS1_11comp_targetILNS1_3genE8ELNS1_11target_archE1030ELNS1_3gpuE2ELNS1_3repE0EEENS1_30default_config_static_selectorELNS0_4arch9wavefront6targetE1EEEvT1_
	.globl	_ZN7rocprim17ROCPRIM_400000_NS6detail17trampoline_kernelINS0_14default_configENS1_25partition_config_selectorILNS1_17partition_subalgoE8EsNS0_10empty_typeEbEEZZNS1_14partition_implILS5_8ELb0ES3_jPKsPS6_PKS6_NS0_5tupleIJPsS6_EEENSE_IJSB_SB_EEENS0_18inequality_wrapperIN6hipcub16HIPCUB_304000_NS8EqualityEEEPlJS6_EEE10hipError_tPvRmT3_T4_T5_T6_T7_T9_mT8_P12ihipStream_tbDpT10_ENKUlT_T0_E_clISt17integral_constantIbLb0EES16_IbLb1EEEEDaS12_S13_EUlS12_E_NS1_11comp_targetILNS1_3genE8ELNS1_11target_archE1030ELNS1_3gpuE2ELNS1_3repE0EEENS1_30default_config_static_selectorELNS0_4arch9wavefront6targetE1EEEvT1_
	.p2align	8
	.type	_ZN7rocprim17ROCPRIM_400000_NS6detail17trampoline_kernelINS0_14default_configENS1_25partition_config_selectorILNS1_17partition_subalgoE8EsNS0_10empty_typeEbEEZZNS1_14partition_implILS5_8ELb0ES3_jPKsPS6_PKS6_NS0_5tupleIJPsS6_EEENSE_IJSB_SB_EEENS0_18inequality_wrapperIN6hipcub16HIPCUB_304000_NS8EqualityEEEPlJS6_EEE10hipError_tPvRmT3_T4_T5_T6_T7_T9_mT8_P12ihipStream_tbDpT10_ENKUlT_T0_E_clISt17integral_constantIbLb0EES16_IbLb1EEEEDaS12_S13_EUlS12_E_NS1_11comp_targetILNS1_3genE8ELNS1_11target_archE1030ELNS1_3gpuE2ELNS1_3repE0EEENS1_30default_config_static_selectorELNS0_4arch9wavefront6targetE1EEEvT1_,@function
_ZN7rocprim17ROCPRIM_400000_NS6detail17trampoline_kernelINS0_14default_configENS1_25partition_config_selectorILNS1_17partition_subalgoE8EsNS0_10empty_typeEbEEZZNS1_14partition_implILS5_8ELb0ES3_jPKsPS6_PKS6_NS0_5tupleIJPsS6_EEENSE_IJSB_SB_EEENS0_18inequality_wrapperIN6hipcub16HIPCUB_304000_NS8EqualityEEEPlJS6_EEE10hipError_tPvRmT3_T4_T5_T6_T7_T9_mT8_P12ihipStream_tbDpT10_ENKUlT_T0_E_clISt17integral_constantIbLb0EES16_IbLb1EEEEDaS12_S13_EUlS12_E_NS1_11comp_targetILNS1_3genE8ELNS1_11target_archE1030ELNS1_3gpuE2ELNS1_3repE0EEENS1_30default_config_static_selectorELNS0_4arch9wavefront6targetE1EEEvT1_: ; @_ZN7rocprim17ROCPRIM_400000_NS6detail17trampoline_kernelINS0_14default_configENS1_25partition_config_selectorILNS1_17partition_subalgoE8EsNS0_10empty_typeEbEEZZNS1_14partition_implILS5_8ELb0ES3_jPKsPS6_PKS6_NS0_5tupleIJPsS6_EEENSE_IJSB_SB_EEENS0_18inequality_wrapperIN6hipcub16HIPCUB_304000_NS8EqualityEEEPlJS6_EEE10hipError_tPvRmT3_T4_T5_T6_T7_T9_mT8_P12ihipStream_tbDpT10_ENKUlT_T0_E_clISt17integral_constantIbLb0EES16_IbLb1EEEEDaS12_S13_EUlS12_E_NS1_11comp_targetILNS1_3genE8ELNS1_11target_archE1030ELNS1_3gpuE2ELNS1_3repE0EEENS1_30default_config_static_selectorELNS0_4arch9wavefront6targetE1EEEvT1_
; %bb.0:
	.section	.rodata,"a",@progbits
	.p2align	6, 0x0
	.amdhsa_kernel _ZN7rocprim17ROCPRIM_400000_NS6detail17trampoline_kernelINS0_14default_configENS1_25partition_config_selectorILNS1_17partition_subalgoE8EsNS0_10empty_typeEbEEZZNS1_14partition_implILS5_8ELb0ES3_jPKsPS6_PKS6_NS0_5tupleIJPsS6_EEENSE_IJSB_SB_EEENS0_18inequality_wrapperIN6hipcub16HIPCUB_304000_NS8EqualityEEEPlJS6_EEE10hipError_tPvRmT3_T4_T5_T6_T7_T9_mT8_P12ihipStream_tbDpT10_ENKUlT_T0_E_clISt17integral_constantIbLb0EES16_IbLb1EEEEDaS12_S13_EUlS12_E_NS1_11comp_targetILNS1_3genE8ELNS1_11target_archE1030ELNS1_3gpuE2ELNS1_3repE0EEENS1_30default_config_static_selectorELNS0_4arch9wavefront6targetE1EEEvT1_
		.amdhsa_group_segment_fixed_size 0
		.amdhsa_private_segment_fixed_size 0
		.amdhsa_kernarg_size 128
		.amdhsa_user_sgpr_count 2
		.amdhsa_user_sgpr_dispatch_ptr 0
		.amdhsa_user_sgpr_queue_ptr 0
		.amdhsa_user_sgpr_kernarg_segment_ptr 1
		.amdhsa_user_sgpr_dispatch_id 0
		.amdhsa_user_sgpr_kernarg_preload_length 0
		.amdhsa_user_sgpr_kernarg_preload_offset 0
		.amdhsa_user_sgpr_private_segment_size 0
		.amdhsa_uses_dynamic_stack 0
		.amdhsa_enable_private_segment 0
		.amdhsa_system_sgpr_workgroup_id_x 1
		.amdhsa_system_sgpr_workgroup_id_y 0
		.amdhsa_system_sgpr_workgroup_id_z 0
		.amdhsa_system_sgpr_workgroup_info 0
		.amdhsa_system_vgpr_workitem_id 0
		.amdhsa_next_free_vgpr 1
		.amdhsa_next_free_sgpr 0
		.amdhsa_accum_offset 4
		.amdhsa_reserve_vcc 0
		.amdhsa_float_round_mode_32 0
		.amdhsa_float_round_mode_16_64 0
		.amdhsa_float_denorm_mode_32 3
		.amdhsa_float_denorm_mode_16_64 3
		.amdhsa_dx10_clamp 1
		.amdhsa_ieee_mode 1
		.amdhsa_fp16_overflow 0
		.amdhsa_tg_split 0
		.amdhsa_exception_fp_ieee_invalid_op 0
		.amdhsa_exception_fp_denorm_src 0
		.amdhsa_exception_fp_ieee_div_zero 0
		.amdhsa_exception_fp_ieee_overflow 0
		.amdhsa_exception_fp_ieee_underflow 0
		.amdhsa_exception_fp_ieee_inexact 0
		.amdhsa_exception_int_div_zero 0
	.end_amdhsa_kernel
	.section	.text._ZN7rocprim17ROCPRIM_400000_NS6detail17trampoline_kernelINS0_14default_configENS1_25partition_config_selectorILNS1_17partition_subalgoE8EsNS0_10empty_typeEbEEZZNS1_14partition_implILS5_8ELb0ES3_jPKsPS6_PKS6_NS0_5tupleIJPsS6_EEENSE_IJSB_SB_EEENS0_18inequality_wrapperIN6hipcub16HIPCUB_304000_NS8EqualityEEEPlJS6_EEE10hipError_tPvRmT3_T4_T5_T6_T7_T9_mT8_P12ihipStream_tbDpT10_ENKUlT_T0_E_clISt17integral_constantIbLb0EES16_IbLb1EEEEDaS12_S13_EUlS12_E_NS1_11comp_targetILNS1_3genE8ELNS1_11target_archE1030ELNS1_3gpuE2ELNS1_3repE0EEENS1_30default_config_static_selectorELNS0_4arch9wavefront6targetE1EEEvT1_,"axG",@progbits,_ZN7rocprim17ROCPRIM_400000_NS6detail17trampoline_kernelINS0_14default_configENS1_25partition_config_selectorILNS1_17partition_subalgoE8EsNS0_10empty_typeEbEEZZNS1_14partition_implILS5_8ELb0ES3_jPKsPS6_PKS6_NS0_5tupleIJPsS6_EEENSE_IJSB_SB_EEENS0_18inequality_wrapperIN6hipcub16HIPCUB_304000_NS8EqualityEEEPlJS6_EEE10hipError_tPvRmT3_T4_T5_T6_T7_T9_mT8_P12ihipStream_tbDpT10_ENKUlT_T0_E_clISt17integral_constantIbLb0EES16_IbLb1EEEEDaS12_S13_EUlS12_E_NS1_11comp_targetILNS1_3genE8ELNS1_11target_archE1030ELNS1_3gpuE2ELNS1_3repE0EEENS1_30default_config_static_selectorELNS0_4arch9wavefront6targetE1EEEvT1_,comdat
.Lfunc_end579:
	.size	_ZN7rocprim17ROCPRIM_400000_NS6detail17trampoline_kernelINS0_14default_configENS1_25partition_config_selectorILNS1_17partition_subalgoE8EsNS0_10empty_typeEbEEZZNS1_14partition_implILS5_8ELb0ES3_jPKsPS6_PKS6_NS0_5tupleIJPsS6_EEENSE_IJSB_SB_EEENS0_18inequality_wrapperIN6hipcub16HIPCUB_304000_NS8EqualityEEEPlJS6_EEE10hipError_tPvRmT3_T4_T5_T6_T7_T9_mT8_P12ihipStream_tbDpT10_ENKUlT_T0_E_clISt17integral_constantIbLb0EES16_IbLb1EEEEDaS12_S13_EUlS12_E_NS1_11comp_targetILNS1_3genE8ELNS1_11target_archE1030ELNS1_3gpuE2ELNS1_3repE0EEENS1_30default_config_static_selectorELNS0_4arch9wavefront6targetE1EEEvT1_, .Lfunc_end579-_ZN7rocprim17ROCPRIM_400000_NS6detail17trampoline_kernelINS0_14default_configENS1_25partition_config_selectorILNS1_17partition_subalgoE8EsNS0_10empty_typeEbEEZZNS1_14partition_implILS5_8ELb0ES3_jPKsPS6_PKS6_NS0_5tupleIJPsS6_EEENSE_IJSB_SB_EEENS0_18inequality_wrapperIN6hipcub16HIPCUB_304000_NS8EqualityEEEPlJS6_EEE10hipError_tPvRmT3_T4_T5_T6_T7_T9_mT8_P12ihipStream_tbDpT10_ENKUlT_T0_E_clISt17integral_constantIbLb0EES16_IbLb1EEEEDaS12_S13_EUlS12_E_NS1_11comp_targetILNS1_3genE8ELNS1_11target_archE1030ELNS1_3gpuE2ELNS1_3repE0EEENS1_30default_config_static_selectorELNS0_4arch9wavefront6targetE1EEEvT1_
                                        ; -- End function
	.section	.AMDGPU.csdata,"",@progbits
; Kernel info:
; codeLenInByte = 0
; NumSgprs: 6
; NumVgprs: 0
; NumAgprs: 0
; TotalNumVgprs: 0
; ScratchSize: 0
; MemoryBound: 0
; FloatMode: 240
; IeeeMode: 1
; LDSByteSize: 0 bytes/workgroup (compile time only)
; SGPRBlocks: 0
; VGPRBlocks: 0
; NumSGPRsForWavesPerEU: 6
; NumVGPRsForWavesPerEU: 1
; AccumOffset: 4
; Occupancy: 8
; WaveLimiterHint : 0
; COMPUTE_PGM_RSRC2:SCRATCH_EN: 0
; COMPUTE_PGM_RSRC2:USER_SGPR: 2
; COMPUTE_PGM_RSRC2:TRAP_HANDLER: 0
; COMPUTE_PGM_RSRC2:TGID_X_EN: 1
; COMPUTE_PGM_RSRC2:TGID_Y_EN: 0
; COMPUTE_PGM_RSRC2:TGID_Z_EN: 0
; COMPUTE_PGM_RSRC2:TIDIG_COMP_CNT: 0
; COMPUTE_PGM_RSRC3_GFX90A:ACCUM_OFFSET: 0
; COMPUTE_PGM_RSRC3_GFX90A:TG_SPLIT: 0
	.section	.text._ZN7rocprim17ROCPRIM_400000_NS6detail17trampoline_kernelINS0_14default_configENS1_33run_length_encode_config_selectorIsjNS0_4plusIjEEEEZZNS1_33reduce_by_key_impl_wrapped_configILNS1_25lookback_scan_determinismE0ES3_S7_PKsNS0_17constant_iteratorIjlEEPsPlSF_S6_NS0_8equal_toIsEEEE10hipError_tPvRmT2_T3_mT4_T5_T6_T7_T8_P12ihipStream_tbENKUlT_T0_E_clISt17integral_constantIbLb0EESZ_EEDaSU_SV_EUlSU_E_NS1_11comp_targetILNS1_3genE0ELNS1_11target_archE4294967295ELNS1_3gpuE0ELNS1_3repE0EEENS1_30default_config_static_selectorELNS0_4arch9wavefront6targetE1EEEvT1_,"axG",@progbits,_ZN7rocprim17ROCPRIM_400000_NS6detail17trampoline_kernelINS0_14default_configENS1_33run_length_encode_config_selectorIsjNS0_4plusIjEEEEZZNS1_33reduce_by_key_impl_wrapped_configILNS1_25lookback_scan_determinismE0ES3_S7_PKsNS0_17constant_iteratorIjlEEPsPlSF_S6_NS0_8equal_toIsEEEE10hipError_tPvRmT2_T3_mT4_T5_T6_T7_T8_P12ihipStream_tbENKUlT_T0_E_clISt17integral_constantIbLb0EESZ_EEDaSU_SV_EUlSU_E_NS1_11comp_targetILNS1_3genE0ELNS1_11target_archE4294967295ELNS1_3gpuE0ELNS1_3repE0EEENS1_30default_config_static_selectorELNS0_4arch9wavefront6targetE1EEEvT1_,comdat
	.protected	_ZN7rocprim17ROCPRIM_400000_NS6detail17trampoline_kernelINS0_14default_configENS1_33run_length_encode_config_selectorIsjNS0_4plusIjEEEEZZNS1_33reduce_by_key_impl_wrapped_configILNS1_25lookback_scan_determinismE0ES3_S7_PKsNS0_17constant_iteratorIjlEEPsPlSF_S6_NS0_8equal_toIsEEEE10hipError_tPvRmT2_T3_mT4_T5_T6_T7_T8_P12ihipStream_tbENKUlT_T0_E_clISt17integral_constantIbLb0EESZ_EEDaSU_SV_EUlSU_E_NS1_11comp_targetILNS1_3genE0ELNS1_11target_archE4294967295ELNS1_3gpuE0ELNS1_3repE0EEENS1_30default_config_static_selectorELNS0_4arch9wavefront6targetE1EEEvT1_ ; -- Begin function _ZN7rocprim17ROCPRIM_400000_NS6detail17trampoline_kernelINS0_14default_configENS1_33run_length_encode_config_selectorIsjNS0_4plusIjEEEEZZNS1_33reduce_by_key_impl_wrapped_configILNS1_25lookback_scan_determinismE0ES3_S7_PKsNS0_17constant_iteratorIjlEEPsPlSF_S6_NS0_8equal_toIsEEEE10hipError_tPvRmT2_T3_mT4_T5_T6_T7_T8_P12ihipStream_tbENKUlT_T0_E_clISt17integral_constantIbLb0EESZ_EEDaSU_SV_EUlSU_E_NS1_11comp_targetILNS1_3genE0ELNS1_11target_archE4294967295ELNS1_3gpuE0ELNS1_3repE0EEENS1_30default_config_static_selectorELNS0_4arch9wavefront6targetE1EEEvT1_
	.globl	_ZN7rocprim17ROCPRIM_400000_NS6detail17trampoline_kernelINS0_14default_configENS1_33run_length_encode_config_selectorIsjNS0_4plusIjEEEEZZNS1_33reduce_by_key_impl_wrapped_configILNS1_25lookback_scan_determinismE0ES3_S7_PKsNS0_17constant_iteratorIjlEEPsPlSF_S6_NS0_8equal_toIsEEEE10hipError_tPvRmT2_T3_mT4_T5_T6_T7_T8_P12ihipStream_tbENKUlT_T0_E_clISt17integral_constantIbLb0EESZ_EEDaSU_SV_EUlSU_E_NS1_11comp_targetILNS1_3genE0ELNS1_11target_archE4294967295ELNS1_3gpuE0ELNS1_3repE0EEENS1_30default_config_static_selectorELNS0_4arch9wavefront6targetE1EEEvT1_
	.p2align	8
	.type	_ZN7rocprim17ROCPRIM_400000_NS6detail17trampoline_kernelINS0_14default_configENS1_33run_length_encode_config_selectorIsjNS0_4plusIjEEEEZZNS1_33reduce_by_key_impl_wrapped_configILNS1_25lookback_scan_determinismE0ES3_S7_PKsNS0_17constant_iteratorIjlEEPsPlSF_S6_NS0_8equal_toIsEEEE10hipError_tPvRmT2_T3_mT4_T5_T6_T7_T8_P12ihipStream_tbENKUlT_T0_E_clISt17integral_constantIbLb0EESZ_EEDaSU_SV_EUlSU_E_NS1_11comp_targetILNS1_3genE0ELNS1_11target_archE4294967295ELNS1_3gpuE0ELNS1_3repE0EEENS1_30default_config_static_selectorELNS0_4arch9wavefront6targetE1EEEvT1_,@function
_ZN7rocprim17ROCPRIM_400000_NS6detail17trampoline_kernelINS0_14default_configENS1_33run_length_encode_config_selectorIsjNS0_4plusIjEEEEZZNS1_33reduce_by_key_impl_wrapped_configILNS1_25lookback_scan_determinismE0ES3_S7_PKsNS0_17constant_iteratorIjlEEPsPlSF_S6_NS0_8equal_toIsEEEE10hipError_tPvRmT2_T3_mT4_T5_T6_T7_T8_P12ihipStream_tbENKUlT_T0_E_clISt17integral_constantIbLb0EESZ_EEDaSU_SV_EUlSU_E_NS1_11comp_targetILNS1_3genE0ELNS1_11target_archE4294967295ELNS1_3gpuE0ELNS1_3repE0EEENS1_30default_config_static_selectorELNS0_4arch9wavefront6targetE1EEEvT1_: ; @_ZN7rocprim17ROCPRIM_400000_NS6detail17trampoline_kernelINS0_14default_configENS1_33run_length_encode_config_selectorIsjNS0_4plusIjEEEEZZNS1_33reduce_by_key_impl_wrapped_configILNS1_25lookback_scan_determinismE0ES3_S7_PKsNS0_17constant_iteratorIjlEEPsPlSF_S6_NS0_8equal_toIsEEEE10hipError_tPvRmT2_T3_mT4_T5_T6_T7_T8_P12ihipStream_tbENKUlT_T0_E_clISt17integral_constantIbLb0EESZ_EEDaSU_SV_EUlSU_E_NS1_11comp_targetILNS1_3genE0ELNS1_11target_archE4294967295ELNS1_3gpuE0ELNS1_3repE0EEENS1_30default_config_static_selectorELNS0_4arch9wavefront6targetE1EEEvT1_
; %bb.0:
	.section	.rodata,"a",@progbits
	.p2align	6, 0x0
	.amdhsa_kernel _ZN7rocprim17ROCPRIM_400000_NS6detail17trampoline_kernelINS0_14default_configENS1_33run_length_encode_config_selectorIsjNS0_4plusIjEEEEZZNS1_33reduce_by_key_impl_wrapped_configILNS1_25lookback_scan_determinismE0ES3_S7_PKsNS0_17constant_iteratorIjlEEPsPlSF_S6_NS0_8equal_toIsEEEE10hipError_tPvRmT2_T3_mT4_T5_T6_T7_T8_P12ihipStream_tbENKUlT_T0_E_clISt17integral_constantIbLb0EESZ_EEDaSU_SV_EUlSU_E_NS1_11comp_targetILNS1_3genE0ELNS1_11target_archE4294967295ELNS1_3gpuE0ELNS1_3repE0EEENS1_30default_config_static_selectorELNS0_4arch9wavefront6targetE1EEEvT1_
		.amdhsa_group_segment_fixed_size 0
		.amdhsa_private_segment_fixed_size 0
		.amdhsa_kernarg_size 128
		.amdhsa_user_sgpr_count 2
		.amdhsa_user_sgpr_dispatch_ptr 0
		.amdhsa_user_sgpr_queue_ptr 0
		.amdhsa_user_sgpr_kernarg_segment_ptr 1
		.amdhsa_user_sgpr_dispatch_id 0
		.amdhsa_user_sgpr_kernarg_preload_length 0
		.amdhsa_user_sgpr_kernarg_preload_offset 0
		.amdhsa_user_sgpr_private_segment_size 0
		.amdhsa_uses_dynamic_stack 0
		.amdhsa_enable_private_segment 0
		.amdhsa_system_sgpr_workgroup_id_x 1
		.amdhsa_system_sgpr_workgroup_id_y 0
		.amdhsa_system_sgpr_workgroup_id_z 0
		.amdhsa_system_sgpr_workgroup_info 0
		.amdhsa_system_vgpr_workitem_id 0
		.amdhsa_next_free_vgpr 1
		.amdhsa_next_free_sgpr 0
		.amdhsa_accum_offset 4
		.amdhsa_reserve_vcc 0
		.amdhsa_float_round_mode_32 0
		.amdhsa_float_round_mode_16_64 0
		.amdhsa_float_denorm_mode_32 3
		.amdhsa_float_denorm_mode_16_64 3
		.amdhsa_dx10_clamp 1
		.amdhsa_ieee_mode 1
		.amdhsa_fp16_overflow 0
		.amdhsa_tg_split 0
		.amdhsa_exception_fp_ieee_invalid_op 0
		.amdhsa_exception_fp_denorm_src 0
		.amdhsa_exception_fp_ieee_div_zero 0
		.amdhsa_exception_fp_ieee_overflow 0
		.amdhsa_exception_fp_ieee_underflow 0
		.amdhsa_exception_fp_ieee_inexact 0
		.amdhsa_exception_int_div_zero 0
	.end_amdhsa_kernel
	.section	.text._ZN7rocprim17ROCPRIM_400000_NS6detail17trampoline_kernelINS0_14default_configENS1_33run_length_encode_config_selectorIsjNS0_4plusIjEEEEZZNS1_33reduce_by_key_impl_wrapped_configILNS1_25lookback_scan_determinismE0ES3_S7_PKsNS0_17constant_iteratorIjlEEPsPlSF_S6_NS0_8equal_toIsEEEE10hipError_tPvRmT2_T3_mT4_T5_T6_T7_T8_P12ihipStream_tbENKUlT_T0_E_clISt17integral_constantIbLb0EESZ_EEDaSU_SV_EUlSU_E_NS1_11comp_targetILNS1_3genE0ELNS1_11target_archE4294967295ELNS1_3gpuE0ELNS1_3repE0EEENS1_30default_config_static_selectorELNS0_4arch9wavefront6targetE1EEEvT1_,"axG",@progbits,_ZN7rocprim17ROCPRIM_400000_NS6detail17trampoline_kernelINS0_14default_configENS1_33run_length_encode_config_selectorIsjNS0_4plusIjEEEEZZNS1_33reduce_by_key_impl_wrapped_configILNS1_25lookback_scan_determinismE0ES3_S7_PKsNS0_17constant_iteratorIjlEEPsPlSF_S6_NS0_8equal_toIsEEEE10hipError_tPvRmT2_T3_mT4_T5_T6_T7_T8_P12ihipStream_tbENKUlT_T0_E_clISt17integral_constantIbLb0EESZ_EEDaSU_SV_EUlSU_E_NS1_11comp_targetILNS1_3genE0ELNS1_11target_archE4294967295ELNS1_3gpuE0ELNS1_3repE0EEENS1_30default_config_static_selectorELNS0_4arch9wavefront6targetE1EEEvT1_,comdat
.Lfunc_end580:
	.size	_ZN7rocprim17ROCPRIM_400000_NS6detail17trampoline_kernelINS0_14default_configENS1_33run_length_encode_config_selectorIsjNS0_4plusIjEEEEZZNS1_33reduce_by_key_impl_wrapped_configILNS1_25lookback_scan_determinismE0ES3_S7_PKsNS0_17constant_iteratorIjlEEPsPlSF_S6_NS0_8equal_toIsEEEE10hipError_tPvRmT2_T3_mT4_T5_T6_T7_T8_P12ihipStream_tbENKUlT_T0_E_clISt17integral_constantIbLb0EESZ_EEDaSU_SV_EUlSU_E_NS1_11comp_targetILNS1_3genE0ELNS1_11target_archE4294967295ELNS1_3gpuE0ELNS1_3repE0EEENS1_30default_config_static_selectorELNS0_4arch9wavefront6targetE1EEEvT1_, .Lfunc_end580-_ZN7rocprim17ROCPRIM_400000_NS6detail17trampoline_kernelINS0_14default_configENS1_33run_length_encode_config_selectorIsjNS0_4plusIjEEEEZZNS1_33reduce_by_key_impl_wrapped_configILNS1_25lookback_scan_determinismE0ES3_S7_PKsNS0_17constant_iteratorIjlEEPsPlSF_S6_NS0_8equal_toIsEEEE10hipError_tPvRmT2_T3_mT4_T5_T6_T7_T8_P12ihipStream_tbENKUlT_T0_E_clISt17integral_constantIbLb0EESZ_EEDaSU_SV_EUlSU_E_NS1_11comp_targetILNS1_3genE0ELNS1_11target_archE4294967295ELNS1_3gpuE0ELNS1_3repE0EEENS1_30default_config_static_selectorELNS0_4arch9wavefront6targetE1EEEvT1_
                                        ; -- End function
	.section	.AMDGPU.csdata,"",@progbits
; Kernel info:
; codeLenInByte = 0
; NumSgprs: 6
; NumVgprs: 0
; NumAgprs: 0
; TotalNumVgprs: 0
; ScratchSize: 0
; MemoryBound: 0
; FloatMode: 240
; IeeeMode: 1
; LDSByteSize: 0 bytes/workgroup (compile time only)
; SGPRBlocks: 0
; VGPRBlocks: 0
; NumSGPRsForWavesPerEU: 6
; NumVGPRsForWavesPerEU: 1
; AccumOffset: 4
; Occupancy: 8
; WaveLimiterHint : 0
; COMPUTE_PGM_RSRC2:SCRATCH_EN: 0
; COMPUTE_PGM_RSRC2:USER_SGPR: 2
; COMPUTE_PGM_RSRC2:TRAP_HANDLER: 0
; COMPUTE_PGM_RSRC2:TGID_X_EN: 1
; COMPUTE_PGM_RSRC2:TGID_Y_EN: 0
; COMPUTE_PGM_RSRC2:TGID_Z_EN: 0
; COMPUTE_PGM_RSRC2:TIDIG_COMP_CNT: 0
; COMPUTE_PGM_RSRC3_GFX90A:ACCUM_OFFSET: 0
; COMPUTE_PGM_RSRC3_GFX90A:TG_SPLIT: 0
	.section	.text._ZN7rocprim17ROCPRIM_400000_NS6detail17trampoline_kernelINS0_14default_configENS1_33run_length_encode_config_selectorIsjNS0_4plusIjEEEEZZNS1_33reduce_by_key_impl_wrapped_configILNS1_25lookback_scan_determinismE0ES3_S7_PKsNS0_17constant_iteratorIjlEEPsPlSF_S6_NS0_8equal_toIsEEEE10hipError_tPvRmT2_T3_mT4_T5_T6_T7_T8_P12ihipStream_tbENKUlT_T0_E_clISt17integral_constantIbLb0EESZ_EEDaSU_SV_EUlSU_E_NS1_11comp_targetILNS1_3genE5ELNS1_11target_archE942ELNS1_3gpuE9ELNS1_3repE0EEENS1_30default_config_static_selectorELNS0_4arch9wavefront6targetE1EEEvT1_,"axG",@progbits,_ZN7rocprim17ROCPRIM_400000_NS6detail17trampoline_kernelINS0_14default_configENS1_33run_length_encode_config_selectorIsjNS0_4plusIjEEEEZZNS1_33reduce_by_key_impl_wrapped_configILNS1_25lookback_scan_determinismE0ES3_S7_PKsNS0_17constant_iteratorIjlEEPsPlSF_S6_NS0_8equal_toIsEEEE10hipError_tPvRmT2_T3_mT4_T5_T6_T7_T8_P12ihipStream_tbENKUlT_T0_E_clISt17integral_constantIbLb0EESZ_EEDaSU_SV_EUlSU_E_NS1_11comp_targetILNS1_3genE5ELNS1_11target_archE942ELNS1_3gpuE9ELNS1_3repE0EEENS1_30default_config_static_selectorELNS0_4arch9wavefront6targetE1EEEvT1_,comdat
	.protected	_ZN7rocprim17ROCPRIM_400000_NS6detail17trampoline_kernelINS0_14default_configENS1_33run_length_encode_config_selectorIsjNS0_4plusIjEEEEZZNS1_33reduce_by_key_impl_wrapped_configILNS1_25lookback_scan_determinismE0ES3_S7_PKsNS0_17constant_iteratorIjlEEPsPlSF_S6_NS0_8equal_toIsEEEE10hipError_tPvRmT2_T3_mT4_T5_T6_T7_T8_P12ihipStream_tbENKUlT_T0_E_clISt17integral_constantIbLb0EESZ_EEDaSU_SV_EUlSU_E_NS1_11comp_targetILNS1_3genE5ELNS1_11target_archE942ELNS1_3gpuE9ELNS1_3repE0EEENS1_30default_config_static_selectorELNS0_4arch9wavefront6targetE1EEEvT1_ ; -- Begin function _ZN7rocprim17ROCPRIM_400000_NS6detail17trampoline_kernelINS0_14default_configENS1_33run_length_encode_config_selectorIsjNS0_4plusIjEEEEZZNS1_33reduce_by_key_impl_wrapped_configILNS1_25lookback_scan_determinismE0ES3_S7_PKsNS0_17constant_iteratorIjlEEPsPlSF_S6_NS0_8equal_toIsEEEE10hipError_tPvRmT2_T3_mT4_T5_T6_T7_T8_P12ihipStream_tbENKUlT_T0_E_clISt17integral_constantIbLb0EESZ_EEDaSU_SV_EUlSU_E_NS1_11comp_targetILNS1_3genE5ELNS1_11target_archE942ELNS1_3gpuE9ELNS1_3repE0EEENS1_30default_config_static_selectorELNS0_4arch9wavefront6targetE1EEEvT1_
	.globl	_ZN7rocprim17ROCPRIM_400000_NS6detail17trampoline_kernelINS0_14default_configENS1_33run_length_encode_config_selectorIsjNS0_4plusIjEEEEZZNS1_33reduce_by_key_impl_wrapped_configILNS1_25lookback_scan_determinismE0ES3_S7_PKsNS0_17constant_iteratorIjlEEPsPlSF_S6_NS0_8equal_toIsEEEE10hipError_tPvRmT2_T3_mT4_T5_T6_T7_T8_P12ihipStream_tbENKUlT_T0_E_clISt17integral_constantIbLb0EESZ_EEDaSU_SV_EUlSU_E_NS1_11comp_targetILNS1_3genE5ELNS1_11target_archE942ELNS1_3gpuE9ELNS1_3repE0EEENS1_30default_config_static_selectorELNS0_4arch9wavefront6targetE1EEEvT1_
	.p2align	8
	.type	_ZN7rocprim17ROCPRIM_400000_NS6detail17trampoline_kernelINS0_14default_configENS1_33run_length_encode_config_selectorIsjNS0_4plusIjEEEEZZNS1_33reduce_by_key_impl_wrapped_configILNS1_25lookback_scan_determinismE0ES3_S7_PKsNS0_17constant_iteratorIjlEEPsPlSF_S6_NS0_8equal_toIsEEEE10hipError_tPvRmT2_T3_mT4_T5_T6_T7_T8_P12ihipStream_tbENKUlT_T0_E_clISt17integral_constantIbLb0EESZ_EEDaSU_SV_EUlSU_E_NS1_11comp_targetILNS1_3genE5ELNS1_11target_archE942ELNS1_3gpuE9ELNS1_3repE0EEENS1_30default_config_static_selectorELNS0_4arch9wavefront6targetE1EEEvT1_,@function
_ZN7rocprim17ROCPRIM_400000_NS6detail17trampoline_kernelINS0_14default_configENS1_33run_length_encode_config_selectorIsjNS0_4plusIjEEEEZZNS1_33reduce_by_key_impl_wrapped_configILNS1_25lookback_scan_determinismE0ES3_S7_PKsNS0_17constant_iteratorIjlEEPsPlSF_S6_NS0_8equal_toIsEEEE10hipError_tPvRmT2_T3_mT4_T5_T6_T7_T8_P12ihipStream_tbENKUlT_T0_E_clISt17integral_constantIbLb0EESZ_EEDaSU_SV_EUlSU_E_NS1_11comp_targetILNS1_3genE5ELNS1_11target_archE942ELNS1_3gpuE9ELNS1_3repE0EEENS1_30default_config_static_selectorELNS0_4arch9wavefront6targetE1EEEvT1_: ; @_ZN7rocprim17ROCPRIM_400000_NS6detail17trampoline_kernelINS0_14default_configENS1_33run_length_encode_config_selectorIsjNS0_4plusIjEEEEZZNS1_33reduce_by_key_impl_wrapped_configILNS1_25lookback_scan_determinismE0ES3_S7_PKsNS0_17constant_iteratorIjlEEPsPlSF_S6_NS0_8equal_toIsEEEE10hipError_tPvRmT2_T3_mT4_T5_T6_T7_T8_P12ihipStream_tbENKUlT_T0_E_clISt17integral_constantIbLb0EESZ_EEDaSU_SV_EUlSU_E_NS1_11comp_targetILNS1_3genE5ELNS1_11target_archE942ELNS1_3gpuE9ELNS1_3repE0EEENS1_30default_config_static_selectorELNS0_4arch9wavefront6targetE1EEEvT1_
; %bb.0:
	s_load_dwordx8 s[36:43], s[0:1], 0x40
	s_load_dwordx4 s[4:7], s[0:1], 0x0
	s_load_dword s3, s[0:1], 0x10
	s_load_dwordx4 s[28:31], s[0:1], 0x60
	s_mov_b64 s[12:13], -1
	s_waitcnt lgkmcnt(0)
	s_mul_i32 s8, s40, s39
	s_mul_hi_u32 s9, s40, s38
	s_add_i32 s8, s9, s8
	s_mul_i32 s9, s41, s38
	s_add_i32 s9, s8, s9
	s_lshl_b64 s[6:7], s[6:7], 1
	s_add_u32 s6, s4, s6
	s_addc_u32 s7, s5, s7
	s_mul_i32 s4, s2, 0x1c00
	s_mov_b32 s5, 0
	s_lshl_b64 s[4:5], s[4:5], 1
	s_add_u32 s6, s6, s4
	s_mul_i32 s8, s40, s38
	s_addc_u32 s7, s7, s5
	s_add_u32 s8, s8, s2
	s_addc_u32 s9, s9, 0
	s_add_u32 s10, s42, -1
	s_addc_u32 s11, s43, -1
	s_cmp_eq_u64 s[8:9], s[10:11]
	s_cselect_b64 s[34:35], -1, 0
	s_cmp_lg_u64 s[8:9], s[10:11]
	s_cselect_b64 s[4:5], -1, 0
	s_mul_i32 s33, s10, 0xffffe400
	s_and_b64 vcc, exec, s[34:35]
	s_cbranch_vccnz .LBB581_2
; %bb.1:
	v_lshlrev_b32_e32 v2, 1, v0
	v_mov_b32_e32 v3, 0
	v_lshl_add_u64 v[4:5], s[6:7], 0, v[2:3]
	v_add_co_u32_e32 v6, vcc, 0x1000, v4
	global_load_ushort v1, v2, s[6:7]
	global_load_ushort v3, v2, s[6:7] offset:1024
	global_load_ushort v10, v2, s[6:7] offset:2048
	;; [unrolled: 1-line block ×3, first 2 shown]
	v_addc_co_u32_e32 v7, vcc, 0, v5, vcc
	v_add_co_u32_e32 v8, vcc, 0x2000, v4
	s_nop 1
	v_addc_co_u32_e32 v9, vcc, 0, v5, vcc
	v_add_co_u32_e32 v4, vcc, 0x3000, v4
	global_load_ushort v12, v[6:7], off
	global_load_ushort v13, v[6:7], off offset:1024
	global_load_ushort v14, v[6:7], off offset:2048
	;; [unrolled: 1-line block ×3, first 2 shown]
	global_load_ushort v16, v[8:9], off
	global_load_ushort v17, v[8:9], off offset:1024
	global_load_ushort v18, v[8:9], off offset:2048
	;; [unrolled: 1-line block ×3, first 2 shown]
	v_addc_co_u32_e32 v5, vcc, 0, v5, vcc
	global_load_ushort v6, v[4:5], off
	global_load_ushort v7, v[4:5], off offset:1024
	v_mad_u32_u24 v4, v0, 26, v2
	s_mov_b64 s[10:11], -1
	s_waitcnt vmcnt(13)
	ds_write_b16 v2, v1
	s_waitcnt vmcnt(12)
	ds_write_b16 v2, v3 offset:1024
	s_waitcnt vmcnt(11)
	ds_write_b16 v2, v10 offset:2048
	;; [unrolled: 2-line block ×13, first 2 shown]
	s_waitcnt lgkmcnt(0)
	s_barrier
	ds_read2_b32 v[12:13], v4 offset1:1
	ds_read2_b32 v[10:11], v4 offset0:2 offset1:3
	ds_read2_b32 v[8:9], v4 offset0:4 offset1:5
	ds_read_b32 v1, v4 offset:24
	s_add_i32 s33, s33, s28
	s_cbranch_execz .LBB581_3
	s_branch .LBB581_32
.LBB581_2:
	s_mov_b64 s[10:11], 0
                                        ; implicit-def: $vgpr12
                                        ; implicit-def: $vgpr10
                                        ; implicit-def: $vgpr8
                                        ; implicit-def: $vgpr1
	s_add_i32 s33, s33, s28
	s_andn2_b64 vcc, exec, s[12:13]
	s_cbranch_vccnz .LBB581_32
.LBB581_3:
	v_cmp_gt_u32_e32 vcc, s33, v0
                                        ; implicit-def: $vgpr1
	s_and_saveexec_b64 s[10:11], vcc
	s_cbranch_execz .LBB581_5
; %bb.4:
	s_waitcnt lgkmcnt(0)
	v_lshlrev_b32_e32 v1, 1, v0
	global_load_ushort v1, v1, s[6:7]
.LBB581_5:
	s_or_b64 exec, exec, s[10:11]
	v_or_b32_e32 v2, 0x200, v0
	v_cmp_gt_u32_e32 vcc, s33, v2
                                        ; implicit-def: $vgpr2
	s_and_saveexec_b64 s[10:11], vcc
	s_cbranch_execz .LBB581_7
; %bb.6:
	v_lshlrev_b32_e32 v2, 1, v0
	global_load_ushort v2, v2, s[6:7] offset:1024
.LBB581_7:
	s_or_b64 exec, exec, s[10:11]
	v_or_b32_e32 v3, 0x400, v0
	v_cmp_gt_u32_e32 vcc, s33, v3
                                        ; implicit-def: $vgpr3
	s_and_saveexec_b64 s[10:11], vcc
	s_cbranch_execz .LBB581_9
; %bb.8:
	v_lshlrev_b32_e32 v3, 1, v0
	global_load_ushort v3, v3, s[6:7] offset:2048
.LBB581_9:
	s_or_b64 exec, exec, s[10:11]
	v_or_b32_e32 v4, 0x600, v0
	v_cmp_gt_u32_e32 vcc, s33, v4
                                        ; implicit-def: $vgpr4
	s_and_saveexec_b64 s[10:11], vcc
	s_cbranch_execz .LBB581_11
; %bb.10:
	v_lshlrev_b32_e32 v4, 1, v0
	global_load_ushort v4, v4, s[6:7] offset:3072
.LBB581_11:
	s_or_b64 exec, exec, s[10:11]
	v_or_b32_e32 v6, 0x800, v0
	v_cmp_gt_u32_e32 vcc, s33, v6
                                        ; implicit-def: $vgpr5
	s_and_saveexec_b64 s[10:11], vcc
	s_cbranch_execz .LBB581_13
; %bb.12:
	v_lshlrev_b32_e32 v5, 1, v6
	global_load_ushort v5, v5, s[6:7]
.LBB581_13:
	s_or_b64 exec, exec, s[10:11]
	v_or_b32_e32 v7, 0xa00, v0
	v_cmp_gt_u32_e32 vcc, s33, v7
                                        ; implicit-def: $vgpr6
	s_and_saveexec_b64 s[10:11], vcc
	s_cbranch_execz .LBB581_15
; %bb.14:
	v_lshlrev_b32_e32 v6, 1, v7
	global_load_ushort v6, v6, s[6:7]
.LBB581_15:
	s_or_b64 exec, exec, s[10:11]
	s_waitcnt lgkmcnt(1)
	v_or_b32_e32 v8, 0xc00, v0
	v_cmp_gt_u32_e32 vcc, s33, v8
                                        ; implicit-def: $vgpr7
	s_and_saveexec_b64 s[10:11], vcc
	s_cbranch_execz .LBB581_17
; %bb.16:
	v_lshlrev_b32_e32 v7, 1, v8
	global_load_ushort v7, v7, s[6:7]
.LBB581_17:
	s_or_b64 exec, exec, s[10:11]
	v_or_b32_e32 v9, 0xe00, v0
	v_cmp_gt_u32_e32 vcc, s33, v9
                                        ; implicit-def: $vgpr8
	s_and_saveexec_b64 s[10:11], vcc
	s_cbranch_execz .LBB581_19
; %bb.18:
	v_lshlrev_b32_e32 v8, 1, v9
	global_load_ushort v8, v8, s[6:7]
.LBB581_19:
	s_or_b64 exec, exec, s[10:11]
	v_or_b32_e32 v10, 0x1000, v0
	v_cmp_gt_u32_e32 vcc, s33, v10
                                        ; implicit-def: $vgpr9
	s_and_saveexec_b64 s[10:11], vcc
	s_cbranch_execz .LBB581_21
; %bb.20:
	v_lshlrev_b32_e32 v9, 1, v10
	global_load_ushort v9, v9, s[6:7]
.LBB581_21:
	s_or_b64 exec, exec, s[10:11]
	v_or_b32_e32 v11, 0x1200, v0
	v_cmp_gt_u32_e32 vcc, s33, v11
                                        ; implicit-def: $vgpr10
	s_and_saveexec_b64 s[10:11], vcc
	s_cbranch_execz .LBB581_23
; %bb.22:
	v_lshlrev_b32_e32 v10, 1, v11
	global_load_ushort v10, v10, s[6:7]
.LBB581_23:
	s_or_b64 exec, exec, s[10:11]
	v_or_b32_e32 v12, 0x1400, v0
	v_cmp_gt_u32_e32 vcc, s33, v12
                                        ; implicit-def: $vgpr11
	s_and_saveexec_b64 s[10:11], vcc
	s_cbranch_execz .LBB581_25
; %bb.24:
	v_lshlrev_b32_e32 v11, 1, v12
	global_load_ushort v11, v11, s[6:7]
.LBB581_25:
	s_or_b64 exec, exec, s[10:11]
	v_or_b32_e32 v13, 0x1600, v0
	v_cmp_gt_u32_e32 vcc, s33, v13
                                        ; implicit-def: $vgpr12
	s_and_saveexec_b64 s[10:11], vcc
	s_cbranch_execz .LBB581_27
; %bb.26:
	v_lshlrev_b32_e32 v12, 1, v13
	global_load_ushort v12, v12, s[6:7]
.LBB581_27:
	s_or_b64 exec, exec, s[10:11]
	v_or_b32_e32 v14, 0x1800, v0
	v_cmp_gt_u32_e32 vcc, s33, v14
                                        ; implicit-def: $vgpr13
	s_and_saveexec_b64 s[10:11], vcc
	s_cbranch_execz .LBB581_29
; %bb.28:
	v_lshlrev_b32_e32 v13, 1, v14
	global_load_ushort v13, v13, s[6:7]
.LBB581_29:
	s_or_b64 exec, exec, s[10:11]
	v_or_b32_e32 v15, 0x1a00, v0
	v_cmp_gt_u32_e32 vcc, s33, v15
                                        ; implicit-def: $vgpr14
	s_and_saveexec_b64 s[10:11], vcc
	s_cbranch_execz .LBB581_31
; %bb.30:
	v_lshlrev_b32_e32 v14, 1, v15
	global_load_ushort v14, v14, s[6:7]
.LBB581_31:
	s_or_b64 exec, exec, s[10:11]
	v_lshlrev_b32_e32 v15, 1, v0
	s_waitcnt vmcnt(0) lgkmcnt(0)
	ds_write_b16 v15, v1
	ds_write_b16 v15, v2 offset:1024
	ds_write_b16 v15, v3 offset:2048
	;; [unrolled: 1-line block ×13, first 2 shown]
	v_mad_u32_u24 v1, v0, 26, v15
	s_waitcnt lgkmcnt(0)
	s_barrier
	ds_read2_b32 v[12:13], v1 offset1:1
	ds_read2_b32 v[10:11], v1 offset0:2 offset1:3
	ds_read2_b32 v[8:9], v1 offset0:4 offset1:5
	ds_read_b32 v1, v1 offset:24
	v_mad_u32_u24 v2, v0, 14, 13
	v_cmp_gt_u32_e64 s[10:11], s33, v2
.LBB581_32:
	v_mov_b32_e32 v44, s3
                                        ; implicit-def: $vgpr45
	s_and_saveexec_b64 s[12:13], s[10:11]
; %bb.33:
	v_mov_b32_e32 v45, s3
; %bb.34:
	s_or_b64 exec, exec, s[12:13]
	s_load_dwordx2 s[48:49], s[0:1], 0x70
	s_cmp_eq_u64 s[8:9], 0
	s_cselect_b64 s[44:45], -1, 0
	s_cmp_lg_u64 s[8:9], 0
	s_mov_b64 s[10:11], 0
	s_cselect_b64 s[12:13], -1, 0
	s_and_b64 vcc, exec, s[4:5]
	s_waitcnt lgkmcnt(0)
	s_barrier
	s_cbranch_vccz .LBB581_40
; %bb.35:
	s_and_b64 vcc, exec, s[12:13]
	s_cbranch_vccz .LBB581_41
; %bb.36:
	v_mov_b32_e32 v2, 0
	global_load_ushort v2, v2, s[6:7] offset:-2
	v_lshrrev_b32_e32 v4, 16, v1
	v_lshlrev_b32_e32 v3, 1, v0
	v_cmp_ne_u16_e32 vcc, v1, v4
	v_cmp_ne_u16_sdwa s[10:11], v9, v1 src0_sel:WORD_1 src1_sel:DWORD
	v_cmp_ne_u16_sdwa s[14:15], v9, v9 src0_sel:DWORD src1_sel:WORD_1
	v_cmp_ne_u16_sdwa s[16:17], v8, v9 src0_sel:WORD_1 src1_sel:DWORD
	v_cmp_ne_u16_sdwa s[18:19], v8, v8 src0_sel:DWORD src1_sel:WORD_1
	;; [unrolled: 2-line block ×6, first 2 shown]
	v_cmp_ne_u32_e64 s[4:5], 0, v0
	ds_write_b16 v3, v4
	s_waitcnt lgkmcnt(0)
	s_barrier
	s_and_saveexec_b64 s[52:53], s[4:5]
	s_cbranch_execz .LBB581_38
; %bb.37:
	s_waitcnt vmcnt(0)
	v_add_u32_e32 v2, -2, v3
	ds_read_u16 v2, v2
.LBB581_38:
	s_or_b64 exec, exec, s[52:53]
	v_cndmask_b32_e64 v48, 0, 1, vcc
	v_cndmask_b32_e64 v49, 0, 1, s[10:11]
	v_cndmask_b32_e64 v50, 0, 1, s[14:15]
	;; [unrolled: 1-line block ×12, first 2 shown]
	s_waitcnt vmcnt(0) lgkmcnt(0)
	v_cmp_ne_u16_e64 s[4:5], v2, v12
	s_mov_b64 s[10:11], -1
.LBB581_39:
                                        ; implicit-def: $sgpr3
	s_branch .LBB581_53
.LBB581_40:
                                        ; implicit-def: $sgpr4_sgpr5
                                        ; implicit-def: $vgpr48
                                        ; implicit-def: $vgpr49
                                        ; implicit-def: $vgpr50
                                        ; implicit-def: $vgpr51
                                        ; implicit-def: $vgpr52
                                        ; implicit-def: $vgpr53
                                        ; implicit-def: $vgpr54
                                        ; implicit-def: $vgpr55
                                        ; implicit-def: $vgpr56
                                        ; implicit-def: $vgpr57
                                        ; implicit-def: $vgpr58
                                        ; implicit-def: $vgpr59
                                        ; implicit-def: $vgpr60
                                        ; implicit-def: $sgpr3
	s_cbranch_execnz .LBB581_45
	s_branch .LBB581_53
.LBB581_41:
                                        ; implicit-def: $sgpr4_sgpr5
                                        ; implicit-def: $vgpr48
                                        ; implicit-def: $vgpr49
                                        ; implicit-def: $vgpr50
                                        ; implicit-def: $vgpr51
                                        ; implicit-def: $vgpr52
                                        ; implicit-def: $vgpr53
                                        ; implicit-def: $vgpr54
                                        ; implicit-def: $vgpr55
                                        ; implicit-def: $vgpr56
                                        ; implicit-def: $vgpr57
                                        ; implicit-def: $vgpr58
                                        ; implicit-def: $vgpr59
                                        ; implicit-def: $vgpr60
	s_cbranch_execz .LBB581_39
; %bb.42:
	v_cmp_ne_u16_sdwa s[4:5], v9, v1 src0_sel:WORD_1 src1_sel:DWORD
	v_lshrrev_b32_e32 v3, 16, v1
	v_cmp_ne_u16_e32 vcc, v1, v3
	v_cndmask_b32_e64 v49, 0, 1, s[4:5]
	v_cmp_ne_u16_sdwa s[4:5], v9, v9 src0_sel:DWORD src1_sel:WORD_1
	s_mov_b32 s3, 1
	v_lshlrev_b32_e32 v2, 1, v0
	v_cndmask_b32_e64 v50, 0, 1, s[4:5]
	v_cmp_ne_u16_sdwa s[4:5], v8, v9 src0_sel:WORD_1 src1_sel:DWORD
	v_cndmask_b32_e64 v48, 0, 1, vcc
	v_cmp_ne_u32_e32 vcc, 0, v0
	v_cndmask_b32_e64 v51, 0, 1, s[4:5]
	v_cmp_ne_u16_sdwa s[4:5], v8, v8 src0_sel:DWORD src1_sel:WORD_1
	ds_write_b16 v2, v3
	s_waitcnt lgkmcnt(0)
	v_cndmask_b32_e64 v52, 0, 1, s[4:5]
	v_cmp_ne_u16_sdwa s[4:5], v11, v8 src0_sel:WORD_1 src1_sel:DWORD
	s_barrier
	s_nop 0
	v_cndmask_b32_e64 v53, 0, 1, s[4:5]
	v_cmp_ne_u16_sdwa s[4:5], v11, v11 src0_sel:DWORD src1_sel:WORD_1
	s_nop 1
	v_cndmask_b32_e64 v54, 0, 1, s[4:5]
	v_cmp_ne_u16_sdwa s[4:5], v10, v11 src0_sel:WORD_1 src1_sel:DWORD
	s_nop 1
	v_cndmask_b32_e64 v55, 0, 1, s[4:5]
	v_cmp_ne_u16_sdwa s[4:5], v10, v10 src0_sel:DWORD src1_sel:WORD_1
	s_nop 1
	v_cndmask_b32_e64 v56, 0, 1, s[4:5]
	v_cmp_ne_u16_sdwa s[4:5], v13, v10 src0_sel:WORD_1 src1_sel:DWORD
	;; [unrolled: 6-line block ×3, first 2 shown]
	s_nop 1
	v_cndmask_b32_e64 v59, 0, 1, s[4:5]
	v_cmp_ne_u16_sdwa s[4:5], v12, v12 src0_sel:DWORD src1_sel:WORD_1
	s_nop 1
	v_cndmask_b32_e64 v60, 0, 1, s[4:5]
                                        ; implicit-def: $sgpr4_sgpr5
	s_and_saveexec_b64 s[14:15], vcc
	s_xor_b64 s[14:15], exec, s[14:15]
	s_cbranch_execz .LBB581_44
; %bb.43:
	v_add_u32_e32 v2, -2, v2
	ds_read_u16 v2, v2
	s_or_b64 s[10:11], s[10:11], exec
	s_waitcnt lgkmcnt(0)
	v_cmp_ne_u16_e32 vcc, v2, v12
	s_and_b64 s[4:5], vcc, exec
.LBB581_44:
	s_or_b64 exec, exec, s[14:15]
	s_branch .LBB581_53
.LBB581_45:
	s_mul_hi_u32 s4, s8, 0xffffe400
	s_mul_i32 s3, s9, 0xffffe400
	s_sub_i32 s4, s4, s8
	s_add_i32 s4, s4, s3
	s_mul_i32 s3, s8, 0xffffe400
	s_add_u32 s8, s3, s28
	s_addc_u32 s9, s4, s29
	s_and_b64 vcc, exec, s[12:13]
	v_lshrrev_b32_e32 v34, 16, v1
	v_mul_u32_u24_e32 v2, 14, v0
	v_mad_u32_u24 v4, v0, 14, 13
	v_mad_u32_u24 v32, v0, 14, 12
	v_cmp_ne_u16_sdwa s[46:47], v9, v1 src0_sel:WORD_1 src1_sel:DWORD
	v_mad_u32_u24 v30, v0, 14, 11
	v_cmp_ne_u16_sdwa s[14:15], v9, v9 src0_sel:DWORD src1_sel:WORD_1
	v_mad_u32_u24 v28, v0, 14, 10
	v_cmp_ne_u16_sdwa s[16:17], v8, v9 src0_sel:WORD_1 src1_sel:DWORD
	v_mad_u32_u24 v26, v0, 14, 9
	v_cmp_ne_u16_sdwa s[22:23], v8, v8 src0_sel:DWORD src1_sel:WORD_1
	;; [unrolled: 4-line block ×5, first 2 shown]
	v_mad_u32_u24 v6, v0, 14, 2
	v_cmp_ne_u16_sdwa s[18:19], v12, v13 src0_sel:WORD_1 src1_sel:DWORD
	v_cmp_ne_u16_sdwa s[12:13], v12, v12 src0_sel:DWORD src1_sel:WORD_1
	v_cmp_ne_u32_e64 s[4:5], 0, v0
	s_cbranch_vccz .LBB581_50
; %bb.46:
	v_mov_b32_e32 v5, 0
	global_load_ushort v35, v5, s[6:7] offset:-2
	v_cmp_gt_u64_e32 vcc, s[8:9], v[4:5]
	v_cmp_ne_u16_e64 s[6:7], v1, v34
	v_mov_b32_e32 v33, v5
	s_and_b64 s[6:7], vcc, s[6:7]
	v_cmp_gt_u64_e32 vcc, s[8:9], v[32:33]
	v_mov_b32_e32 v31, v5
	s_and_b64 s[10:11], vcc, s[46:47]
	v_cmp_gt_u64_e32 vcc, s[8:9], v[30:31]
	;; [unrolled: 3-line block ×11, first 2 shown]
	v_or_b32_e32 v36, 1, v2
	v_mov_b32_e32 v37, v5
	s_and_b64 s[18:19], vcc, s[18:19]
	v_cmp_gt_u64_e32 vcc, s[8:9], v[36:37]
	v_lshlrev_b32_e32 v3, 1, v0
	s_and_b64 s[12:13], vcc, s[12:13]
	ds_write_b16 v3, v34
	s_waitcnt lgkmcnt(0)
	s_barrier
	s_and_saveexec_b64 s[46:47], s[4:5]
	s_cbranch_execz .LBB581_48
; %bb.47:
	v_add_u32_e32 v3, -2, v3
	s_waitcnt vmcnt(0)
	ds_read_u16 v35, v3
.LBB581_48:
	s_or_b64 exec, exec, s[46:47]
	v_mov_b32_e32 v3, v5
	v_cmp_gt_u64_e32 vcc, s[8:9], v[2:3]
	s_waitcnt vmcnt(0) lgkmcnt(0)
	v_cmp_ne_u16_e64 s[4:5], v35, v12
	v_cndmask_b32_e64 v48, 0, 1, s[6:7]
	v_cndmask_b32_e64 v49, 0, 1, s[10:11]
	;; [unrolled: 1-line block ×13, first 2 shown]
	s_and_b64 s[4:5], vcc, s[4:5]
	s_mov_b64 s[10:11], -1
.LBB581_49:
                                        ; implicit-def: $sgpr3
	v_mov_b32_e32 v61, s3
	s_and_saveexec_b64 s[6:7], s[10:11]
	s_cbranch_execnz .LBB581_54
	s_branch .LBB581_55
.LBB581_50:
                                        ; implicit-def: $sgpr4_sgpr5
                                        ; implicit-def: $vgpr48
                                        ; implicit-def: $vgpr49
                                        ; implicit-def: $vgpr50
                                        ; implicit-def: $vgpr51
                                        ; implicit-def: $vgpr52
                                        ; implicit-def: $vgpr53
                                        ; implicit-def: $vgpr54
                                        ; implicit-def: $vgpr55
                                        ; implicit-def: $vgpr56
                                        ; implicit-def: $vgpr57
                                        ; implicit-def: $vgpr58
                                        ; implicit-def: $vgpr59
                                        ; implicit-def: $vgpr60
	s_cbranch_execz .LBB581_49
; %bb.51:
	v_mov_b32_e32 v5, 0
	v_cmp_gt_u64_e32 vcc, s[8:9], v[4:5]
	v_cmp_ne_u16_e64 s[4:5], v1, v34
	s_and_b64 s[4:5], vcc, s[4:5]
	v_mov_b32_e32 v33, v5
	v_cndmask_b32_e64 v48, 0, 1, s[4:5]
	v_cmp_gt_u64_e32 vcc, s[8:9], v[32:33]
	v_cmp_ne_u16_sdwa s[4:5], v9, v1 src0_sel:WORD_1 src1_sel:DWORD
	s_and_b64 s[4:5], vcc, s[4:5]
	v_mov_b32_e32 v31, v5
	v_cndmask_b32_e64 v49, 0, 1, s[4:5]
	v_cmp_gt_u64_e32 vcc, s[8:9], v[30:31]
	v_cmp_ne_u16_sdwa s[4:5], v9, v9 src0_sel:DWORD src1_sel:WORD_1
	s_and_b64 s[4:5], vcc, s[4:5]
	v_mov_b32_e32 v29, v5
	v_cndmask_b32_e64 v50, 0, 1, s[4:5]
	v_cmp_gt_u64_e32 vcc, s[8:9], v[28:29]
	v_cmp_ne_u16_sdwa s[4:5], v8, v9 src0_sel:WORD_1 src1_sel:DWORD
	s_and_b64 s[4:5], vcc, s[4:5]
	v_mov_b32_e32 v27, v5
	v_cndmask_b32_e64 v51, 0, 1, s[4:5]
	v_cmp_gt_u64_e32 vcc, s[8:9], v[26:27]
	v_cmp_ne_u16_sdwa s[4:5], v8, v8 src0_sel:DWORD src1_sel:WORD_1
	s_and_b64 s[4:5], vcc, s[4:5]
	v_mov_b32_e32 v25, v5
	v_cndmask_b32_e64 v52, 0, 1, s[4:5]
	v_cmp_gt_u64_e32 vcc, s[8:9], v[24:25]
	v_cmp_ne_u16_sdwa s[4:5], v11, v8 src0_sel:WORD_1 src1_sel:DWORD
	s_and_b64 s[4:5], vcc, s[4:5]
	v_mov_b32_e32 v23, v5
	v_cndmask_b32_e64 v53, 0, 1, s[4:5]
	v_cmp_gt_u64_e32 vcc, s[8:9], v[22:23]
	v_cmp_ne_u16_sdwa s[4:5], v11, v11 src0_sel:DWORD src1_sel:WORD_1
	s_and_b64 s[4:5], vcc, s[4:5]
	v_mov_b32_e32 v21, v5
	v_cndmask_b32_e64 v54, 0, 1, s[4:5]
	v_cmp_gt_u64_e32 vcc, s[8:9], v[20:21]
	v_cmp_ne_u16_sdwa s[4:5], v10, v11 src0_sel:WORD_1 src1_sel:DWORD
	s_and_b64 s[4:5], vcc, s[4:5]
	v_mov_b32_e32 v19, v5
	v_cndmask_b32_e64 v55, 0, 1, s[4:5]
	v_cmp_gt_u64_e32 vcc, s[8:9], v[18:19]
	v_cmp_ne_u16_sdwa s[4:5], v10, v10 src0_sel:DWORD src1_sel:WORD_1
	s_and_b64 s[4:5], vcc, s[4:5]
	v_mov_b32_e32 v17, v5
	v_cndmask_b32_e64 v56, 0, 1, s[4:5]
	v_cmp_gt_u64_e32 vcc, s[8:9], v[16:17]
	v_cmp_ne_u16_sdwa s[4:5], v13, v10 src0_sel:WORD_1 src1_sel:DWORD
	s_and_b64 s[4:5], vcc, s[4:5]
	v_mov_b32_e32 v15, v5
	v_cndmask_b32_e64 v57, 0, 1, s[4:5]
	v_cmp_gt_u64_e32 vcc, s[8:9], v[14:15]
	v_cmp_ne_u16_sdwa s[4:5], v13, v13 src0_sel:DWORD src1_sel:WORD_1
	s_and_b64 s[4:5], vcc, s[4:5]
	v_mov_b32_e32 v7, v5
	v_cndmask_b32_e64 v58, 0, 1, s[4:5]
	v_cmp_gt_u64_e32 vcc, s[8:9], v[6:7]
	v_cmp_ne_u16_sdwa s[4:5], v12, v13 src0_sel:WORD_1 src1_sel:DWORD
	s_and_b64 s[4:5], vcc, s[4:5]
	v_or_b32_e32 v4, 1, v2
	v_cndmask_b32_e64 v59, 0, 1, s[4:5]
	v_cmp_gt_u64_e32 vcc, s[8:9], v[4:5]
	v_cmp_ne_u16_sdwa s[4:5], v12, v12 src0_sel:DWORD src1_sel:WORD_1
	s_and_b64 s[4:5], vcc, s[4:5]
	s_mov_b32 s3, 1
	v_lshlrev_b32_e32 v3, 1, v0
	v_cndmask_b32_e64 v60, 0, 1, s[4:5]
	v_cmp_ne_u32_e32 vcc, 0, v0
	ds_write_b16 v3, v34
	s_waitcnt lgkmcnt(0)
	s_barrier
	s_waitcnt lgkmcnt(0)
                                        ; implicit-def: $sgpr4_sgpr5
	s_and_saveexec_b64 s[6:7], vcc
	s_cbranch_execz .LBB581_144
; %bb.52:
	v_add_u32_e32 v3, -2, v3
	ds_read_u16 v4, v3
	v_mov_b32_e32 v3, v5
	v_cmp_gt_u64_e32 vcc, s[8:9], v[2:3]
	s_or_b64 s[10:11], s[10:11], exec
	s_waitcnt lgkmcnt(0)
	v_cmp_ne_u16_e64 s[4:5], v4, v12
	s_and_b64 s[4:5], vcc, s[4:5]
	s_and_b64 s[4:5], s[4:5], exec
	s_or_b64 exec, exec, s[6:7]
.LBB581_53:
	v_mov_b32_e32 v61, s3
	s_and_saveexec_b64 s[6:7], s[10:11]
.LBB581_54:
	v_cndmask_b32_e64 v61, 0, 1, s[4:5]
.LBB581_55:
	s_or_b64 exec, exec, s[6:7]
	s_load_dwordx4 s[40:43], s[0:1], 0x20
	s_load_dwordx2 s[46:47], s[0:1], 0x30
	s_cmp_eq_u64 s[38:39], 0
	v_add_u32_e32 v2, v60, v61
	s_cselect_b64 s[38:39], -1, 0
	s_cmp_lg_u32 s2, 0
	v_cmp_eq_u32_e64 s[22:23], 0, v60
	v_cmp_eq_u32_e64 s[20:21], 0, v59
	v_add3_u32 v63, v2, v59, v58
	v_cmp_eq_u32_e64 s[18:19], 0, v58
	v_cmp_eq_u32_e64 s[16:17], 0, v57
	v_cmp_eq_u32_e64 s[14:15], 0, v56
	v_cmp_eq_u32_e64 s[12:13], 0, v55
	v_cmp_eq_u32_e64 s[10:11], 0, v54
	v_cmp_eq_u32_e64 s[8:9], 0, v53
	v_cmp_eq_u32_e64 s[6:7], 0, v52
	v_cmp_eq_u32_e64 s[4:5], 0, v51
	v_cmp_eq_u32_e64 s[26:27], 0, v50
	v_cmp_eq_u32_e64 s[0:1], 0, v49
	v_cmp_eq_u32_e32 vcc, 0, v48
	v_mbcnt_lo_u32_b32 v62, -1, 0
	v_lshrrev_b32_e32 v46, 6, v0
	v_or_b32_e32 v47, 63, v0
	s_cbranch_scc0 .LBB581_82
; %bb.56:
	v_cndmask_b32_e64 v2, 0, v44, s[22:23]
	v_add_u32_e32 v2, v2, v44
	v_cndmask_b32_e64 v2, 0, v2, s[20:21]
	v_add_u32_e32 v2, v2, v44
	;; [unrolled: 2-line block ×10, first 2 shown]
	v_cndmask_b32_e64 v2, 0, v2, s[26:27]
	v_add3_u32 v3, v63, v57, v56
	v_add_u32_e32 v2, v2, v44
	v_add3_u32 v3, v3, v55, v54
	v_cndmask_b32_e64 v2, 0, v2, s[0:1]
	v_add3_u32 v3, v3, v53, v52
	v_add_u32_e32 v2, v2, v44
	v_add3_u32 v3, v3, v51, v50
	v_cndmask_b32_e32 v2, 0, v2, vcc
	v_add3_u32 v3, v3, v49, v48
	v_add_u32_e32 v2, v2, v45
	v_mbcnt_hi_u32_b32 v17, -1, v62
	v_and_b32_e32 v4, 15, v17
	v_mov_b32_dpp v6, v2 row_shr:1 row_mask:0xf bank_mask:0xf
	v_cmp_eq_u32_e32 vcc, 0, v3
	v_mov_b32_dpp v5, v3 row_shr:1 row_mask:0xf bank_mask:0xf
	v_cmp_lt_u32_e64 s[24:25], 1, v4
	v_cndmask_b32_e32 v6, 0, v6, vcc
	v_cmp_eq_u32_e32 vcc, 0, v4
	s_nop 1
	v_cndmask_b32_e64 v5, v5, 0, vcc
	v_add_u32_e32 v3, v5, v3
	v_cndmask_b32_e64 v5, v6, 0, vcc
	v_add_u32_e32 v2, v5, v2
	v_cmp_eq_u32_e32 vcc, 0, v3
	v_mov_b32_dpp v5, v3 row_shr:2 row_mask:0xf bank_mask:0xf
	v_mov_b32_dpp v6, v2 row_shr:2 row_mask:0xf bank_mask:0xf
	v_cndmask_b32_e64 v5, 0, v5, s[24:25]
	s_and_b64 vcc, s[24:25], vcc
	v_cndmask_b32_e32 v6, 0, v6, vcc
	v_add_u32_e32 v3, v3, v5
	v_add_u32_e32 v2, v6, v2
	v_cmp_eq_u32_e32 vcc, 0, v3
	v_mov_b32_dpp v5, v3 row_shr:4 row_mask:0xf bank_mask:0xf
	v_cmp_lt_u32_e64 s[24:25], 3, v4
	v_mov_b32_dpp v6, v2 row_shr:4 row_mask:0xf bank_mask:0xf
	s_and_b64 vcc, s[24:25], vcc
	v_cndmask_b32_e64 v5, 0, v5, s[24:25]
	v_cndmask_b32_e32 v6, 0, v6, vcc
	v_add_u32_e32 v3, v5, v3
	v_add_u32_e32 v2, v2, v6
	v_cmp_eq_u32_e32 vcc, 0, v3
	v_cmp_lt_u32_e64 s[24:25], 7, v4
	v_mov_b32_dpp v5, v3 row_shr:8 row_mask:0xf bank_mask:0xf
	v_mov_b32_dpp v6, v2 row_shr:8 row_mask:0xf bank_mask:0xf
	s_and_b64 vcc, s[24:25], vcc
	v_cndmask_b32_e64 v4, 0, v5, s[24:25]
	v_cndmask_b32_e32 v5, 0, v6, vcc
	v_add_u32_e32 v2, v5, v2
	v_add_u32_e32 v3, v4, v3
	v_bfe_i32 v6, v17, 4, 1
	v_mov_b32_dpp v5, v2 row_bcast:15 row_mask:0xf bank_mask:0xf
	v_mov_b32_dpp v4, v3 row_bcast:15 row_mask:0xf bank_mask:0xf
	v_cmp_eq_u32_e32 vcc, 0, v3
	v_and_b32_e32 v4, v6, v4
	v_add_u32_e32 v3, v4, v3
	v_cndmask_b32_e32 v5, 0, v5, vcc
	v_and_b32_e32 v4, v6, v5
	v_add_u32_e32 v4, v4, v2
	v_mov_b32_dpp v2, v3 row_bcast:31 row_mask:0xf bank_mask:0xf
	v_cmp_eq_u32_e32 vcc, 0, v3
	v_cmp_lt_u32_e64 s[24:25], 31, v17
	v_mov_b32_dpp v5, v4 row_bcast:31 row_mask:0xf bank_mask:0xf
	s_and_b64 vcc, s[24:25], vcc
	v_cndmask_b32_e64 v2, 0, v2, s[24:25]
	v_add_u32_e32 v2, v2, v3
	v_cndmask_b32_e32 v3, 0, v5, vcc
	v_add_u32_e32 v3, v3, v4
	v_cmp_eq_u32_e32 vcc, v47, v0
	v_lshlrev_b32_e32 v4, 3, v46
	s_and_saveexec_b64 s[24:25], vcc
	s_cbranch_execz .LBB581_58
; %bb.57:
	ds_write_b64 v4, v[2:3] offset:2064
.LBB581_58:
	s_or_b64 exec, exec, s[24:25]
	v_cmp_gt_u32_e32 vcc, 8, v0
	s_waitcnt lgkmcnt(0)
	s_barrier
	s_and_saveexec_b64 s[28:29], vcc
	s_cbranch_execz .LBB581_60
; %bb.59:
	v_lshlrev_b32_e32 v5, 3, v0
	ds_read_b64 v[6:7], v5 offset:2064
	v_and_b32_e32 v14, 7, v17
	v_cmp_lt_u32_e64 s[24:25], 1, v14
	s_waitcnt lgkmcnt(0)
	v_mov_b32_dpp v16, v7 row_shr:1 row_mask:0xf bank_mask:0xf
	v_cmp_eq_u32_e32 vcc, 0, v6
	v_mov_b32_dpp v15, v6 row_shr:1 row_mask:0xf bank_mask:0xf
	s_nop 0
	v_cndmask_b32_e32 v16, 0, v16, vcc
	v_cmp_eq_u32_e32 vcc, 0, v14
	s_nop 1
	v_cndmask_b32_e64 v15, v15, 0, vcc
	v_add_u32_e32 v6, v15, v6
	v_cndmask_b32_e64 v15, v16, 0, vcc
	v_add_u32_e32 v7, v15, v7
	v_cmp_eq_u32_e32 vcc, 0, v6
	v_mov_b32_dpp v15, v6 row_shr:2 row_mask:0xf bank_mask:0xf
	v_mov_b32_dpp v16, v7 row_shr:2 row_mask:0xf bank_mask:0xf
	v_cndmask_b32_e64 v15, 0, v15, s[24:25]
	s_and_b64 vcc, s[24:25], vcc
	v_cndmask_b32_e32 v16, 0, v16, vcc
	v_add_u32_e32 v6, v15, v6
	v_add_u32_e32 v7, v16, v7
	v_cmp_eq_u32_e32 vcc, 0, v6
	v_mov_b32_dpp v15, v6 row_shr:4 row_mask:0xf bank_mask:0xf
	v_cmp_lt_u32_e64 s[24:25], 3, v14
	v_mov_b32_dpp v16, v7 row_shr:4 row_mask:0xf bank_mask:0xf
	s_and_b64 vcc, s[24:25], vcc
	v_cndmask_b32_e64 v14, 0, v15, s[24:25]
	v_add_u32_e32 v6, v14, v6
	v_cndmask_b32_e32 v14, 0, v16, vcc
	v_add_u32_e32 v7, v14, v7
	ds_write_b64 v5, v[6:7] offset:2064
.LBB581_60:
	s_or_b64 exec, exec, s[28:29]
	v_cmp_gt_u32_e32 vcc, 64, v0
	v_cmp_lt_u32_e64 s[24:25], 63, v0
	v_mov_b32_e32 v14, 0
	v_mov_b32_e32 v15, 0
	s_waitcnt lgkmcnt(0)
	s_barrier
	s_and_saveexec_b64 s[28:29], s[24:25]
	s_cbranch_execz .LBB581_62
; %bb.61:
	ds_read_b64 v[14:15], v4 offset:2056
	v_cmp_eq_u32_e64 s[24:25], 0, v2
	s_waitcnt lgkmcnt(0)
	v_add_u32_e32 v4, v14, v2
	v_cndmask_b32_e64 v2, 0, v15, s[24:25]
	v_add_u32_e32 v3, v2, v3
	v_mov_b32_e32 v2, v4
.LBB581_62:
	s_or_b64 exec, exec, s[28:29]
	v_add_u32_e32 v4, -1, v17
	v_and_b32_e32 v5, 64, v17
	v_cmp_lt_i32_e64 s[24:25], v4, v5
	s_nop 1
	v_cndmask_b32_e64 v4, v4, v17, s[24:25]
	v_lshlrev_b32_e32 v4, 2, v4
	ds_bpermute_b32 v22, v4, v2
	ds_bpermute_b32 v23, v4, v3
	v_cmp_eq_u32_e64 s[24:25], 0, v17
	s_and_saveexec_b64 s[50:51], vcc
	s_cbranch_execz .LBB581_81
; %bb.63:
	v_mov_b32_e32 v7, 0
	ds_read_b64 v[2:3], v7 offset:2120
	s_waitcnt lgkmcnt(0)
	v_readfirstlane_b32 s3, v2
	v_readfirstlane_b32 s54, v3
	s_and_saveexec_b64 s[28:29], s[24:25]
	s_cbranch_execz .LBB581_65
; %bb.64:
	s_add_i32 s52, s2, 64
	s_mov_b32 s53, 0
	s_lshl_b64 s[56:57], s[52:53], 4
	s_add_u32 s56, s36, s56
	s_addc_u32 s57, s37, s57
	s_and_b32 s59, s54, 0xff000000
	s_mov_b32 s58, s53
	s_and_b32 s61, s54, 0xff0000
	s_mov_b32 s60, s53
	s_or_b64 s[58:59], s[60:61], s[58:59]
	s_and_b32 s61, s54, 0xff00
	s_or_b64 s[58:59], s[58:59], s[60:61]
	s_and_b32 s61, s54, 0xff
	s_or_b64 s[52:53], s[58:59], s[60:61]
	v_mov_b32_e32 v4, s3
	v_mov_b32_e32 v5, s53
	;; [unrolled: 1-line block ×3, first 2 shown]
	v_mov_b64_e32 v[2:3], s[56:57]
	;;#ASMSTART
	global_store_dwordx4 v[2:3], v[4:7] off sc1	
s_waitcnt vmcnt(0)
	;;#ASMEND
.LBB581_65:
	s_or_b64 exec, exec, s[28:29]
	v_xad_u32 v16, v17, -1, s2
	v_add_u32_e32 v6, 64, v16
	v_lshl_add_u64 v[18:19], v[6:7], 4, s[36:37]
	;;#ASMSTART
	global_load_dwordx4 v[2:5], v[18:19] off sc1	
s_waitcnt vmcnt(0)
	;;#ASMEND
	s_nop 0
	v_and_b32_e32 v5, 0xff, v3
	v_and_b32_e32 v6, 0xff00, v3
	v_or3_b32 v2, v2, 0, 0
	v_and_b32_e32 v20, 0xff000000, v3
	v_or3_b32 v5, 0, v5, v6
	;; [unrolled: 2-line block ×3, first 2 shown]
	v_or3_b32 v2, v2, 0, 0
	v_cmp_eq_u16_sdwa s[52:53], v4, v7 src0_sel:BYTE_0 src1_sel:DWORD
	s_and_saveexec_b64 s[28:29], s[52:53]
	s_cbranch_execz .LBB581_69
; %bb.66:
	s_mov_b64 s[52:53], 0
	v_mov_b32_e32 v6, 0
.LBB581_67:                             ; =>This Inner Loop Header: Depth=1
	;;#ASMSTART
	global_load_dwordx4 v[2:5], v[18:19] off sc1	
s_waitcnt vmcnt(0)
	;;#ASMEND
	s_nop 0
	v_cmp_ne_u16_sdwa s[56:57], v4, v6 src0_sel:BYTE_0 src1_sel:DWORD
	s_or_b64 s[52:53], s[56:57], s[52:53]
	s_andn2_b64 exec, exec, s[52:53]
	s_cbranch_execnz .LBB581_67
; %bb.68:
	s_or_b64 exec, exec, s[52:53]
.LBB581_69:
	s_or_b64 exec, exec, s[28:29]
	v_mov_b32_e32 v24, 2
	v_cmp_eq_u16_sdwa s[28:29], v4, v24 src0_sel:BYTE_0 src1_sel:DWORD
	v_lshlrev_b64 v[18:19], v17, -1
	v_and_b32_e32 v25, 63, v17
	v_and_b32_e32 v5, s29, v19
	v_or_b32_e32 v5, 0x80000000, v5
	v_cmp_ne_u32_e32 vcc, 63, v25
	v_and_b32_e32 v6, s28, v18
	v_ffbl_b32_e32 v5, v5
	v_addc_co_u32_e32 v7, vcc, 0, v17, vcc
	v_add_u32_e32 v5, 32, v5
	v_ffbl_b32_e32 v6, v6
	v_lshlrev_b32_e32 v26, 2, v7
	v_min_u32_e32 v5, v6, v5
	ds_bpermute_b32 v6, v26, v3
	v_cmp_eq_u32_e32 vcc, 0, v2
	v_cmp_lt_u32_e64 s[28:29], v25, v5
	ds_bpermute_b32 v7, v26, v2
	s_and_b64 vcc, s[28:29], vcc
	s_waitcnt lgkmcnt(1)
	v_cndmask_b32_e32 v6, 0, v6, vcc
	v_cmp_gt_u32_e32 vcc, 62, v25
	v_add_u32_e32 v3, v6, v3
	s_waitcnt lgkmcnt(0)
	v_cndmask_b32_e64 v7, 0, v7, s[28:29]
	v_cndmask_b32_e64 v6, 0, 1, vcc
	v_lshlrev_b32_e32 v6, 1, v6
	v_add_lshl_u32 v27, v6, v17, 2
	ds_bpermute_b32 v6, v27, v3
	v_add_u32_e32 v2, v7, v2
	ds_bpermute_b32 v7, v27, v2
	v_add_u32_e32 v28, 2, v25
	v_cmp_eq_u32_e32 vcc, 0, v2
	v_add_u32_e32 v30, 4, v25
	v_add_u32_e32 v32, 8, v25
	s_waitcnt lgkmcnt(1)
	v_cndmask_b32_e32 v6, 0, v6, vcc
	v_cmp_gt_u32_e32 vcc, v28, v5
	v_add_u32_e32 v34, 16, v25
	v_add_u32_e32 v36, 32, v25
	v_cndmask_b32_e64 v6, v6, 0, vcc
	v_add_u32_e32 v3, v6, v3
	s_waitcnt lgkmcnt(0)
	v_cndmask_b32_e64 v6, v7, 0, vcc
	v_cmp_gt_u32_e32 vcc, 60, v25
	v_add_u32_e32 v2, v2, v6
	s_nop 0
	v_cndmask_b32_e64 v7, 0, 1, vcc
	v_lshlrev_b32_e32 v7, 2, v7
	v_add_lshl_u32 v29, v7, v17, 2
	ds_bpermute_b32 v7, v29, v3
	ds_bpermute_b32 v6, v29, v2
	v_cmp_eq_u32_e32 vcc, 0, v2
	s_waitcnt lgkmcnt(1)
	s_nop 0
	v_cndmask_b32_e32 v7, 0, v7, vcc
	v_cmp_gt_u32_e32 vcc, v30, v5
	s_nop 1
	v_cndmask_b32_e64 v7, v7, 0, vcc
	s_waitcnt lgkmcnt(0)
	v_cndmask_b32_e64 v6, v6, 0, vcc
	v_cmp_gt_u32_e32 vcc, 56, v25
	v_add_u32_e32 v3, v3, v7
	v_add_u32_e32 v2, v2, v6
	v_cndmask_b32_e64 v7, 0, 1, vcc
	v_lshlrev_b32_e32 v7, 3, v7
	v_add_lshl_u32 v31, v7, v17, 2
	ds_bpermute_b32 v7, v31, v3
	ds_bpermute_b32 v6, v31, v2
	v_cmp_eq_u32_e32 vcc, 0, v2
	s_waitcnt lgkmcnt(1)
	s_nop 0
	v_cndmask_b32_e32 v7, 0, v7, vcc
	v_cmp_gt_u32_e32 vcc, v32, v5
	s_nop 1
	v_cndmask_b32_e64 v7, v7, 0, vcc
	s_waitcnt lgkmcnt(0)
	v_cndmask_b32_e64 v6, v6, 0, vcc
	v_cmp_gt_u32_e32 vcc, 48, v25
	v_add_u32_e32 v3, v3, v7
	v_add_u32_e32 v2, v2, v6
	;; [unrolled: 17-line block ×3, first 2 shown]
	v_cndmask_b32_e64 v7, 0, 1, vcc
	v_lshlrev_b32_e32 v7, 5, v7
	v_add_lshl_u32 v35, v7, v17, 2
	ds_bpermute_b32 v7, v35, v3
	ds_bpermute_b32 v6, v35, v2
	v_cmp_eq_u32_e32 vcc, 0, v2
	v_mov_b32_e32 v17, 0
	s_waitcnt lgkmcnt(1)
	v_cndmask_b32_e32 v7, 0, v7, vcc
	v_cmp_gt_u32_e32 vcc, v36, v5
	s_nop 1
	v_cndmask_b32_e64 v5, v7, 0, vcc
	v_add_u32_e32 v3, v5, v3
	s_waitcnt lgkmcnt(0)
	v_cndmask_b32_e64 v5, v6, 0, vcc
	v_add_u32_e32 v2, v5, v2
	s_branch .LBB581_71
.LBB581_70:                             ;   in Loop: Header=BB581_71 Depth=1
	s_or_b64 exec, exec, s[28:29]
	v_cmp_eq_u16_sdwa s[28:29], v4, v24 src0_sel:BYTE_0 src1_sel:DWORD
	v_cmp_eq_u32_e32 vcc, 0, v2
	ds_bpermute_b32 v21, v26, v2
	v_and_b32_e32 v5, s29, v19
	v_or_b32_e32 v5, 0x80000000, v5
	v_and_b32_e32 v20, s28, v18
	v_ffbl_b32_e32 v5, v5
	v_add_u32_e32 v5, 32, v5
	v_ffbl_b32_e32 v20, v20
	v_min_u32_e32 v5, v20, v5
	ds_bpermute_b32 v20, v26, v3
	v_cmp_lt_u32_e64 s[28:29], v25, v5
	s_and_b64 vcc, s[28:29], vcc
	v_subrev_u32_e32 v16, 64, v16
	s_waitcnt lgkmcnt(1)
	v_cndmask_b32_e64 v21, 0, v21, s[28:29]
	s_waitcnt lgkmcnt(0)
	v_cndmask_b32_e32 v20, 0, v20, vcc
	v_add_u32_e32 v3, v20, v3
	ds_bpermute_b32 v20, v27, v3
	v_add_u32_e32 v2, v21, v2
	v_cmp_eq_u32_e32 vcc, 0, v2
	ds_bpermute_b32 v21, v27, v2
	s_waitcnt lgkmcnt(1)
	v_cndmask_b32_e32 v20, 0, v20, vcc
	v_cmp_gt_u32_e32 vcc, v28, v5
	s_nop 1
	v_cndmask_b32_e64 v20, v20, 0, vcc
	v_add_u32_e32 v3, v20, v3
	ds_bpermute_b32 v20, v29, v3
	s_waitcnt lgkmcnt(1)
	v_cndmask_b32_e64 v21, v21, 0, vcc
	v_add_u32_e32 v2, v2, v21
	v_cmp_eq_u32_e32 vcc, 0, v2
	ds_bpermute_b32 v21, v29, v2
	s_waitcnt lgkmcnt(1)
	v_cndmask_b32_e32 v20, 0, v20, vcc
	v_cmp_gt_u32_e32 vcc, v30, v5
	s_nop 1
	v_cndmask_b32_e64 v20, v20, 0, vcc
	v_add_u32_e32 v3, v3, v20
	ds_bpermute_b32 v20, v31, v3
	s_waitcnt lgkmcnt(1)
	v_cndmask_b32_e64 v21, v21, 0, vcc
	v_add_u32_e32 v2, v2, v21
	ds_bpermute_b32 v21, v31, v2
	v_cmp_eq_u32_e32 vcc, 0, v2
	s_waitcnt lgkmcnt(1)
	s_nop 0
	v_cndmask_b32_e32 v20, 0, v20, vcc
	v_cmp_gt_u32_e32 vcc, v32, v5
	s_nop 1
	v_cndmask_b32_e64 v20, v20, 0, vcc
	v_add_u32_e32 v3, v3, v20
	ds_bpermute_b32 v20, v33, v3
	s_waitcnt lgkmcnt(1)
	v_cndmask_b32_e64 v21, v21, 0, vcc
	v_add_u32_e32 v2, v2, v21
	ds_bpermute_b32 v21, v33, v2
	v_cmp_eq_u32_e32 vcc, 0, v2
	s_waitcnt lgkmcnt(1)
	s_nop 0
	;; [unrolled: 13-line block ×3, first 2 shown]
	v_cndmask_b32_e32 v20, 0, v20, vcc
	v_cmp_gt_u32_e32 vcc, v36, v5
	s_nop 1
	v_cndmask_b32_e64 v5, v20, 0, vcc
	v_add_u32_e32 v3, v5, v3
	s_waitcnt lgkmcnt(0)
	v_cndmask_b32_e64 v5, v21, 0, vcc
	v_cmp_eq_u32_e32 vcc, 0, v6
	v_add3_u32 v2, v2, v6, v5
	s_nop 0
	v_cndmask_b32_e32 v3, 0, v3, vcc
	v_add_u32_e32 v3, v3, v7
.LBB581_71:                             ; =>This Loop Header: Depth=1
                                        ;     Child Loop BB581_74 Depth 2
	v_cmp_ne_u16_sdwa s[28:29], v4, v24 src0_sel:BYTE_0 src1_sel:DWORD
	v_mov_b32_e32 v7, v3
	v_mov_b32_e32 v6, v2
	v_cndmask_b32_e64 v3, 0, 1, s[28:29]
	;;#ASMSTART
	;;#ASMEND
	s_nop 0
	v_cmp_ne_u32_e32 vcc, 0, v3
	s_cmp_lg_u64 vcc, exec
	s_cbranch_scc1 .LBB581_76
; %bb.72:                               ;   in Loop: Header=BB581_71 Depth=1
	v_lshl_add_u64 v[20:21], v[16:17], 4, s[36:37]
	;;#ASMSTART
	global_load_dwordx4 v[2:5], v[20:21] off sc1	
s_waitcnt vmcnt(0)
	;;#ASMEND
	s_nop 0
	v_and_b32_e32 v5, 0xff, v3
	v_and_b32_e32 v37, 0xff00, v3
	v_or3_b32 v2, v2, 0, 0
	v_and_b32_e32 v38, 0xff000000, v3
	v_or3_b32 v5, 0, v5, v37
	;; [unrolled: 2-line block ×3, first 2 shown]
	v_or3_b32 v2, v2, 0, 0
	v_cmp_eq_u16_sdwa s[52:53], v4, v17 src0_sel:BYTE_0 src1_sel:DWORD
	s_and_saveexec_b64 s[28:29], s[52:53]
	s_cbranch_execz .LBB581_70
; %bb.73:                               ;   in Loop: Header=BB581_71 Depth=1
	s_mov_b64 s[52:53], 0
.LBB581_74:                             ;   Parent Loop BB581_71 Depth=1
                                        ; =>  This Inner Loop Header: Depth=2
	;;#ASMSTART
	global_load_dwordx4 v[2:5], v[20:21] off sc1	
s_waitcnt vmcnt(0)
	;;#ASMEND
	s_nop 0
	v_cmp_ne_u16_sdwa s[56:57], v4, v17 src0_sel:BYTE_0 src1_sel:DWORD
	s_or_b64 s[52:53], s[56:57], s[52:53]
	s_andn2_b64 exec, exec, s[52:53]
	s_cbranch_execnz .LBB581_74
; %bb.75:                               ;   in Loop: Header=BB581_71 Depth=1
	s_or_b64 exec, exec, s[52:53]
	s_branch .LBB581_70
.LBB581_76:                             ;   in Loop: Header=BB581_71 Depth=1
                                        ; implicit-def: $vgpr3
                                        ; implicit-def: $vgpr2
                                        ; implicit-def: $vgpr4
	s_cbranch_execz .LBB581_71
; %bb.77:
	s_and_saveexec_b64 s[28:29], s[24:25]
	s_cbranch_execz .LBB581_79
; %bb.78:
	s_cmp_eq_u32 s3, 0
	s_cselect_b64 vcc, -1, 0
	s_mov_b32 s53, 0
	v_cndmask_b32_e32 v2, 0, v7, vcc
	s_add_i32 s52, s2, 64
	v_add_u32_e32 v2, s54, v2
	s_lshl_b64 s[52:53], s[52:53], 4
	s_add_u32 s52, s36, s52
	v_and_b32_e32 v3, 0xff000000, v2
	v_and_b32_e32 v4, 0xff0000, v2
	s_addc_u32 s53, s37, s53
	v_or_b32_e32 v3, v4, v3
	v_and_b32_e32 v4, 0xff00, v2
	v_and_b32_e32 v2, 0xff, v2
	v_add_u32_e32 v16, s3, v6
	v_mov_b32_e32 v19, 0
	v_or3_b32 v17, v3, v4, v2
	v_mov_b32_e32 v18, 2
	v_mov_b64_e32 v[2:3], s[52:53]
	;;#ASMSTART
	global_store_dwordx4 v[2:3], v[16:19] off sc1	
s_waitcnt vmcnt(0)
	;;#ASMEND
	v_mov_b32_e32 v4, s3
	v_mov_b32_e32 v5, s54
	ds_write_b128 v19, v[4:7] offset:2048
.LBB581_79:
	s_or_b64 exec, exec, s[28:29]
	v_cmp_eq_u32_e32 vcc, 0, v0
	s_and_b64 exec, exec, vcc
	s_cbranch_execz .LBB581_81
; %bb.80:
	v_mov_b32_e32 v2, 0
	ds_write_b64 v2, v[6:7] offset:2120
.LBB581_81:
	s_or_b64 exec, exec, s[50:51]
	v_mov_b32_e32 v4, 0
	s_waitcnt lgkmcnt(0)
	s_barrier
	ds_read_b64 v[2:3], v4 offset:2120
	v_cndmask_b32_e64 v6, v22, v14, s[24:25]
	v_cmp_eq_u32_e32 vcc, 0, v6
	v_cndmask_b32_e64 v5, v23, v15, s[24:25]
	s_waitcnt lgkmcnt(0)
	v_cndmask_b32_e32 v7, 0, v3, vcc
	v_add_u32_e32 v5, v7, v5
	v_cmp_eq_u32_e32 vcc, 0, v0
	s_barrier
	s_nop 0
	v_cndmask_b32_e32 v43, v5, v3, vcc
	v_cndmask_b32_e64 v3, v6, 0, vcc
	v_cmp_eq_u32_e32 vcc, 0, v61
	v_add_u32_e32 v42, v2, v3
	v_add_u32_e32 v40, v42, v61
	v_cndmask_b32_e32 v2, 0, v43, vcc
	v_add_u32_e32 v41, v2, v44
	v_cndmask_b32_e64 v2, 0, v41, s[22:23]
	v_add_u32_e32 v39, v2, v44
	v_cndmask_b32_e64 v2, 0, v39, s[20:21]
	;; [unrolled: 2-line block ×7, first 2 shown]
	v_add_u32_e32 v38, v40, v60
	v_add_u32_e32 v27, v2, v44
	v_add_u32_e32 v36, v38, v59
	v_cndmask_b32_e64 v2, 0, v27, s[8:9]
	v_add_u32_e32 v34, v36, v58
	v_add_u32_e32 v25, v2, v44
	;; [unrolled: 1-line block ×3, first 2 shown]
	v_cndmask_b32_e64 v2, 0, v25, s[6:7]
	v_add_u32_e32 v30, v32, v56
	v_add_u32_e32 v23, v2, v44
	ds_read_b128 v[4:7], v4 offset:2048
	v_add_u32_e32 v28, v30, v55
	v_cndmask_b32_e64 v2, 0, v23, s[4:5]
	v_add_u32_e32 v26, v28, v54
	v_add_u32_e32 v21, v2, v44
	;; [unrolled: 1-line block ×3, first 2 shown]
	v_cndmask_b32_e64 v2, 0, v21, s[26:27]
	v_add_u32_e32 v22, v24, v52
	v_add_u32_e32 v17, v2, v44
	;; [unrolled: 1-line block ×3, first 2 shown]
	v_cndmask_b32_e64 v2, 0, v17, s[0:1]
	s_waitcnt lgkmcnt(0)
	v_cmp_eq_u32_e32 vcc, 0, v4
	v_add_u32_e32 v16, v20, v50
	v_add_u32_e32 v19, v2, v44
	v_cndmask_b32_e32 v2, 0, v7, vcc
	v_add_u32_e32 v18, v16, v49
	v_add_u32_e32 v14, v2, v5
	s_branch .LBB581_94
.LBB581_82:
                                        ; implicit-def: $vgpr4
                                        ; implicit-def: $vgpr14
                                        ; implicit-def: $vgpr18_vgpr19
                                        ; implicit-def: $vgpr16_vgpr17
                                        ; implicit-def: $vgpr20_vgpr21
                                        ; implicit-def: $vgpr22_vgpr23
                                        ; implicit-def: $vgpr42_vgpr43
                                        ; implicit-def: $vgpr40_vgpr41
                                        ; implicit-def: $vgpr38_vgpr39
                                        ; implicit-def: $vgpr36_vgpr37
                                        ; implicit-def: $vgpr34_vgpr35
                                        ; implicit-def: $vgpr32_vgpr33
                                        ; implicit-def: $vgpr30_vgpr31
                                        ; implicit-def: $vgpr28_vgpr29
                                        ; implicit-def: $vgpr26_vgpr27
                                        ; implicit-def: $vgpr24_vgpr25
	s_cbranch_execz .LBB581_94
; %bb.83:
	s_and_b64 s[0:1], s[38:39], exec
	s_cselect_b32 s1, 0, s49
	s_cselect_b32 s0, 0, s48
	s_cmp_eq_u64 s[0:1], 0
	v_mov_b32_e32 v6, v44
	s_cbranch_scc1 .LBB581_85
; %bb.84:
	v_mov_b32_e32 v2, 0
	global_load_dword v6, v2, s[0:1]
.LBB581_85:
	v_cmp_eq_u32_e64 s[0:1], 0, v60
	v_cmp_eq_u32_e64 s[2:3], 0, v59
	v_cmp_eq_u32_e64 s[4:5], 0, v58
	v_cndmask_b32_e64 v2, 0, v44, s[0:1]
	v_add_u32_e32 v2, v2, v44
	v_cndmask_b32_e64 v2, 0, v2, s[2:3]
	v_add_u32_e32 v2, v2, v44
	v_cndmask_b32_e64 v2, 0, v2, s[4:5]
	v_add_u32_e32 v2, v2, v44
	v_cmp_eq_u32_e64 s[6:7], 0, v57
	v_cmp_eq_u32_e64 s[8:9], 0, v56
	v_cmp_eq_u32_e64 s[10:11], 0, v55
	v_cndmask_b32_e64 v2, 0, v2, s[6:7]
	v_add_u32_e32 v2, v2, v44
	v_cndmask_b32_e64 v2, 0, v2, s[8:9]
	v_add_u32_e32 v2, v2, v44
	v_cndmask_b32_e64 v2, 0, v2, s[10:11]
	v_add_u32_e32 v2, v2, v44
	;; [unrolled: 9-line block ×3, first 2 shown]
	v_cmp_eq_u32_e64 s[18:19], 0, v51
	v_cmp_eq_u32_e64 s[20:21], 0, v50
	v_add3_u32 v3, v63, v57, v56
	v_cndmask_b32_e64 v2, 0, v2, s[18:19]
	v_add_u32_e32 v2, v2, v44
	v_cndmask_b32_e64 v2, 0, v2, s[20:21]
	v_add_u32_e32 v2, v2, v44
	v_cmp_eq_u32_e32 vcc, 0, v49
	v_add3_u32 v3, v3, v55, v54
	v_add3_u32 v3, v3, v53, v52
	v_cndmask_b32_e32 v2, 0, v2, vcc
	v_add_u32_e32 v2, v2, v44
	v_cmp_eq_u32_e64 s[22:23], 0, v48
	v_add3_u32 v3, v3, v51, v50
	v_add3_u32 v3, v3, v49, v48
	v_cndmask_b32_e64 v2, 0, v2, s[22:23]
	v_add_u32_e32 v2, v2, v45
	v_mbcnt_hi_u32_b32 v7, -1, v62
	v_and_b32_e32 v4, 15, v7
	v_mov_b32_dpp v14, v2 row_shr:1 row_mask:0xf bank_mask:0xf
	v_cmp_eq_u32_e64 s[22:23], 0, v3
	v_mov_b32_dpp v5, v3 row_shr:1 row_mask:0xf bank_mask:0xf
	v_cmp_lt_u32_e64 s[24:25], 1, v4
	v_cndmask_b32_e64 v14, 0, v14, s[22:23]
	v_cmp_eq_u32_e64 s[22:23], 0, v4
	s_nop 1
	v_cndmask_b32_e64 v5, v5, 0, s[22:23]
	v_add_u32_e32 v3, v5, v3
	v_cndmask_b32_e64 v5, v14, 0, s[22:23]
	v_add_u32_e32 v2, v5, v2
	v_cmp_eq_u32_e64 s[22:23], 0, v3
	v_mov_b32_dpp v5, v3 row_shr:2 row_mask:0xf bank_mask:0xf
	v_mov_b32_dpp v14, v2 row_shr:2 row_mask:0xf bank_mask:0xf
	v_cndmask_b32_e64 v5, 0, v5, s[24:25]
	s_and_b64 s[22:23], s[24:25], s[22:23]
	v_cndmask_b32_e64 v14, 0, v14, s[22:23]
	v_add_u32_e32 v3, v3, v5
	v_add_u32_e32 v2, v14, v2
	v_cmp_eq_u32_e64 s[22:23], 0, v3
	v_mov_b32_dpp v5, v3 row_shr:4 row_mask:0xf bank_mask:0xf
	v_cmp_lt_u32_e64 s[24:25], 3, v4
	v_mov_b32_dpp v14, v2 row_shr:4 row_mask:0xf bank_mask:0xf
	s_and_b64 s[22:23], s[24:25], s[22:23]
	v_cndmask_b32_e64 v5, 0, v5, s[24:25]
	v_cndmask_b32_e64 v14, 0, v14, s[22:23]
	v_add_u32_e32 v3, v5, v3
	v_add_u32_e32 v2, v2, v14
	v_cmp_eq_u32_e64 s[22:23], 0, v3
	v_cmp_lt_u32_e64 s[24:25], 7, v4
	v_mov_b32_dpp v5, v3 row_shr:8 row_mask:0xf bank_mask:0xf
	v_mov_b32_dpp v14, v2 row_shr:8 row_mask:0xf bank_mask:0xf
	s_and_b64 s[22:23], s[24:25], s[22:23]
	v_cndmask_b32_e64 v4, 0, v5, s[24:25]
	v_cndmask_b32_e64 v5, 0, v14, s[22:23]
	v_add_u32_e32 v2, v5, v2
	v_add_u32_e32 v3, v4, v3
	v_bfe_i32 v14, v7, 4, 1
	v_mov_b32_dpp v5, v2 row_bcast:15 row_mask:0xf bank_mask:0xf
	v_mov_b32_dpp v4, v3 row_bcast:15 row_mask:0xf bank_mask:0xf
	v_cmp_eq_u32_e64 s[22:23], 0, v3
	v_and_b32_e32 v4, v14, v4
	v_add_u32_e32 v3, v4, v3
	v_cndmask_b32_e64 v5, 0, v5, s[22:23]
	v_and_b32_e32 v4, v14, v5
	v_add_u32_e32 v4, v4, v2
	v_mov_b32_dpp v2, v3 row_bcast:31 row_mask:0xf bank_mask:0xf
	v_cmp_eq_u32_e64 s[22:23], 0, v3
	v_cmp_lt_u32_e64 s[24:25], 31, v7
	v_mov_b32_dpp v5, v4 row_bcast:31 row_mask:0xf bank_mask:0xf
	s_and_b64 s[22:23], s[24:25], s[22:23]
	v_cndmask_b32_e64 v2, 0, v2, s[24:25]
	v_add_u32_e32 v2, v2, v3
	v_cndmask_b32_e64 v3, 0, v5, s[22:23]
	v_add_u32_e32 v3, v3, v4
	v_cmp_eq_u32_e64 s[22:23], v47, v0
	v_lshlrev_b32_e32 v5, 3, v46
	s_and_saveexec_b64 s[24:25], s[22:23]
	s_cbranch_execz .LBB581_87
; %bb.86:
	ds_write_b64 v5, v[2:3] offset:2064
.LBB581_87:
	s_or_b64 exec, exec, s[24:25]
	v_cmp_gt_u32_e64 s[22:23], 8, v0
	s_waitcnt lgkmcnt(0)
	s_barrier
	s_and_saveexec_b64 s[26:27], s[22:23]
	s_cbranch_execz .LBB581_89
; %bb.88:
	v_lshlrev_b32_e32 v4, 3, v0
	ds_read_b64 v[14:15], v4 offset:2064
	v_and_b32_e32 v16, 7, v7
	v_cmp_lt_u32_e64 s[24:25], 1, v16
	s_waitcnt lgkmcnt(0)
	v_mov_b32_dpp v18, v15 row_shr:1 row_mask:0xf bank_mask:0xf
	v_cmp_eq_u32_e64 s[22:23], 0, v14
	v_mov_b32_dpp v17, v14 row_shr:1 row_mask:0xf bank_mask:0xf
	s_nop 0
	v_cndmask_b32_e64 v18, 0, v18, s[22:23]
	v_cmp_eq_u32_e64 s[22:23], 0, v16
	s_nop 1
	v_cndmask_b32_e64 v17, v17, 0, s[22:23]
	v_add_u32_e32 v14, v17, v14
	v_cndmask_b32_e64 v17, v18, 0, s[22:23]
	v_add_u32_e32 v15, v17, v15
	v_cmp_eq_u32_e64 s[22:23], 0, v14
	v_mov_b32_dpp v17, v14 row_shr:2 row_mask:0xf bank_mask:0xf
	v_mov_b32_dpp v18, v15 row_shr:2 row_mask:0xf bank_mask:0xf
	v_cndmask_b32_e64 v17, 0, v17, s[24:25]
	s_and_b64 s[22:23], s[24:25], s[22:23]
	v_cndmask_b32_e64 v18, 0, v18, s[22:23]
	v_add_u32_e32 v14, v17, v14
	v_add_u32_e32 v15, v18, v15
	v_cmp_eq_u32_e64 s[22:23], 0, v14
	v_mov_b32_dpp v17, v14 row_shr:4 row_mask:0xf bank_mask:0xf
	v_cmp_lt_u32_e64 s[24:25], 3, v16
	v_mov_b32_dpp v18, v15 row_shr:4 row_mask:0xf bank_mask:0xf
	s_and_b64 s[22:23], s[24:25], s[22:23]
	v_cndmask_b32_e64 v16, 0, v17, s[24:25]
	v_add_u32_e32 v14, v16, v14
	v_cndmask_b32_e64 v16, 0, v18, s[22:23]
	v_add_u32_e32 v15, v16, v15
	ds_write_b64 v4, v[14:15] offset:2064
.LBB581_89:
	s_or_b64 exec, exec, s[26:27]
	v_cmp_lt_u32_e64 s[22:23], 63, v0
	v_mov_b32_e32 v14, 0
	v_mov_b32_e32 v4, 0
	s_waitcnt vmcnt(0)
	v_mov_b32_e32 v15, v6
	s_waitcnt lgkmcnt(0)
	s_barrier
	s_and_saveexec_b64 s[24:25], s[22:23]
	s_cbranch_execz .LBB581_91
; %bb.90:
	ds_read_b64 v[4:5], v5 offset:2056
	s_waitcnt lgkmcnt(0)
	v_cmp_eq_u32_e64 s[22:23], 0, v4
	s_nop 1
	v_cndmask_b32_e64 v15, 0, v6, s[22:23]
	v_add_u32_e32 v15, v15, v5
.LBB581_91:
	s_or_b64 exec, exec, s[24:25]
	v_cmp_eq_u32_e64 s[22:23], 0, v2
	v_add_u32_e32 v5, v4, v2
	v_and_b32_e32 v16, 64, v7
	v_cndmask_b32_e64 v2, 0, v15, s[22:23]
	v_add_u32_e32 v2, v2, v3
	v_add_u32_e32 v3, -1, v7
	v_cmp_lt_i32_e64 s[22:23], v3, v16
	v_cmp_eq_u32_e64 s[24:25], 0, v61
	s_nop 0
	v_cndmask_b32_e64 v3, v3, v7, s[22:23]
	v_lshlrev_b32_e32 v3, 2, v3
	ds_bpermute_b32 v5, v3, v5
	ds_bpermute_b32 v2, v3, v2
	v_cmp_eq_u32_e64 s[22:23], 0, v7
	s_waitcnt lgkmcnt(1)
	s_nop 0
	v_cndmask_b32_e64 v3, v5, v4, s[22:23]
	s_waitcnt lgkmcnt(0)
	v_cndmask_b32_e64 v2, v2, v15, s[22:23]
	v_cmp_eq_u32_e64 s[22:23], 0, v0
	ds_read_b64 v[4:5], v14 offset:2120
	s_nop 0
	v_cndmask_b32_e64 v43, v2, v6, s[22:23]
	v_cndmask_b32_e64 v2, 0, v43, s[24:25]
	v_add_u32_e32 v41, v2, v44
	v_cndmask_b32_e64 v2, 0, v41, s[0:1]
	v_add_u32_e32 v39, v2, v44
	;; [unrolled: 2-line block ×6, first 2 shown]
	v_cndmask_b32_e64 v2, 0, v31, s[10:11]
	v_cndmask_b32_e64 v42, v3, 0, s[22:23]
	v_add_u32_e32 v29, v2, v44
	v_add_u32_e32 v40, v42, v61
	v_cndmask_b32_e64 v2, 0, v29, s[12:13]
	v_add_u32_e32 v38, v40, v60
	v_add_u32_e32 v27, v2, v44
	v_add_u32_e32 v36, v38, v59
	v_cndmask_b32_e64 v2, 0, v27, s[14:15]
	v_add_u32_e32 v34, v36, v58
	;; [unrolled: 4-line block ×5, first 2 shown]
	v_add_u32_e32 v17, v2, v44
	v_add_u32_e32 v20, v22, v51
	v_cndmask_b32_e32 v2, 0, v17, vcc
	s_waitcnt lgkmcnt(0)
	v_cmp_eq_u32_e32 vcc, 0, v4
	v_add_u32_e32 v16, v20, v50
	v_add_u32_e32 v19, v2, v44
	v_cndmask_b32_e32 v2, 0, v6, vcc
	v_add_u32_e32 v18, v16, v49
	v_add_u32_e32 v14, v2, v5
	s_and_saveexec_b64 s[0:1], s[22:23]
	s_cbranch_execz .LBB581_93
; %bb.92:
	s_add_u32 s2, s36, 0x400
	v_and_b32_e32 v2, 0xff000000, v14
	v_and_b32_e32 v3, 0xff0000, v14
	s_addc_u32 s3, s37, 0
	v_or_b32_e32 v2, v3, v2
	v_and_b32_e32 v3, 0xff00, v14
	v_and_b32_e32 v5, 0xff, v14
	v_mov_b32_e32 v7, 0
	v_or3_b32 v5, v2, v3, v5
	v_mov_b32_e32 v6, 2
	v_mov_b64_e32 v[2:3], s[2:3]
	;;#ASMSTART
	global_store_dwordx4 v[2:3], v[4:7] off sc1	
s_waitcnt vmcnt(0)
	;;#ASMEND
.LBB581_93:
	s_or_b64 exec, exec, s[0:1]
	v_mov_b32_e32 v6, 0
.LBB581_94:
	s_and_b64 s[0:1], s[38:39], exec
	s_cselect_b32 s1, 0, s31
	s_cselect_b32 s0, 0, s30
	s_cmp_eq_u64 s[0:1], 0
	v_mov_b64_e32 v[44:45], 0
	s_waitcnt lgkmcnt(0)
	s_barrier
	s_cbranch_scc1 .LBB581_96
; %bb.95:
	v_mov_b32_e32 v2, 0
	global_load_dwordx2 v[44:45], v2, s[0:1]
.LBB581_96:
	s_waitcnt vmcnt(0)
	v_lshlrev_b64 v[2:3], 1, v[44:45]
	v_mov_b32_e32 v7, 0
	v_lshl_add_u64 v[2:3], s[40:41], 0, v[2:3]
	v_lshlrev_b64 v[46:47], 1, v[6:7]
	v_cmp_eq_u32_e32 vcc, 0, v61
	v_lshl_add_u64 v[46:47], v[2:3], 0, v[46:47]
	s_movk_i32 s28, 0x200
	v_cndmask_b32_e64 v2, 1, 2, vcc
	v_cmp_eq_u32_e32 vcc, 0, v60
	v_cmp_ne_u32_e64 s[26:27], 0, v61
	v_cmp_ne_u32_e64 s[24:25], 0, v60
	v_cndmask_b32_e64 v3, 1, 2, vcc
	v_cmp_eq_u32_e32 vcc, 0, v59
	v_and_b32_e32 v2, v3, v2
	v_cmp_ne_u32_e64 s[22:23], 0, v59
	v_cndmask_b32_e64 v3, 1, 2, vcc
	v_cmp_eq_u32_e32 vcc, 0, v58
	v_and_b32_e32 v2, v2, v3
	;; [unrolled: 4-line block ×12, first 2 shown]
	v_cmp_ne_u32_e64 s[0:1], 0, v48
	v_cndmask_b32_e64 v3, 1, 2, vcc
	v_and_b32_e32 v2, v2, v3
	v_cmp_gt_u32_e32 vcc, s28, v4
	s_mov_b64 s[30:31], -1
	v_cmp_gt_i16_e64 s[28:29], 2, v2
	s_cbranch_vccz .LBB581_103
; %bb.97:
	s_and_saveexec_b64 s[30:31], s[28:29]
	s_cbranch_execz .LBB581_102
; %bb.98:
	v_cmp_ne_u16_e32 vcc, 1, v2
	s_mov_b64 s[36:37], 0
	s_and_saveexec_b64 s[28:29], vcc
	s_xor_b64 s[28:29], exec, s[28:29]
	s_cbranch_execnz .LBB581_145
; %bb.99:
	s_andn2_saveexec_b64 s[28:29], s[28:29]
	s_cbranch_execnz .LBB581_160
.LBB581_100:
	s_or_b64 exec, exec, s[28:29]
	s_and_b64 exec, exec, s[36:37]
	s_cbranch_execz .LBB581_102
.LBB581_101:
	v_sub_u32_e32 v62, v18, v6
	v_mov_b32_e32 v63, 0
	v_lshl_add_u64 v[62:63], v[62:63], 1, v[46:47]
	global_store_short_d16_hi v[62:63], v1, off
.LBB581_102:
	s_or_b64 exec, exec, s[30:31]
	s_mov_b64 s[30:31], 0
.LBB581_103:
	s_and_b64 vcc, exec, s[30:31]
	s_cbranch_vccz .LBB581_123
; %bb.104:
	v_cmp_gt_i16_e32 vcc, 2, v2
	s_and_saveexec_b64 s[28:29], vcc
	s_cbranch_execz .LBB581_109
; %bb.105:
	v_cmp_ne_u16_e32 vcc, 1, v2
	s_mov_b64 s[36:37], 0
	s_and_saveexec_b64 s[30:31], vcc
	s_xor_b64 s[30:31], exec, s[30:31]
	s_cbranch_execnz .LBB581_161
; %bb.106:
	s_andn2_saveexec_b64 s[0:1], s[30:31]
	s_cbranch_execnz .LBB581_176
.LBB581_107:
	s_or_b64 exec, exec, s[0:1]
	s_and_b64 exec, exec, s[36:37]
	s_cbranch_execz .LBB581_109
.LBB581_108:
	v_sub_u32_e32 v2, v18, v6
	v_lshlrev_b32_e32 v2, 1, v2
	ds_write_b16_d16_hi v2, v1
.LBB581_109:
	s_or_b64 exec, exec, s[28:29]
	v_cmp_lt_u32_e32 vcc, v0, v4
	s_waitcnt lgkmcnt(0)
	s_barrier
	s_and_saveexec_b64 s[0:1], vcc
	s_cbranch_execz .LBB581_122
; %bb.110:
	v_xad_u32 v1, v0, -1, v4
	s_movk_i32 s2, 0x5ff
	v_cmp_lt_u32_e32 vcc, s2, v1
	s_mov_b64 s[4:5], -1
	v_mov_b32_e32 v2, v0
	s_and_saveexec_b64 s[2:3], vcc
	s_cbranch_execz .LBB581_119
; %bb.111:
	v_lshrrev_b32_e32 v5, 9, v1
	v_add_u32_e32 v8, -3, v5
	v_or_b32_e32 v3, 0x600, v0
	v_or_b32_e32 v2, 0x400, v0
	v_lshrrev_b32_e32 v9, 2, v8
	v_or_b32_e32 v1, 0x200, v0
	v_add_u32_e32 v15, 1, v9
	v_cmp_lt_u32_e32 vcc, 11, v8
	v_mov_b64_e32 v[10:11], v[2:3]
	v_mov_b32_e32 v64, 0
	v_mov_b64_e32 v[8:9], v[0:1]
	s_and_saveexec_b64 s[4:5], vcc
	s_cbranch_execz .LBB581_115
; %bb.112:
	v_mov_b64_e32 v[10:11], v[2:3]
	v_and_b32_e32 v62, 0x7ffffffc, v15
	v_lshlrev_b32_e32 v63, 1, v0
	s_mov_b32 s8, 0
	s_mov_b64 s[6:7], 0
	v_mov_b32_e32 v13, 0
	v_mov_b64_e32 v[8:9], v[0:1]
.LBB581_113:                            ; =>This Inner Loop Header: Depth=1
	v_mov_b32_e32 v12, v8
	ds_read_u16 v1, v63
	ds_read_u16 v90, v63 offset:1024
	ds_read_u16 v91, v63 offset:2048
	ds_read_u16 v92, v63 offset:3072
	ds_read_u16 v93, v63 offset:4096
	ds_read_u16 v94, v63 offset:5120
	ds_read_u16 v95, v63 offset:6144
	ds_read_u16 v96, v63 offset:7168
	v_lshl_add_u64 v[80:81], v[12:13], 1, v[46:47]
	v_mov_b32_e32 v12, v9
	v_lshl_add_u64 v[84:85], v[12:13], 1, v[46:47]
	v_mov_b32_e32 v12, v10
	ds_read_u16 v97, v63 offset:8192
	ds_read_u16 v98, v63 offset:9216
	;; [unrolled: 1-line block ×8, first 2 shown]
	v_lshl_add_u64 v[86:87], v[12:13], 1, v[46:47]
	v_mov_b32_e32 v12, v11
	v_add_u32_e32 v2, 0x800, v11
	v_mov_b32_e32 v3, v13
	v_lshl_add_u64 v[88:89], v[12:13], 1, v[46:47]
	v_add_u32_e32 v12, 0x800, v8
	v_add_u32_e32 v64, 0x800, v10
	;; [unrolled: 1-line block ×3, first 2 shown]
	v_mov_b32_e32 v67, v13
	v_mov_b32_e32 v65, v13
	v_add_u32_e32 v62, -4, v62
	v_lshl_add_u64 v[2:3], v[2:3], 1, v[46:47]
	s_waitcnt lgkmcnt(14)
	global_store_short v[80:81], v1, off
	global_store_short v[84:85], v90, off
	s_waitcnt lgkmcnt(13)
	global_store_short v[86:87], v91, off
	s_waitcnt lgkmcnt(12)
	global_store_short v[88:89], v92, off
	v_lshl_add_u64 v[80:81], v[12:13], 1, v[46:47]
	v_add_u32_e32 v12, 0x1000, v8
	v_add_u32_e32 v68, 0x1000, v11
	v_add_u32_e32 v70, 0x1000, v10
	v_add_u32_e32 v72, 0x1000, v9
	v_mov_b32_e32 v73, v13
	v_mov_b32_e32 v71, v13
	;; [unrolled: 1-line block ×3, first 2 shown]
	s_add_i32 s8, s8, 16
	v_lshl_add_u64 v[66:67], v[66:67], 1, v[46:47]
	v_lshl_add_u64 v[82:83], v[64:65], 1, v[46:47]
	v_cmp_eq_u32_e32 vcc, 0, v62
	s_waitcnt lgkmcnt(11)
	global_store_short v[80:81], v93, off
	s_waitcnt lgkmcnt(10)
	global_store_short v[66:67], v94, off
	;; [unrolled: 2-line block ×4, first 2 shown]
	v_lshl_add_u64 v[2:3], v[12:13], 1, v[46:47]
	v_add_u32_e32 v12, 0x1800, v8
	v_add_u32_e32 v74, 0x1800, v11
	;; [unrolled: 1-line block ×4, first 2 shown]
	v_mov_b32_e32 v79, v13
	v_mov_b32_e32 v77, v13
	;; [unrolled: 1-line block ×3, first 2 shown]
	v_add_u32_e32 v63, 0x4000, v63
	v_lshl_add_u64 v[72:73], v[72:73], 1, v[46:47]
	v_lshl_add_u64 v[70:71], v[70:71], 1, v[46:47]
	;; [unrolled: 1-line block ×3, first 2 shown]
	v_add_u32_e32 v9, 0x2000, v9
	v_mov_b32_e32 v64, s8
	v_add_u32_e32 v10, 0x2000, v10
	s_or_b64 s[6:7], vcc, s[6:7]
	v_add_u32_e32 v11, 0x2000, v11
	v_add_u32_e32 v8, 0x2000, v8
	s_waitcnt lgkmcnt(7)
	global_store_short v[2:3], v97, off
	s_waitcnt lgkmcnt(6)
	global_store_short v[72:73], v98, off
	;; [unrolled: 2-line block ×4, first 2 shown]
	v_lshl_add_u64 v[2:3], v[12:13], 1, v[46:47]
	v_lshl_add_u64 v[78:79], v[78:79], 1, v[46:47]
	;; [unrolled: 1-line block ×4, first 2 shown]
	s_waitcnt lgkmcnt(3)
	global_store_short v[2:3], v101, off
	s_waitcnt lgkmcnt(2)
	global_store_short v[78:79], v102, off
	;; [unrolled: 2-line block ×4, first 2 shown]
	s_andn2_b64 exec, exec, s[6:7]
	s_cbranch_execnz .LBB581_113
; %bb.114:
	s_or_b64 exec, exec, s[6:7]
.LBB581_115:
	s_or_b64 exec, exec, s[4:5]
	v_and_b32_e32 v1, 3, v15
	v_cmp_ne_u32_e32 vcc, 0, v1
	s_and_saveexec_b64 s[4:5], vcc
	s_cbranch_execz .LBB581_118
; %bb.116:
	v_lshlrev_b32_e32 v2, 1, v0
	v_lshl_or_b32 v12, v64, 10, v2
	s_mov_b64 s[6:7], 0
	v_mov_b32_e32 v3, 0
.LBB581_117:                            ; =>This Inner Loop Header: Depth=1
	ds_read_u16 v13, v12
	ds_read_u16 v15, v12 offset:1024
	ds_read_u16 v70, v12 offset:2048
	ds_read_u16 v71, v12 offset:3072
	v_mov_b32_e32 v2, v8
	v_add_u32_e32 v1, -1, v1
	v_lshl_add_u64 v[62:63], v[2:3], 1, v[46:47]
	v_mov_b32_e32 v2, v9
	v_cmp_eq_u32_e32 vcc, 0, v1
	v_lshl_add_u64 v[64:65], v[2:3], 1, v[46:47]
	v_mov_b32_e32 v2, v10
	v_add_u32_e32 v8, 0x800, v8
	v_add_u32_e32 v12, 0x1000, v12
	;; [unrolled: 1-line block ×4, first 2 shown]
	s_or_b64 s[6:7], vcc, s[6:7]
	v_lshl_add_u64 v[66:67], v[2:3], 1, v[46:47]
	v_mov_b32_e32 v2, v11
	v_add_u32_e32 v11, 0x800, v11
	v_lshl_add_u64 v[68:69], v[2:3], 1, v[46:47]
	s_waitcnt lgkmcnt(3)
	global_store_short v[62:63], v13, off
	s_waitcnt lgkmcnt(2)
	global_store_short v[64:65], v15, off
	;; [unrolled: 2-line block ×4, first 2 shown]
	s_andn2_b64 exec, exec, s[6:7]
	s_cbranch_execnz .LBB581_117
.LBB581_118:
	s_or_b64 exec, exec, s[4:5]
	v_add_u32_e32 v1, 1, v5
	v_and_b32_e32 v3, 0xfffffc, v1
	v_cmp_ne_u32_e32 vcc, v1, v3
	v_lshl_or_b32 v2, v3, 9, v0
	s_orn2_b64 s[4:5], vcc, exec
.LBB581_119:
	s_or_b64 exec, exec, s[2:3]
	s_and_b64 exec, exec, s[4:5]
	s_cbranch_execz .LBB581_122
; %bb.120:
	v_lshlrev_b32_e32 v1, 1, v2
	s_mov_b64 s[2:3], 0
	v_mov_b32_e32 v3, 0
.LBB581_121:                            ; =>This Inner Loop Header: Depth=1
	ds_read_u16 v5, v1
	v_lshl_add_u64 v[8:9], v[2:3], 1, v[46:47]
	v_add_u32_e32 v2, 0x200, v2
	v_cmp_ge_u32_e32 vcc, v2, v4
	v_add_u32_e32 v1, 0x400, v1
	s_or_b64 s[2:3], vcc, s[2:3]
	s_waitcnt lgkmcnt(0)
	global_store_short v[8:9], v5, off
	s_andn2_b64 exec, exec, s[2:3]
	s_cbranch_execnz .LBB581_121
.LBB581_122:
	s_or_b64 exec, exec, s[0:1]
.LBB581_123:
	s_cmpk_lg_i32 s33, 0x1c00
	s_cselect_b64 s[0:1], -1, 0
	v_cndmask_b32_e64 v46, 0, 1, s[44:45]
	s_and_b64 s[0:1], s[34:35], s[0:1]
	v_cmp_eq_u32_e32 vcc, 0, v0
	v_sub_u32_e32 v1, v4, v46
	v_cndmask_b32_e64 v2, 0, 1, s[0:1]
	s_and_b64 s[0:1], vcc, s[44:45]
	v_add_u32_e32 v1, v1, v2
	v_cndmask_b32_e64 v2, v61, 0, s[0:1]
	s_lshr_b32 s0, s33, 1
	s_mul_hi_u32 s0, s0, 0x92492493
	s_lshr_b32 s0, s0, 2
	v_mad_i32_i24 v3, v0, -14, s33
	v_cmp_eq_u32_e32 vcc, s0, v0
	v_cmp_ne_u32_e64 s[0:1], 0, v3
	s_and_b64 vcc, s[34:35], vcc
	s_mov_b32 s2, 0
	v_cndmask_b32_e64 v5, 1, v2, s[0:1]
	v_cmp_ne_u32_e64 s[0:1], 1, v3
	s_movk_i32 s28, 0x200
	s_mov_b64 s[30:31], -1
	v_cndmask_b32_e64 v8, 1, v60, s[0:1]
	v_cmp_ne_u32_e64 s[0:1], 2, v3
	s_barrier
	s_nop 0
	v_cndmask_b32_e64 v9, 1, v59, s[0:1]
	v_cmp_ne_u32_e64 s[0:1], 3, v3
	s_nop 1
	v_cndmask_b32_e64 v10, 1, v58, s[0:1]
	v_cmp_ne_u32_e64 s[0:1], 4, v3
	;; [unrolled: 3-line block ×6, first 2 shown]
	v_cndmask_b32_e32 v15, v54, v15, vcc
	v_cndmask_b32_e32 v54, v55, v13, vcc
	v_cndmask_b32_e64 v47, 1, v53, s[0:1]
	v_cmp_ne_u32_e64 s[0:1], 9, v3
	v_cndmask_b32_e32 v55, v56, v12, vcc
	v_cndmask_b32_e32 v56, v57, v11, vcc
	v_cndmask_b32_e64 v61, 1, v52, s[0:1]
	v_cmp_ne_u32_e64 s[0:1], 10, v3
	;; [unrolled: 4-line block ×5, first 2 shown]
	v_cndmask_b32_e32 v49, v49, v64, vcc
	v_cndmask_b32_e32 v52, v52, v61, vcc
	v_cndmask_b32_e64 v3, 1, v48, s[0:1]
	v_cndmask_b32_e32 v48, v48, v3, vcc
	v_cndmask_b32_e32 v53, v53, v47, vcc
	v_mov_b32_e32 v47, s2
	v_cmp_eq_u32_e32 vcc, 0, v60
	v_lshl_add_u64 v[12:13], v[46:47], 0, -1
	v_add_u32_e32 v5, v6, v46
	v_cndmask_b32_e64 v46, 1, 2, vcc
	v_cmp_eq_u32_e32 vcc, 0, v59
	v_cmp_ne_u32_e64 s[12:13], 0, v15
	v_lshlrev_b64 v[8:9], 3, v[44:45]
	v_cndmask_b32_e64 v47, 1, 2, vcc
	v_cmp_eq_u32_e32 vcc, 0, v58
	v_and_b32_e32 v46, v47, v46
	v_lshl_add_u64 v[2:3], s[42:43], 0, v[8:9]
	v_cndmask_b32_e64 v47, 1, 2, vcc
	v_cmp_eq_u32_e32 vcc, 0, v57
	v_and_b32_e32 v46, v46, v47
	v_lshlrev_b64 v[10:11], 3, v[6:7]
	v_cndmask_b32_e64 v47, 1, 2, vcc
	v_cmp_eq_u32_e32 vcc, 0, v56
	v_and_b32_e32 v46, v46, v47
	v_lshl_add_u64 v[2:3], v[2:3], 0, v[10:11]
	v_cndmask_b32_e64 v47, 1, 2, vcc
	v_cmp_eq_u32_e32 vcc, 0, v55
	v_and_b32_e32 v46, v46, v47
	v_cmp_ne_u32_e64 s[26:27], 0, v60
	v_cndmask_b32_e64 v47, 1, 2, vcc
	v_cmp_eq_u32_e32 vcc, 0, v54
	v_and_b32_e32 v46, v46, v47
	v_cmp_ne_u32_e64 s[24:25], 0, v59
	;; [unrolled: 4-line block ×9, first 2 shown]
	v_cndmask_b32_e64 v46, 1, 2, vcc
	v_and_b32_e32 v15, v15, v46
	v_cmp_gt_u32_e32 vcc, s28, v1
	v_cmp_ne_u32_e64 s[6:7], 0, v51
	v_cmp_ne_u32_e64 s[4:5], 0, v50
	;; [unrolled: 1-line block ×4, first 2 shown]
	v_cmp_gt_i16_e64 s[28:29], 2, v15
	s_cbranch_vccz .LBB581_130
; %bb.124:
	s_and_saveexec_b64 s[30:31], s[28:29]
	s_cbranch_execz .LBB581_129
; %bb.125:
	v_lshlrev_b64 v[46:47], 3, v[12:13]
	v_lshl_add_u64 v[46:47], v[2:3], 0, v[46:47]
	v_cmp_ne_u16_e32 vcc, 1, v15
	s_mov_b64 s[36:37], 0
	s_and_saveexec_b64 s[28:29], vcc
	s_xor_b64 s[28:29], exec, s[28:29]
	s_cbranch_execnz .LBB581_177
; %bb.126:
	s_andn2_saveexec_b64 s[28:29], s[28:29]
	s_cbranch_execnz .LBB581_192
.LBB581_127:
	s_or_b64 exec, exec, s[28:29]
	s_and_b64 exec, exec, s[36:37]
	s_cbranch_execz .LBB581_129
.LBB581_128:
	v_mov_b32_e32 v49, 0
	v_sub_u32_e32 v50, v18, v5
	v_mov_b32_e32 v51, v49
	v_mov_b32_e32 v48, v19
	v_lshl_add_u64 v[46:47], v[50:51], 3, v[46:47]
	global_store_dwordx2 v[46:47], v[48:49], off
.LBB581_129:
	s_or_b64 exec, exec, s[30:31]
	s_mov_b64 s[30:31], 0
.LBB581_130:
	s_and_b64 vcc, exec, s[30:31]
	s_cbranch_vccz .LBB581_140
; %bb.131:
	v_cmp_gt_i16_e32 vcc, 2, v15
	s_and_saveexec_b64 s[28:29], vcc
	s_cbranch_execz .LBB581_136
; %bb.132:
	v_cmp_ne_u16_e32 vcc, 1, v15
	s_mov_b64 s[36:37], 0
	s_and_saveexec_b64 s[30:31], vcc
	s_xor_b64 s[30:31], exec, s[30:31]
	s_cbranch_execnz .LBB581_193
; %bb.133:
	s_andn2_saveexec_b64 s[0:1], s[30:31]
	s_cbranch_execnz .LBB581_208
.LBB581_134:
	s_or_b64 exec, exec, s[0:1]
	s_and_b64 exec, exec, s[36:37]
	s_cbranch_execz .LBB581_136
.LBB581_135:
	v_sub_u32_e32 v5, v18, v5
	v_lshlrev_b32_e32 v5, 2, v5
	ds_write_b32 v5, v19
.LBB581_136:
	s_or_b64 exec, exec, s[28:29]
	v_cmp_lt_u32_e32 vcc, v0, v1
	s_waitcnt lgkmcnt(0)
	s_barrier
	s_and_saveexec_b64 s[0:1], vcc
	s_cbranch_execz .LBB581_139
; %bb.137:
	v_lshlrev_b64 v[12:13], 3, v[12:13]
	v_lshl_add_u64 v[8:9], v[8:9], 0, v[12:13]
	v_lshl_add_u64 v[10:11], v[8:9], 0, v[10:11]
	v_lshlrev_b32_e32 v8, 3, v0
	v_mov_b32_e32 v9, 0
	v_lshl_add_u64 v[10:11], s[42:43], 0, v[10:11]
	v_lshlrev_b32_e32 v5, 2, v0
	v_lshl_add_u64 v[10:11], v[10:11], 0, v[8:9]
	s_mov_b64 s[2:3], 0
	s_mov_b64 s[4:5], 0x1000
	v_mov_b32_e32 v12, v0
.LBB581_138:                            ; =>This Inner Loop Header: Depth=1
	ds_read_b32 v8, v5
	v_add_u32_e32 v12, 0x200, v12
	v_cmp_ge_u32_e32 vcc, v12, v1
	v_add_u32_e32 v5, 0x800, v5
	s_or_b64 s[2:3], vcc, s[2:3]
	s_waitcnt lgkmcnt(0)
	global_store_dwordx2 v[10:11], v[8:9], off
	v_lshl_add_u64 v[10:11], v[10:11], 0, s[4:5]
	s_andn2_b64 exec, exec, s[2:3]
	s_cbranch_execnz .LBB581_138
.LBB581_139:
	s_or_b64 exec, exec, s[0:1]
.LBB581_140:
	s_movk_i32 s0, 0x1ff
	v_cmp_eq_u32_e32 vcc, s0, v0
	s_and_b64 s[0:1], vcc, s[34:35]
	s_and_saveexec_b64 s[2:3], s[0:1]
	s_cbranch_execz .LBB581_143
; %bb.141:
	v_mov_b32_e32 v5, 0
	v_lshl_add_u64 v[0:1], v[4:5], 0, v[6:7]
	v_lshl_add_u64 v[0:1], v[0:1], 0, v[44:45]
	s_cmpk_lg_i32 s33, 0x1c00
	global_store_dwordx2 v5, v[0:1], s[46:47]
	s_cbranch_scc1 .LBB581_143
; %bb.142:
	v_lshlrev_b64 v[0:1], 3, v[4:5]
	v_mov_b32_e32 v15, v5
	v_lshl_add_u64 v[0:1], v[2:3], 0, v[0:1]
	global_store_dwordx2 v[0:1], v[14:15], off offset:-8
.LBB581_143:
	s_endpgm
.LBB581_144:
	s_or_b64 exec, exec, s[6:7]
	v_mov_b32_e32 v61, s3
	s_and_saveexec_b64 s[6:7], s[10:11]
	s_cbranch_execnz .LBB581_54
	s_branch .LBB581_55
.LBB581_145:
	s_and_saveexec_b64 s[36:37], s[26:27]
	s_cbranch_execnz .LBB581_209
; %bb.146:
	s_or_b64 exec, exec, s[36:37]
	s_and_saveexec_b64 s[36:37], s[24:25]
	s_cbranch_execnz .LBB581_210
.LBB581_147:
	s_or_b64 exec, exec, s[36:37]
	s_and_saveexec_b64 s[36:37], s[22:23]
	s_cbranch_execnz .LBB581_211
.LBB581_148:
	s_or_b64 exec, exec, s[36:37]
	s_and_saveexec_b64 s[36:37], s[20:21]
	s_cbranch_execnz .LBB581_212
.LBB581_149:
	s_or_b64 exec, exec, s[36:37]
	s_and_saveexec_b64 s[36:37], s[18:19]
	s_cbranch_execnz .LBB581_213
.LBB581_150:
	s_or_b64 exec, exec, s[36:37]
	s_and_saveexec_b64 s[36:37], s[16:17]
	s_cbranch_execnz .LBB581_214
.LBB581_151:
	s_or_b64 exec, exec, s[36:37]
	s_and_saveexec_b64 s[36:37], s[14:15]
	s_cbranch_execnz .LBB581_215
.LBB581_152:
	s_or_b64 exec, exec, s[36:37]
	s_and_saveexec_b64 s[36:37], s[12:13]
	s_cbranch_execnz .LBB581_216
.LBB581_153:
	s_or_b64 exec, exec, s[36:37]
	s_and_saveexec_b64 s[36:37], s[10:11]
	s_cbranch_execnz .LBB581_217
.LBB581_154:
	s_or_b64 exec, exec, s[36:37]
	s_and_saveexec_b64 s[36:37], s[8:9]
	s_cbranch_execnz .LBB581_218
.LBB581_155:
	s_or_b64 exec, exec, s[36:37]
	s_and_saveexec_b64 s[36:37], s[6:7]
	s_cbranch_execnz .LBB581_219
.LBB581_156:
	s_or_b64 exec, exec, s[36:37]
	s_and_saveexec_b64 s[36:37], s[4:5]
	s_cbranch_execnz .LBB581_220
.LBB581_157:
	s_or_b64 exec, exec, s[36:37]
	s_and_saveexec_b64 s[36:37], s[2:3]
	s_cbranch_execz .LBB581_159
.LBB581_158:
	v_sub_u32_e32 v62, v16, v6
	v_mov_b32_e32 v63, 0
	v_lshl_add_u64 v[62:63], v[62:63], 1, v[46:47]
	global_store_short v[62:63], v1, off
.LBB581_159:
	s_or_b64 exec, exec, s[36:37]
	s_and_b64 s[36:37], s[0:1], exec
	s_andn2_saveexec_b64 s[28:29], s[28:29]
	s_cbranch_execz .LBB581_100
.LBB581_160:
	v_sub_u32_e32 v62, v42, v6
	v_mov_b32_e32 v63, 0
	v_lshl_add_u64 v[64:65], v[62:63], 1, v[46:47]
	v_sub_u32_e32 v62, v40, v6
	global_store_short v[64:65], v12, off
	v_lshl_add_u64 v[64:65], v[62:63], 1, v[46:47]
	v_sub_u32_e32 v62, v38, v6
	global_store_short_d16_hi v[64:65], v12, off
	v_lshl_add_u64 v[64:65], v[62:63], 1, v[46:47]
	v_sub_u32_e32 v62, v36, v6
	global_store_short v[64:65], v13, off
	v_lshl_add_u64 v[64:65], v[62:63], 1, v[46:47]
	v_sub_u32_e32 v62, v34, v6
	global_store_short_d16_hi v[64:65], v13, off
	;; [unrolled: 6-line block ×5, first 2 shown]
	v_lshl_add_u64 v[64:65], v[62:63], 1, v[46:47]
	v_sub_u32_e32 v62, v20, v6
	global_store_short v[64:65], v9, off
	v_lshl_add_u64 v[64:65], v[62:63], 1, v[46:47]
	v_sub_u32_e32 v62, v16, v6
	v_lshl_add_u64 v[62:63], v[62:63], 1, v[46:47]
	s_or_b64 s[36:37], s[36:37], exec
	global_store_short_d16_hi v[64:65], v9, off
	global_store_short v[62:63], v1, off
	s_or_b64 exec, exec, s[28:29]
	s_and_b64 exec, exec, s[36:37]
	s_cbranch_execnz .LBB581_101
	s_branch .LBB581_102
.LBB581_161:
	s_and_saveexec_b64 s[36:37], s[26:27]
	s_cbranch_execnz .LBB581_221
; %bb.162:
	s_or_b64 exec, exec, s[36:37]
	s_and_saveexec_b64 s[26:27], s[24:25]
	s_cbranch_execnz .LBB581_222
.LBB581_163:
	s_or_b64 exec, exec, s[26:27]
	s_and_saveexec_b64 s[24:25], s[22:23]
	s_cbranch_execnz .LBB581_223
.LBB581_164:
	s_or_b64 exec, exec, s[24:25]
	s_and_saveexec_b64 s[22:23], s[20:21]
	s_cbranch_execnz .LBB581_224
.LBB581_165:
	s_or_b64 exec, exec, s[22:23]
	s_and_saveexec_b64 s[20:21], s[18:19]
	s_cbranch_execnz .LBB581_225
.LBB581_166:
	s_or_b64 exec, exec, s[20:21]
	s_and_saveexec_b64 s[18:19], s[16:17]
	s_cbranch_execnz .LBB581_226
.LBB581_167:
	s_or_b64 exec, exec, s[18:19]
	s_and_saveexec_b64 s[16:17], s[14:15]
	s_cbranch_execnz .LBB581_227
.LBB581_168:
	s_or_b64 exec, exec, s[16:17]
	s_and_saveexec_b64 s[14:15], s[12:13]
	s_cbranch_execnz .LBB581_228
.LBB581_169:
	s_or_b64 exec, exec, s[14:15]
	s_and_saveexec_b64 s[12:13], s[10:11]
	s_cbranch_execnz .LBB581_229
.LBB581_170:
	s_or_b64 exec, exec, s[12:13]
	s_and_saveexec_b64 s[10:11], s[8:9]
	s_cbranch_execnz .LBB581_230
.LBB581_171:
	s_or_b64 exec, exec, s[10:11]
	s_and_saveexec_b64 s[8:9], s[6:7]
	s_cbranch_execnz .LBB581_231
.LBB581_172:
	s_or_b64 exec, exec, s[8:9]
	s_and_saveexec_b64 s[6:7], s[4:5]
	s_cbranch_execnz .LBB581_232
.LBB581_173:
	s_or_b64 exec, exec, s[6:7]
	s_and_saveexec_b64 s[4:5], s[2:3]
	s_cbranch_execz .LBB581_175
.LBB581_174:
	v_sub_u32_e32 v2, v16, v6
	v_lshlrev_b32_e32 v2, 1, v2
	ds_write_b16 v2, v1
.LBB581_175:
	s_or_b64 exec, exec, s[4:5]
	s_and_b64 s[36:37], s[0:1], exec
                                        ; implicit-def: $vgpr12
                                        ; implicit-def: $vgpr10
                                        ; implicit-def: $vgpr8
	s_andn2_saveexec_b64 s[0:1], s[30:31]
	s_cbranch_execz .LBB581_107
.LBB581_176:
	v_sub_u32_e32 v2, v42, v6
	v_lshlrev_b32_e32 v2, 1, v2
	ds_write_b16 v2, v12
	v_sub_u32_e32 v2, v40, v6
	v_lshlrev_b32_e32 v2, 1, v2
	ds_write_b16_d16_hi v2, v12
	v_sub_u32_e32 v2, v38, v6
	v_lshlrev_b32_e32 v2, 1, v2
	ds_write_b16 v2, v13
	v_sub_u32_e32 v2, v36, v6
	v_lshlrev_b32_e32 v2, 1, v2
	ds_write_b16_d16_hi v2, v13
	;; [unrolled: 6-line block ×6, first 2 shown]
	v_sub_u32_e32 v2, v16, v6
	v_lshlrev_b32_e32 v2, 1, v2
	s_or_b64 s[36:37], s[36:37], exec
	ds_write_b16 v2, v1
	s_or_b64 exec, exec, s[0:1]
	s_and_b64 exec, exec, s[36:37]
	s_cbranch_execnz .LBB581_108
	s_branch .LBB581_109
.LBB581_177:
	s_and_saveexec_b64 s[36:37], s[26:27]
	s_cbranch_execnz .LBB581_233
; %bb.178:
	s_or_b64 exec, exec, s[36:37]
	s_and_saveexec_b64 s[36:37], s[24:25]
	s_cbranch_execnz .LBB581_234
.LBB581_179:
	s_or_b64 exec, exec, s[36:37]
	s_and_saveexec_b64 s[36:37], s[22:23]
	s_cbranch_execnz .LBB581_235
.LBB581_180:
	s_or_b64 exec, exec, s[36:37]
	s_and_saveexec_b64 s[36:37], s[20:21]
	s_cbranch_execnz .LBB581_236
.LBB581_181:
	s_or_b64 exec, exec, s[36:37]
	s_and_saveexec_b64 s[36:37], s[18:19]
	s_cbranch_execnz .LBB581_237
.LBB581_182:
	s_or_b64 exec, exec, s[36:37]
	s_and_saveexec_b64 s[36:37], s[16:17]
	s_cbranch_execnz .LBB581_238
.LBB581_183:
	s_or_b64 exec, exec, s[36:37]
	s_and_saveexec_b64 s[36:37], s[14:15]
	s_cbranch_execnz .LBB581_239
.LBB581_184:
	s_or_b64 exec, exec, s[36:37]
	s_and_saveexec_b64 s[36:37], s[12:13]
	s_cbranch_execnz .LBB581_240
.LBB581_185:
	s_or_b64 exec, exec, s[36:37]
	s_and_saveexec_b64 s[36:37], s[10:11]
	s_cbranch_execnz .LBB581_241
.LBB581_186:
	s_or_b64 exec, exec, s[36:37]
	s_and_saveexec_b64 s[36:37], s[8:9]
	s_cbranch_execnz .LBB581_242
.LBB581_187:
	s_or_b64 exec, exec, s[36:37]
	s_and_saveexec_b64 s[36:37], s[6:7]
	s_cbranch_execnz .LBB581_243
.LBB581_188:
	s_or_b64 exec, exec, s[36:37]
	s_and_saveexec_b64 s[36:37], s[4:5]
	s_cbranch_execnz .LBB581_244
.LBB581_189:
	s_or_b64 exec, exec, s[36:37]
	s_and_saveexec_b64 s[36:37], s[2:3]
	s_cbranch_execz .LBB581_191
.LBB581_190:
	v_sub_u32_e32 v48, v16, v5
	v_mov_b32_e32 v49, 0
	v_lshl_add_u64 v[50:51], v[48:49], 3, v[46:47]
	v_mov_b32_e32 v48, v17
	global_store_dwordx2 v[50:51], v[48:49], off
.LBB581_191:
	s_or_b64 exec, exec, s[36:37]
	s_and_b64 s[36:37], s[0:1], exec
	s_andn2_saveexec_b64 s[28:29], s[28:29]
	s_cbranch_execz .LBB581_127
.LBB581_192:
	v_mov_b32_e32 v49, 0
	v_sub_u32_e32 v50, v42, v5
	v_mov_b32_e32 v51, v49
	v_mov_b32_e32 v48, v43
	v_lshl_add_u64 v[50:51], v[50:51], 3, v[46:47]
	global_store_dwordx2 v[50:51], v[48:49], off
	v_sub_u32_e32 v50, v40, v5
	v_mov_b32_e32 v51, v49
	v_mov_b32_e32 v48, v41
	v_lshl_add_u64 v[50:51], v[50:51], 3, v[46:47]
	global_store_dwordx2 v[50:51], v[48:49], off
	;; [unrolled: 5-line block ×12, first 2 shown]
	v_sub_u32_e32 v50, v16, v5
	v_mov_b32_e32 v51, v49
	v_mov_b32_e32 v48, v17
	v_lshl_add_u64 v[50:51], v[50:51], 3, v[46:47]
	s_or_b64 s[36:37], s[36:37], exec
	global_store_dwordx2 v[50:51], v[48:49], off
	s_or_b64 exec, exec, s[28:29]
	s_and_b64 exec, exec, s[36:37]
	s_cbranch_execnz .LBB581_128
	s_branch .LBB581_129
.LBB581_193:
	s_and_saveexec_b64 s[36:37], s[26:27]
	s_cbranch_execnz .LBB581_245
; %bb.194:
	s_or_b64 exec, exec, s[36:37]
	s_and_saveexec_b64 s[26:27], s[24:25]
	s_cbranch_execnz .LBB581_246
.LBB581_195:
	s_or_b64 exec, exec, s[26:27]
	s_and_saveexec_b64 s[24:25], s[22:23]
	s_cbranch_execnz .LBB581_247
.LBB581_196:
	s_or_b64 exec, exec, s[24:25]
	s_and_saveexec_b64 s[22:23], s[20:21]
	s_cbranch_execnz .LBB581_248
.LBB581_197:
	s_or_b64 exec, exec, s[22:23]
	s_and_saveexec_b64 s[20:21], s[18:19]
	s_cbranch_execnz .LBB581_249
.LBB581_198:
	s_or_b64 exec, exec, s[20:21]
	s_and_saveexec_b64 s[18:19], s[16:17]
	s_cbranch_execnz .LBB581_250
.LBB581_199:
	s_or_b64 exec, exec, s[18:19]
	s_and_saveexec_b64 s[16:17], s[14:15]
	s_cbranch_execnz .LBB581_251
.LBB581_200:
	s_or_b64 exec, exec, s[16:17]
	s_and_saveexec_b64 s[14:15], s[12:13]
	s_cbranch_execnz .LBB581_252
.LBB581_201:
	s_or_b64 exec, exec, s[14:15]
	s_and_saveexec_b64 s[12:13], s[10:11]
	s_cbranch_execnz .LBB581_253
.LBB581_202:
	s_or_b64 exec, exec, s[12:13]
	s_and_saveexec_b64 s[10:11], s[8:9]
	s_cbranch_execnz .LBB581_254
.LBB581_203:
	s_or_b64 exec, exec, s[10:11]
	s_and_saveexec_b64 s[8:9], s[6:7]
	s_cbranch_execnz .LBB581_255
.LBB581_204:
	s_or_b64 exec, exec, s[8:9]
	s_and_saveexec_b64 s[6:7], s[4:5]
	s_cbranch_execnz .LBB581_256
.LBB581_205:
	s_or_b64 exec, exec, s[6:7]
	s_and_saveexec_b64 s[4:5], s[2:3]
	s_cbranch_execz .LBB581_207
.LBB581_206:
	v_sub_u32_e32 v15, v16, v5
	v_lshlrev_b32_e32 v15, 2, v15
	ds_write_b32 v15, v17
.LBB581_207:
	s_or_b64 exec, exec, s[4:5]
	s_and_b64 s[36:37], s[0:1], exec
                                        ; implicit-def: $vgpr16_vgpr17
                                        ; implicit-def: $vgpr20_vgpr21
                                        ; implicit-def: $vgpr22_vgpr23
                                        ; implicit-def: $vgpr42_vgpr43
                                        ; implicit-def: $vgpr40_vgpr41
                                        ; implicit-def: $vgpr38_vgpr39
                                        ; implicit-def: $vgpr36_vgpr37
                                        ; implicit-def: $vgpr34_vgpr35
                                        ; implicit-def: $vgpr32_vgpr33
                                        ; implicit-def: $vgpr30_vgpr31
                                        ; implicit-def: $vgpr28_vgpr29
                                        ; implicit-def: $vgpr26_vgpr27
                                        ; implicit-def: $vgpr24_vgpr25
	s_andn2_saveexec_b64 s[0:1], s[30:31]
	s_cbranch_execz .LBB581_134
.LBB581_208:
	v_sub_u32_e32 v15, v42, v5
	v_lshlrev_b32_e32 v15, 2, v15
	ds_write_b32 v15, v43
	v_sub_u32_e32 v15, v40, v5
	v_lshlrev_b32_e32 v15, 2, v15
	ds_write_b32 v15, v41
	;; [unrolled: 3-line block ×12, first 2 shown]
	v_sub_u32_e32 v15, v16, v5
	v_lshlrev_b32_e32 v15, 2, v15
	s_or_b64 s[36:37], s[36:37], exec
	ds_write_b32 v15, v17
	s_or_b64 exec, exec, s[0:1]
	s_and_b64 exec, exec, s[36:37]
	s_cbranch_execnz .LBB581_135
	s_branch .LBB581_136
.LBB581_209:
	v_sub_u32_e32 v62, v42, v6
	v_mov_b32_e32 v63, 0
	v_lshl_add_u64 v[62:63], v[62:63], 1, v[46:47]
	global_store_short v[62:63], v12, off
	s_or_b64 exec, exec, s[36:37]
	s_and_saveexec_b64 s[36:37], s[24:25]
	s_cbranch_execz .LBB581_147
.LBB581_210:
	v_sub_u32_e32 v62, v40, v6
	v_mov_b32_e32 v63, 0
	v_lshl_add_u64 v[62:63], v[62:63], 1, v[46:47]
	global_store_short_d16_hi v[62:63], v12, off
	s_or_b64 exec, exec, s[36:37]
	s_and_saveexec_b64 s[36:37], s[22:23]
	s_cbranch_execz .LBB581_148
.LBB581_211:
	v_sub_u32_e32 v62, v38, v6
	v_mov_b32_e32 v63, 0
	v_lshl_add_u64 v[62:63], v[62:63], 1, v[46:47]
	global_store_short v[62:63], v13, off
	s_or_b64 exec, exec, s[36:37]
	s_and_saveexec_b64 s[36:37], s[20:21]
	s_cbranch_execz .LBB581_149
.LBB581_212:
	v_sub_u32_e32 v62, v36, v6
	v_mov_b32_e32 v63, 0
	v_lshl_add_u64 v[62:63], v[62:63], 1, v[46:47]
	global_store_short_d16_hi v[62:63], v13, off
	s_or_b64 exec, exec, s[36:37]
	s_and_saveexec_b64 s[36:37], s[18:19]
	s_cbranch_execz .LBB581_150
.LBB581_213:
	v_sub_u32_e32 v62, v34, v6
	v_mov_b32_e32 v63, 0
	v_lshl_add_u64 v[62:63], v[62:63], 1, v[46:47]
	global_store_short v[62:63], v10, off
	s_or_b64 exec, exec, s[36:37]
	s_and_saveexec_b64 s[36:37], s[16:17]
	s_cbranch_execz .LBB581_151
.LBB581_214:
	v_sub_u32_e32 v62, v32, v6
	v_mov_b32_e32 v63, 0
	v_lshl_add_u64 v[62:63], v[62:63], 1, v[46:47]
	global_store_short_d16_hi v[62:63], v10, off
	s_or_b64 exec, exec, s[36:37]
	s_and_saveexec_b64 s[36:37], s[14:15]
	s_cbranch_execz .LBB581_152
.LBB581_215:
	v_sub_u32_e32 v62, v30, v6
	v_mov_b32_e32 v63, 0
	v_lshl_add_u64 v[62:63], v[62:63], 1, v[46:47]
	global_store_short v[62:63], v11, off
	s_or_b64 exec, exec, s[36:37]
	s_and_saveexec_b64 s[36:37], s[12:13]
	s_cbranch_execz .LBB581_153
.LBB581_216:
	v_sub_u32_e32 v62, v28, v6
	v_mov_b32_e32 v63, 0
	v_lshl_add_u64 v[62:63], v[62:63], 1, v[46:47]
	global_store_short_d16_hi v[62:63], v11, off
	s_or_b64 exec, exec, s[36:37]
	s_and_saveexec_b64 s[36:37], s[10:11]
	s_cbranch_execz .LBB581_154
.LBB581_217:
	v_sub_u32_e32 v62, v26, v6
	v_mov_b32_e32 v63, 0
	v_lshl_add_u64 v[62:63], v[62:63], 1, v[46:47]
	global_store_short v[62:63], v8, off
	s_or_b64 exec, exec, s[36:37]
	s_and_saveexec_b64 s[36:37], s[8:9]
	s_cbranch_execz .LBB581_155
.LBB581_218:
	v_sub_u32_e32 v62, v24, v6
	v_mov_b32_e32 v63, 0
	v_lshl_add_u64 v[62:63], v[62:63], 1, v[46:47]
	global_store_short_d16_hi v[62:63], v8, off
	s_or_b64 exec, exec, s[36:37]
	s_and_saveexec_b64 s[36:37], s[6:7]
	s_cbranch_execz .LBB581_156
.LBB581_219:
	v_sub_u32_e32 v62, v22, v6
	v_mov_b32_e32 v63, 0
	v_lshl_add_u64 v[62:63], v[62:63], 1, v[46:47]
	global_store_short v[62:63], v9, off
	s_or_b64 exec, exec, s[36:37]
	s_and_saveexec_b64 s[36:37], s[4:5]
	s_cbranch_execz .LBB581_157
.LBB581_220:
	v_sub_u32_e32 v62, v20, v6
	v_mov_b32_e32 v63, 0
	v_lshl_add_u64 v[62:63], v[62:63], 1, v[46:47]
	global_store_short_d16_hi v[62:63], v9, off
	s_or_b64 exec, exec, s[36:37]
	s_and_saveexec_b64 s[36:37], s[2:3]
	s_cbranch_execnz .LBB581_158
	s_branch .LBB581_159
.LBB581_221:
	v_sub_u32_e32 v2, v42, v6
	v_lshlrev_b32_e32 v2, 1, v2
	ds_write_b16 v2, v12
	s_or_b64 exec, exec, s[36:37]
	s_and_saveexec_b64 s[26:27], s[24:25]
	s_cbranch_execz .LBB581_163
.LBB581_222:
	v_sub_u32_e32 v2, v40, v6
	v_lshlrev_b32_e32 v2, 1, v2
	ds_write_b16_d16_hi v2, v12
	s_or_b64 exec, exec, s[26:27]
	s_and_saveexec_b64 s[24:25], s[22:23]
	s_cbranch_execz .LBB581_164
.LBB581_223:
	v_sub_u32_e32 v2, v38, v6
	v_lshlrev_b32_e32 v2, 1, v2
	ds_write_b16 v2, v13
	s_or_b64 exec, exec, s[24:25]
	s_and_saveexec_b64 s[22:23], s[20:21]
	s_cbranch_execz .LBB581_165
.LBB581_224:
	v_sub_u32_e32 v2, v36, v6
	v_lshlrev_b32_e32 v2, 1, v2
	ds_write_b16_d16_hi v2, v13
	s_or_b64 exec, exec, s[22:23]
	s_and_saveexec_b64 s[20:21], s[18:19]
	s_cbranch_execz .LBB581_166
.LBB581_225:
	v_sub_u32_e32 v2, v34, v6
	v_lshlrev_b32_e32 v2, 1, v2
	ds_write_b16 v2, v10
	s_or_b64 exec, exec, s[20:21]
	s_and_saveexec_b64 s[18:19], s[16:17]
	s_cbranch_execz .LBB581_167
.LBB581_226:
	v_sub_u32_e32 v2, v32, v6
	v_lshlrev_b32_e32 v2, 1, v2
	ds_write_b16_d16_hi v2, v10
	s_or_b64 exec, exec, s[18:19]
	s_and_saveexec_b64 s[16:17], s[14:15]
	s_cbranch_execz .LBB581_168
.LBB581_227:
	v_sub_u32_e32 v2, v30, v6
	v_lshlrev_b32_e32 v2, 1, v2
	ds_write_b16 v2, v11
	s_or_b64 exec, exec, s[16:17]
	s_and_saveexec_b64 s[14:15], s[12:13]
	s_cbranch_execz .LBB581_169
.LBB581_228:
	v_sub_u32_e32 v2, v28, v6
	v_lshlrev_b32_e32 v2, 1, v2
	ds_write_b16_d16_hi v2, v11
	s_or_b64 exec, exec, s[14:15]
	s_and_saveexec_b64 s[12:13], s[10:11]
	s_cbranch_execz .LBB581_170
.LBB581_229:
	v_sub_u32_e32 v2, v26, v6
	v_lshlrev_b32_e32 v2, 1, v2
	ds_write_b16 v2, v8
	s_or_b64 exec, exec, s[12:13]
	s_and_saveexec_b64 s[10:11], s[8:9]
	s_cbranch_execz .LBB581_171
.LBB581_230:
	v_sub_u32_e32 v2, v24, v6
	v_lshlrev_b32_e32 v2, 1, v2
	ds_write_b16_d16_hi v2, v8
	s_or_b64 exec, exec, s[10:11]
	s_and_saveexec_b64 s[8:9], s[6:7]
	s_cbranch_execz .LBB581_172
.LBB581_231:
	v_sub_u32_e32 v2, v22, v6
	v_lshlrev_b32_e32 v2, 1, v2
	ds_write_b16 v2, v9
	s_or_b64 exec, exec, s[8:9]
	s_and_saveexec_b64 s[6:7], s[4:5]
	s_cbranch_execz .LBB581_173
.LBB581_232:
	v_sub_u32_e32 v2, v20, v6
	v_lshlrev_b32_e32 v2, 1, v2
	ds_write_b16_d16_hi v2, v9
	s_or_b64 exec, exec, s[6:7]
	s_and_saveexec_b64 s[4:5], s[2:3]
	s_cbranch_execnz .LBB581_174
	s_branch .LBB581_175
.LBB581_233:
	v_sub_u32_e32 v48, v42, v5
	v_mov_b32_e32 v49, 0
	v_lshl_add_u64 v[50:51], v[48:49], 3, v[46:47]
	v_mov_b32_e32 v48, v43
	global_store_dwordx2 v[50:51], v[48:49], off
	s_or_b64 exec, exec, s[36:37]
	s_and_saveexec_b64 s[36:37], s[24:25]
	s_cbranch_execz .LBB581_179
.LBB581_234:
	v_sub_u32_e32 v48, v40, v5
	v_mov_b32_e32 v49, 0
	v_lshl_add_u64 v[50:51], v[48:49], 3, v[46:47]
	v_mov_b32_e32 v48, v41
	global_store_dwordx2 v[50:51], v[48:49], off
	s_or_b64 exec, exec, s[36:37]
	s_and_saveexec_b64 s[36:37], s[22:23]
	s_cbranch_execz .LBB581_180
.LBB581_235:
	v_sub_u32_e32 v48, v38, v5
	v_mov_b32_e32 v49, 0
	v_lshl_add_u64 v[50:51], v[48:49], 3, v[46:47]
	v_mov_b32_e32 v48, v39
	global_store_dwordx2 v[50:51], v[48:49], off
	s_or_b64 exec, exec, s[36:37]
	s_and_saveexec_b64 s[36:37], s[20:21]
	s_cbranch_execz .LBB581_181
.LBB581_236:
	v_sub_u32_e32 v48, v36, v5
	v_mov_b32_e32 v49, 0
	v_lshl_add_u64 v[50:51], v[48:49], 3, v[46:47]
	v_mov_b32_e32 v48, v37
	global_store_dwordx2 v[50:51], v[48:49], off
	s_or_b64 exec, exec, s[36:37]
	s_and_saveexec_b64 s[36:37], s[18:19]
	s_cbranch_execz .LBB581_182
.LBB581_237:
	v_sub_u32_e32 v48, v34, v5
	v_mov_b32_e32 v49, 0
	v_lshl_add_u64 v[50:51], v[48:49], 3, v[46:47]
	v_mov_b32_e32 v48, v35
	global_store_dwordx2 v[50:51], v[48:49], off
	s_or_b64 exec, exec, s[36:37]
	s_and_saveexec_b64 s[36:37], s[16:17]
	s_cbranch_execz .LBB581_183
.LBB581_238:
	v_sub_u32_e32 v48, v32, v5
	v_mov_b32_e32 v49, 0
	v_lshl_add_u64 v[50:51], v[48:49], 3, v[46:47]
	v_mov_b32_e32 v48, v33
	global_store_dwordx2 v[50:51], v[48:49], off
	s_or_b64 exec, exec, s[36:37]
	s_and_saveexec_b64 s[36:37], s[14:15]
	s_cbranch_execz .LBB581_184
.LBB581_239:
	v_sub_u32_e32 v48, v30, v5
	v_mov_b32_e32 v49, 0
	v_lshl_add_u64 v[50:51], v[48:49], 3, v[46:47]
	v_mov_b32_e32 v48, v31
	global_store_dwordx2 v[50:51], v[48:49], off
	s_or_b64 exec, exec, s[36:37]
	s_and_saveexec_b64 s[36:37], s[12:13]
	s_cbranch_execz .LBB581_185
.LBB581_240:
	v_sub_u32_e32 v48, v28, v5
	v_mov_b32_e32 v49, 0
	v_lshl_add_u64 v[50:51], v[48:49], 3, v[46:47]
	v_mov_b32_e32 v48, v29
	global_store_dwordx2 v[50:51], v[48:49], off
	s_or_b64 exec, exec, s[36:37]
	s_and_saveexec_b64 s[36:37], s[10:11]
	s_cbranch_execz .LBB581_186
.LBB581_241:
	v_sub_u32_e32 v48, v26, v5
	v_mov_b32_e32 v49, 0
	v_lshl_add_u64 v[50:51], v[48:49], 3, v[46:47]
	v_mov_b32_e32 v48, v27
	global_store_dwordx2 v[50:51], v[48:49], off
	s_or_b64 exec, exec, s[36:37]
	s_and_saveexec_b64 s[36:37], s[8:9]
	s_cbranch_execz .LBB581_187
.LBB581_242:
	v_sub_u32_e32 v48, v24, v5
	v_mov_b32_e32 v49, 0
	v_lshl_add_u64 v[50:51], v[48:49], 3, v[46:47]
	v_mov_b32_e32 v48, v25
	global_store_dwordx2 v[50:51], v[48:49], off
	s_or_b64 exec, exec, s[36:37]
	s_and_saveexec_b64 s[36:37], s[6:7]
	s_cbranch_execz .LBB581_188
.LBB581_243:
	v_sub_u32_e32 v48, v22, v5
	v_mov_b32_e32 v49, 0
	v_lshl_add_u64 v[50:51], v[48:49], 3, v[46:47]
	v_mov_b32_e32 v48, v23
	global_store_dwordx2 v[50:51], v[48:49], off
	s_or_b64 exec, exec, s[36:37]
	s_and_saveexec_b64 s[36:37], s[4:5]
	s_cbranch_execz .LBB581_189
.LBB581_244:
	v_sub_u32_e32 v48, v20, v5
	v_mov_b32_e32 v49, 0
	v_lshl_add_u64 v[50:51], v[48:49], 3, v[46:47]
	v_mov_b32_e32 v48, v21
	global_store_dwordx2 v[50:51], v[48:49], off
	s_or_b64 exec, exec, s[36:37]
	s_and_saveexec_b64 s[36:37], s[2:3]
	s_cbranch_execnz .LBB581_190
	s_branch .LBB581_191
.LBB581_245:
	v_sub_u32_e32 v15, v42, v5
	v_lshlrev_b32_e32 v15, 2, v15
	ds_write_b32 v15, v43
	s_or_b64 exec, exec, s[36:37]
	s_and_saveexec_b64 s[26:27], s[24:25]
	s_cbranch_execz .LBB581_195
.LBB581_246:
	v_sub_u32_e32 v15, v40, v5
	v_lshlrev_b32_e32 v15, 2, v15
	ds_write_b32 v15, v41
	s_or_b64 exec, exec, s[26:27]
	s_and_saveexec_b64 s[24:25], s[22:23]
	s_cbranch_execz .LBB581_196
.LBB581_247:
	v_sub_u32_e32 v15, v38, v5
	v_lshlrev_b32_e32 v15, 2, v15
	ds_write_b32 v15, v39
	s_or_b64 exec, exec, s[24:25]
	s_and_saveexec_b64 s[22:23], s[20:21]
	s_cbranch_execz .LBB581_197
.LBB581_248:
	v_sub_u32_e32 v15, v36, v5
	v_lshlrev_b32_e32 v15, 2, v15
	ds_write_b32 v15, v37
	s_or_b64 exec, exec, s[22:23]
	s_and_saveexec_b64 s[20:21], s[18:19]
	s_cbranch_execz .LBB581_198
.LBB581_249:
	v_sub_u32_e32 v15, v34, v5
	v_lshlrev_b32_e32 v15, 2, v15
	ds_write_b32 v15, v35
	s_or_b64 exec, exec, s[20:21]
	s_and_saveexec_b64 s[18:19], s[16:17]
	s_cbranch_execz .LBB581_199
.LBB581_250:
	v_sub_u32_e32 v15, v32, v5
	v_lshlrev_b32_e32 v15, 2, v15
	ds_write_b32 v15, v33
	s_or_b64 exec, exec, s[18:19]
	s_and_saveexec_b64 s[16:17], s[14:15]
	s_cbranch_execz .LBB581_200
.LBB581_251:
	v_sub_u32_e32 v15, v30, v5
	v_lshlrev_b32_e32 v15, 2, v15
	ds_write_b32 v15, v31
	s_or_b64 exec, exec, s[16:17]
	s_and_saveexec_b64 s[14:15], s[12:13]
	s_cbranch_execz .LBB581_201
.LBB581_252:
	v_sub_u32_e32 v15, v28, v5
	v_lshlrev_b32_e32 v15, 2, v15
	ds_write_b32 v15, v29
	s_or_b64 exec, exec, s[14:15]
	s_and_saveexec_b64 s[12:13], s[10:11]
	s_cbranch_execz .LBB581_202
.LBB581_253:
	v_sub_u32_e32 v15, v26, v5
	v_lshlrev_b32_e32 v15, 2, v15
	ds_write_b32 v15, v27
	s_or_b64 exec, exec, s[12:13]
	s_and_saveexec_b64 s[10:11], s[8:9]
	s_cbranch_execz .LBB581_203
.LBB581_254:
	v_sub_u32_e32 v15, v24, v5
	v_lshlrev_b32_e32 v15, 2, v15
	ds_write_b32 v15, v25
	s_or_b64 exec, exec, s[10:11]
	s_and_saveexec_b64 s[8:9], s[6:7]
	s_cbranch_execz .LBB581_204
.LBB581_255:
	v_sub_u32_e32 v15, v22, v5
	v_lshlrev_b32_e32 v15, 2, v15
	ds_write_b32 v15, v23
	s_or_b64 exec, exec, s[8:9]
	s_and_saveexec_b64 s[6:7], s[4:5]
	s_cbranch_execz .LBB581_205
.LBB581_256:
	v_sub_u32_e32 v15, v20, v5
	v_lshlrev_b32_e32 v15, 2, v15
	ds_write_b32 v15, v21
	s_or_b64 exec, exec, s[6:7]
	s_and_saveexec_b64 s[4:5], s[2:3]
	s_cbranch_execnz .LBB581_206
	s_branch .LBB581_207
	.section	.rodata,"a",@progbits
	.p2align	6, 0x0
	.amdhsa_kernel _ZN7rocprim17ROCPRIM_400000_NS6detail17trampoline_kernelINS0_14default_configENS1_33run_length_encode_config_selectorIsjNS0_4plusIjEEEEZZNS1_33reduce_by_key_impl_wrapped_configILNS1_25lookback_scan_determinismE0ES3_S7_PKsNS0_17constant_iteratorIjlEEPsPlSF_S6_NS0_8equal_toIsEEEE10hipError_tPvRmT2_T3_mT4_T5_T6_T7_T8_P12ihipStream_tbENKUlT_T0_E_clISt17integral_constantIbLb0EESZ_EEDaSU_SV_EUlSU_E_NS1_11comp_targetILNS1_3genE5ELNS1_11target_archE942ELNS1_3gpuE9ELNS1_3repE0EEENS1_30default_config_static_selectorELNS0_4arch9wavefront6targetE1EEEvT1_
		.amdhsa_group_segment_fixed_size 28672
		.amdhsa_private_segment_fixed_size 0
		.amdhsa_kernarg_size 128
		.amdhsa_user_sgpr_count 2
		.amdhsa_user_sgpr_dispatch_ptr 0
		.amdhsa_user_sgpr_queue_ptr 0
		.amdhsa_user_sgpr_kernarg_segment_ptr 1
		.amdhsa_user_sgpr_dispatch_id 0
		.amdhsa_user_sgpr_kernarg_preload_length 0
		.amdhsa_user_sgpr_kernarg_preload_offset 0
		.amdhsa_user_sgpr_private_segment_size 0
		.amdhsa_uses_dynamic_stack 0
		.amdhsa_enable_private_segment 0
		.amdhsa_system_sgpr_workgroup_id_x 1
		.amdhsa_system_sgpr_workgroup_id_y 0
		.amdhsa_system_sgpr_workgroup_id_z 0
		.amdhsa_system_sgpr_workgroup_info 0
		.amdhsa_system_vgpr_workitem_id 0
		.amdhsa_next_free_vgpr 105
		.amdhsa_next_free_sgpr 62
		.amdhsa_accum_offset 108
		.amdhsa_reserve_vcc 1
		.amdhsa_float_round_mode_32 0
		.amdhsa_float_round_mode_16_64 0
		.amdhsa_float_denorm_mode_32 3
		.amdhsa_float_denorm_mode_16_64 3
		.amdhsa_dx10_clamp 1
		.amdhsa_ieee_mode 1
		.amdhsa_fp16_overflow 0
		.amdhsa_tg_split 0
		.amdhsa_exception_fp_ieee_invalid_op 0
		.amdhsa_exception_fp_denorm_src 0
		.amdhsa_exception_fp_ieee_div_zero 0
		.amdhsa_exception_fp_ieee_overflow 0
		.amdhsa_exception_fp_ieee_underflow 0
		.amdhsa_exception_fp_ieee_inexact 0
		.amdhsa_exception_int_div_zero 0
	.end_amdhsa_kernel
	.section	.text._ZN7rocprim17ROCPRIM_400000_NS6detail17trampoline_kernelINS0_14default_configENS1_33run_length_encode_config_selectorIsjNS0_4plusIjEEEEZZNS1_33reduce_by_key_impl_wrapped_configILNS1_25lookback_scan_determinismE0ES3_S7_PKsNS0_17constant_iteratorIjlEEPsPlSF_S6_NS0_8equal_toIsEEEE10hipError_tPvRmT2_T3_mT4_T5_T6_T7_T8_P12ihipStream_tbENKUlT_T0_E_clISt17integral_constantIbLb0EESZ_EEDaSU_SV_EUlSU_E_NS1_11comp_targetILNS1_3genE5ELNS1_11target_archE942ELNS1_3gpuE9ELNS1_3repE0EEENS1_30default_config_static_selectorELNS0_4arch9wavefront6targetE1EEEvT1_,"axG",@progbits,_ZN7rocprim17ROCPRIM_400000_NS6detail17trampoline_kernelINS0_14default_configENS1_33run_length_encode_config_selectorIsjNS0_4plusIjEEEEZZNS1_33reduce_by_key_impl_wrapped_configILNS1_25lookback_scan_determinismE0ES3_S7_PKsNS0_17constant_iteratorIjlEEPsPlSF_S6_NS0_8equal_toIsEEEE10hipError_tPvRmT2_T3_mT4_T5_T6_T7_T8_P12ihipStream_tbENKUlT_T0_E_clISt17integral_constantIbLb0EESZ_EEDaSU_SV_EUlSU_E_NS1_11comp_targetILNS1_3genE5ELNS1_11target_archE942ELNS1_3gpuE9ELNS1_3repE0EEENS1_30default_config_static_selectorELNS0_4arch9wavefront6targetE1EEEvT1_,comdat
.Lfunc_end581:
	.size	_ZN7rocprim17ROCPRIM_400000_NS6detail17trampoline_kernelINS0_14default_configENS1_33run_length_encode_config_selectorIsjNS0_4plusIjEEEEZZNS1_33reduce_by_key_impl_wrapped_configILNS1_25lookback_scan_determinismE0ES3_S7_PKsNS0_17constant_iteratorIjlEEPsPlSF_S6_NS0_8equal_toIsEEEE10hipError_tPvRmT2_T3_mT4_T5_T6_T7_T8_P12ihipStream_tbENKUlT_T0_E_clISt17integral_constantIbLb0EESZ_EEDaSU_SV_EUlSU_E_NS1_11comp_targetILNS1_3genE5ELNS1_11target_archE942ELNS1_3gpuE9ELNS1_3repE0EEENS1_30default_config_static_selectorELNS0_4arch9wavefront6targetE1EEEvT1_, .Lfunc_end581-_ZN7rocprim17ROCPRIM_400000_NS6detail17trampoline_kernelINS0_14default_configENS1_33run_length_encode_config_selectorIsjNS0_4plusIjEEEEZZNS1_33reduce_by_key_impl_wrapped_configILNS1_25lookback_scan_determinismE0ES3_S7_PKsNS0_17constant_iteratorIjlEEPsPlSF_S6_NS0_8equal_toIsEEEE10hipError_tPvRmT2_T3_mT4_T5_T6_T7_T8_P12ihipStream_tbENKUlT_T0_E_clISt17integral_constantIbLb0EESZ_EEDaSU_SV_EUlSU_E_NS1_11comp_targetILNS1_3genE5ELNS1_11target_archE942ELNS1_3gpuE9ELNS1_3repE0EEENS1_30default_config_static_selectorELNS0_4arch9wavefront6targetE1EEEvT1_
                                        ; -- End function
	.section	.AMDGPU.csdata,"",@progbits
; Kernel info:
; codeLenInByte = 14212
; NumSgprs: 68
; NumVgprs: 105
; NumAgprs: 0
; TotalNumVgprs: 105
; ScratchSize: 0
; MemoryBound: 0
; FloatMode: 240
; IeeeMode: 1
; LDSByteSize: 28672 bytes/workgroup (compile time only)
; SGPRBlocks: 8
; VGPRBlocks: 13
; NumSGPRsForWavesPerEU: 68
; NumVGPRsForWavesPerEU: 105
; AccumOffset: 108
; Occupancy: 4
; WaveLimiterHint : 1
; COMPUTE_PGM_RSRC2:SCRATCH_EN: 0
; COMPUTE_PGM_RSRC2:USER_SGPR: 2
; COMPUTE_PGM_RSRC2:TRAP_HANDLER: 0
; COMPUTE_PGM_RSRC2:TGID_X_EN: 1
; COMPUTE_PGM_RSRC2:TGID_Y_EN: 0
; COMPUTE_PGM_RSRC2:TGID_Z_EN: 0
; COMPUTE_PGM_RSRC2:TIDIG_COMP_CNT: 0
; COMPUTE_PGM_RSRC3_GFX90A:ACCUM_OFFSET: 26
; COMPUTE_PGM_RSRC3_GFX90A:TG_SPLIT: 0
	.section	.text._ZN7rocprim17ROCPRIM_400000_NS6detail17trampoline_kernelINS0_14default_configENS1_33run_length_encode_config_selectorIsjNS0_4plusIjEEEEZZNS1_33reduce_by_key_impl_wrapped_configILNS1_25lookback_scan_determinismE0ES3_S7_PKsNS0_17constant_iteratorIjlEEPsPlSF_S6_NS0_8equal_toIsEEEE10hipError_tPvRmT2_T3_mT4_T5_T6_T7_T8_P12ihipStream_tbENKUlT_T0_E_clISt17integral_constantIbLb0EESZ_EEDaSU_SV_EUlSU_E_NS1_11comp_targetILNS1_3genE4ELNS1_11target_archE910ELNS1_3gpuE8ELNS1_3repE0EEENS1_30default_config_static_selectorELNS0_4arch9wavefront6targetE1EEEvT1_,"axG",@progbits,_ZN7rocprim17ROCPRIM_400000_NS6detail17trampoline_kernelINS0_14default_configENS1_33run_length_encode_config_selectorIsjNS0_4plusIjEEEEZZNS1_33reduce_by_key_impl_wrapped_configILNS1_25lookback_scan_determinismE0ES3_S7_PKsNS0_17constant_iteratorIjlEEPsPlSF_S6_NS0_8equal_toIsEEEE10hipError_tPvRmT2_T3_mT4_T5_T6_T7_T8_P12ihipStream_tbENKUlT_T0_E_clISt17integral_constantIbLb0EESZ_EEDaSU_SV_EUlSU_E_NS1_11comp_targetILNS1_3genE4ELNS1_11target_archE910ELNS1_3gpuE8ELNS1_3repE0EEENS1_30default_config_static_selectorELNS0_4arch9wavefront6targetE1EEEvT1_,comdat
	.protected	_ZN7rocprim17ROCPRIM_400000_NS6detail17trampoline_kernelINS0_14default_configENS1_33run_length_encode_config_selectorIsjNS0_4plusIjEEEEZZNS1_33reduce_by_key_impl_wrapped_configILNS1_25lookback_scan_determinismE0ES3_S7_PKsNS0_17constant_iteratorIjlEEPsPlSF_S6_NS0_8equal_toIsEEEE10hipError_tPvRmT2_T3_mT4_T5_T6_T7_T8_P12ihipStream_tbENKUlT_T0_E_clISt17integral_constantIbLb0EESZ_EEDaSU_SV_EUlSU_E_NS1_11comp_targetILNS1_3genE4ELNS1_11target_archE910ELNS1_3gpuE8ELNS1_3repE0EEENS1_30default_config_static_selectorELNS0_4arch9wavefront6targetE1EEEvT1_ ; -- Begin function _ZN7rocprim17ROCPRIM_400000_NS6detail17trampoline_kernelINS0_14default_configENS1_33run_length_encode_config_selectorIsjNS0_4plusIjEEEEZZNS1_33reduce_by_key_impl_wrapped_configILNS1_25lookback_scan_determinismE0ES3_S7_PKsNS0_17constant_iteratorIjlEEPsPlSF_S6_NS0_8equal_toIsEEEE10hipError_tPvRmT2_T3_mT4_T5_T6_T7_T8_P12ihipStream_tbENKUlT_T0_E_clISt17integral_constantIbLb0EESZ_EEDaSU_SV_EUlSU_E_NS1_11comp_targetILNS1_3genE4ELNS1_11target_archE910ELNS1_3gpuE8ELNS1_3repE0EEENS1_30default_config_static_selectorELNS0_4arch9wavefront6targetE1EEEvT1_
	.globl	_ZN7rocprim17ROCPRIM_400000_NS6detail17trampoline_kernelINS0_14default_configENS1_33run_length_encode_config_selectorIsjNS0_4plusIjEEEEZZNS1_33reduce_by_key_impl_wrapped_configILNS1_25lookback_scan_determinismE0ES3_S7_PKsNS0_17constant_iteratorIjlEEPsPlSF_S6_NS0_8equal_toIsEEEE10hipError_tPvRmT2_T3_mT4_T5_T6_T7_T8_P12ihipStream_tbENKUlT_T0_E_clISt17integral_constantIbLb0EESZ_EEDaSU_SV_EUlSU_E_NS1_11comp_targetILNS1_3genE4ELNS1_11target_archE910ELNS1_3gpuE8ELNS1_3repE0EEENS1_30default_config_static_selectorELNS0_4arch9wavefront6targetE1EEEvT1_
	.p2align	8
	.type	_ZN7rocprim17ROCPRIM_400000_NS6detail17trampoline_kernelINS0_14default_configENS1_33run_length_encode_config_selectorIsjNS0_4plusIjEEEEZZNS1_33reduce_by_key_impl_wrapped_configILNS1_25lookback_scan_determinismE0ES3_S7_PKsNS0_17constant_iteratorIjlEEPsPlSF_S6_NS0_8equal_toIsEEEE10hipError_tPvRmT2_T3_mT4_T5_T6_T7_T8_P12ihipStream_tbENKUlT_T0_E_clISt17integral_constantIbLb0EESZ_EEDaSU_SV_EUlSU_E_NS1_11comp_targetILNS1_3genE4ELNS1_11target_archE910ELNS1_3gpuE8ELNS1_3repE0EEENS1_30default_config_static_selectorELNS0_4arch9wavefront6targetE1EEEvT1_,@function
_ZN7rocprim17ROCPRIM_400000_NS6detail17trampoline_kernelINS0_14default_configENS1_33run_length_encode_config_selectorIsjNS0_4plusIjEEEEZZNS1_33reduce_by_key_impl_wrapped_configILNS1_25lookback_scan_determinismE0ES3_S7_PKsNS0_17constant_iteratorIjlEEPsPlSF_S6_NS0_8equal_toIsEEEE10hipError_tPvRmT2_T3_mT4_T5_T6_T7_T8_P12ihipStream_tbENKUlT_T0_E_clISt17integral_constantIbLb0EESZ_EEDaSU_SV_EUlSU_E_NS1_11comp_targetILNS1_3genE4ELNS1_11target_archE910ELNS1_3gpuE8ELNS1_3repE0EEENS1_30default_config_static_selectorELNS0_4arch9wavefront6targetE1EEEvT1_: ; @_ZN7rocprim17ROCPRIM_400000_NS6detail17trampoline_kernelINS0_14default_configENS1_33run_length_encode_config_selectorIsjNS0_4plusIjEEEEZZNS1_33reduce_by_key_impl_wrapped_configILNS1_25lookback_scan_determinismE0ES3_S7_PKsNS0_17constant_iteratorIjlEEPsPlSF_S6_NS0_8equal_toIsEEEE10hipError_tPvRmT2_T3_mT4_T5_T6_T7_T8_P12ihipStream_tbENKUlT_T0_E_clISt17integral_constantIbLb0EESZ_EEDaSU_SV_EUlSU_E_NS1_11comp_targetILNS1_3genE4ELNS1_11target_archE910ELNS1_3gpuE8ELNS1_3repE0EEENS1_30default_config_static_selectorELNS0_4arch9wavefront6targetE1EEEvT1_
; %bb.0:
	.section	.rodata,"a",@progbits
	.p2align	6, 0x0
	.amdhsa_kernel _ZN7rocprim17ROCPRIM_400000_NS6detail17trampoline_kernelINS0_14default_configENS1_33run_length_encode_config_selectorIsjNS0_4plusIjEEEEZZNS1_33reduce_by_key_impl_wrapped_configILNS1_25lookback_scan_determinismE0ES3_S7_PKsNS0_17constant_iteratorIjlEEPsPlSF_S6_NS0_8equal_toIsEEEE10hipError_tPvRmT2_T3_mT4_T5_T6_T7_T8_P12ihipStream_tbENKUlT_T0_E_clISt17integral_constantIbLb0EESZ_EEDaSU_SV_EUlSU_E_NS1_11comp_targetILNS1_3genE4ELNS1_11target_archE910ELNS1_3gpuE8ELNS1_3repE0EEENS1_30default_config_static_selectorELNS0_4arch9wavefront6targetE1EEEvT1_
		.amdhsa_group_segment_fixed_size 0
		.amdhsa_private_segment_fixed_size 0
		.amdhsa_kernarg_size 128
		.amdhsa_user_sgpr_count 2
		.amdhsa_user_sgpr_dispatch_ptr 0
		.amdhsa_user_sgpr_queue_ptr 0
		.amdhsa_user_sgpr_kernarg_segment_ptr 1
		.amdhsa_user_sgpr_dispatch_id 0
		.amdhsa_user_sgpr_kernarg_preload_length 0
		.amdhsa_user_sgpr_kernarg_preload_offset 0
		.amdhsa_user_sgpr_private_segment_size 0
		.amdhsa_uses_dynamic_stack 0
		.amdhsa_enable_private_segment 0
		.amdhsa_system_sgpr_workgroup_id_x 1
		.amdhsa_system_sgpr_workgroup_id_y 0
		.amdhsa_system_sgpr_workgroup_id_z 0
		.amdhsa_system_sgpr_workgroup_info 0
		.amdhsa_system_vgpr_workitem_id 0
		.amdhsa_next_free_vgpr 1
		.amdhsa_next_free_sgpr 0
		.amdhsa_accum_offset 4
		.amdhsa_reserve_vcc 0
		.amdhsa_float_round_mode_32 0
		.amdhsa_float_round_mode_16_64 0
		.amdhsa_float_denorm_mode_32 3
		.amdhsa_float_denorm_mode_16_64 3
		.amdhsa_dx10_clamp 1
		.amdhsa_ieee_mode 1
		.amdhsa_fp16_overflow 0
		.amdhsa_tg_split 0
		.amdhsa_exception_fp_ieee_invalid_op 0
		.amdhsa_exception_fp_denorm_src 0
		.amdhsa_exception_fp_ieee_div_zero 0
		.amdhsa_exception_fp_ieee_overflow 0
		.amdhsa_exception_fp_ieee_underflow 0
		.amdhsa_exception_fp_ieee_inexact 0
		.amdhsa_exception_int_div_zero 0
	.end_amdhsa_kernel
	.section	.text._ZN7rocprim17ROCPRIM_400000_NS6detail17trampoline_kernelINS0_14default_configENS1_33run_length_encode_config_selectorIsjNS0_4plusIjEEEEZZNS1_33reduce_by_key_impl_wrapped_configILNS1_25lookback_scan_determinismE0ES3_S7_PKsNS0_17constant_iteratorIjlEEPsPlSF_S6_NS0_8equal_toIsEEEE10hipError_tPvRmT2_T3_mT4_T5_T6_T7_T8_P12ihipStream_tbENKUlT_T0_E_clISt17integral_constantIbLb0EESZ_EEDaSU_SV_EUlSU_E_NS1_11comp_targetILNS1_3genE4ELNS1_11target_archE910ELNS1_3gpuE8ELNS1_3repE0EEENS1_30default_config_static_selectorELNS0_4arch9wavefront6targetE1EEEvT1_,"axG",@progbits,_ZN7rocprim17ROCPRIM_400000_NS6detail17trampoline_kernelINS0_14default_configENS1_33run_length_encode_config_selectorIsjNS0_4plusIjEEEEZZNS1_33reduce_by_key_impl_wrapped_configILNS1_25lookback_scan_determinismE0ES3_S7_PKsNS0_17constant_iteratorIjlEEPsPlSF_S6_NS0_8equal_toIsEEEE10hipError_tPvRmT2_T3_mT4_T5_T6_T7_T8_P12ihipStream_tbENKUlT_T0_E_clISt17integral_constantIbLb0EESZ_EEDaSU_SV_EUlSU_E_NS1_11comp_targetILNS1_3genE4ELNS1_11target_archE910ELNS1_3gpuE8ELNS1_3repE0EEENS1_30default_config_static_selectorELNS0_4arch9wavefront6targetE1EEEvT1_,comdat
.Lfunc_end582:
	.size	_ZN7rocprim17ROCPRIM_400000_NS6detail17trampoline_kernelINS0_14default_configENS1_33run_length_encode_config_selectorIsjNS0_4plusIjEEEEZZNS1_33reduce_by_key_impl_wrapped_configILNS1_25lookback_scan_determinismE0ES3_S7_PKsNS0_17constant_iteratorIjlEEPsPlSF_S6_NS0_8equal_toIsEEEE10hipError_tPvRmT2_T3_mT4_T5_T6_T7_T8_P12ihipStream_tbENKUlT_T0_E_clISt17integral_constantIbLb0EESZ_EEDaSU_SV_EUlSU_E_NS1_11comp_targetILNS1_3genE4ELNS1_11target_archE910ELNS1_3gpuE8ELNS1_3repE0EEENS1_30default_config_static_selectorELNS0_4arch9wavefront6targetE1EEEvT1_, .Lfunc_end582-_ZN7rocprim17ROCPRIM_400000_NS6detail17trampoline_kernelINS0_14default_configENS1_33run_length_encode_config_selectorIsjNS0_4plusIjEEEEZZNS1_33reduce_by_key_impl_wrapped_configILNS1_25lookback_scan_determinismE0ES3_S7_PKsNS0_17constant_iteratorIjlEEPsPlSF_S6_NS0_8equal_toIsEEEE10hipError_tPvRmT2_T3_mT4_T5_T6_T7_T8_P12ihipStream_tbENKUlT_T0_E_clISt17integral_constantIbLb0EESZ_EEDaSU_SV_EUlSU_E_NS1_11comp_targetILNS1_3genE4ELNS1_11target_archE910ELNS1_3gpuE8ELNS1_3repE0EEENS1_30default_config_static_selectorELNS0_4arch9wavefront6targetE1EEEvT1_
                                        ; -- End function
	.section	.AMDGPU.csdata,"",@progbits
; Kernel info:
; codeLenInByte = 0
; NumSgprs: 6
; NumVgprs: 0
; NumAgprs: 0
; TotalNumVgprs: 0
; ScratchSize: 0
; MemoryBound: 0
; FloatMode: 240
; IeeeMode: 1
; LDSByteSize: 0 bytes/workgroup (compile time only)
; SGPRBlocks: 0
; VGPRBlocks: 0
; NumSGPRsForWavesPerEU: 6
; NumVGPRsForWavesPerEU: 1
; AccumOffset: 4
; Occupancy: 8
; WaveLimiterHint : 0
; COMPUTE_PGM_RSRC2:SCRATCH_EN: 0
; COMPUTE_PGM_RSRC2:USER_SGPR: 2
; COMPUTE_PGM_RSRC2:TRAP_HANDLER: 0
; COMPUTE_PGM_RSRC2:TGID_X_EN: 1
; COMPUTE_PGM_RSRC2:TGID_Y_EN: 0
; COMPUTE_PGM_RSRC2:TGID_Z_EN: 0
; COMPUTE_PGM_RSRC2:TIDIG_COMP_CNT: 0
; COMPUTE_PGM_RSRC3_GFX90A:ACCUM_OFFSET: 0
; COMPUTE_PGM_RSRC3_GFX90A:TG_SPLIT: 0
	.section	.text._ZN7rocprim17ROCPRIM_400000_NS6detail17trampoline_kernelINS0_14default_configENS1_33run_length_encode_config_selectorIsjNS0_4plusIjEEEEZZNS1_33reduce_by_key_impl_wrapped_configILNS1_25lookback_scan_determinismE0ES3_S7_PKsNS0_17constant_iteratorIjlEEPsPlSF_S6_NS0_8equal_toIsEEEE10hipError_tPvRmT2_T3_mT4_T5_T6_T7_T8_P12ihipStream_tbENKUlT_T0_E_clISt17integral_constantIbLb0EESZ_EEDaSU_SV_EUlSU_E_NS1_11comp_targetILNS1_3genE3ELNS1_11target_archE908ELNS1_3gpuE7ELNS1_3repE0EEENS1_30default_config_static_selectorELNS0_4arch9wavefront6targetE1EEEvT1_,"axG",@progbits,_ZN7rocprim17ROCPRIM_400000_NS6detail17trampoline_kernelINS0_14default_configENS1_33run_length_encode_config_selectorIsjNS0_4plusIjEEEEZZNS1_33reduce_by_key_impl_wrapped_configILNS1_25lookback_scan_determinismE0ES3_S7_PKsNS0_17constant_iteratorIjlEEPsPlSF_S6_NS0_8equal_toIsEEEE10hipError_tPvRmT2_T3_mT4_T5_T6_T7_T8_P12ihipStream_tbENKUlT_T0_E_clISt17integral_constantIbLb0EESZ_EEDaSU_SV_EUlSU_E_NS1_11comp_targetILNS1_3genE3ELNS1_11target_archE908ELNS1_3gpuE7ELNS1_3repE0EEENS1_30default_config_static_selectorELNS0_4arch9wavefront6targetE1EEEvT1_,comdat
	.protected	_ZN7rocprim17ROCPRIM_400000_NS6detail17trampoline_kernelINS0_14default_configENS1_33run_length_encode_config_selectorIsjNS0_4plusIjEEEEZZNS1_33reduce_by_key_impl_wrapped_configILNS1_25lookback_scan_determinismE0ES3_S7_PKsNS0_17constant_iteratorIjlEEPsPlSF_S6_NS0_8equal_toIsEEEE10hipError_tPvRmT2_T3_mT4_T5_T6_T7_T8_P12ihipStream_tbENKUlT_T0_E_clISt17integral_constantIbLb0EESZ_EEDaSU_SV_EUlSU_E_NS1_11comp_targetILNS1_3genE3ELNS1_11target_archE908ELNS1_3gpuE7ELNS1_3repE0EEENS1_30default_config_static_selectorELNS0_4arch9wavefront6targetE1EEEvT1_ ; -- Begin function _ZN7rocprim17ROCPRIM_400000_NS6detail17trampoline_kernelINS0_14default_configENS1_33run_length_encode_config_selectorIsjNS0_4plusIjEEEEZZNS1_33reduce_by_key_impl_wrapped_configILNS1_25lookback_scan_determinismE0ES3_S7_PKsNS0_17constant_iteratorIjlEEPsPlSF_S6_NS0_8equal_toIsEEEE10hipError_tPvRmT2_T3_mT4_T5_T6_T7_T8_P12ihipStream_tbENKUlT_T0_E_clISt17integral_constantIbLb0EESZ_EEDaSU_SV_EUlSU_E_NS1_11comp_targetILNS1_3genE3ELNS1_11target_archE908ELNS1_3gpuE7ELNS1_3repE0EEENS1_30default_config_static_selectorELNS0_4arch9wavefront6targetE1EEEvT1_
	.globl	_ZN7rocprim17ROCPRIM_400000_NS6detail17trampoline_kernelINS0_14default_configENS1_33run_length_encode_config_selectorIsjNS0_4plusIjEEEEZZNS1_33reduce_by_key_impl_wrapped_configILNS1_25lookback_scan_determinismE0ES3_S7_PKsNS0_17constant_iteratorIjlEEPsPlSF_S6_NS0_8equal_toIsEEEE10hipError_tPvRmT2_T3_mT4_T5_T6_T7_T8_P12ihipStream_tbENKUlT_T0_E_clISt17integral_constantIbLb0EESZ_EEDaSU_SV_EUlSU_E_NS1_11comp_targetILNS1_3genE3ELNS1_11target_archE908ELNS1_3gpuE7ELNS1_3repE0EEENS1_30default_config_static_selectorELNS0_4arch9wavefront6targetE1EEEvT1_
	.p2align	8
	.type	_ZN7rocprim17ROCPRIM_400000_NS6detail17trampoline_kernelINS0_14default_configENS1_33run_length_encode_config_selectorIsjNS0_4plusIjEEEEZZNS1_33reduce_by_key_impl_wrapped_configILNS1_25lookback_scan_determinismE0ES3_S7_PKsNS0_17constant_iteratorIjlEEPsPlSF_S6_NS0_8equal_toIsEEEE10hipError_tPvRmT2_T3_mT4_T5_T6_T7_T8_P12ihipStream_tbENKUlT_T0_E_clISt17integral_constantIbLb0EESZ_EEDaSU_SV_EUlSU_E_NS1_11comp_targetILNS1_3genE3ELNS1_11target_archE908ELNS1_3gpuE7ELNS1_3repE0EEENS1_30default_config_static_selectorELNS0_4arch9wavefront6targetE1EEEvT1_,@function
_ZN7rocprim17ROCPRIM_400000_NS6detail17trampoline_kernelINS0_14default_configENS1_33run_length_encode_config_selectorIsjNS0_4plusIjEEEEZZNS1_33reduce_by_key_impl_wrapped_configILNS1_25lookback_scan_determinismE0ES3_S7_PKsNS0_17constant_iteratorIjlEEPsPlSF_S6_NS0_8equal_toIsEEEE10hipError_tPvRmT2_T3_mT4_T5_T6_T7_T8_P12ihipStream_tbENKUlT_T0_E_clISt17integral_constantIbLb0EESZ_EEDaSU_SV_EUlSU_E_NS1_11comp_targetILNS1_3genE3ELNS1_11target_archE908ELNS1_3gpuE7ELNS1_3repE0EEENS1_30default_config_static_selectorELNS0_4arch9wavefront6targetE1EEEvT1_: ; @_ZN7rocprim17ROCPRIM_400000_NS6detail17trampoline_kernelINS0_14default_configENS1_33run_length_encode_config_selectorIsjNS0_4plusIjEEEEZZNS1_33reduce_by_key_impl_wrapped_configILNS1_25lookback_scan_determinismE0ES3_S7_PKsNS0_17constant_iteratorIjlEEPsPlSF_S6_NS0_8equal_toIsEEEE10hipError_tPvRmT2_T3_mT4_T5_T6_T7_T8_P12ihipStream_tbENKUlT_T0_E_clISt17integral_constantIbLb0EESZ_EEDaSU_SV_EUlSU_E_NS1_11comp_targetILNS1_3genE3ELNS1_11target_archE908ELNS1_3gpuE7ELNS1_3repE0EEENS1_30default_config_static_selectorELNS0_4arch9wavefront6targetE1EEEvT1_
; %bb.0:
	.section	.rodata,"a",@progbits
	.p2align	6, 0x0
	.amdhsa_kernel _ZN7rocprim17ROCPRIM_400000_NS6detail17trampoline_kernelINS0_14default_configENS1_33run_length_encode_config_selectorIsjNS0_4plusIjEEEEZZNS1_33reduce_by_key_impl_wrapped_configILNS1_25lookback_scan_determinismE0ES3_S7_PKsNS0_17constant_iteratorIjlEEPsPlSF_S6_NS0_8equal_toIsEEEE10hipError_tPvRmT2_T3_mT4_T5_T6_T7_T8_P12ihipStream_tbENKUlT_T0_E_clISt17integral_constantIbLb0EESZ_EEDaSU_SV_EUlSU_E_NS1_11comp_targetILNS1_3genE3ELNS1_11target_archE908ELNS1_3gpuE7ELNS1_3repE0EEENS1_30default_config_static_selectorELNS0_4arch9wavefront6targetE1EEEvT1_
		.amdhsa_group_segment_fixed_size 0
		.amdhsa_private_segment_fixed_size 0
		.amdhsa_kernarg_size 128
		.amdhsa_user_sgpr_count 2
		.amdhsa_user_sgpr_dispatch_ptr 0
		.amdhsa_user_sgpr_queue_ptr 0
		.amdhsa_user_sgpr_kernarg_segment_ptr 1
		.amdhsa_user_sgpr_dispatch_id 0
		.amdhsa_user_sgpr_kernarg_preload_length 0
		.amdhsa_user_sgpr_kernarg_preload_offset 0
		.amdhsa_user_sgpr_private_segment_size 0
		.amdhsa_uses_dynamic_stack 0
		.amdhsa_enable_private_segment 0
		.amdhsa_system_sgpr_workgroup_id_x 1
		.amdhsa_system_sgpr_workgroup_id_y 0
		.amdhsa_system_sgpr_workgroup_id_z 0
		.amdhsa_system_sgpr_workgroup_info 0
		.amdhsa_system_vgpr_workitem_id 0
		.amdhsa_next_free_vgpr 1
		.amdhsa_next_free_sgpr 0
		.amdhsa_accum_offset 4
		.amdhsa_reserve_vcc 0
		.amdhsa_float_round_mode_32 0
		.amdhsa_float_round_mode_16_64 0
		.amdhsa_float_denorm_mode_32 3
		.amdhsa_float_denorm_mode_16_64 3
		.amdhsa_dx10_clamp 1
		.amdhsa_ieee_mode 1
		.amdhsa_fp16_overflow 0
		.amdhsa_tg_split 0
		.amdhsa_exception_fp_ieee_invalid_op 0
		.amdhsa_exception_fp_denorm_src 0
		.amdhsa_exception_fp_ieee_div_zero 0
		.amdhsa_exception_fp_ieee_overflow 0
		.amdhsa_exception_fp_ieee_underflow 0
		.amdhsa_exception_fp_ieee_inexact 0
		.amdhsa_exception_int_div_zero 0
	.end_amdhsa_kernel
	.section	.text._ZN7rocprim17ROCPRIM_400000_NS6detail17trampoline_kernelINS0_14default_configENS1_33run_length_encode_config_selectorIsjNS0_4plusIjEEEEZZNS1_33reduce_by_key_impl_wrapped_configILNS1_25lookback_scan_determinismE0ES3_S7_PKsNS0_17constant_iteratorIjlEEPsPlSF_S6_NS0_8equal_toIsEEEE10hipError_tPvRmT2_T3_mT4_T5_T6_T7_T8_P12ihipStream_tbENKUlT_T0_E_clISt17integral_constantIbLb0EESZ_EEDaSU_SV_EUlSU_E_NS1_11comp_targetILNS1_3genE3ELNS1_11target_archE908ELNS1_3gpuE7ELNS1_3repE0EEENS1_30default_config_static_selectorELNS0_4arch9wavefront6targetE1EEEvT1_,"axG",@progbits,_ZN7rocprim17ROCPRIM_400000_NS6detail17trampoline_kernelINS0_14default_configENS1_33run_length_encode_config_selectorIsjNS0_4plusIjEEEEZZNS1_33reduce_by_key_impl_wrapped_configILNS1_25lookback_scan_determinismE0ES3_S7_PKsNS0_17constant_iteratorIjlEEPsPlSF_S6_NS0_8equal_toIsEEEE10hipError_tPvRmT2_T3_mT4_T5_T6_T7_T8_P12ihipStream_tbENKUlT_T0_E_clISt17integral_constantIbLb0EESZ_EEDaSU_SV_EUlSU_E_NS1_11comp_targetILNS1_3genE3ELNS1_11target_archE908ELNS1_3gpuE7ELNS1_3repE0EEENS1_30default_config_static_selectorELNS0_4arch9wavefront6targetE1EEEvT1_,comdat
.Lfunc_end583:
	.size	_ZN7rocprim17ROCPRIM_400000_NS6detail17trampoline_kernelINS0_14default_configENS1_33run_length_encode_config_selectorIsjNS0_4plusIjEEEEZZNS1_33reduce_by_key_impl_wrapped_configILNS1_25lookback_scan_determinismE0ES3_S7_PKsNS0_17constant_iteratorIjlEEPsPlSF_S6_NS0_8equal_toIsEEEE10hipError_tPvRmT2_T3_mT4_T5_T6_T7_T8_P12ihipStream_tbENKUlT_T0_E_clISt17integral_constantIbLb0EESZ_EEDaSU_SV_EUlSU_E_NS1_11comp_targetILNS1_3genE3ELNS1_11target_archE908ELNS1_3gpuE7ELNS1_3repE0EEENS1_30default_config_static_selectorELNS0_4arch9wavefront6targetE1EEEvT1_, .Lfunc_end583-_ZN7rocprim17ROCPRIM_400000_NS6detail17trampoline_kernelINS0_14default_configENS1_33run_length_encode_config_selectorIsjNS0_4plusIjEEEEZZNS1_33reduce_by_key_impl_wrapped_configILNS1_25lookback_scan_determinismE0ES3_S7_PKsNS0_17constant_iteratorIjlEEPsPlSF_S6_NS0_8equal_toIsEEEE10hipError_tPvRmT2_T3_mT4_T5_T6_T7_T8_P12ihipStream_tbENKUlT_T0_E_clISt17integral_constantIbLb0EESZ_EEDaSU_SV_EUlSU_E_NS1_11comp_targetILNS1_3genE3ELNS1_11target_archE908ELNS1_3gpuE7ELNS1_3repE0EEENS1_30default_config_static_selectorELNS0_4arch9wavefront6targetE1EEEvT1_
                                        ; -- End function
	.section	.AMDGPU.csdata,"",@progbits
; Kernel info:
; codeLenInByte = 0
; NumSgprs: 6
; NumVgprs: 0
; NumAgprs: 0
; TotalNumVgprs: 0
; ScratchSize: 0
; MemoryBound: 0
; FloatMode: 240
; IeeeMode: 1
; LDSByteSize: 0 bytes/workgroup (compile time only)
; SGPRBlocks: 0
; VGPRBlocks: 0
; NumSGPRsForWavesPerEU: 6
; NumVGPRsForWavesPerEU: 1
; AccumOffset: 4
; Occupancy: 8
; WaveLimiterHint : 0
; COMPUTE_PGM_RSRC2:SCRATCH_EN: 0
; COMPUTE_PGM_RSRC2:USER_SGPR: 2
; COMPUTE_PGM_RSRC2:TRAP_HANDLER: 0
; COMPUTE_PGM_RSRC2:TGID_X_EN: 1
; COMPUTE_PGM_RSRC2:TGID_Y_EN: 0
; COMPUTE_PGM_RSRC2:TGID_Z_EN: 0
; COMPUTE_PGM_RSRC2:TIDIG_COMP_CNT: 0
; COMPUTE_PGM_RSRC3_GFX90A:ACCUM_OFFSET: 0
; COMPUTE_PGM_RSRC3_GFX90A:TG_SPLIT: 0
	.section	.text._ZN7rocprim17ROCPRIM_400000_NS6detail17trampoline_kernelINS0_14default_configENS1_33run_length_encode_config_selectorIsjNS0_4plusIjEEEEZZNS1_33reduce_by_key_impl_wrapped_configILNS1_25lookback_scan_determinismE0ES3_S7_PKsNS0_17constant_iteratorIjlEEPsPlSF_S6_NS0_8equal_toIsEEEE10hipError_tPvRmT2_T3_mT4_T5_T6_T7_T8_P12ihipStream_tbENKUlT_T0_E_clISt17integral_constantIbLb0EESZ_EEDaSU_SV_EUlSU_E_NS1_11comp_targetILNS1_3genE2ELNS1_11target_archE906ELNS1_3gpuE6ELNS1_3repE0EEENS1_30default_config_static_selectorELNS0_4arch9wavefront6targetE1EEEvT1_,"axG",@progbits,_ZN7rocprim17ROCPRIM_400000_NS6detail17trampoline_kernelINS0_14default_configENS1_33run_length_encode_config_selectorIsjNS0_4plusIjEEEEZZNS1_33reduce_by_key_impl_wrapped_configILNS1_25lookback_scan_determinismE0ES3_S7_PKsNS0_17constant_iteratorIjlEEPsPlSF_S6_NS0_8equal_toIsEEEE10hipError_tPvRmT2_T3_mT4_T5_T6_T7_T8_P12ihipStream_tbENKUlT_T0_E_clISt17integral_constantIbLb0EESZ_EEDaSU_SV_EUlSU_E_NS1_11comp_targetILNS1_3genE2ELNS1_11target_archE906ELNS1_3gpuE6ELNS1_3repE0EEENS1_30default_config_static_selectorELNS0_4arch9wavefront6targetE1EEEvT1_,comdat
	.protected	_ZN7rocprim17ROCPRIM_400000_NS6detail17trampoline_kernelINS0_14default_configENS1_33run_length_encode_config_selectorIsjNS0_4plusIjEEEEZZNS1_33reduce_by_key_impl_wrapped_configILNS1_25lookback_scan_determinismE0ES3_S7_PKsNS0_17constant_iteratorIjlEEPsPlSF_S6_NS0_8equal_toIsEEEE10hipError_tPvRmT2_T3_mT4_T5_T6_T7_T8_P12ihipStream_tbENKUlT_T0_E_clISt17integral_constantIbLb0EESZ_EEDaSU_SV_EUlSU_E_NS1_11comp_targetILNS1_3genE2ELNS1_11target_archE906ELNS1_3gpuE6ELNS1_3repE0EEENS1_30default_config_static_selectorELNS0_4arch9wavefront6targetE1EEEvT1_ ; -- Begin function _ZN7rocprim17ROCPRIM_400000_NS6detail17trampoline_kernelINS0_14default_configENS1_33run_length_encode_config_selectorIsjNS0_4plusIjEEEEZZNS1_33reduce_by_key_impl_wrapped_configILNS1_25lookback_scan_determinismE0ES3_S7_PKsNS0_17constant_iteratorIjlEEPsPlSF_S6_NS0_8equal_toIsEEEE10hipError_tPvRmT2_T3_mT4_T5_T6_T7_T8_P12ihipStream_tbENKUlT_T0_E_clISt17integral_constantIbLb0EESZ_EEDaSU_SV_EUlSU_E_NS1_11comp_targetILNS1_3genE2ELNS1_11target_archE906ELNS1_3gpuE6ELNS1_3repE0EEENS1_30default_config_static_selectorELNS0_4arch9wavefront6targetE1EEEvT1_
	.globl	_ZN7rocprim17ROCPRIM_400000_NS6detail17trampoline_kernelINS0_14default_configENS1_33run_length_encode_config_selectorIsjNS0_4plusIjEEEEZZNS1_33reduce_by_key_impl_wrapped_configILNS1_25lookback_scan_determinismE0ES3_S7_PKsNS0_17constant_iteratorIjlEEPsPlSF_S6_NS0_8equal_toIsEEEE10hipError_tPvRmT2_T3_mT4_T5_T6_T7_T8_P12ihipStream_tbENKUlT_T0_E_clISt17integral_constantIbLb0EESZ_EEDaSU_SV_EUlSU_E_NS1_11comp_targetILNS1_3genE2ELNS1_11target_archE906ELNS1_3gpuE6ELNS1_3repE0EEENS1_30default_config_static_selectorELNS0_4arch9wavefront6targetE1EEEvT1_
	.p2align	8
	.type	_ZN7rocprim17ROCPRIM_400000_NS6detail17trampoline_kernelINS0_14default_configENS1_33run_length_encode_config_selectorIsjNS0_4plusIjEEEEZZNS1_33reduce_by_key_impl_wrapped_configILNS1_25lookback_scan_determinismE0ES3_S7_PKsNS0_17constant_iteratorIjlEEPsPlSF_S6_NS0_8equal_toIsEEEE10hipError_tPvRmT2_T3_mT4_T5_T6_T7_T8_P12ihipStream_tbENKUlT_T0_E_clISt17integral_constantIbLb0EESZ_EEDaSU_SV_EUlSU_E_NS1_11comp_targetILNS1_3genE2ELNS1_11target_archE906ELNS1_3gpuE6ELNS1_3repE0EEENS1_30default_config_static_selectorELNS0_4arch9wavefront6targetE1EEEvT1_,@function
_ZN7rocprim17ROCPRIM_400000_NS6detail17trampoline_kernelINS0_14default_configENS1_33run_length_encode_config_selectorIsjNS0_4plusIjEEEEZZNS1_33reduce_by_key_impl_wrapped_configILNS1_25lookback_scan_determinismE0ES3_S7_PKsNS0_17constant_iteratorIjlEEPsPlSF_S6_NS0_8equal_toIsEEEE10hipError_tPvRmT2_T3_mT4_T5_T6_T7_T8_P12ihipStream_tbENKUlT_T0_E_clISt17integral_constantIbLb0EESZ_EEDaSU_SV_EUlSU_E_NS1_11comp_targetILNS1_3genE2ELNS1_11target_archE906ELNS1_3gpuE6ELNS1_3repE0EEENS1_30default_config_static_selectorELNS0_4arch9wavefront6targetE1EEEvT1_: ; @_ZN7rocprim17ROCPRIM_400000_NS6detail17trampoline_kernelINS0_14default_configENS1_33run_length_encode_config_selectorIsjNS0_4plusIjEEEEZZNS1_33reduce_by_key_impl_wrapped_configILNS1_25lookback_scan_determinismE0ES3_S7_PKsNS0_17constant_iteratorIjlEEPsPlSF_S6_NS0_8equal_toIsEEEE10hipError_tPvRmT2_T3_mT4_T5_T6_T7_T8_P12ihipStream_tbENKUlT_T0_E_clISt17integral_constantIbLb0EESZ_EEDaSU_SV_EUlSU_E_NS1_11comp_targetILNS1_3genE2ELNS1_11target_archE906ELNS1_3gpuE6ELNS1_3repE0EEENS1_30default_config_static_selectorELNS0_4arch9wavefront6targetE1EEEvT1_
; %bb.0:
	.section	.rodata,"a",@progbits
	.p2align	6, 0x0
	.amdhsa_kernel _ZN7rocprim17ROCPRIM_400000_NS6detail17trampoline_kernelINS0_14default_configENS1_33run_length_encode_config_selectorIsjNS0_4plusIjEEEEZZNS1_33reduce_by_key_impl_wrapped_configILNS1_25lookback_scan_determinismE0ES3_S7_PKsNS0_17constant_iteratorIjlEEPsPlSF_S6_NS0_8equal_toIsEEEE10hipError_tPvRmT2_T3_mT4_T5_T6_T7_T8_P12ihipStream_tbENKUlT_T0_E_clISt17integral_constantIbLb0EESZ_EEDaSU_SV_EUlSU_E_NS1_11comp_targetILNS1_3genE2ELNS1_11target_archE906ELNS1_3gpuE6ELNS1_3repE0EEENS1_30default_config_static_selectorELNS0_4arch9wavefront6targetE1EEEvT1_
		.amdhsa_group_segment_fixed_size 0
		.amdhsa_private_segment_fixed_size 0
		.amdhsa_kernarg_size 128
		.amdhsa_user_sgpr_count 2
		.amdhsa_user_sgpr_dispatch_ptr 0
		.amdhsa_user_sgpr_queue_ptr 0
		.amdhsa_user_sgpr_kernarg_segment_ptr 1
		.amdhsa_user_sgpr_dispatch_id 0
		.amdhsa_user_sgpr_kernarg_preload_length 0
		.amdhsa_user_sgpr_kernarg_preload_offset 0
		.amdhsa_user_sgpr_private_segment_size 0
		.amdhsa_uses_dynamic_stack 0
		.amdhsa_enable_private_segment 0
		.amdhsa_system_sgpr_workgroup_id_x 1
		.amdhsa_system_sgpr_workgroup_id_y 0
		.amdhsa_system_sgpr_workgroup_id_z 0
		.amdhsa_system_sgpr_workgroup_info 0
		.amdhsa_system_vgpr_workitem_id 0
		.amdhsa_next_free_vgpr 1
		.amdhsa_next_free_sgpr 0
		.amdhsa_accum_offset 4
		.amdhsa_reserve_vcc 0
		.amdhsa_float_round_mode_32 0
		.amdhsa_float_round_mode_16_64 0
		.amdhsa_float_denorm_mode_32 3
		.amdhsa_float_denorm_mode_16_64 3
		.amdhsa_dx10_clamp 1
		.amdhsa_ieee_mode 1
		.amdhsa_fp16_overflow 0
		.amdhsa_tg_split 0
		.amdhsa_exception_fp_ieee_invalid_op 0
		.amdhsa_exception_fp_denorm_src 0
		.amdhsa_exception_fp_ieee_div_zero 0
		.amdhsa_exception_fp_ieee_overflow 0
		.amdhsa_exception_fp_ieee_underflow 0
		.amdhsa_exception_fp_ieee_inexact 0
		.amdhsa_exception_int_div_zero 0
	.end_amdhsa_kernel
	.section	.text._ZN7rocprim17ROCPRIM_400000_NS6detail17trampoline_kernelINS0_14default_configENS1_33run_length_encode_config_selectorIsjNS0_4plusIjEEEEZZNS1_33reduce_by_key_impl_wrapped_configILNS1_25lookback_scan_determinismE0ES3_S7_PKsNS0_17constant_iteratorIjlEEPsPlSF_S6_NS0_8equal_toIsEEEE10hipError_tPvRmT2_T3_mT4_T5_T6_T7_T8_P12ihipStream_tbENKUlT_T0_E_clISt17integral_constantIbLb0EESZ_EEDaSU_SV_EUlSU_E_NS1_11comp_targetILNS1_3genE2ELNS1_11target_archE906ELNS1_3gpuE6ELNS1_3repE0EEENS1_30default_config_static_selectorELNS0_4arch9wavefront6targetE1EEEvT1_,"axG",@progbits,_ZN7rocprim17ROCPRIM_400000_NS6detail17trampoline_kernelINS0_14default_configENS1_33run_length_encode_config_selectorIsjNS0_4plusIjEEEEZZNS1_33reduce_by_key_impl_wrapped_configILNS1_25lookback_scan_determinismE0ES3_S7_PKsNS0_17constant_iteratorIjlEEPsPlSF_S6_NS0_8equal_toIsEEEE10hipError_tPvRmT2_T3_mT4_T5_T6_T7_T8_P12ihipStream_tbENKUlT_T0_E_clISt17integral_constantIbLb0EESZ_EEDaSU_SV_EUlSU_E_NS1_11comp_targetILNS1_3genE2ELNS1_11target_archE906ELNS1_3gpuE6ELNS1_3repE0EEENS1_30default_config_static_selectorELNS0_4arch9wavefront6targetE1EEEvT1_,comdat
.Lfunc_end584:
	.size	_ZN7rocprim17ROCPRIM_400000_NS6detail17trampoline_kernelINS0_14default_configENS1_33run_length_encode_config_selectorIsjNS0_4plusIjEEEEZZNS1_33reduce_by_key_impl_wrapped_configILNS1_25lookback_scan_determinismE0ES3_S7_PKsNS0_17constant_iteratorIjlEEPsPlSF_S6_NS0_8equal_toIsEEEE10hipError_tPvRmT2_T3_mT4_T5_T6_T7_T8_P12ihipStream_tbENKUlT_T0_E_clISt17integral_constantIbLb0EESZ_EEDaSU_SV_EUlSU_E_NS1_11comp_targetILNS1_3genE2ELNS1_11target_archE906ELNS1_3gpuE6ELNS1_3repE0EEENS1_30default_config_static_selectorELNS0_4arch9wavefront6targetE1EEEvT1_, .Lfunc_end584-_ZN7rocprim17ROCPRIM_400000_NS6detail17trampoline_kernelINS0_14default_configENS1_33run_length_encode_config_selectorIsjNS0_4plusIjEEEEZZNS1_33reduce_by_key_impl_wrapped_configILNS1_25lookback_scan_determinismE0ES3_S7_PKsNS0_17constant_iteratorIjlEEPsPlSF_S6_NS0_8equal_toIsEEEE10hipError_tPvRmT2_T3_mT4_T5_T6_T7_T8_P12ihipStream_tbENKUlT_T0_E_clISt17integral_constantIbLb0EESZ_EEDaSU_SV_EUlSU_E_NS1_11comp_targetILNS1_3genE2ELNS1_11target_archE906ELNS1_3gpuE6ELNS1_3repE0EEENS1_30default_config_static_selectorELNS0_4arch9wavefront6targetE1EEEvT1_
                                        ; -- End function
	.section	.AMDGPU.csdata,"",@progbits
; Kernel info:
; codeLenInByte = 0
; NumSgprs: 6
; NumVgprs: 0
; NumAgprs: 0
; TotalNumVgprs: 0
; ScratchSize: 0
; MemoryBound: 0
; FloatMode: 240
; IeeeMode: 1
; LDSByteSize: 0 bytes/workgroup (compile time only)
; SGPRBlocks: 0
; VGPRBlocks: 0
; NumSGPRsForWavesPerEU: 6
; NumVGPRsForWavesPerEU: 1
; AccumOffset: 4
; Occupancy: 8
; WaveLimiterHint : 0
; COMPUTE_PGM_RSRC2:SCRATCH_EN: 0
; COMPUTE_PGM_RSRC2:USER_SGPR: 2
; COMPUTE_PGM_RSRC2:TRAP_HANDLER: 0
; COMPUTE_PGM_RSRC2:TGID_X_EN: 1
; COMPUTE_PGM_RSRC2:TGID_Y_EN: 0
; COMPUTE_PGM_RSRC2:TGID_Z_EN: 0
; COMPUTE_PGM_RSRC2:TIDIG_COMP_CNT: 0
; COMPUTE_PGM_RSRC3_GFX90A:ACCUM_OFFSET: 0
; COMPUTE_PGM_RSRC3_GFX90A:TG_SPLIT: 0
	.section	.text._ZN7rocprim17ROCPRIM_400000_NS6detail17trampoline_kernelINS0_14default_configENS1_33run_length_encode_config_selectorIsjNS0_4plusIjEEEEZZNS1_33reduce_by_key_impl_wrapped_configILNS1_25lookback_scan_determinismE0ES3_S7_PKsNS0_17constant_iteratorIjlEEPsPlSF_S6_NS0_8equal_toIsEEEE10hipError_tPvRmT2_T3_mT4_T5_T6_T7_T8_P12ihipStream_tbENKUlT_T0_E_clISt17integral_constantIbLb0EESZ_EEDaSU_SV_EUlSU_E_NS1_11comp_targetILNS1_3genE10ELNS1_11target_archE1201ELNS1_3gpuE5ELNS1_3repE0EEENS1_30default_config_static_selectorELNS0_4arch9wavefront6targetE1EEEvT1_,"axG",@progbits,_ZN7rocprim17ROCPRIM_400000_NS6detail17trampoline_kernelINS0_14default_configENS1_33run_length_encode_config_selectorIsjNS0_4plusIjEEEEZZNS1_33reduce_by_key_impl_wrapped_configILNS1_25lookback_scan_determinismE0ES3_S7_PKsNS0_17constant_iteratorIjlEEPsPlSF_S6_NS0_8equal_toIsEEEE10hipError_tPvRmT2_T3_mT4_T5_T6_T7_T8_P12ihipStream_tbENKUlT_T0_E_clISt17integral_constantIbLb0EESZ_EEDaSU_SV_EUlSU_E_NS1_11comp_targetILNS1_3genE10ELNS1_11target_archE1201ELNS1_3gpuE5ELNS1_3repE0EEENS1_30default_config_static_selectorELNS0_4arch9wavefront6targetE1EEEvT1_,comdat
	.protected	_ZN7rocprim17ROCPRIM_400000_NS6detail17trampoline_kernelINS0_14default_configENS1_33run_length_encode_config_selectorIsjNS0_4plusIjEEEEZZNS1_33reduce_by_key_impl_wrapped_configILNS1_25lookback_scan_determinismE0ES3_S7_PKsNS0_17constant_iteratorIjlEEPsPlSF_S6_NS0_8equal_toIsEEEE10hipError_tPvRmT2_T3_mT4_T5_T6_T7_T8_P12ihipStream_tbENKUlT_T0_E_clISt17integral_constantIbLb0EESZ_EEDaSU_SV_EUlSU_E_NS1_11comp_targetILNS1_3genE10ELNS1_11target_archE1201ELNS1_3gpuE5ELNS1_3repE0EEENS1_30default_config_static_selectorELNS0_4arch9wavefront6targetE1EEEvT1_ ; -- Begin function _ZN7rocprim17ROCPRIM_400000_NS6detail17trampoline_kernelINS0_14default_configENS1_33run_length_encode_config_selectorIsjNS0_4plusIjEEEEZZNS1_33reduce_by_key_impl_wrapped_configILNS1_25lookback_scan_determinismE0ES3_S7_PKsNS0_17constant_iteratorIjlEEPsPlSF_S6_NS0_8equal_toIsEEEE10hipError_tPvRmT2_T3_mT4_T5_T6_T7_T8_P12ihipStream_tbENKUlT_T0_E_clISt17integral_constantIbLb0EESZ_EEDaSU_SV_EUlSU_E_NS1_11comp_targetILNS1_3genE10ELNS1_11target_archE1201ELNS1_3gpuE5ELNS1_3repE0EEENS1_30default_config_static_selectorELNS0_4arch9wavefront6targetE1EEEvT1_
	.globl	_ZN7rocprim17ROCPRIM_400000_NS6detail17trampoline_kernelINS0_14default_configENS1_33run_length_encode_config_selectorIsjNS0_4plusIjEEEEZZNS1_33reduce_by_key_impl_wrapped_configILNS1_25lookback_scan_determinismE0ES3_S7_PKsNS0_17constant_iteratorIjlEEPsPlSF_S6_NS0_8equal_toIsEEEE10hipError_tPvRmT2_T3_mT4_T5_T6_T7_T8_P12ihipStream_tbENKUlT_T0_E_clISt17integral_constantIbLb0EESZ_EEDaSU_SV_EUlSU_E_NS1_11comp_targetILNS1_3genE10ELNS1_11target_archE1201ELNS1_3gpuE5ELNS1_3repE0EEENS1_30default_config_static_selectorELNS0_4arch9wavefront6targetE1EEEvT1_
	.p2align	8
	.type	_ZN7rocprim17ROCPRIM_400000_NS6detail17trampoline_kernelINS0_14default_configENS1_33run_length_encode_config_selectorIsjNS0_4plusIjEEEEZZNS1_33reduce_by_key_impl_wrapped_configILNS1_25lookback_scan_determinismE0ES3_S7_PKsNS0_17constant_iteratorIjlEEPsPlSF_S6_NS0_8equal_toIsEEEE10hipError_tPvRmT2_T3_mT4_T5_T6_T7_T8_P12ihipStream_tbENKUlT_T0_E_clISt17integral_constantIbLb0EESZ_EEDaSU_SV_EUlSU_E_NS1_11comp_targetILNS1_3genE10ELNS1_11target_archE1201ELNS1_3gpuE5ELNS1_3repE0EEENS1_30default_config_static_selectorELNS0_4arch9wavefront6targetE1EEEvT1_,@function
_ZN7rocprim17ROCPRIM_400000_NS6detail17trampoline_kernelINS0_14default_configENS1_33run_length_encode_config_selectorIsjNS0_4plusIjEEEEZZNS1_33reduce_by_key_impl_wrapped_configILNS1_25lookback_scan_determinismE0ES3_S7_PKsNS0_17constant_iteratorIjlEEPsPlSF_S6_NS0_8equal_toIsEEEE10hipError_tPvRmT2_T3_mT4_T5_T6_T7_T8_P12ihipStream_tbENKUlT_T0_E_clISt17integral_constantIbLb0EESZ_EEDaSU_SV_EUlSU_E_NS1_11comp_targetILNS1_3genE10ELNS1_11target_archE1201ELNS1_3gpuE5ELNS1_3repE0EEENS1_30default_config_static_selectorELNS0_4arch9wavefront6targetE1EEEvT1_: ; @_ZN7rocprim17ROCPRIM_400000_NS6detail17trampoline_kernelINS0_14default_configENS1_33run_length_encode_config_selectorIsjNS0_4plusIjEEEEZZNS1_33reduce_by_key_impl_wrapped_configILNS1_25lookback_scan_determinismE0ES3_S7_PKsNS0_17constant_iteratorIjlEEPsPlSF_S6_NS0_8equal_toIsEEEE10hipError_tPvRmT2_T3_mT4_T5_T6_T7_T8_P12ihipStream_tbENKUlT_T0_E_clISt17integral_constantIbLb0EESZ_EEDaSU_SV_EUlSU_E_NS1_11comp_targetILNS1_3genE10ELNS1_11target_archE1201ELNS1_3gpuE5ELNS1_3repE0EEENS1_30default_config_static_selectorELNS0_4arch9wavefront6targetE1EEEvT1_
; %bb.0:
	.section	.rodata,"a",@progbits
	.p2align	6, 0x0
	.amdhsa_kernel _ZN7rocprim17ROCPRIM_400000_NS6detail17trampoline_kernelINS0_14default_configENS1_33run_length_encode_config_selectorIsjNS0_4plusIjEEEEZZNS1_33reduce_by_key_impl_wrapped_configILNS1_25lookback_scan_determinismE0ES3_S7_PKsNS0_17constant_iteratorIjlEEPsPlSF_S6_NS0_8equal_toIsEEEE10hipError_tPvRmT2_T3_mT4_T5_T6_T7_T8_P12ihipStream_tbENKUlT_T0_E_clISt17integral_constantIbLb0EESZ_EEDaSU_SV_EUlSU_E_NS1_11comp_targetILNS1_3genE10ELNS1_11target_archE1201ELNS1_3gpuE5ELNS1_3repE0EEENS1_30default_config_static_selectorELNS0_4arch9wavefront6targetE1EEEvT1_
		.amdhsa_group_segment_fixed_size 0
		.amdhsa_private_segment_fixed_size 0
		.amdhsa_kernarg_size 128
		.amdhsa_user_sgpr_count 2
		.amdhsa_user_sgpr_dispatch_ptr 0
		.amdhsa_user_sgpr_queue_ptr 0
		.amdhsa_user_sgpr_kernarg_segment_ptr 1
		.amdhsa_user_sgpr_dispatch_id 0
		.amdhsa_user_sgpr_kernarg_preload_length 0
		.amdhsa_user_sgpr_kernarg_preload_offset 0
		.amdhsa_user_sgpr_private_segment_size 0
		.amdhsa_uses_dynamic_stack 0
		.amdhsa_enable_private_segment 0
		.amdhsa_system_sgpr_workgroup_id_x 1
		.amdhsa_system_sgpr_workgroup_id_y 0
		.amdhsa_system_sgpr_workgroup_id_z 0
		.amdhsa_system_sgpr_workgroup_info 0
		.amdhsa_system_vgpr_workitem_id 0
		.amdhsa_next_free_vgpr 1
		.amdhsa_next_free_sgpr 0
		.amdhsa_accum_offset 4
		.amdhsa_reserve_vcc 0
		.amdhsa_float_round_mode_32 0
		.amdhsa_float_round_mode_16_64 0
		.amdhsa_float_denorm_mode_32 3
		.amdhsa_float_denorm_mode_16_64 3
		.amdhsa_dx10_clamp 1
		.amdhsa_ieee_mode 1
		.amdhsa_fp16_overflow 0
		.amdhsa_tg_split 0
		.amdhsa_exception_fp_ieee_invalid_op 0
		.amdhsa_exception_fp_denorm_src 0
		.amdhsa_exception_fp_ieee_div_zero 0
		.amdhsa_exception_fp_ieee_overflow 0
		.amdhsa_exception_fp_ieee_underflow 0
		.amdhsa_exception_fp_ieee_inexact 0
		.amdhsa_exception_int_div_zero 0
	.end_amdhsa_kernel
	.section	.text._ZN7rocprim17ROCPRIM_400000_NS6detail17trampoline_kernelINS0_14default_configENS1_33run_length_encode_config_selectorIsjNS0_4plusIjEEEEZZNS1_33reduce_by_key_impl_wrapped_configILNS1_25lookback_scan_determinismE0ES3_S7_PKsNS0_17constant_iteratorIjlEEPsPlSF_S6_NS0_8equal_toIsEEEE10hipError_tPvRmT2_T3_mT4_T5_T6_T7_T8_P12ihipStream_tbENKUlT_T0_E_clISt17integral_constantIbLb0EESZ_EEDaSU_SV_EUlSU_E_NS1_11comp_targetILNS1_3genE10ELNS1_11target_archE1201ELNS1_3gpuE5ELNS1_3repE0EEENS1_30default_config_static_selectorELNS0_4arch9wavefront6targetE1EEEvT1_,"axG",@progbits,_ZN7rocprim17ROCPRIM_400000_NS6detail17trampoline_kernelINS0_14default_configENS1_33run_length_encode_config_selectorIsjNS0_4plusIjEEEEZZNS1_33reduce_by_key_impl_wrapped_configILNS1_25lookback_scan_determinismE0ES3_S7_PKsNS0_17constant_iteratorIjlEEPsPlSF_S6_NS0_8equal_toIsEEEE10hipError_tPvRmT2_T3_mT4_T5_T6_T7_T8_P12ihipStream_tbENKUlT_T0_E_clISt17integral_constantIbLb0EESZ_EEDaSU_SV_EUlSU_E_NS1_11comp_targetILNS1_3genE10ELNS1_11target_archE1201ELNS1_3gpuE5ELNS1_3repE0EEENS1_30default_config_static_selectorELNS0_4arch9wavefront6targetE1EEEvT1_,comdat
.Lfunc_end585:
	.size	_ZN7rocprim17ROCPRIM_400000_NS6detail17trampoline_kernelINS0_14default_configENS1_33run_length_encode_config_selectorIsjNS0_4plusIjEEEEZZNS1_33reduce_by_key_impl_wrapped_configILNS1_25lookback_scan_determinismE0ES3_S7_PKsNS0_17constant_iteratorIjlEEPsPlSF_S6_NS0_8equal_toIsEEEE10hipError_tPvRmT2_T3_mT4_T5_T6_T7_T8_P12ihipStream_tbENKUlT_T0_E_clISt17integral_constantIbLb0EESZ_EEDaSU_SV_EUlSU_E_NS1_11comp_targetILNS1_3genE10ELNS1_11target_archE1201ELNS1_3gpuE5ELNS1_3repE0EEENS1_30default_config_static_selectorELNS0_4arch9wavefront6targetE1EEEvT1_, .Lfunc_end585-_ZN7rocprim17ROCPRIM_400000_NS6detail17trampoline_kernelINS0_14default_configENS1_33run_length_encode_config_selectorIsjNS0_4plusIjEEEEZZNS1_33reduce_by_key_impl_wrapped_configILNS1_25lookback_scan_determinismE0ES3_S7_PKsNS0_17constant_iteratorIjlEEPsPlSF_S6_NS0_8equal_toIsEEEE10hipError_tPvRmT2_T3_mT4_T5_T6_T7_T8_P12ihipStream_tbENKUlT_T0_E_clISt17integral_constantIbLb0EESZ_EEDaSU_SV_EUlSU_E_NS1_11comp_targetILNS1_3genE10ELNS1_11target_archE1201ELNS1_3gpuE5ELNS1_3repE0EEENS1_30default_config_static_selectorELNS0_4arch9wavefront6targetE1EEEvT1_
                                        ; -- End function
	.section	.AMDGPU.csdata,"",@progbits
; Kernel info:
; codeLenInByte = 0
; NumSgprs: 6
; NumVgprs: 0
; NumAgprs: 0
; TotalNumVgprs: 0
; ScratchSize: 0
; MemoryBound: 0
; FloatMode: 240
; IeeeMode: 1
; LDSByteSize: 0 bytes/workgroup (compile time only)
; SGPRBlocks: 0
; VGPRBlocks: 0
; NumSGPRsForWavesPerEU: 6
; NumVGPRsForWavesPerEU: 1
; AccumOffset: 4
; Occupancy: 8
; WaveLimiterHint : 0
; COMPUTE_PGM_RSRC2:SCRATCH_EN: 0
; COMPUTE_PGM_RSRC2:USER_SGPR: 2
; COMPUTE_PGM_RSRC2:TRAP_HANDLER: 0
; COMPUTE_PGM_RSRC2:TGID_X_EN: 1
; COMPUTE_PGM_RSRC2:TGID_Y_EN: 0
; COMPUTE_PGM_RSRC2:TGID_Z_EN: 0
; COMPUTE_PGM_RSRC2:TIDIG_COMP_CNT: 0
; COMPUTE_PGM_RSRC3_GFX90A:ACCUM_OFFSET: 0
; COMPUTE_PGM_RSRC3_GFX90A:TG_SPLIT: 0
	.section	.text._ZN7rocprim17ROCPRIM_400000_NS6detail17trampoline_kernelINS0_14default_configENS1_33run_length_encode_config_selectorIsjNS0_4plusIjEEEEZZNS1_33reduce_by_key_impl_wrapped_configILNS1_25lookback_scan_determinismE0ES3_S7_PKsNS0_17constant_iteratorIjlEEPsPlSF_S6_NS0_8equal_toIsEEEE10hipError_tPvRmT2_T3_mT4_T5_T6_T7_T8_P12ihipStream_tbENKUlT_T0_E_clISt17integral_constantIbLb0EESZ_EEDaSU_SV_EUlSU_E_NS1_11comp_targetILNS1_3genE10ELNS1_11target_archE1200ELNS1_3gpuE4ELNS1_3repE0EEENS1_30default_config_static_selectorELNS0_4arch9wavefront6targetE1EEEvT1_,"axG",@progbits,_ZN7rocprim17ROCPRIM_400000_NS6detail17trampoline_kernelINS0_14default_configENS1_33run_length_encode_config_selectorIsjNS0_4plusIjEEEEZZNS1_33reduce_by_key_impl_wrapped_configILNS1_25lookback_scan_determinismE0ES3_S7_PKsNS0_17constant_iteratorIjlEEPsPlSF_S6_NS0_8equal_toIsEEEE10hipError_tPvRmT2_T3_mT4_T5_T6_T7_T8_P12ihipStream_tbENKUlT_T0_E_clISt17integral_constantIbLb0EESZ_EEDaSU_SV_EUlSU_E_NS1_11comp_targetILNS1_3genE10ELNS1_11target_archE1200ELNS1_3gpuE4ELNS1_3repE0EEENS1_30default_config_static_selectorELNS0_4arch9wavefront6targetE1EEEvT1_,comdat
	.protected	_ZN7rocprim17ROCPRIM_400000_NS6detail17trampoline_kernelINS0_14default_configENS1_33run_length_encode_config_selectorIsjNS0_4plusIjEEEEZZNS1_33reduce_by_key_impl_wrapped_configILNS1_25lookback_scan_determinismE0ES3_S7_PKsNS0_17constant_iteratorIjlEEPsPlSF_S6_NS0_8equal_toIsEEEE10hipError_tPvRmT2_T3_mT4_T5_T6_T7_T8_P12ihipStream_tbENKUlT_T0_E_clISt17integral_constantIbLb0EESZ_EEDaSU_SV_EUlSU_E_NS1_11comp_targetILNS1_3genE10ELNS1_11target_archE1200ELNS1_3gpuE4ELNS1_3repE0EEENS1_30default_config_static_selectorELNS0_4arch9wavefront6targetE1EEEvT1_ ; -- Begin function _ZN7rocprim17ROCPRIM_400000_NS6detail17trampoline_kernelINS0_14default_configENS1_33run_length_encode_config_selectorIsjNS0_4plusIjEEEEZZNS1_33reduce_by_key_impl_wrapped_configILNS1_25lookback_scan_determinismE0ES3_S7_PKsNS0_17constant_iteratorIjlEEPsPlSF_S6_NS0_8equal_toIsEEEE10hipError_tPvRmT2_T3_mT4_T5_T6_T7_T8_P12ihipStream_tbENKUlT_T0_E_clISt17integral_constantIbLb0EESZ_EEDaSU_SV_EUlSU_E_NS1_11comp_targetILNS1_3genE10ELNS1_11target_archE1200ELNS1_3gpuE4ELNS1_3repE0EEENS1_30default_config_static_selectorELNS0_4arch9wavefront6targetE1EEEvT1_
	.globl	_ZN7rocprim17ROCPRIM_400000_NS6detail17trampoline_kernelINS0_14default_configENS1_33run_length_encode_config_selectorIsjNS0_4plusIjEEEEZZNS1_33reduce_by_key_impl_wrapped_configILNS1_25lookback_scan_determinismE0ES3_S7_PKsNS0_17constant_iteratorIjlEEPsPlSF_S6_NS0_8equal_toIsEEEE10hipError_tPvRmT2_T3_mT4_T5_T6_T7_T8_P12ihipStream_tbENKUlT_T0_E_clISt17integral_constantIbLb0EESZ_EEDaSU_SV_EUlSU_E_NS1_11comp_targetILNS1_3genE10ELNS1_11target_archE1200ELNS1_3gpuE4ELNS1_3repE0EEENS1_30default_config_static_selectorELNS0_4arch9wavefront6targetE1EEEvT1_
	.p2align	8
	.type	_ZN7rocprim17ROCPRIM_400000_NS6detail17trampoline_kernelINS0_14default_configENS1_33run_length_encode_config_selectorIsjNS0_4plusIjEEEEZZNS1_33reduce_by_key_impl_wrapped_configILNS1_25lookback_scan_determinismE0ES3_S7_PKsNS0_17constant_iteratorIjlEEPsPlSF_S6_NS0_8equal_toIsEEEE10hipError_tPvRmT2_T3_mT4_T5_T6_T7_T8_P12ihipStream_tbENKUlT_T0_E_clISt17integral_constantIbLb0EESZ_EEDaSU_SV_EUlSU_E_NS1_11comp_targetILNS1_3genE10ELNS1_11target_archE1200ELNS1_3gpuE4ELNS1_3repE0EEENS1_30default_config_static_selectorELNS0_4arch9wavefront6targetE1EEEvT1_,@function
_ZN7rocprim17ROCPRIM_400000_NS6detail17trampoline_kernelINS0_14default_configENS1_33run_length_encode_config_selectorIsjNS0_4plusIjEEEEZZNS1_33reduce_by_key_impl_wrapped_configILNS1_25lookback_scan_determinismE0ES3_S7_PKsNS0_17constant_iteratorIjlEEPsPlSF_S6_NS0_8equal_toIsEEEE10hipError_tPvRmT2_T3_mT4_T5_T6_T7_T8_P12ihipStream_tbENKUlT_T0_E_clISt17integral_constantIbLb0EESZ_EEDaSU_SV_EUlSU_E_NS1_11comp_targetILNS1_3genE10ELNS1_11target_archE1200ELNS1_3gpuE4ELNS1_3repE0EEENS1_30default_config_static_selectorELNS0_4arch9wavefront6targetE1EEEvT1_: ; @_ZN7rocprim17ROCPRIM_400000_NS6detail17trampoline_kernelINS0_14default_configENS1_33run_length_encode_config_selectorIsjNS0_4plusIjEEEEZZNS1_33reduce_by_key_impl_wrapped_configILNS1_25lookback_scan_determinismE0ES3_S7_PKsNS0_17constant_iteratorIjlEEPsPlSF_S6_NS0_8equal_toIsEEEE10hipError_tPvRmT2_T3_mT4_T5_T6_T7_T8_P12ihipStream_tbENKUlT_T0_E_clISt17integral_constantIbLb0EESZ_EEDaSU_SV_EUlSU_E_NS1_11comp_targetILNS1_3genE10ELNS1_11target_archE1200ELNS1_3gpuE4ELNS1_3repE0EEENS1_30default_config_static_selectorELNS0_4arch9wavefront6targetE1EEEvT1_
; %bb.0:
	.section	.rodata,"a",@progbits
	.p2align	6, 0x0
	.amdhsa_kernel _ZN7rocprim17ROCPRIM_400000_NS6detail17trampoline_kernelINS0_14default_configENS1_33run_length_encode_config_selectorIsjNS0_4plusIjEEEEZZNS1_33reduce_by_key_impl_wrapped_configILNS1_25lookback_scan_determinismE0ES3_S7_PKsNS0_17constant_iteratorIjlEEPsPlSF_S6_NS0_8equal_toIsEEEE10hipError_tPvRmT2_T3_mT4_T5_T6_T7_T8_P12ihipStream_tbENKUlT_T0_E_clISt17integral_constantIbLb0EESZ_EEDaSU_SV_EUlSU_E_NS1_11comp_targetILNS1_3genE10ELNS1_11target_archE1200ELNS1_3gpuE4ELNS1_3repE0EEENS1_30default_config_static_selectorELNS0_4arch9wavefront6targetE1EEEvT1_
		.amdhsa_group_segment_fixed_size 0
		.amdhsa_private_segment_fixed_size 0
		.amdhsa_kernarg_size 128
		.amdhsa_user_sgpr_count 2
		.amdhsa_user_sgpr_dispatch_ptr 0
		.amdhsa_user_sgpr_queue_ptr 0
		.amdhsa_user_sgpr_kernarg_segment_ptr 1
		.amdhsa_user_sgpr_dispatch_id 0
		.amdhsa_user_sgpr_kernarg_preload_length 0
		.amdhsa_user_sgpr_kernarg_preload_offset 0
		.amdhsa_user_sgpr_private_segment_size 0
		.amdhsa_uses_dynamic_stack 0
		.amdhsa_enable_private_segment 0
		.amdhsa_system_sgpr_workgroup_id_x 1
		.amdhsa_system_sgpr_workgroup_id_y 0
		.amdhsa_system_sgpr_workgroup_id_z 0
		.amdhsa_system_sgpr_workgroup_info 0
		.amdhsa_system_vgpr_workitem_id 0
		.amdhsa_next_free_vgpr 1
		.amdhsa_next_free_sgpr 0
		.amdhsa_accum_offset 4
		.amdhsa_reserve_vcc 0
		.amdhsa_float_round_mode_32 0
		.amdhsa_float_round_mode_16_64 0
		.amdhsa_float_denorm_mode_32 3
		.amdhsa_float_denorm_mode_16_64 3
		.amdhsa_dx10_clamp 1
		.amdhsa_ieee_mode 1
		.amdhsa_fp16_overflow 0
		.amdhsa_tg_split 0
		.amdhsa_exception_fp_ieee_invalid_op 0
		.amdhsa_exception_fp_denorm_src 0
		.amdhsa_exception_fp_ieee_div_zero 0
		.amdhsa_exception_fp_ieee_overflow 0
		.amdhsa_exception_fp_ieee_underflow 0
		.amdhsa_exception_fp_ieee_inexact 0
		.amdhsa_exception_int_div_zero 0
	.end_amdhsa_kernel
	.section	.text._ZN7rocprim17ROCPRIM_400000_NS6detail17trampoline_kernelINS0_14default_configENS1_33run_length_encode_config_selectorIsjNS0_4plusIjEEEEZZNS1_33reduce_by_key_impl_wrapped_configILNS1_25lookback_scan_determinismE0ES3_S7_PKsNS0_17constant_iteratorIjlEEPsPlSF_S6_NS0_8equal_toIsEEEE10hipError_tPvRmT2_T3_mT4_T5_T6_T7_T8_P12ihipStream_tbENKUlT_T0_E_clISt17integral_constantIbLb0EESZ_EEDaSU_SV_EUlSU_E_NS1_11comp_targetILNS1_3genE10ELNS1_11target_archE1200ELNS1_3gpuE4ELNS1_3repE0EEENS1_30default_config_static_selectorELNS0_4arch9wavefront6targetE1EEEvT1_,"axG",@progbits,_ZN7rocprim17ROCPRIM_400000_NS6detail17trampoline_kernelINS0_14default_configENS1_33run_length_encode_config_selectorIsjNS0_4plusIjEEEEZZNS1_33reduce_by_key_impl_wrapped_configILNS1_25lookback_scan_determinismE0ES3_S7_PKsNS0_17constant_iteratorIjlEEPsPlSF_S6_NS0_8equal_toIsEEEE10hipError_tPvRmT2_T3_mT4_T5_T6_T7_T8_P12ihipStream_tbENKUlT_T0_E_clISt17integral_constantIbLb0EESZ_EEDaSU_SV_EUlSU_E_NS1_11comp_targetILNS1_3genE10ELNS1_11target_archE1200ELNS1_3gpuE4ELNS1_3repE0EEENS1_30default_config_static_selectorELNS0_4arch9wavefront6targetE1EEEvT1_,comdat
.Lfunc_end586:
	.size	_ZN7rocprim17ROCPRIM_400000_NS6detail17trampoline_kernelINS0_14default_configENS1_33run_length_encode_config_selectorIsjNS0_4plusIjEEEEZZNS1_33reduce_by_key_impl_wrapped_configILNS1_25lookback_scan_determinismE0ES3_S7_PKsNS0_17constant_iteratorIjlEEPsPlSF_S6_NS0_8equal_toIsEEEE10hipError_tPvRmT2_T3_mT4_T5_T6_T7_T8_P12ihipStream_tbENKUlT_T0_E_clISt17integral_constantIbLb0EESZ_EEDaSU_SV_EUlSU_E_NS1_11comp_targetILNS1_3genE10ELNS1_11target_archE1200ELNS1_3gpuE4ELNS1_3repE0EEENS1_30default_config_static_selectorELNS0_4arch9wavefront6targetE1EEEvT1_, .Lfunc_end586-_ZN7rocprim17ROCPRIM_400000_NS6detail17trampoline_kernelINS0_14default_configENS1_33run_length_encode_config_selectorIsjNS0_4plusIjEEEEZZNS1_33reduce_by_key_impl_wrapped_configILNS1_25lookback_scan_determinismE0ES3_S7_PKsNS0_17constant_iteratorIjlEEPsPlSF_S6_NS0_8equal_toIsEEEE10hipError_tPvRmT2_T3_mT4_T5_T6_T7_T8_P12ihipStream_tbENKUlT_T0_E_clISt17integral_constantIbLb0EESZ_EEDaSU_SV_EUlSU_E_NS1_11comp_targetILNS1_3genE10ELNS1_11target_archE1200ELNS1_3gpuE4ELNS1_3repE0EEENS1_30default_config_static_selectorELNS0_4arch9wavefront6targetE1EEEvT1_
                                        ; -- End function
	.section	.AMDGPU.csdata,"",@progbits
; Kernel info:
; codeLenInByte = 0
; NumSgprs: 6
; NumVgprs: 0
; NumAgprs: 0
; TotalNumVgprs: 0
; ScratchSize: 0
; MemoryBound: 0
; FloatMode: 240
; IeeeMode: 1
; LDSByteSize: 0 bytes/workgroup (compile time only)
; SGPRBlocks: 0
; VGPRBlocks: 0
; NumSGPRsForWavesPerEU: 6
; NumVGPRsForWavesPerEU: 1
; AccumOffset: 4
; Occupancy: 8
; WaveLimiterHint : 0
; COMPUTE_PGM_RSRC2:SCRATCH_EN: 0
; COMPUTE_PGM_RSRC2:USER_SGPR: 2
; COMPUTE_PGM_RSRC2:TRAP_HANDLER: 0
; COMPUTE_PGM_RSRC2:TGID_X_EN: 1
; COMPUTE_PGM_RSRC2:TGID_Y_EN: 0
; COMPUTE_PGM_RSRC2:TGID_Z_EN: 0
; COMPUTE_PGM_RSRC2:TIDIG_COMP_CNT: 0
; COMPUTE_PGM_RSRC3_GFX90A:ACCUM_OFFSET: 0
; COMPUTE_PGM_RSRC3_GFX90A:TG_SPLIT: 0
	.section	.text._ZN7rocprim17ROCPRIM_400000_NS6detail17trampoline_kernelINS0_14default_configENS1_33run_length_encode_config_selectorIsjNS0_4plusIjEEEEZZNS1_33reduce_by_key_impl_wrapped_configILNS1_25lookback_scan_determinismE0ES3_S7_PKsNS0_17constant_iteratorIjlEEPsPlSF_S6_NS0_8equal_toIsEEEE10hipError_tPvRmT2_T3_mT4_T5_T6_T7_T8_P12ihipStream_tbENKUlT_T0_E_clISt17integral_constantIbLb0EESZ_EEDaSU_SV_EUlSU_E_NS1_11comp_targetILNS1_3genE9ELNS1_11target_archE1100ELNS1_3gpuE3ELNS1_3repE0EEENS1_30default_config_static_selectorELNS0_4arch9wavefront6targetE1EEEvT1_,"axG",@progbits,_ZN7rocprim17ROCPRIM_400000_NS6detail17trampoline_kernelINS0_14default_configENS1_33run_length_encode_config_selectorIsjNS0_4plusIjEEEEZZNS1_33reduce_by_key_impl_wrapped_configILNS1_25lookback_scan_determinismE0ES3_S7_PKsNS0_17constant_iteratorIjlEEPsPlSF_S6_NS0_8equal_toIsEEEE10hipError_tPvRmT2_T3_mT4_T5_T6_T7_T8_P12ihipStream_tbENKUlT_T0_E_clISt17integral_constantIbLb0EESZ_EEDaSU_SV_EUlSU_E_NS1_11comp_targetILNS1_3genE9ELNS1_11target_archE1100ELNS1_3gpuE3ELNS1_3repE0EEENS1_30default_config_static_selectorELNS0_4arch9wavefront6targetE1EEEvT1_,comdat
	.protected	_ZN7rocprim17ROCPRIM_400000_NS6detail17trampoline_kernelINS0_14default_configENS1_33run_length_encode_config_selectorIsjNS0_4plusIjEEEEZZNS1_33reduce_by_key_impl_wrapped_configILNS1_25lookback_scan_determinismE0ES3_S7_PKsNS0_17constant_iteratorIjlEEPsPlSF_S6_NS0_8equal_toIsEEEE10hipError_tPvRmT2_T3_mT4_T5_T6_T7_T8_P12ihipStream_tbENKUlT_T0_E_clISt17integral_constantIbLb0EESZ_EEDaSU_SV_EUlSU_E_NS1_11comp_targetILNS1_3genE9ELNS1_11target_archE1100ELNS1_3gpuE3ELNS1_3repE0EEENS1_30default_config_static_selectorELNS0_4arch9wavefront6targetE1EEEvT1_ ; -- Begin function _ZN7rocprim17ROCPRIM_400000_NS6detail17trampoline_kernelINS0_14default_configENS1_33run_length_encode_config_selectorIsjNS0_4plusIjEEEEZZNS1_33reduce_by_key_impl_wrapped_configILNS1_25lookback_scan_determinismE0ES3_S7_PKsNS0_17constant_iteratorIjlEEPsPlSF_S6_NS0_8equal_toIsEEEE10hipError_tPvRmT2_T3_mT4_T5_T6_T7_T8_P12ihipStream_tbENKUlT_T0_E_clISt17integral_constantIbLb0EESZ_EEDaSU_SV_EUlSU_E_NS1_11comp_targetILNS1_3genE9ELNS1_11target_archE1100ELNS1_3gpuE3ELNS1_3repE0EEENS1_30default_config_static_selectorELNS0_4arch9wavefront6targetE1EEEvT1_
	.globl	_ZN7rocprim17ROCPRIM_400000_NS6detail17trampoline_kernelINS0_14default_configENS1_33run_length_encode_config_selectorIsjNS0_4plusIjEEEEZZNS1_33reduce_by_key_impl_wrapped_configILNS1_25lookback_scan_determinismE0ES3_S7_PKsNS0_17constant_iteratorIjlEEPsPlSF_S6_NS0_8equal_toIsEEEE10hipError_tPvRmT2_T3_mT4_T5_T6_T7_T8_P12ihipStream_tbENKUlT_T0_E_clISt17integral_constantIbLb0EESZ_EEDaSU_SV_EUlSU_E_NS1_11comp_targetILNS1_3genE9ELNS1_11target_archE1100ELNS1_3gpuE3ELNS1_3repE0EEENS1_30default_config_static_selectorELNS0_4arch9wavefront6targetE1EEEvT1_
	.p2align	8
	.type	_ZN7rocprim17ROCPRIM_400000_NS6detail17trampoline_kernelINS0_14default_configENS1_33run_length_encode_config_selectorIsjNS0_4plusIjEEEEZZNS1_33reduce_by_key_impl_wrapped_configILNS1_25lookback_scan_determinismE0ES3_S7_PKsNS0_17constant_iteratorIjlEEPsPlSF_S6_NS0_8equal_toIsEEEE10hipError_tPvRmT2_T3_mT4_T5_T6_T7_T8_P12ihipStream_tbENKUlT_T0_E_clISt17integral_constantIbLb0EESZ_EEDaSU_SV_EUlSU_E_NS1_11comp_targetILNS1_3genE9ELNS1_11target_archE1100ELNS1_3gpuE3ELNS1_3repE0EEENS1_30default_config_static_selectorELNS0_4arch9wavefront6targetE1EEEvT1_,@function
_ZN7rocprim17ROCPRIM_400000_NS6detail17trampoline_kernelINS0_14default_configENS1_33run_length_encode_config_selectorIsjNS0_4plusIjEEEEZZNS1_33reduce_by_key_impl_wrapped_configILNS1_25lookback_scan_determinismE0ES3_S7_PKsNS0_17constant_iteratorIjlEEPsPlSF_S6_NS0_8equal_toIsEEEE10hipError_tPvRmT2_T3_mT4_T5_T6_T7_T8_P12ihipStream_tbENKUlT_T0_E_clISt17integral_constantIbLb0EESZ_EEDaSU_SV_EUlSU_E_NS1_11comp_targetILNS1_3genE9ELNS1_11target_archE1100ELNS1_3gpuE3ELNS1_3repE0EEENS1_30default_config_static_selectorELNS0_4arch9wavefront6targetE1EEEvT1_: ; @_ZN7rocprim17ROCPRIM_400000_NS6detail17trampoline_kernelINS0_14default_configENS1_33run_length_encode_config_selectorIsjNS0_4plusIjEEEEZZNS1_33reduce_by_key_impl_wrapped_configILNS1_25lookback_scan_determinismE0ES3_S7_PKsNS0_17constant_iteratorIjlEEPsPlSF_S6_NS0_8equal_toIsEEEE10hipError_tPvRmT2_T3_mT4_T5_T6_T7_T8_P12ihipStream_tbENKUlT_T0_E_clISt17integral_constantIbLb0EESZ_EEDaSU_SV_EUlSU_E_NS1_11comp_targetILNS1_3genE9ELNS1_11target_archE1100ELNS1_3gpuE3ELNS1_3repE0EEENS1_30default_config_static_selectorELNS0_4arch9wavefront6targetE1EEEvT1_
; %bb.0:
	.section	.rodata,"a",@progbits
	.p2align	6, 0x0
	.amdhsa_kernel _ZN7rocprim17ROCPRIM_400000_NS6detail17trampoline_kernelINS0_14default_configENS1_33run_length_encode_config_selectorIsjNS0_4plusIjEEEEZZNS1_33reduce_by_key_impl_wrapped_configILNS1_25lookback_scan_determinismE0ES3_S7_PKsNS0_17constant_iteratorIjlEEPsPlSF_S6_NS0_8equal_toIsEEEE10hipError_tPvRmT2_T3_mT4_T5_T6_T7_T8_P12ihipStream_tbENKUlT_T0_E_clISt17integral_constantIbLb0EESZ_EEDaSU_SV_EUlSU_E_NS1_11comp_targetILNS1_3genE9ELNS1_11target_archE1100ELNS1_3gpuE3ELNS1_3repE0EEENS1_30default_config_static_selectorELNS0_4arch9wavefront6targetE1EEEvT1_
		.amdhsa_group_segment_fixed_size 0
		.amdhsa_private_segment_fixed_size 0
		.amdhsa_kernarg_size 128
		.amdhsa_user_sgpr_count 2
		.amdhsa_user_sgpr_dispatch_ptr 0
		.amdhsa_user_sgpr_queue_ptr 0
		.amdhsa_user_sgpr_kernarg_segment_ptr 1
		.amdhsa_user_sgpr_dispatch_id 0
		.amdhsa_user_sgpr_kernarg_preload_length 0
		.amdhsa_user_sgpr_kernarg_preload_offset 0
		.amdhsa_user_sgpr_private_segment_size 0
		.amdhsa_uses_dynamic_stack 0
		.amdhsa_enable_private_segment 0
		.amdhsa_system_sgpr_workgroup_id_x 1
		.amdhsa_system_sgpr_workgroup_id_y 0
		.amdhsa_system_sgpr_workgroup_id_z 0
		.amdhsa_system_sgpr_workgroup_info 0
		.amdhsa_system_vgpr_workitem_id 0
		.amdhsa_next_free_vgpr 1
		.amdhsa_next_free_sgpr 0
		.amdhsa_accum_offset 4
		.amdhsa_reserve_vcc 0
		.amdhsa_float_round_mode_32 0
		.amdhsa_float_round_mode_16_64 0
		.amdhsa_float_denorm_mode_32 3
		.amdhsa_float_denorm_mode_16_64 3
		.amdhsa_dx10_clamp 1
		.amdhsa_ieee_mode 1
		.amdhsa_fp16_overflow 0
		.amdhsa_tg_split 0
		.amdhsa_exception_fp_ieee_invalid_op 0
		.amdhsa_exception_fp_denorm_src 0
		.amdhsa_exception_fp_ieee_div_zero 0
		.amdhsa_exception_fp_ieee_overflow 0
		.amdhsa_exception_fp_ieee_underflow 0
		.amdhsa_exception_fp_ieee_inexact 0
		.amdhsa_exception_int_div_zero 0
	.end_amdhsa_kernel
	.section	.text._ZN7rocprim17ROCPRIM_400000_NS6detail17trampoline_kernelINS0_14default_configENS1_33run_length_encode_config_selectorIsjNS0_4plusIjEEEEZZNS1_33reduce_by_key_impl_wrapped_configILNS1_25lookback_scan_determinismE0ES3_S7_PKsNS0_17constant_iteratorIjlEEPsPlSF_S6_NS0_8equal_toIsEEEE10hipError_tPvRmT2_T3_mT4_T5_T6_T7_T8_P12ihipStream_tbENKUlT_T0_E_clISt17integral_constantIbLb0EESZ_EEDaSU_SV_EUlSU_E_NS1_11comp_targetILNS1_3genE9ELNS1_11target_archE1100ELNS1_3gpuE3ELNS1_3repE0EEENS1_30default_config_static_selectorELNS0_4arch9wavefront6targetE1EEEvT1_,"axG",@progbits,_ZN7rocprim17ROCPRIM_400000_NS6detail17trampoline_kernelINS0_14default_configENS1_33run_length_encode_config_selectorIsjNS0_4plusIjEEEEZZNS1_33reduce_by_key_impl_wrapped_configILNS1_25lookback_scan_determinismE0ES3_S7_PKsNS0_17constant_iteratorIjlEEPsPlSF_S6_NS0_8equal_toIsEEEE10hipError_tPvRmT2_T3_mT4_T5_T6_T7_T8_P12ihipStream_tbENKUlT_T0_E_clISt17integral_constantIbLb0EESZ_EEDaSU_SV_EUlSU_E_NS1_11comp_targetILNS1_3genE9ELNS1_11target_archE1100ELNS1_3gpuE3ELNS1_3repE0EEENS1_30default_config_static_selectorELNS0_4arch9wavefront6targetE1EEEvT1_,comdat
.Lfunc_end587:
	.size	_ZN7rocprim17ROCPRIM_400000_NS6detail17trampoline_kernelINS0_14default_configENS1_33run_length_encode_config_selectorIsjNS0_4plusIjEEEEZZNS1_33reduce_by_key_impl_wrapped_configILNS1_25lookback_scan_determinismE0ES3_S7_PKsNS0_17constant_iteratorIjlEEPsPlSF_S6_NS0_8equal_toIsEEEE10hipError_tPvRmT2_T3_mT4_T5_T6_T7_T8_P12ihipStream_tbENKUlT_T0_E_clISt17integral_constantIbLb0EESZ_EEDaSU_SV_EUlSU_E_NS1_11comp_targetILNS1_3genE9ELNS1_11target_archE1100ELNS1_3gpuE3ELNS1_3repE0EEENS1_30default_config_static_selectorELNS0_4arch9wavefront6targetE1EEEvT1_, .Lfunc_end587-_ZN7rocprim17ROCPRIM_400000_NS6detail17trampoline_kernelINS0_14default_configENS1_33run_length_encode_config_selectorIsjNS0_4plusIjEEEEZZNS1_33reduce_by_key_impl_wrapped_configILNS1_25lookback_scan_determinismE0ES3_S7_PKsNS0_17constant_iteratorIjlEEPsPlSF_S6_NS0_8equal_toIsEEEE10hipError_tPvRmT2_T3_mT4_T5_T6_T7_T8_P12ihipStream_tbENKUlT_T0_E_clISt17integral_constantIbLb0EESZ_EEDaSU_SV_EUlSU_E_NS1_11comp_targetILNS1_3genE9ELNS1_11target_archE1100ELNS1_3gpuE3ELNS1_3repE0EEENS1_30default_config_static_selectorELNS0_4arch9wavefront6targetE1EEEvT1_
                                        ; -- End function
	.section	.AMDGPU.csdata,"",@progbits
; Kernel info:
; codeLenInByte = 0
; NumSgprs: 6
; NumVgprs: 0
; NumAgprs: 0
; TotalNumVgprs: 0
; ScratchSize: 0
; MemoryBound: 0
; FloatMode: 240
; IeeeMode: 1
; LDSByteSize: 0 bytes/workgroup (compile time only)
; SGPRBlocks: 0
; VGPRBlocks: 0
; NumSGPRsForWavesPerEU: 6
; NumVGPRsForWavesPerEU: 1
; AccumOffset: 4
; Occupancy: 8
; WaveLimiterHint : 0
; COMPUTE_PGM_RSRC2:SCRATCH_EN: 0
; COMPUTE_PGM_RSRC2:USER_SGPR: 2
; COMPUTE_PGM_RSRC2:TRAP_HANDLER: 0
; COMPUTE_PGM_RSRC2:TGID_X_EN: 1
; COMPUTE_PGM_RSRC2:TGID_Y_EN: 0
; COMPUTE_PGM_RSRC2:TGID_Z_EN: 0
; COMPUTE_PGM_RSRC2:TIDIG_COMP_CNT: 0
; COMPUTE_PGM_RSRC3_GFX90A:ACCUM_OFFSET: 0
; COMPUTE_PGM_RSRC3_GFX90A:TG_SPLIT: 0
	.section	.text._ZN7rocprim17ROCPRIM_400000_NS6detail17trampoline_kernelINS0_14default_configENS1_33run_length_encode_config_selectorIsjNS0_4plusIjEEEEZZNS1_33reduce_by_key_impl_wrapped_configILNS1_25lookback_scan_determinismE0ES3_S7_PKsNS0_17constant_iteratorIjlEEPsPlSF_S6_NS0_8equal_toIsEEEE10hipError_tPvRmT2_T3_mT4_T5_T6_T7_T8_P12ihipStream_tbENKUlT_T0_E_clISt17integral_constantIbLb0EESZ_EEDaSU_SV_EUlSU_E_NS1_11comp_targetILNS1_3genE8ELNS1_11target_archE1030ELNS1_3gpuE2ELNS1_3repE0EEENS1_30default_config_static_selectorELNS0_4arch9wavefront6targetE1EEEvT1_,"axG",@progbits,_ZN7rocprim17ROCPRIM_400000_NS6detail17trampoline_kernelINS0_14default_configENS1_33run_length_encode_config_selectorIsjNS0_4plusIjEEEEZZNS1_33reduce_by_key_impl_wrapped_configILNS1_25lookback_scan_determinismE0ES3_S7_PKsNS0_17constant_iteratorIjlEEPsPlSF_S6_NS0_8equal_toIsEEEE10hipError_tPvRmT2_T3_mT4_T5_T6_T7_T8_P12ihipStream_tbENKUlT_T0_E_clISt17integral_constantIbLb0EESZ_EEDaSU_SV_EUlSU_E_NS1_11comp_targetILNS1_3genE8ELNS1_11target_archE1030ELNS1_3gpuE2ELNS1_3repE0EEENS1_30default_config_static_selectorELNS0_4arch9wavefront6targetE1EEEvT1_,comdat
	.protected	_ZN7rocprim17ROCPRIM_400000_NS6detail17trampoline_kernelINS0_14default_configENS1_33run_length_encode_config_selectorIsjNS0_4plusIjEEEEZZNS1_33reduce_by_key_impl_wrapped_configILNS1_25lookback_scan_determinismE0ES3_S7_PKsNS0_17constant_iteratorIjlEEPsPlSF_S6_NS0_8equal_toIsEEEE10hipError_tPvRmT2_T3_mT4_T5_T6_T7_T8_P12ihipStream_tbENKUlT_T0_E_clISt17integral_constantIbLb0EESZ_EEDaSU_SV_EUlSU_E_NS1_11comp_targetILNS1_3genE8ELNS1_11target_archE1030ELNS1_3gpuE2ELNS1_3repE0EEENS1_30default_config_static_selectorELNS0_4arch9wavefront6targetE1EEEvT1_ ; -- Begin function _ZN7rocprim17ROCPRIM_400000_NS6detail17trampoline_kernelINS0_14default_configENS1_33run_length_encode_config_selectorIsjNS0_4plusIjEEEEZZNS1_33reduce_by_key_impl_wrapped_configILNS1_25lookback_scan_determinismE0ES3_S7_PKsNS0_17constant_iteratorIjlEEPsPlSF_S6_NS0_8equal_toIsEEEE10hipError_tPvRmT2_T3_mT4_T5_T6_T7_T8_P12ihipStream_tbENKUlT_T0_E_clISt17integral_constantIbLb0EESZ_EEDaSU_SV_EUlSU_E_NS1_11comp_targetILNS1_3genE8ELNS1_11target_archE1030ELNS1_3gpuE2ELNS1_3repE0EEENS1_30default_config_static_selectorELNS0_4arch9wavefront6targetE1EEEvT1_
	.globl	_ZN7rocprim17ROCPRIM_400000_NS6detail17trampoline_kernelINS0_14default_configENS1_33run_length_encode_config_selectorIsjNS0_4plusIjEEEEZZNS1_33reduce_by_key_impl_wrapped_configILNS1_25lookback_scan_determinismE0ES3_S7_PKsNS0_17constant_iteratorIjlEEPsPlSF_S6_NS0_8equal_toIsEEEE10hipError_tPvRmT2_T3_mT4_T5_T6_T7_T8_P12ihipStream_tbENKUlT_T0_E_clISt17integral_constantIbLb0EESZ_EEDaSU_SV_EUlSU_E_NS1_11comp_targetILNS1_3genE8ELNS1_11target_archE1030ELNS1_3gpuE2ELNS1_3repE0EEENS1_30default_config_static_selectorELNS0_4arch9wavefront6targetE1EEEvT1_
	.p2align	8
	.type	_ZN7rocprim17ROCPRIM_400000_NS6detail17trampoline_kernelINS0_14default_configENS1_33run_length_encode_config_selectorIsjNS0_4plusIjEEEEZZNS1_33reduce_by_key_impl_wrapped_configILNS1_25lookback_scan_determinismE0ES3_S7_PKsNS0_17constant_iteratorIjlEEPsPlSF_S6_NS0_8equal_toIsEEEE10hipError_tPvRmT2_T3_mT4_T5_T6_T7_T8_P12ihipStream_tbENKUlT_T0_E_clISt17integral_constantIbLb0EESZ_EEDaSU_SV_EUlSU_E_NS1_11comp_targetILNS1_3genE8ELNS1_11target_archE1030ELNS1_3gpuE2ELNS1_3repE0EEENS1_30default_config_static_selectorELNS0_4arch9wavefront6targetE1EEEvT1_,@function
_ZN7rocprim17ROCPRIM_400000_NS6detail17trampoline_kernelINS0_14default_configENS1_33run_length_encode_config_selectorIsjNS0_4plusIjEEEEZZNS1_33reduce_by_key_impl_wrapped_configILNS1_25lookback_scan_determinismE0ES3_S7_PKsNS0_17constant_iteratorIjlEEPsPlSF_S6_NS0_8equal_toIsEEEE10hipError_tPvRmT2_T3_mT4_T5_T6_T7_T8_P12ihipStream_tbENKUlT_T0_E_clISt17integral_constantIbLb0EESZ_EEDaSU_SV_EUlSU_E_NS1_11comp_targetILNS1_3genE8ELNS1_11target_archE1030ELNS1_3gpuE2ELNS1_3repE0EEENS1_30default_config_static_selectorELNS0_4arch9wavefront6targetE1EEEvT1_: ; @_ZN7rocprim17ROCPRIM_400000_NS6detail17trampoline_kernelINS0_14default_configENS1_33run_length_encode_config_selectorIsjNS0_4plusIjEEEEZZNS1_33reduce_by_key_impl_wrapped_configILNS1_25lookback_scan_determinismE0ES3_S7_PKsNS0_17constant_iteratorIjlEEPsPlSF_S6_NS0_8equal_toIsEEEE10hipError_tPvRmT2_T3_mT4_T5_T6_T7_T8_P12ihipStream_tbENKUlT_T0_E_clISt17integral_constantIbLb0EESZ_EEDaSU_SV_EUlSU_E_NS1_11comp_targetILNS1_3genE8ELNS1_11target_archE1030ELNS1_3gpuE2ELNS1_3repE0EEENS1_30default_config_static_selectorELNS0_4arch9wavefront6targetE1EEEvT1_
; %bb.0:
	.section	.rodata,"a",@progbits
	.p2align	6, 0x0
	.amdhsa_kernel _ZN7rocprim17ROCPRIM_400000_NS6detail17trampoline_kernelINS0_14default_configENS1_33run_length_encode_config_selectorIsjNS0_4plusIjEEEEZZNS1_33reduce_by_key_impl_wrapped_configILNS1_25lookback_scan_determinismE0ES3_S7_PKsNS0_17constant_iteratorIjlEEPsPlSF_S6_NS0_8equal_toIsEEEE10hipError_tPvRmT2_T3_mT4_T5_T6_T7_T8_P12ihipStream_tbENKUlT_T0_E_clISt17integral_constantIbLb0EESZ_EEDaSU_SV_EUlSU_E_NS1_11comp_targetILNS1_3genE8ELNS1_11target_archE1030ELNS1_3gpuE2ELNS1_3repE0EEENS1_30default_config_static_selectorELNS0_4arch9wavefront6targetE1EEEvT1_
		.amdhsa_group_segment_fixed_size 0
		.amdhsa_private_segment_fixed_size 0
		.amdhsa_kernarg_size 128
		.amdhsa_user_sgpr_count 2
		.amdhsa_user_sgpr_dispatch_ptr 0
		.amdhsa_user_sgpr_queue_ptr 0
		.amdhsa_user_sgpr_kernarg_segment_ptr 1
		.amdhsa_user_sgpr_dispatch_id 0
		.amdhsa_user_sgpr_kernarg_preload_length 0
		.amdhsa_user_sgpr_kernarg_preload_offset 0
		.amdhsa_user_sgpr_private_segment_size 0
		.amdhsa_uses_dynamic_stack 0
		.amdhsa_enable_private_segment 0
		.amdhsa_system_sgpr_workgroup_id_x 1
		.amdhsa_system_sgpr_workgroup_id_y 0
		.amdhsa_system_sgpr_workgroup_id_z 0
		.amdhsa_system_sgpr_workgroup_info 0
		.amdhsa_system_vgpr_workitem_id 0
		.amdhsa_next_free_vgpr 1
		.amdhsa_next_free_sgpr 0
		.amdhsa_accum_offset 4
		.amdhsa_reserve_vcc 0
		.amdhsa_float_round_mode_32 0
		.amdhsa_float_round_mode_16_64 0
		.amdhsa_float_denorm_mode_32 3
		.amdhsa_float_denorm_mode_16_64 3
		.amdhsa_dx10_clamp 1
		.amdhsa_ieee_mode 1
		.amdhsa_fp16_overflow 0
		.amdhsa_tg_split 0
		.amdhsa_exception_fp_ieee_invalid_op 0
		.amdhsa_exception_fp_denorm_src 0
		.amdhsa_exception_fp_ieee_div_zero 0
		.amdhsa_exception_fp_ieee_overflow 0
		.amdhsa_exception_fp_ieee_underflow 0
		.amdhsa_exception_fp_ieee_inexact 0
		.amdhsa_exception_int_div_zero 0
	.end_amdhsa_kernel
	.section	.text._ZN7rocprim17ROCPRIM_400000_NS6detail17trampoline_kernelINS0_14default_configENS1_33run_length_encode_config_selectorIsjNS0_4plusIjEEEEZZNS1_33reduce_by_key_impl_wrapped_configILNS1_25lookback_scan_determinismE0ES3_S7_PKsNS0_17constant_iteratorIjlEEPsPlSF_S6_NS0_8equal_toIsEEEE10hipError_tPvRmT2_T3_mT4_T5_T6_T7_T8_P12ihipStream_tbENKUlT_T0_E_clISt17integral_constantIbLb0EESZ_EEDaSU_SV_EUlSU_E_NS1_11comp_targetILNS1_3genE8ELNS1_11target_archE1030ELNS1_3gpuE2ELNS1_3repE0EEENS1_30default_config_static_selectorELNS0_4arch9wavefront6targetE1EEEvT1_,"axG",@progbits,_ZN7rocprim17ROCPRIM_400000_NS6detail17trampoline_kernelINS0_14default_configENS1_33run_length_encode_config_selectorIsjNS0_4plusIjEEEEZZNS1_33reduce_by_key_impl_wrapped_configILNS1_25lookback_scan_determinismE0ES3_S7_PKsNS0_17constant_iteratorIjlEEPsPlSF_S6_NS0_8equal_toIsEEEE10hipError_tPvRmT2_T3_mT4_T5_T6_T7_T8_P12ihipStream_tbENKUlT_T0_E_clISt17integral_constantIbLb0EESZ_EEDaSU_SV_EUlSU_E_NS1_11comp_targetILNS1_3genE8ELNS1_11target_archE1030ELNS1_3gpuE2ELNS1_3repE0EEENS1_30default_config_static_selectorELNS0_4arch9wavefront6targetE1EEEvT1_,comdat
.Lfunc_end588:
	.size	_ZN7rocprim17ROCPRIM_400000_NS6detail17trampoline_kernelINS0_14default_configENS1_33run_length_encode_config_selectorIsjNS0_4plusIjEEEEZZNS1_33reduce_by_key_impl_wrapped_configILNS1_25lookback_scan_determinismE0ES3_S7_PKsNS0_17constant_iteratorIjlEEPsPlSF_S6_NS0_8equal_toIsEEEE10hipError_tPvRmT2_T3_mT4_T5_T6_T7_T8_P12ihipStream_tbENKUlT_T0_E_clISt17integral_constantIbLb0EESZ_EEDaSU_SV_EUlSU_E_NS1_11comp_targetILNS1_3genE8ELNS1_11target_archE1030ELNS1_3gpuE2ELNS1_3repE0EEENS1_30default_config_static_selectorELNS0_4arch9wavefront6targetE1EEEvT1_, .Lfunc_end588-_ZN7rocprim17ROCPRIM_400000_NS6detail17trampoline_kernelINS0_14default_configENS1_33run_length_encode_config_selectorIsjNS0_4plusIjEEEEZZNS1_33reduce_by_key_impl_wrapped_configILNS1_25lookback_scan_determinismE0ES3_S7_PKsNS0_17constant_iteratorIjlEEPsPlSF_S6_NS0_8equal_toIsEEEE10hipError_tPvRmT2_T3_mT4_T5_T6_T7_T8_P12ihipStream_tbENKUlT_T0_E_clISt17integral_constantIbLb0EESZ_EEDaSU_SV_EUlSU_E_NS1_11comp_targetILNS1_3genE8ELNS1_11target_archE1030ELNS1_3gpuE2ELNS1_3repE0EEENS1_30default_config_static_selectorELNS0_4arch9wavefront6targetE1EEEvT1_
                                        ; -- End function
	.section	.AMDGPU.csdata,"",@progbits
; Kernel info:
; codeLenInByte = 0
; NumSgprs: 6
; NumVgprs: 0
; NumAgprs: 0
; TotalNumVgprs: 0
; ScratchSize: 0
; MemoryBound: 0
; FloatMode: 240
; IeeeMode: 1
; LDSByteSize: 0 bytes/workgroup (compile time only)
; SGPRBlocks: 0
; VGPRBlocks: 0
; NumSGPRsForWavesPerEU: 6
; NumVGPRsForWavesPerEU: 1
; AccumOffset: 4
; Occupancy: 8
; WaveLimiterHint : 0
; COMPUTE_PGM_RSRC2:SCRATCH_EN: 0
; COMPUTE_PGM_RSRC2:USER_SGPR: 2
; COMPUTE_PGM_RSRC2:TRAP_HANDLER: 0
; COMPUTE_PGM_RSRC2:TGID_X_EN: 1
; COMPUTE_PGM_RSRC2:TGID_Y_EN: 0
; COMPUTE_PGM_RSRC2:TGID_Z_EN: 0
; COMPUTE_PGM_RSRC2:TIDIG_COMP_CNT: 0
; COMPUTE_PGM_RSRC3_GFX90A:ACCUM_OFFSET: 0
; COMPUTE_PGM_RSRC3_GFX90A:TG_SPLIT: 0
	.section	.text._ZN7rocprim17ROCPRIM_400000_NS6detail17trampoline_kernelINS0_14default_configENS1_33run_length_encode_config_selectorIsjNS0_4plusIjEEEEZZNS1_33reduce_by_key_impl_wrapped_configILNS1_25lookback_scan_determinismE0ES3_S7_PKsNS0_17constant_iteratorIjlEEPsPlSF_S6_NS0_8equal_toIsEEEE10hipError_tPvRmT2_T3_mT4_T5_T6_T7_T8_P12ihipStream_tbENKUlT_T0_E_clISt17integral_constantIbLb1EESZ_EEDaSU_SV_EUlSU_E_NS1_11comp_targetILNS1_3genE0ELNS1_11target_archE4294967295ELNS1_3gpuE0ELNS1_3repE0EEENS1_30default_config_static_selectorELNS0_4arch9wavefront6targetE1EEEvT1_,"axG",@progbits,_ZN7rocprim17ROCPRIM_400000_NS6detail17trampoline_kernelINS0_14default_configENS1_33run_length_encode_config_selectorIsjNS0_4plusIjEEEEZZNS1_33reduce_by_key_impl_wrapped_configILNS1_25lookback_scan_determinismE0ES3_S7_PKsNS0_17constant_iteratorIjlEEPsPlSF_S6_NS0_8equal_toIsEEEE10hipError_tPvRmT2_T3_mT4_T5_T6_T7_T8_P12ihipStream_tbENKUlT_T0_E_clISt17integral_constantIbLb1EESZ_EEDaSU_SV_EUlSU_E_NS1_11comp_targetILNS1_3genE0ELNS1_11target_archE4294967295ELNS1_3gpuE0ELNS1_3repE0EEENS1_30default_config_static_selectorELNS0_4arch9wavefront6targetE1EEEvT1_,comdat
	.protected	_ZN7rocprim17ROCPRIM_400000_NS6detail17trampoline_kernelINS0_14default_configENS1_33run_length_encode_config_selectorIsjNS0_4plusIjEEEEZZNS1_33reduce_by_key_impl_wrapped_configILNS1_25lookback_scan_determinismE0ES3_S7_PKsNS0_17constant_iteratorIjlEEPsPlSF_S6_NS0_8equal_toIsEEEE10hipError_tPvRmT2_T3_mT4_T5_T6_T7_T8_P12ihipStream_tbENKUlT_T0_E_clISt17integral_constantIbLb1EESZ_EEDaSU_SV_EUlSU_E_NS1_11comp_targetILNS1_3genE0ELNS1_11target_archE4294967295ELNS1_3gpuE0ELNS1_3repE0EEENS1_30default_config_static_selectorELNS0_4arch9wavefront6targetE1EEEvT1_ ; -- Begin function _ZN7rocprim17ROCPRIM_400000_NS6detail17trampoline_kernelINS0_14default_configENS1_33run_length_encode_config_selectorIsjNS0_4plusIjEEEEZZNS1_33reduce_by_key_impl_wrapped_configILNS1_25lookback_scan_determinismE0ES3_S7_PKsNS0_17constant_iteratorIjlEEPsPlSF_S6_NS0_8equal_toIsEEEE10hipError_tPvRmT2_T3_mT4_T5_T6_T7_T8_P12ihipStream_tbENKUlT_T0_E_clISt17integral_constantIbLb1EESZ_EEDaSU_SV_EUlSU_E_NS1_11comp_targetILNS1_3genE0ELNS1_11target_archE4294967295ELNS1_3gpuE0ELNS1_3repE0EEENS1_30default_config_static_selectorELNS0_4arch9wavefront6targetE1EEEvT1_
	.globl	_ZN7rocprim17ROCPRIM_400000_NS6detail17trampoline_kernelINS0_14default_configENS1_33run_length_encode_config_selectorIsjNS0_4plusIjEEEEZZNS1_33reduce_by_key_impl_wrapped_configILNS1_25lookback_scan_determinismE0ES3_S7_PKsNS0_17constant_iteratorIjlEEPsPlSF_S6_NS0_8equal_toIsEEEE10hipError_tPvRmT2_T3_mT4_T5_T6_T7_T8_P12ihipStream_tbENKUlT_T0_E_clISt17integral_constantIbLb1EESZ_EEDaSU_SV_EUlSU_E_NS1_11comp_targetILNS1_3genE0ELNS1_11target_archE4294967295ELNS1_3gpuE0ELNS1_3repE0EEENS1_30default_config_static_selectorELNS0_4arch9wavefront6targetE1EEEvT1_
	.p2align	8
	.type	_ZN7rocprim17ROCPRIM_400000_NS6detail17trampoline_kernelINS0_14default_configENS1_33run_length_encode_config_selectorIsjNS0_4plusIjEEEEZZNS1_33reduce_by_key_impl_wrapped_configILNS1_25lookback_scan_determinismE0ES3_S7_PKsNS0_17constant_iteratorIjlEEPsPlSF_S6_NS0_8equal_toIsEEEE10hipError_tPvRmT2_T3_mT4_T5_T6_T7_T8_P12ihipStream_tbENKUlT_T0_E_clISt17integral_constantIbLb1EESZ_EEDaSU_SV_EUlSU_E_NS1_11comp_targetILNS1_3genE0ELNS1_11target_archE4294967295ELNS1_3gpuE0ELNS1_3repE0EEENS1_30default_config_static_selectorELNS0_4arch9wavefront6targetE1EEEvT1_,@function
_ZN7rocprim17ROCPRIM_400000_NS6detail17trampoline_kernelINS0_14default_configENS1_33run_length_encode_config_selectorIsjNS0_4plusIjEEEEZZNS1_33reduce_by_key_impl_wrapped_configILNS1_25lookback_scan_determinismE0ES3_S7_PKsNS0_17constant_iteratorIjlEEPsPlSF_S6_NS0_8equal_toIsEEEE10hipError_tPvRmT2_T3_mT4_T5_T6_T7_T8_P12ihipStream_tbENKUlT_T0_E_clISt17integral_constantIbLb1EESZ_EEDaSU_SV_EUlSU_E_NS1_11comp_targetILNS1_3genE0ELNS1_11target_archE4294967295ELNS1_3gpuE0ELNS1_3repE0EEENS1_30default_config_static_selectorELNS0_4arch9wavefront6targetE1EEEvT1_: ; @_ZN7rocprim17ROCPRIM_400000_NS6detail17trampoline_kernelINS0_14default_configENS1_33run_length_encode_config_selectorIsjNS0_4plusIjEEEEZZNS1_33reduce_by_key_impl_wrapped_configILNS1_25lookback_scan_determinismE0ES3_S7_PKsNS0_17constant_iteratorIjlEEPsPlSF_S6_NS0_8equal_toIsEEEE10hipError_tPvRmT2_T3_mT4_T5_T6_T7_T8_P12ihipStream_tbENKUlT_T0_E_clISt17integral_constantIbLb1EESZ_EEDaSU_SV_EUlSU_E_NS1_11comp_targetILNS1_3genE0ELNS1_11target_archE4294967295ELNS1_3gpuE0ELNS1_3repE0EEENS1_30default_config_static_selectorELNS0_4arch9wavefront6targetE1EEEvT1_
; %bb.0:
	.section	.rodata,"a",@progbits
	.p2align	6, 0x0
	.amdhsa_kernel _ZN7rocprim17ROCPRIM_400000_NS6detail17trampoline_kernelINS0_14default_configENS1_33run_length_encode_config_selectorIsjNS0_4plusIjEEEEZZNS1_33reduce_by_key_impl_wrapped_configILNS1_25lookback_scan_determinismE0ES3_S7_PKsNS0_17constant_iteratorIjlEEPsPlSF_S6_NS0_8equal_toIsEEEE10hipError_tPvRmT2_T3_mT4_T5_T6_T7_T8_P12ihipStream_tbENKUlT_T0_E_clISt17integral_constantIbLb1EESZ_EEDaSU_SV_EUlSU_E_NS1_11comp_targetILNS1_3genE0ELNS1_11target_archE4294967295ELNS1_3gpuE0ELNS1_3repE0EEENS1_30default_config_static_selectorELNS0_4arch9wavefront6targetE1EEEvT1_
		.amdhsa_group_segment_fixed_size 0
		.amdhsa_private_segment_fixed_size 0
		.amdhsa_kernarg_size 128
		.amdhsa_user_sgpr_count 2
		.amdhsa_user_sgpr_dispatch_ptr 0
		.amdhsa_user_sgpr_queue_ptr 0
		.amdhsa_user_sgpr_kernarg_segment_ptr 1
		.amdhsa_user_sgpr_dispatch_id 0
		.amdhsa_user_sgpr_kernarg_preload_length 0
		.amdhsa_user_sgpr_kernarg_preload_offset 0
		.amdhsa_user_sgpr_private_segment_size 0
		.amdhsa_uses_dynamic_stack 0
		.amdhsa_enable_private_segment 0
		.amdhsa_system_sgpr_workgroup_id_x 1
		.amdhsa_system_sgpr_workgroup_id_y 0
		.amdhsa_system_sgpr_workgroup_id_z 0
		.amdhsa_system_sgpr_workgroup_info 0
		.amdhsa_system_vgpr_workitem_id 0
		.amdhsa_next_free_vgpr 1
		.amdhsa_next_free_sgpr 0
		.amdhsa_accum_offset 4
		.amdhsa_reserve_vcc 0
		.amdhsa_float_round_mode_32 0
		.amdhsa_float_round_mode_16_64 0
		.amdhsa_float_denorm_mode_32 3
		.amdhsa_float_denorm_mode_16_64 3
		.amdhsa_dx10_clamp 1
		.amdhsa_ieee_mode 1
		.amdhsa_fp16_overflow 0
		.amdhsa_tg_split 0
		.amdhsa_exception_fp_ieee_invalid_op 0
		.amdhsa_exception_fp_denorm_src 0
		.amdhsa_exception_fp_ieee_div_zero 0
		.amdhsa_exception_fp_ieee_overflow 0
		.amdhsa_exception_fp_ieee_underflow 0
		.amdhsa_exception_fp_ieee_inexact 0
		.amdhsa_exception_int_div_zero 0
	.end_amdhsa_kernel
	.section	.text._ZN7rocprim17ROCPRIM_400000_NS6detail17trampoline_kernelINS0_14default_configENS1_33run_length_encode_config_selectorIsjNS0_4plusIjEEEEZZNS1_33reduce_by_key_impl_wrapped_configILNS1_25lookback_scan_determinismE0ES3_S7_PKsNS0_17constant_iteratorIjlEEPsPlSF_S6_NS0_8equal_toIsEEEE10hipError_tPvRmT2_T3_mT4_T5_T6_T7_T8_P12ihipStream_tbENKUlT_T0_E_clISt17integral_constantIbLb1EESZ_EEDaSU_SV_EUlSU_E_NS1_11comp_targetILNS1_3genE0ELNS1_11target_archE4294967295ELNS1_3gpuE0ELNS1_3repE0EEENS1_30default_config_static_selectorELNS0_4arch9wavefront6targetE1EEEvT1_,"axG",@progbits,_ZN7rocprim17ROCPRIM_400000_NS6detail17trampoline_kernelINS0_14default_configENS1_33run_length_encode_config_selectorIsjNS0_4plusIjEEEEZZNS1_33reduce_by_key_impl_wrapped_configILNS1_25lookback_scan_determinismE0ES3_S7_PKsNS0_17constant_iteratorIjlEEPsPlSF_S6_NS0_8equal_toIsEEEE10hipError_tPvRmT2_T3_mT4_T5_T6_T7_T8_P12ihipStream_tbENKUlT_T0_E_clISt17integral_constantIbLb1EESZ_EEDaSU_SV_EUlSU_E_NS1_11comp_targetILNS1_3genE0ELNS1_11target_archE4294967295ELNS1_3gpuE0ELNS1_3repE0EEENS1_30default_config_static_selectorELNS0_4arch9wavefront6targetE1EEEvT1_,comdat
.Lfunc_end589:
	.size	_ZN7rocprim17ROCPRIM_400000_NS6detail17trampoline_kernelINS0_14default_configENS1_33run_length_encode_config_selectorIsjNS0_4plusIjEEEEZZNS1_33reduce_by_key_impl_wrapped_configILNS1_25lookback_scan_determinismE0ES3_S7_PKsNS0_17constant_iteratorIjlEEPsPlSF_S6_NS0_8equal_toIsEEEE10hipError_tPvRmT2_T3_mT4_T5_T6_T7_T8_P12ihipStream_tbENKUlT_T0_E_clISt17integral_constantIbLb1EESZ_EEDaSU_SV_EUlSU_E_NS1_11comp_targetILNS1_3genE0ELNS1_11target_archE4294967295ELNS1_3gpuE0ELNS1_3repE0EEENS1_30default_config_static_selectorELNS0_4arch9wavefront6targetE1EEEvT1_, .Lfunc_end589-_ZN7rocprim17ROCPRIM_400000_NS6detail17trampoline_kernelINS0_14default_configENS1_33run_length_encode_config_selectorIsjNS0_4plusIjEEEEZZNS1_33reduce_by_key_impl_wrapped_configILNS1_25lookback_scan_determinismE0ES3_S7_PKsNS0_17constant_iteratorIjlEEPsPlSF_S6_NS0_8equal_toIsEEEE10hipError_tPvRmT2_T3_mT4_T5_T6_T7_T8_P12ihipStream_tbENKUlT_T0_E_clISt17integral_constantIbLb1EESZ_EEDaSU_SV_EUlSU_E_NS1_11comp_targetILNS1_3genE0ELNS1_11target_archE4294967295ELNS1_3gpuE0ELNS1_3repE0EEENS1_30default_config_static_selectorELNS0_4arch9wavefront6targetE1EEEvT1_
                                        ; -- End function
	.section	.AMDGPU.csdata,"",@progbits
; Kernel info:
; codeLenInByte = 0
; NumSgprs: 6
; NumVgprs: 0
; NumAgprs: 0
; TotalNumVgprs: 0
; ScratchSize: 0
; MemoryBound: 0
; FloatMode: 240
; IeeeMode: 1
; LDSByteSize: 0 bytes/workgroup (compile time only)
; SGPRBlocks: 0
; VGPRBlocks: 0
; NumSGPRsForWavesPerEU: 6
; NumVGPRsForWavesPerEU: 1
; AccumOffset: 4
; Occupancy: 8
; WaveLimiterHint : 0
; COMPUTE_PGM_RSRC2:SCRATCH_EN: 0
; COMPUTE_PGM_RSRC2:USER_SGPR: 2
; COMPUTE_PGM_RSRC2:TRAP_HANDLER: 0
; COMPUTE_PGM_RSRC2:TGID_X_EN: 1
; COMPUTE_PGM_RSRC2:TGID_Y_EN: 0
; COMPUTE_PGM_RSRC2:TGID_Z_EN: 0
; COMPUTE_PGM_RSRC2:TIDIG_COMP_CNT: 0
; COMPUTE_PGM_RSRC3_GFX90A:ACCUM_OFFSET: 0
; COMPUTE_PGM_RSRC3_GFX90A:TG_SPLIT: 0
	.section	.text._ZN7rocprim17ROCPRIM_400000_NS6detail17trampoline_kernelINS0_14default_configENS1_33run_length_encode_config_selectorIsjNS0_4plusIjEEEEZZNS1_33reduce_by_key_impl_wrapped_configILNS1_25lookback_scan_determinismE0ES3_S7_PKsNS0_17constant_iteratorIjlEEPsPlSF_S6_NS0_8equal_toIsEEEE10hipError_tPvRmT2_T3_mT4_T5_T6_T7_T8_P12ihipStream_tbENKUlT_T0_E_clISt17integral_constantIbLb1EESZ_EEDaSU_SV_EUlSU_E_NS1_11comp_targetILNS1_3genE5ELNS1_11target_archE942ELNS1_3gpuE9ELNS1_3repE0EEENS1_30default_config_static_selectorELNS0_4arch9wavefront6targetE1EEEvT1_,"axG",@progbits,_ZN7rocprim17ROCPRIM_400000_NS6detail17trampoline_kernelINS0_14default_configENS1_33run_length_encode_config_selectorIsjNS0_4plusIjEEEEZZNS1_33reduce_by_key_impl_wrapped_configILNS1_25lookback_scan_determinismE0ES3_S7_PKsNS0_17constant_iteratorIjlEEPsPlSF_S6_NS0_8equal_toIsEEEE10hipError_tPvRmT2_T3_mT4_T5_T6_T7_T8_P12ihipStream_tbENKUlT_T0_E_clISt17integral_constantIbLb1EESZ_EEDaSU_SV_EUlSU_E_NS1_11comp_targetILNS1_3genE5ELNS1_11target_archE942ELNS1_3gpuE9ELNS1_3repE0EEENS1_30default_config_static_selectorELNS0_4arch9wavefront6targetE1EEEvT1_,comdat
	.protected	_ZN7rocprim17ROCPRIM_400000_NS6detail17trampoline_kernelINS0_14default_configENS1_33run_length_encode_config_selectorIsjNS0_4plusIjEEEEZZNS1_33reduce_by_key_impl_wrapped_configILNS1_25lookback_scan_determinismE0ES3_S7_PKsNS0_17constant_iteratorIjlEEPsPlSF_S6_NS0_8equal_toIsEEEE10hipError_tPvRmT2_T3_mT4_T5_T6_T7_T8_P12ihipStream_tbENKUlT_T0_E_clISt17integral_constantIbLb1EESZ_EEDaSU_SV_EUlSU_E_NS1_11comp_targetILNS1_3genE5ELNS1_11target_archE942ELNS1_3gpuE9ELNS1_3repE0EEENS1_30default_config_static_selectorELNS0_4arch9wavefront6targetE1EEEvT1_ ; -- Begin function _ZN7rocprim17ROCPRIM_400000_NS6detail17trampoline_kernelINS0_14default_configENS1_33run_length_encode_config_selectorIsjNS0_4plusIjEEEEZZNS1_33reduce_by_key_impl_wrapped_configILNS1_25lookback_scan_determinismE0ES3_S7_PKsNS0_17constant_iteratorIjlEEPsPlSF_S6_NS0_8equal_toIsEEEE10hipError_tPvRmT2_T3_mT4_T5_T6_T7_T8_P12ihipStream_tbENKUlT_T0_E_clISt17integral_constantIbLb1EESZ_EEDaSU_SV_EUlSU_E_NS1_11comp_targetILNS1_3genE5ELNS1_11target_archE942ELNS1_3gpuE9ELNS1_3repE0EEENS1_30default_config_static_selectorELNS0_4arch9wavefront6targetE1EEEvT1_
	.globl	_ZN7rocprim17ROCPRIM_400000_NS6detail17trampoline_kernelINS0_14default_configENS1_33run_length_encode_config_selectorIsjNS0_4plusIjEEEEZZNS1_33reduce_by_key_impl_wrapped_configILNS1_25lookback_scan_determinismE0ES3_S7_PKsNS0_17constant_iteratorIjlEEPsPlSF_S6_NS0_8equal_toIsEEEE10hipError_tPvRmT2_T3_mT4_T5_T6_T7_T8_P12ihipStream_tbENKUlT_T0_E_clISt17integral_constantIbLb1EESZ_EEDaSU_SV_EUlSU_E_NS1_11comp_targetILNS1_3genE5ELNS1_11target_archE942ELNS1_3gpuE9ELNS1_3repE0EEENS1_30default_config_static_selectorELNS0_4arch9wavefront6targetE1EEEvT1_
	.p2align	8
	.type	_ZN7rocprim17ROCPRIM_400000_NS6detail17trampoline_kernelINS0_14default_configENS1_33run_length_encode_config_selectorIsjNS0_4plusIjEEEEZZNS1_33reduce_by_key_impl_wrapped_configILNS1_25lookback_scan_determinismE0ES3_S7_PKsNS0_17constant_iteratorIjlEEPsPlSF_S6_NS0_8equal_toIsEEEE10hipError_tPvRmT2_T3_mT4_T5_T6_T7_T8_P12ihipStream_tbENKUlT_T0_E_clISt17integral_constantIbLb1EESZ_EEDaSU_SV_EUlSU_E_NS1_11comp_targetILNS1_3genE5ELNS1_11target_archE942ELNS1_3gpuE9ELNS1_3repE0EEENS1_30default_config_static_selectorELNS0_4arch9wavefront6targetE1EEEvT1_,@function
_ZN7rocprim17ROCPRIM_400000_NS6detail17trampoline_kernelINS0_14default_configENS1_33run_length_encode_config_selectorIsjNS0_4plusIjEEEEZZNS1_33reduce_by_key_impl_wrapped_configILNS1_25lookback_scan_determinismE0ES3_S7_PKsNS0_17constant_iteratorIjlEEPsPlSF_S6_NS0_8equal_toIsEEEE10hipError_tPvRmT2_T3_mT4_T5_T6_T7_T8_P12ihipStream_tbENKUlT_T0_E_clISt17integral_constantIbLb1EESZ_EEDaSU_SV_EUlSU_E_NS1_11comp_targetILNS1_3genE5ELNS1_11target_archE942ELNS1_3gpuE9ELNS1_3repE0EEENS1_30default_config_static_selectorELNS0_4arch9wavefront6targetE1EEEvT1_: ; @_ZN7rocprim17ROCPRIM_400000_NS6detail17trampoline_kernelINS0_14default_configENS1_33run_length_encode_config_selectorIsjNS0_4plusIjEEEEZZNS1_33reduce_by_key_impl_wrapped_configILNS1_25lookback_scan_determinismE0ES3_S7_PKsNS0_17constant_iteratorIjlEEPsPlSF_S6_NS0_8equal_toIsEEEE10hipError_tPvRmT2_T3_mT4_T5_T6_T7_T8_P12ihipStream_tbENKUlT_T0_E_clISt17integral_constantIbLb1EESZ_EEDaSU_SV_EUlSU_E_NS1_11comp_targetILNS1_3genE5ELNS1_11target_archE942ELNS1_3gpuE9ELNS1_3repE0EEENS1_30default_config_static_selectorELNS0_4arch9wavefront6targetE1EEEvT1_
; %bb.0:
	s_load_dword s10, s[0:1], 0x10
	s_load_dwordx4 s[44:47], s[0:1], 0x20
	s_load_dwordx2 s[34:35], s[0:1], 0x30
	s_load_dwordx2 s[28:29], s[0:1], 0x70
	s_load_dwordx4 s[48:51], s[0:1], 0x60
	s_load_dwordx8 s[36:43], s[0:1], 0x40
	v_cmp_ne_u32_e64 s[2:3], 0, v0
	v_cmp_eq_u32_e64 s[30:31], 0, v0
	s_and_saveexec_b64 s[4:5], s[30:31]
	s_cbranch_execz .LBB590_4
; %bb.1:
	s_mov_b64 s[8:9], exec
	v_mbcnt_lo_u32_b32 v1, s8, 0
	v_mbcnt_hi_u32_b32 v1, s9, v1
	v_cmp_eq_u32_e32 vcc, 0, v1
                                        ; implicit-def: $vgpr2
	s_and_saveexec_b64 s[6:7], vcc
	s_cbranch_execz .LBB590_3
; %bb.2:
	s_load_dwordx2 s[12:13], s[0:1], 0x78
	s_bcnt1_i32_b64 s8, s[8:9]
	v_mov_b32_e32 v2, 0
	v_mov_b32_e32 v3, s8
	s_waitcnt lgkmcnt(0)
	global_atomic_add v2, v2, v3, s[12:13] sc0
.LBB590_3:
	s_or_b64 exec, exec, s[6:7]
	s_waitcnt vmcnt(0)
	v_readfirstlane_b32 s6, v2
	v_mov_b32_e32 v2, 0
	s_nop 0
	v_add_u32_e32 v1, s6, v1
	ds_write_b32 v2, v1
.LBB590_4:
	s_or_b64 exec, exec, s[4:5]
	s_load_dwordx4 s[4:7], s[0:1], 0x0
	v_mov_b32_e32 v5, 0
	s_waitcnt lgkmcnt(0)
	s_barrier
	ds_read_b32 v1, v5
	s_mul_i32 s0, s40, s39
	s_mul_hi_u32 s1, s40, s38
	s_add_i32 s0, s1, s0
	s_mul_i32 s1, s41, s38
	s_add_i32 s8, s0, s1
	s_lshl_b64 s[0:1], s[6:7], 1
	s_add_u32 s0, s4, s0
	s_movk_i32 s4, 0x1c00
	s_waitcnt lgkmcnt(0)
	v_mul_lo_u32 v4, v1, s4
	s_mul_i32 s9, s40, s38
	s_addc_u32 s1, s5, s1
	v_readfirstlane_b32 s56, v1
	v_lshlrev_b64 v[2:3], 1, v[4:5]
	v_lshl_add_u64 v[2:3], s[0:1], 0, v[2:3]
	s_add_u32 s0, s9, s56
	s_addc_u32 s1, s8, 0
	s_add_u32 s4, s42, -1
	s_addc_u32 s5, s43, -1
	s_cmp_eq_u64 s[0:1], s[4:5]
	s_cselect_b64 s[40:41], -1, 0
	s_cmp_lg_u64 s[0:1], s[4:5]
	s_mov_b64 s[8:9], -1
	s_cselect_b64 s[6:7], -1, 0
	s_mul_i32 s33, s4, 0xffffe400
	s_and_b64 vcc, exec, s[40:41]
	s_barrier
	s_cbranch_vccnz .LBB590_6
; %bb.5:
	v_lshlrev_b32_e32 v4, 1, v0
	v_lshl_add_u64 v[6:7], v[2:3], 0, v[4:5]
	v_add_co_u32_e32 v8, vcc, 0x1000, v6
	v_readfirstlane_b32 s4, v2
	s_nop 0
	v_addc_co_u32_e32 v9, vcc, 0, v7, vcc
	v_add_co_u32_e32 v10, vcc, 0x2000, v6
	v_readfirstlane_b32 s5, v3
	s_nop 0
	v_addc_co_u32_e32 v11, vcc, 0, v7, vcc
	v_add_co_u32_e32 v6, vcc, 0x3000, v6
	s_nop 1
	global_load_ushort v1, v4, s[4:5]
	global_load_ushort v5, v4, s[4:5] offset:1024
	global_load_ushort v12, v4, s[4:5] offset:2048
	;; [unrolled: 1-line block ×3, first 2 shown]
	v_addc_co_u32_e32 v7, vcc, 0, v7, vcc
	global_load_ushort v14, v[8:9], off
	global_load_ushort v15, v[8:9], off offset:1024
	global_load_ushort v16, v[8:9], off offset:2048
	;; [unrolled: 1-line block ×3, first 2 shown]
	global_load_ushort v18, v[10:11], off
	global_load_ushort v19, v[10:11], off offset:1024
	global_load_ushort v20, v[10:11], off offset:2048
	;; [unrolled: 1-line block ×3, first 2 shown]
	s_nop 0
	global_load_ushort v8, v[6:7], off
	global_load_ushort v9, v[6:7], off offset:1024
	v_mad_u32_u24 v6, v0, 26, v4
	s_mov_b64 s[4:5], -1
	s_waitcnt vmcnt(13)
	ds_write_b16 v4, v1
	s_waitcnt vmcnt(12)
	ds_write_b16 v4, v5 offset:1024
	s_waitcnt vmcnt(11)
	ds_write_b16 v4, v12 offset:2048
	;; [unrolled: 2-line block ×13, first 2 shown]
	s_waitcnt lgkmcnt(0)
	s_barrier
	ds_read2_b32 v[12:13], v6 offset1:1
	ds_read2_b32 v[10:11], v6 offset0:2 offset1:3
	ds_read2_b32 v[8:9], v6 offset0:4 offset1:5
	ds_read_b32 v1, v6 offset:24
	s_add_i32 s33, s33, s48
	s_cbranch_execz .LBB590_7
	s_branch .LBB590_36
.LBB590_6:
	s_mov_b64 s[4:5], 0
                                        ; implicit-def: $vgpr12
                                        ; implicit-def: $vgpr10
                                        ; implicit-def: $vgpr8
                                        ; implicit-def: $vgpr1
	s_add_i32 s33, s33, s48
	s_andn2_b64 vcc, exec, s[8:9]
	s_cbranch_vccnz .LBB590_36
.LBB590_7:
	v_cmp_gt_u32_e32 vcc, s33, v0
                                        ; implicit-def: $vgpr1
	s_and_saveexec_b64 s[4:5], vcc
	s_cbranch_execz .LBB590_9
; %bb.8:
	s_waitcnt lgkmcnt(0)
	v_lshlrev_b32_e32 v1, 1, v0
	v_readfirstlane_b32 s8, v2
	v_readfirstlane_b32 s9, v3
	s_nop 4
	global_load_ushort v1, v1, s[8:9]
.LBB590_9:
	s_or_b64 exec, exec, s[4:5]
	v_or_b32_e32 v4, 0x200, v0
	v_cmp_gt_u32_e32 vcc, s33, v4
                                        ; implicit-def: $vgpr4
	s_and_saveexec_b64 s[4:5], vcc
	s_cbranch_execz .LBB590_11
; %bb.10:
	v_lshlrev_b32_e32 v4, 1, v0
	v_readfirstlane_b32 s8, v2
	v_readfirstlane_b32 s9, v3
	s_nop 4
	global_load_ushort v4, v4, s[8:9] offset:1024
.LBB590_11:
	s_or_b64 exec, exec, s[4:5]
	v_or_b32_e32 v5, 0x400, v0
	v_cmp_gt_u32_e32 vcc, s33, v5
                                        ; implicit-def: $vgpr5
	s_and_saveexec_b64 s[4:5], vcc
	s_cbranch_execz .LBB590_13
; %bb.12:
	v_lshlrev_b32_e32 v5, 1, v0
	v_readfirstlane_b32 s8, v2
	v_readfirstlane_b32 s9, v3
	s_nop 4
	global_load_ushort v5, v5, s[8:9] offset:2048
.LBB590_13:
	s_or_b64 exec, exec, s[4:5]
	v_or_b32_e32 v6, 0x600, v0
	v_cmp_gt_u32_e32 vcc, s33, v6
                                        ; implicit-def: $vgpr6
	s_and_saveexec_b64 s[4:5], vcc
	s_cbranch_execz .LBB590_15
; %bb.14:
	v_lshlrev_b32_e32 v6, 1, v0
	v_readfirstlane_b32 s8, v2
	v_readfirstlane_b32 s9, v3
	s_nop 4
	global_load_ushort v6, v6, s[8:9] offset:3072
.LBB590_15:
	s_or_b64 exec, exec, s[4:5]
	s_waitcnt lgkmcnt(1)
	v_or_b32_e32 v8, 0x800, v0
	v_cmp_gt_u32_e32 vcc, s33, v8
                                        ; implicit-def: $vgpr7
	s_and_saveexec_b64 s[4:5], vcc
	s_cbranch_execz .LBB590_17
; %bb.16:
	v_lshlrev_b32_e32 v7, 1, v8
	v_readfirstlane_b32 s8, v2
	v_readfirstlane_b32 s9, v3
	s_nop 4
	global_load_ushort v7, v7, s[8:9]
.LBB590_17:
	s_or_b64 exec, exec, s[4:5]
	v_or_b32_e32 v9, 0xa00, v0
	v_cmp_gt_u32_e32 vcc, s33, v9
                                        ; implicit-def: $vgpr8
	s_and_saveexec_b64 s[4:5], vcc
	s_cbranch_execz .LBB590_19
; %bb.18:
	v_lshlrev_b32_e32 v8, 1, v9
	v_readfirstlane_b32 s8, v2
	v_readfirstlane_b32 s9, v3
	s_nop 4
	global_load_ushort v8, v8, s[8:9]
.LBB590_19:
	s_or_b64 exec, exec, s[4:5]
	v_or_b32_e32 v10, 0xc00, v0
	v_cmp_gt_u32_e32 vcc, s33, v10
                                        ; implicit-def: $vgpr9
	s_and_saveexec_b64 s[4:5], vcc
	s_cbranch_execz .LBB590_21
; %bb.20:
	v_lshlrev_b32_e32 v9, 1, v10
	v_readfirstlane_b32 s8, v2
	v_readfirstlane_b32 s9, v3
	s_nop 4
	global_load_ushort v9, v9, s[8:9]
.LBB590_21:
	s_or_b64 exec, exec, s[4:5]
	v_or_b32_e32 v11, 0xe00, v0
	v_cmp_gt_u32_e32 vcc, s33, v11
                                        ; implicit-def: $vgpr10
	s_and_saveexec_b64 s[4:5], vcc
	s_cbranch_execz .LBB590_23
; %bb.22:
	v_lshlrev_b32_e32 v10, 1, v11
	v_readfirstlane_b32 s8, v2
	v_readfirstlane_b32 s9, v3
	s_nop 4
	global_load_ushort v10, v10, s[8:9]
.LBB590_23:
	s_or_b64 exec, exec, s[4:5]
	v_or_b32_e32 v12, 0x1000, v0
	v_cmp_gt_u32_e32 vcc, s33, v12
                                        ; implicit-def: $vgpr11
	s_and_saveexec_b64 s[4:5], vcc
	s_cbranch_execz .LBB590_25
; %bb.24:
	v_lshlrev_b32_e32 v11, 1, v12
	v_readfirstlane_b32 s8, v2
	v_readfirstlane_b32 s9, v3
	s_nop 4
	global_load_ushort v11, v11, s[8:9]
.LBB590_25:
	s_or_b64 exec, exec, s[4:5]
	v_or_b32_e32 v13, 0x1200, v0
	v_cmp_gt_u32_e32 vcc, s33, v13
                                        ; implicit-def: $vgpr12
	s_and_saveexec_b64 s[4:5], vcc
	s_cbranch_execz .LBB590_27
; %bb.26:
	v_lshlrev_b32_e32 v12, 1, v13
	v_readfirstlane_b32 s8, v2
	v_readfirstlane_b32 s9, v3
	s_nop 4
	global_load_ushort v12, v12, s[8:9]
.LBB590_27:
	s_or_b64 exec, exec, s[4:5]
	v_or_b32_e32 v14, 0x1400, v0
	v_cmp_gt_u32_e32 vcc, s33, v14
                                        ; implicit-def: $vgpr13
	s_and_saveexec_b64 s[4:5], vcc
	s_cbranch_execz .LBB590_29
; %bb.28:
	v_lshlrev_b32_e32 v13, 1, v14
	v_readfirstlane_b32 s8, v2
	v_readfirstlane_b32 s9, v3
	s_nop 4
	global_load_ushort v13, v13, s[8:9]
.LBB590_29:
	s_or_b64 exec, exec, s[4:5]
	v_or_b32_e32 v15, 0x1600, v0
	v_cmp_gt_u32_e32 vcc, s33, v15
                                        ; implicit-def: $vgpr14
	s_and_saveexec_b64 s[4:5], vcc
	s_cbranch_execz .LBB590_31
; %bb.30:
	v_lshlrev_b32_e32 v14, 1, v15
	v_readfirstlane_b32 s8, v2
	v_readfirstlane_b32 s9, v3
	s_nop 4
	global_load_ushort v14, v14, s[8:9]
.LBB590_31:
	s_or_b64 exec, exec, s[4:5]
	v_or_b32_e32 v16, 0x1800, v0
	v_cmp_gt_u32_e32 vcc, s33, v16
                                        ; implicit-def: $vgpr15
	s_and_saveexec_b64 s[4:5], vcc
	s_cbranch_execz .LBB590_33
; %bb.32:
	v_lshlrev_b32_e32 v15, 1, v16
	v_readfirstlane_b32 s8, v2
	v_readfirstlane_b32 s9, v3
	s_nop 4
	global_load_ushort v15, v15, s[8:9]
.LBB590_33:
	s_or_b64 exec, exec, s[4:5]
	v_or_b32_e32 v17, 0x1a00, v0
	v_cmp_gt_u32_e32 vcc, s33, v17
                                        ; implicit-def: $vgpr16
	s_and_saveexec_b64 s[4:5], vcc
	s_cbranch_execz .LBB590_35
; %bb.34:
	v_lshlrev_b32_e32 v16, 1, v17
	v_readfirstlane_b32 s8, v2
	v_readfirstlane_b32 s9, v3
	s_nop 4
	global_load_ushort v16, v16, s[8:9]
.LBB590_35:
	s_or_b64 exec, exec, s[4:5]
	v_lshlrev_b32_e32 v17, 1, v0
	s_waitcnt vmcnt(0) lgkmcnt(0)
	ds_write_b16 v17, v1
	ds_write_b16 v17, v4 offset:1024
	ds_write_b16 v17, v5 offset:2048
	;; [unrolled: 1-line block ×13, first 2 shown]
	v_mad_u32_u24 v1, v0, 26, v17
	s_waitcnt lgkmcnt(0)
	s_barrier
	ds_read2_b32 v[12:13], v1 offset1:1
	ds_read2_b32 v[10:11], v1 offset0:2 offset1:3
	ds_read2_b32 v[8:9], v1 offset0:4 offset1:5
	ds_read_b32 v1, v1 offset:24
	v_mad_u32_u24 v4, v0, 14, 13
	v_cmp_gt_u32_e64 s[4:5], s33, v4
.LBB590_36:
	v_mov_b32_e32 v44, s10
                                        ; implicit-def: $vgpr45
	s_and_saveexec_b64 s[8:9], s[4:5]
; %bb.37:
	v_mov_b32_e32 v45, s10
; %bb.38:
	s_or_b64 exec, exec, s[8:9]
	s_cmp_eq_u64 s[0:1], 0
	s_cselect_b64 s[42:43], -1, 0
	s_cmp_lg_u64 s[0:1], 0
	s_mov_b64 s[4:5], 0
	s_cselect_b64 s[8:9], -1, 0
	s_and_b64 vcc, exec, s[6:7]
	s_waitcnt lgkmcnt(0)
	s_barrier
	s_cbranch_vccz .LBB590_44
; %bb.39:
	s_and_b64 vcc, exec, s[8:9]
	s_cbranch_vccz .LBB590_45
; %bb.40:
	global_load_ushort v4, v[2:3], off offset:-2
	v_lshrrev_b32_e32 v6, 16, v1
	v_lshlrev_b32_e32 v5, 1, v0
	v_cmp_ne_u16_e32 vcc, v1, v6
	v_cmp_ne_u16_sdwa s[4:5], v9, v1 src0_sel:WORD_1 src1_sel:DWORD
	v_cmp_ne_u16_sdwa s[6:7], v9, v9 src0_sel:DWORD src1_sel:WORD_1
	v_cmp_ne_u16_sdwa s[10:11], v8, v9 src0_sel:WORD_1 src1_sel:DWORD
	v_cmp_ne_u16_sdwa s[12:13], v8, v8 src0_sel:DWORD src1_sel:WORD_1
	;; [unrolled: 2-line block ×6, first 2 shown]
	ds_write_b16 v5, v6
	s_waitcnt lgkmcnt(0)
	s_barrier
	s_and_saveexec_b64 s[54:55], s[2:3]
	s_cbranch_execz .LBB590_42
; %bb.41:
	s_waitcnt vmcnt(0)
	v_add_u32_e32 v4, -2, v5
	ds_read_u16 v4, v4
.LBB590_42:
	s_or_b64 exec, exec, s[54:55]
	v_cndmask_b32_e64 v48, 0, 1, vcc
	v_cndmask_b32_e64 v49, 0, 1, s[4:5]
	v_cndmask_b32_e64 v50, 0, 1, s[6:7]
	;; [unrolled: 1-line block ×12, first 2 shown]
	s_waitcnt vmcnt(0) lgkmcnt(0)
	v_cmp_ne_u16_e64 s[6:7], v4, v12
	s_mov_b64 s[4:5], -1
.LBB590_43:
                                        ; implicit-def: $sgpr12
	s_branch .LBB590_57
.LBB590_44:
                                        ; implicit-def: $sgpr6_sgpr7
                                        ; implicit-def: $vgpr48
                                        ; implicit-def: $vgpr49
                                        ; implicit-def: $vgpr50
                                        ; implicit-def: $vgpr51
                                        ; implicit-def: $vgpr52
                                        ; implicit-def: $vgpr53
                                        ; implicit-def: $vgpr54
                                        ; implicit-def: $vgpr55
                                        ; implicit-def: $vgpr56
                                        ; implicit-def: $vgpr57
                                        ; implicit-def: $vgpr58
                                        ; implicit-def: $vgpr59
                                        ; implicit-def: $vgpr60
                                        ; implicit-def: $sgpr12
	s_cbranch_execnz .LBB590_49
	s_branch .LBB590_57
.LBB590_45:
                                        ; implicit-def: $sgpr6_sgpr7
                                        ; implicit-def: $vgpr48
                                        ; implicit-def: $vgpr49
                                        ; implicit-def: $vgpr50
                                        ; implicit-def: $vgpr51
                                        ; implicit-def: $vgpr52
                                        ; implicit-def: $vgpr53
                                        ; implicit-def: $vgpr54
                                        ; implicit-def: $vgpr55
                                        ; implicit-def: $vgpr56
                                        ; implicit-def: $vgpr57
                                        ; implicit-def: $vgpr58
                                        ; implicit-def: $vgpr59
                                        ; implicit-def: $vgpr60
	s_cbranch_execz .LBB590_43
; %bb.46:
	v_cmp_ne_u16_sdwa s[6:7], v9, v1 src0_sel:WORD_1 src1_sel:DWORD
	v_lshrrev_b32_e32 v5, 16, v1
	v_cmp_ne_u16_e32 vcc, v1, v5
	v_cndmask_b32_e64 v49, 0, 1, s[6:7]
	v_cmp_ne_u16_sdwa s[6:7], v9, v9 src0_sel:DWORD src1_sel:WORD_1
	s_mov_b32 s12, 1
	v_lshlrev_b32_e32 v4, 1, v0
	v_cndmask_b32_e64 v50, 0, 1, s[6:7]
	v_cmp_ne_u16_sdwa s[6:7], v8, v9 src0_sel:WORD_1 src1_sel:DWORD
	v_cndmask_b32_e64 v48, 0, 1, vcc
	ds_write_b16 v4, v5
	v_cndmask_b32_e64 v51, 0, 1, s[6:7]
	v_cmp_ne_u16_sdwa s[6:7], v8, v8 src0_sel:DWORD src1_sel:WORD_1
	s_waitcnt lgkmcnt(0)
	s_barrier
	v_cndmask_b32_e64 v52, 0, 1, s[6:7]
	v_cmp_ne_u16_sdwa s[6:7], v11, v8 src0_sel:WORD_1 src1_sel:DWORD
	s_nop 1
	v_cndmask_b32_e64 v53, 0, 1, s[6:7]
	v_cmp_ne_u16_sdwa s[6:7], v11, v11 src0_sel:DWORD src1_sel:WORD_1
	s_nop 1
	v_cndmask_b32_e64 v54, 0, 1, s[6:7]
	v_cmp_ne_u16_sdwa s[6:7], v10, v11 src0_sel:WORD_1 src1_sel:DWORD
	s_nop 1
	v_cndmask_b32_e64 v55, 0, 1, s[6:7]
	v_cmp_ne_u16_sdwa s[6:7], v10, v10 src0_sel:DWORD src1_sel:WORD_1
	s_nop 1
	;; [unrolled: 6-line block ×4, first 2 shown]
	v_cndmask_b32_e64 v60, 0, 1, s[6:7]
                                        ; implicit-def: $sgpr6_sgpr7
	s_and_saveexec_b64 s[10:11], s[2:3]
	s_xor_b64 s[10:11], exec, s[10:11]
	s_cbranch_execz .LBB590_48
; %bb.47:
	v_add_u32_e32 v4, -2, v4
	ds_read_u16 v4, v4
	s_or_b64 s[4:5], s[4:5], exec
	s_waitcnt lgkmcnt(0)
	v_cmp_ne_u16_e32 vcc, v4, v12
	s_and_b64 s[6:7], vcc, exec
.LBB590_48:
	s_or_b64 exec, exec, s[10:11]
	s_branch .LBB590_57
.LBB590_49:
	s_mul_hi_u32 s6, s0, 0xffffe400
	s_mulk_i32 s1, 0xe400
	s_sub_i32 s6, s6, s0
	s_add_i32 s6, s6, s1
	s_mulk_i32 s0, 0xe400
	s_add_u32 s10, s0, s48
	s_addc_u32 s11, s6, s49
	s_and_b64 vcc, exec, s[8:9]
	s_cbranch_vccz .LBB590_54
; %bb.50:
	global_load_ushort v6, v[2:3], off offset:-2
	v_lshrrev_b32_e32 v7, 16, v1
	v_mad_u32_u24 v4, v0, 14, 13
	v_mov_b32_e32 v5, 0
	v_cmp_gt_u64_e32 vcc, s[10:11], v[4:5]
	v_cmp_ne_u16_e64 s[0:1], v1, v7
	v_mad_u32_u24 v4, v0, 14, 12
	s_and_b64 s[0:1], vcc, s[0:1]
	v_cmp_gt_u64_e32 vcc, s[10:11], v[4:5]
	v_cmp_ne_u16_sdwa s[4:5], v9, v1 src0_sel:WORD_1 src1_sel:DWORD
	v_mad_u32_u24 v4, v0, 14, 11
	s_and_b64 s[4:5], vcc, s[4:5]
	v_cmp_gt_u64_e32 vcc, s[10:11], v[4:5]
	v_cmp_ne_u16_sdwa s[6:7], v9, v9 src0_sel:DWORD src1_sel:WORD_1
	v_mad_u32_u24 v4, v0, 14, 10
	s_and_b64 s[6:7], vcc, s[6:7]
	v_cmp_gt_u64_e32 vcc, s[10:11], v[4:5]
	v_cmp_ne_u16_sdwa s[8:9], v8, v9 src0_sel:WORD_1 src1_sel:DWORD
	v_mad_u32_u24 v4, v0, 14, 9
	s_and_b64 s[8:9], vcc, s[8:9]
	v_cmp_gt_u64_e32 vcc, s[10:11], v[4:5]
	v_cmp_ne_u16_sdwa s[12:13], v8, v8 src0_sel:DWORD src1_sel:WORD_1
	;; [unrolled: 8-line block ×4, first 2 shown]
	v_mad_u32_u24 v4, v0, 14, 4
	s_and_b64 s[20:21], vcc, s[20:21]
	v_cmp_gt_u64_e32 vcc, s[10:11], v[4:5]
	v_cmp_ne_u16_sdwa s[22:23], v13, v10 src0_sel:WORD_1 src1_sel:DWORD
	v_mad_u32_u24 v4, v0, 14, 3
	v_mul_u32_u24_e32 v2, 14, v0
	s_and_b64 s[22:23], vcc, s[22:23]
	v_cmp_gt_u64_e32 vcc, s[10:11], v[4:5]
	v_cmp_ne_u16_sdwa s[24:25], v13, v13 src0_sel:DWORD src1_sel:WORD_1
	v_mad_u32_u24 v4, v0, 14, 2
	s_and_b64 s[24:25], vcc, s[24:25]
	v_cmp_gt_u64_e32 vcc, s[10:11], v[4:5]
	v_cmp_ne_u16_sdwa s[26:27], v12, v13 src0_sel:WORD_1 src1_sel:DWORD
	v_or_b32_e32 v4, 1, v2
	s_and_b64 s[26:27], vcc, s[26:27]
	v_cmp_gt_u64_e32 vcc, s[10:11], v[4:5]
	v_cmp_ne_u16_sdwa s[48:49], v12, v12 src0_sel:DWORD src1_sel:WORD_1
	v_lshlrev_b32_e32 v3, 1, v0
	s_and_b64 s[48:49], vcc, s[48:49]
	ds_write_b16 v3, v7
	s_waitcnt lgkmcnt(0)
	s_barrier
	s_and_saveexec_b64 s[52:53], s[2:3]
	s_cbranch_execz .LBB590_52
; %bb.51:
	v_add_u32_e32 v3, -2, v3
	s_waitcnt vmcnt(0)
	ds_read_u16 v6, v3
.LBB590_52:
	s_or_b64 exec, exec, s[52:53]
	v_mov_b32_e32 v3, v5
	v_cndmask_b32_e64 v48, 0, 1, s[0:1]
	v_cmp_gt_u64_e32 vcc, s[10:11], v[2:3]
	s_waitcnt vmcnt(0) lgkmcnt(0)
	v_cmp_ne_u16_e64 s[0:1], v6, v12
	v_cndmask_b32_e64 v49, 0, 1, s[4:5]
	v_cndmask_b32_e64 v50, 0, 1, s[6:7]
	;; [unrolled: 1-line block ×12, first 2 shown]
	s_and_b64 s[6:7], vcc, s[0:1]
	s_mov_b64 s[4:5], -1
.LBB590_53:
                                        ; implicit-def: $sgpr12
	v_mov_b32_e32 v61, s12
	s_and_saveexec_b64 s[0:1], s[4:5]
	s_cbranch_execnz .LBB590_58
	s_branch .LBB590_59
.LBB590_54:
                                        ; implicit-def: $sgpr6_sgpr7
                                        ; implicit-def: $vgpr48
                                        ; implicit-def: $vgpr49
                                        ; implicit-def: $vgpr50
                                        ; implicit-def: $vgpr51
                                        ; implicit-def: $vgpr52
                                        ; implicit-def: $vgpr53
                                        ; implicit-def: $vgpr54
                                        ; implicit-def: $vgpr55
                                        ; implicit-def: $vgpr56
                                        ; implicit-def: $vgpr57
                                        ; implicit-def: $vgpr58
                                        ; implicit-def: $vgpr59
                                        ; implicit-def: $vgpr60
	s_cbranch_execz .LBB590_53
; %bb.55:
	v_lshrrev_b32_e32 v6, 16, v1
	v_mad_u32_u24 v4, v0, 14, 13
	v_mov_b32_e32 v5, 0
	v_cmp_gt_u64_e32 vcc, s[10:11], v[4:5]
	v_cmp_ne_u16_e64 s[0:1], v1, v6
	s_and_b64 s[0:1], vcc, s[0:1]
	v_mad_u32_u24 v4, v0, 14, 12
	v_cndmask_b32_e64 v48, 0, 1, s[0:1]
	v_cmp_gt_u64_e32 vcc, s[10:11], v[4:5]
	v_cmp_ne_u16_sdwa s[0:1], v9, v1 src0_sel:WORD_1 src1_sel:DWORD
	s_and_b64 s[0:1], vcc, s[0:1]
	v_mad_u32_u24 v4, v0, 14, 11
	v_cndmask_b32_e64 v49, 0, 1, s[0:1]
	v_cmp_gt_u64_e32 vcc, s[10:11], v[4:5]
	v_cmp_ne_u16_sdwa s[0:1], v9, v9 src0_sel:DWORD src1_sel:WORD_1
	s_and_b64 s[0:1], vcc, s[0:1]
	v_mad_u32_u24 v4, v0, 14, 10
	v_cndmask_b32_e64 v50, 0, 1, s[0:1]
	v_cmp_gt_u64_e32 vcc, s[10:11], v[4:5]
	v_cmp_ne_u16_sdwa s[0:1], v8, v9 src0_sel:WORD_1 src1_sel:DWORD
	s_and_b64 s[0:1], vcc, s[0:1]
	v_mad_u32_u24 v4, v0, 14, 9
	v_cndmask_b32_e64 v51, 0, 1, s[0:1]
	v_cmp_gt_u64_e32 vcc, s[10:11], v[4:5]
	v_cmp_ne_u16_sdwa s[0:1], v8, v8 src0_sel:DWORD src1_sel:WORD_1
	;; [unrolled: 10-line block ×5, first 2 shown]
	s_and_b64 s[0:1], vcc, s[0:1]
	v_mad_u32_u24 v4, v0, 14, 2
	v_mul_u32_u24_e32 v2, 14, v0
	v_cndmask_b32_e64 v58, 0, 1, s[0:1]
	v_cmp_gt_u64_e32 vcc, s[10:11], v[4:5]
	v_cmp_ne_u16_sdwa s[0:1], v12, v13 src0_sel:WORD_1 src1_sel:DWORD
	s_and_b64 s[0:1], vcc, s[0:1]
	v_or_b32_e32 v4, 1, v2
	v_cndmask_b32_e64 v59, 0, 1, s[0:1]
	v_cmp_gt_u64_e32 vcc, s[10:11], v[4:5]
	v_cmp_ne_u16_sdwa s[0:1], v12, v12 src0_sel:DWORD src1_sel:WORD_1
	s_and_b64 s[0:1], vcc, s[0:1]
	s_mov_b32 s12, 1
	v_lshlrev_b32_e32 v3, 1, v0
	v_cndmask_b32_e64 v60, 0, 1, s[0:1]
	ds_write_b16 v3, v6
	s_waitcnt lgkmcnt(0)
	s_barrier
	s_waitcnt lgkmcnt(0)
                                        ; implicit-def: $sgpr6_sgpr7
	s_and_saveexec_b64 s[8:9], s[2:3]
	s_cbranch_execz .LBB590_152
; %bb.56:
	v_add_u32_e32 v3, -2, v3
	ds_read_u16 v4, v3
	v_mov_b32_e32 v3, v5
	v_cmp_gt_u64_e32 vcc, s[10:11], v[2:3]
	s_or_b64 s[4:5], s[4:5], exec
	s_waitcnt lgkmcnt(0)
	v_cmp_ne_u16_e64 s[0:1], v4, v12
	s_and_b64 s[0:1], vcc, s[0:1]
	s_and_b64 s[6:7], s[0:1], exec
	s_or_b64 exec, exec, s[8:9]
.LBB590_57:
	v_mov_b32_e32 v61, s12
	s_and_saveexec_b64 s[0:1], s[4:5]
.LBB590_58:
	v_cndmask_b32_e64 v61, 0, 1, s[6:7]
.LBB590_59:
	s_or_b64 exec, exec, s[0:1]
	s_cmp_eq_u64 s[38:39], 0
	v_add_u32_e32 v2, v60, v61
	s_cselect_b64 s[38:39], -1, 0
	s_cmp_lg_u32 s56, 0
	v_cmp_eq_u32_e64 s[24:25], 0, v60
	v_cmp_eq_u32_e64 s[22:23], 0, v59
	v_add3_u32 v63, v2, v59, v58
	v_cmp_eq_u32_e64 s[20:21], 0, v58
	v_cmp_eq_u32_e64 s[18:19], 0, v57
	;; [unrolled: 1-line block ×10, first 2 shown]
	v_cmp_eq_u32_e32 vcc, 0, v48
	v_mbcnt_lo_u32_b32 v62, -1, 0
	v_lshrrev_b32_e32 v46, 6, v0
	v_or_b32_e32 v47, 63, v0
	s_cbranch_scc0 .LBB590_90
; %bb.60:
	v_cndmask_b32_e64 v2, 0, v44, s[24:25]
	v_add_u32_e32 v2, v2, v44
	v_cndmask_b32_e64 v2, 0, v2, s[22:23]
	v_add_u32_e32 v2, v2, v44
	v_cndmask_b32_e64 v2, 0, v2, s[20:21]
	v_add_u32_e32 v2, v2, v44
	v_cndmask_b32_e64 v2, 0, v2, s[18:19]
	v_add_u32_e32 v2, v2, v44
	v_cndmask_b32_e64 v2, 0, v2, s[16:17]
	v_add_u32_e32 v2, v2, v44
	v_cndmask_b32_e64 v2, 0, v2, s[14:15]
	v_add_u32_e32 v2, v2, v44
	v_cndmask_b32_e64 v2, 0, v2, s[12:13]
	v_add_u32_e32 v2, v2, v44
	v_cndmask_b32_e64 v2, 0, v2, s[10:11]
	v_add_u32_e32 v2, v2, v44
	v_cndmask_b32_e64 v2, 0, v2, s[8:9]
	v_add_u32_e32 v2, v2, v44
	v_cndmask_b32_e64 v2, 0, v2, s[6:7]
	v_add_u32_e32 v2, v2, v44
	v_cndmask_b32_e64 v2, 0, v2, s[4:5]
	v_add3_u32 v3, v63, v57, v56
	v_add_u32_e32 v2, v2, v44
	v_add3_u32 v3, v3, v55, v54
	v_cndmask_b32_e64 v2, 0, v2, s[2:3]
	v_add3_u32 v3, v3, v53, v52
	v_add_u32_e32 v2, v2, v44
	v_add3_u32 v3, v3, v51, v50
	v_cndmask_b32_e32 v2, 0, v2, vcc
	v_add3_u32 v3, v3, v49, v48
	v_add_u32_e32 v2, v2, v45
	v_mbcnt_hi_u32_b32 v17, -1, v62
	v_and_b32_e32 v4, 15, v17
	v_mov_b32_dpp v6, v2 row_shr:1 row_mask:0xf bank_mask:0xf
	v_cmp_eq_u32_e32 vcc, 0, v3
	v_mov_b32_dpp v5, v3 row_shr:1 row_mask:0xf bank_mask:0xf
	v_cmp_lt_u32_e64 s[0:1], 1, v4
	v_cndmask_b32_e32 v6, 0, v6, vcc
	v_cmp_eq_u32_e32 vcc, 0, v4
	s_nop 1
	v_cndmask_b32_e64 v5, v5, 0, vcc
	v_add_u32_e32 v3, v5, v3
	v_cndmask_b32_e64 v5, v6, 0, vcc
	v_add_u32_e32 v2, v5, v2
	v_cmp_eq_u32_e32 vcc, 0, v3
	v_mov_b32_dpp v5, v3 row_shr:2 row_mask:0xf bank_mask:0xf
	v_mov_b32_dpp v6, v2 row_shr:2 row_mask:0xf bank_mask:0xf
	v_cndmask_b32_e64 v5, 0, v5, s[0:1]
	s_and_b64 vcc, s[0:1], vcc
	v_cndmask_b32_e32 v6, 0, v6, vcc
	v_add_u32_e32 v3, v3, v5
	v_add_u32_e32 v2, v6, v2
	v_cmp_eq_u32_e32 vcc, 0, v3
	v_mov_b32_dpp v5, v3 row_shr:4 row_mask:0xf bank_mask:0xf
	v_cmp_lt_u32_e64 s[0:1], 3, v4
	v_mov_b32_dpp v6, v2 row_shr:4 row_mask:0xf bank_mask:0xf
	s_and_b64 vcc, s[0:1], vcc
	v_cndmask_b32_e64 v5, 0, v5, s[0:1]
	v_cndmask_b32_e32 v6, 0, v6, vcc
	v_add_u32_e32 v3, v5, v3
	v_add_u32_e32 v2, v2, v6
	v_cmp_eq_u32_e32 vcc, 0, v3
	v_cmp_lt_u32_e64 s[0:1], 7, v4
	v_mov_b32_dpp v5, v3 row_shr:8 row_mask:0xf bank_mask:0xf
	v_mov_b32_dpp v6, v2 row_shr:8 row_mask:0xf bank_mask:0xf
	s_and_b64 vcc, s[0:1], vcc
	v_cndmask_b32_e64 v4, 0, v5, s[0:1]
	v_cndmask_b32_e32 v5, 0, v6, vcc
	v_add_u32_e32 v2, v5, v2
	v_add_u32_e32 v3, v4, v3
	v_bfe_i32 v6, v17, 4, 1
	v_mov_b32_dpp v5, v2 row_bcast:15 row_mask:0xf bank_mask:0xf
	v_mov_b32_dpp v4, v3 row_bcast:15 row_mask:0xf bank_mask:0xf
	v_cmp_eq_u32_e32 vcc, 0, v3
	v_and_b32_e32 v4, v6, v4
	v_add_u32_e32 v3, v4, v3
	v_cndmask_b32_e32 v5, 0, v5, vcc
	v_and_b32_e32 v4, v6, v5
	v_add_u32_e32 v4, v4, v2
	v_mov_b32_dpp v2, v3 row_bcast:31 row_mask:0xf bank_mask:0xf
	v_cmp_eq_u32_e32 vcc, 0, v3
	v_cmp_lt_u32_e64 s[0:1], 31, v17
	v_mov_b32_dpp v5, v4 row_bcast:31 row_mask:0xf bank_mask:0xf
	s_and_b64 vcc, s[0:1], vcc
	v_cndmask_b32_e64 v2, 0, v2, s[0:1]
	v_add_u32_e32 v2, v2, v3
	v_cndmask_b32_e32 v3, 0, v5, vcc
	v_add_u32_e32 v3, v3, v4
	v_cmp_eq_u32_e32 vcc, v47, v0
	v_lshlrev_b32_e32 v4, 3, v46
	s_and_saveexec_b64 s[0:1], vcc
	s_cbranch_execz .LBB590_62
; %bb.61:
	ds_write_b64 v4, v[2:3] offset:2064
.LBB590_62:
	s_or_b64 exec, exec, s[0:1]
	v_cmp_gt_u32_e32 vcc, 8, v0
	s_waitcnt lgkmcnt(0)
	s_barrier
	s_and_saveexec_b64 s[26:27], vcc
	s_cbranch_execz .LBB590_64
; %bb.63:
	v_lshlrev_b32_e32 v5, 3, v0
	ds_read_b64 v[6:7], v5 offset:2064
	v_and_b32_e32 v14, 7, v17
	v_cmp_lt_u32_e64 s[0:1], 1, v14
	s_waitcnt lgkmcnt(0)
	v_mov_b32_dpp v16, v7 row_shr:1 row_mask:0xf bank_mask:0xf
	v_cmp_eq_u32_e32 vcc, 0, v6
	v_mov_b32_dpp v15, v6 row_shr:1 row_mask:0xf bank_mask:0xf
	s_nop 0
	v_cndmask_b32_e32 v16, 0, v16, vcc
	v_cmp_eq_u32_e32 vcc, 0, v14
	s_nop 1
	v_cndmask_b32_e64 v15, v15, 0, vcc
	v_add_u32_e32 v6, v15, v6
	v_cndmask_b32_e64 v15, v16, 0, vcc
	v_add_u32_e32 v7, v15, v7
	v_cmp_eq_u32_e32 vcc, 0, v6
	v_mov_b32_dpp v15, v6 row_shr:2 row_mask:0xf bank_mask:0xf
	v_mov_b32_dpp v16, v7 row_shr:2 row_mask:0xf bank_mask:0xf
	v_cndmask_b32_e64 v15, 0, v15, s[0:1]
	s_and_b64 vcc, s[0:1], vcc
	v_cndmask_b32_e32 v16, 0, v16, vcc
	v_add_u32_e32 v6, v15, v6
	v_add_u32_e32 v7, v16, v7
	v_cmp_eq_u32_e32 vcc, 0, v6
	v_mov_b32_dpp v15, v6 row_shr:4 row_mask:0xf bank_mask:0xf
	v_cmp_lt_u32_e64 s[0:1], 3, v14
	v_mov_b32_dpp v16, v7 row_shr:4 row_mask:0xf bank_mask:0xf
	s_and_b64 vcc, s[0:1], vcc
	v_cndmask_b32_e64 v14, 0, v15, s[0:1]
	v_add_u32_e32 v6, v14, v6
	v_cndmask_b32_e32 v14, 0, v16, vcc
	v_add_u32_e32 v7, v14, v7
	ds_write_b64 v5, v[6:7] offset:2064
.LBB590_64:
	s_or_b64 exec, exec, s[26:27]
	v_cmp_gt_u32_e32 vcc, 64, v0
	v_cmp_lt_u32_e64 s[0:1], 63, v0
	v_mov_b32_e32 v14, 0
	v_mov_b32_e32 v15, 0
	s_waitcnt lgkmcnt(0)
	s_barrier
	s_and_saveexec_b64 s[26:27], s[0:1]
	s_cbranch_execz .LBB590_66
; %bb.65:
	ds_read_b64 v[14:15], v4 offset:2056
	v_cmp_eq_u32_e64 s[0:1], 0, v2
	s_waitcnt lgkmcnt(0)
	v_add_u32_e32 v4, v14, v2
	v_cndmask_b32_e64 v2, 0, v15, s[0:1]
	v_add_u32_e32 v3, v2, v3
	v_mov_b32_e32 v2, v4
.LBB590_66:
	s_or_b64 exec, exec, s[26:27]
	v_add_u32_e32 v4, -1, v17
	v_and_b32_e32 v5, 64, v17
	v_cmp_lt_i32_e64 s[0:1], v4, v5
	v_cmp_eq_u32_e64 s[26:27], 0, v17
	s_nop 0
	v_cndmask_b32_e64 v4, v4, v17, s[0:1]
	v_lshlrev_b32_e32 v4, 2, v4
	ds_bpermute_b32 v22, v4, v2
	ds_bpermute_b32 v23, v4, v3
	s_and_saveexec_b64 s[48:49], vcc
	s_cbranch_execz .LBB590_89
; %bb.67:
	v_mov_b32_e32 v7, 0
	ds_read_b64 v[2:3], v7 offset:2120
	s_waitcnt lgkmcnt(0)
	v_readfirstlane_b32 s54, v2
	v_readfirstlane_b32 s55, v3
	s_and_saveexec_b64 s[0:1], s[26:27]
	s_cbranch_execz .LBB590_69
; %bb.68:
	s_add_i32 s52, s56, 64
	s_mov_b32 s53, 0
	s_lshl_b64 s[58:59], s[52:53], 4
	s_add_u32 s58, s36, s58
	s_addc_u32 s59, s37, s59
	s_and_b32 s61, s55, 0xff000000
	s_mov_b32 s60, s53
	s_and_b32 s63, s55, 0xff0000
	s_mov_b32 s62, s53
	s_or_b64 s[60:61], s[62:63], s[60:61]
	s_and_b32 s63, s55, 0xff00
	s_or_b64 s[60:61], s[60:61], s[62:63]
	s_and_b32 s63, s55, 0xff
	s_or_b64 s[52:53], s[60:61], s[62:63]
	v_mov_b32_e32 v4, s54
	v_mov_b32_e32 v5, s53
	;; [unrolled: 1-line block ×3, first 2 shown]
	v_mov_b64_e32 v[2:3], s[58:59]
	;;#ASMSTART
	global_store_dwordx4 v[2:3], v[4:7] off sc1	
s_waitcnt vmcnt(0)
	;;#ASMEND
.LBB590_69:
	s_or_b64 exec, exec, s[0:1]
	v_xad_u32 v16, v17, -1, s56
	v_add_u32_e32 v6, 64, v16
	v_lshl_add_u64 v[18:19], v[6:7], 4, s[36:37]
	;;#ASMSTART
	global_load_dwordx4 v[2:5], v[18:19] off sc1	
s_waitcnt vmcnt(0)
	;;#ASMEND
	s_nop 0
	v_and_b32_e32 v5, 0xff, v3
	v_and_b32_e32 v6, 0xff00, v3
	v_or3_b32 v2, v2, 0, 0
	v_and_b32_e32 v20, 0xff000000, v3
	v_or3_b32 v5, 0, v5, v6
	;; [unrolled: 2-line block ×3, first 2 shown]
	v_or3_b32 v2, v2, 0, 0
	v_cmp_eq_u16_sdwa s[52:53], v4, v7 src0_sel:BYTE_0 src1_sel:DWORD
	s_and_saveexec_b64 s[0:1], s[52:53]
	s_cbranch_execz .LBB590_75
; %bb.70:
	s_mov_b32 s57, 1
	s_mov_b64 s[52:53], 0
	v_mov_b32_e32 v6, 0
.LBB590_71:                             ; =>This Loop Header: Depth=1
                                        ;     Child Loop BB590_72 Depth 2
	s_max_u32 s58, s57, 1
.LBB590_72:                             ;   Parent Loop BB590_71 Depth=1
                                        ; =>  This Inner Loop Header: Depth=2
	s_add_i32 s58, s58, -1
	s_cmp_eq_u32 s58, 0
	s_sleep 1
	s_cbranch_scc0 .LBB590_72
; %bb.73:                               ;   in Loop: Header=BB590_71 Depth=1
	s_cmp_lt_u32 s57, 32
	s_cselect_b64 s[58:59], -1, 0
	s_cmp_lg_u64 s[58:59], 0
	s_addc_u32 s57, s57, 0
	;;#ASMSTART
	global_load_dwordx4 v[2:5], v[18:19] off sc1	
s_waitcnt vmcnt(0)
	;;#ASMEND
	s_nop 0
	v_cmp_ne_u16_sdwa s[58:59], v4, v6 src0_sel:BYTE_0 src1_sel:DWORD
	s_or_b64 s[52:53], s[58:59], s[52:53]
	s_andn2_b64 exec, exec, s[52:53]
	s_cbranch_execnz .LBB590_71
; %bb.74:
	s_or_b64 exec, exec, s[52:53]
.LBB590_75:
	s_or_b64 exec, exec, s[0:1]
	v_mov_b32_e32 v24, 2
	v_cmp_eq_u16_sdwa s[0:1], v4, v24 src0_sel:BYTE_0 src1_sel:DWORD
	v_lshlrev_b64 v[18:19], v17, -1
	v_and_b32_e32 v25, 63, v17
	v_and_b32_e32 v5, s1, v19
	v_or_b32_e32 v5, 0x80000000, v5
	v_cmp_ne_u32_e32 vcc, 63, v25
	v_and_b32_e32 v6, s0, v18
	v_ffbl_b32_e32 v5, v5
	v_addc_co_u32_e32 v7, vcc, 0, v17, vcc
	v_add_u32_e32 v5, 32, v5
	v_ffbl_b32_e32 v6, v6
	v_lshlrev_b32_e32 v26, 2, v7
	v_min_u32_e32 v5, v6, v5
	ds_bpermute_b32 v6, v26, v3
	v_cmp_eq_u32_e32 vcc, 0, v2
	v_cmp_lt_u32_e64 s[0:1], v25, v5
	ds_bpermute_b32 v7, v26, v2
	s_and_b64 vcc, s[0:1], vcc
	s_waitcnt lgkmcnt(1)
	v_cndmask_b32_e32 v6, 0, v6, vcc
	v_cmp_gt_u32_e32 vcc, 62, v25
	v_add_u32_e32 v3, v6, v3
	s_waitcnt lgkmcnt(0)
	v_cndmask_b32_e64 v7, 0, v7, s[0:1]
	v_cndmask_b32_e64 v6, 0, 1, vcc
	v_lshlrev_b32_e32 v6, 1, v6
	v_add_lshl_u32 v27, v6, v17, 2
	ds_bpermute_b32 v6, v27, v3
	v_add_u32_e32 v2, v7, v2
	ds_bpermute_b32 v7, v27, v2
	v_add_u32_e32 v28, 2, v25
	v_cmp_eq_u32_e32 vcc, 0, v2
	v_add_u32_e32 v30, 4, v25
	v_add_u32_e32 v32, 8, v25
	s_waitcnt lgkmcnt(1)
	v_cndmask_b32_e32 v6, 0, v6, vcc
	v_cmp_gt_u32_e32 vcc, v28, v5
	v_add_u32_e32 v34, 16, v25
	v_add_u32_e32 v36, 32, v25
	v_cndmask_b32_e64 v6, v6, 0, vcc
	v_add_u32_e32 v3, v6, v3
	s_waitcnt lgkmcnt(0)
	v_cndmask_b32_e64 v6, v7, 0, vcc
	v_cmp_gt_u32_e32 vcc, 60, v25
	v_add_u32_e32 v2, v2, v6
	s_nop 0
	v_cndmask_b32_e64 v7, 0, 1, vcc
	v_lshlrev_b32_e32 v7, 2, v7
	v_add_lshl_u32 v29, v7, v17, 2
	ds_bpermute_b32 v7, v29, v3
	ds_bpermute_b32 v6, v29, v2
	v_cmp_eq_u32_e32 vcc, 0, v2
	s_waitcnt lgkmcnt(1)
	s_nop 0
	v_cndmask_b32_e32 v7, 0, v7, vcc
	v_cmp_gt_u32_e32 vcc, v30, v5
	s_nop 1
	v_cndmask_b32_e64 v7, v7, 0, vcc
	s_waitcnt lgkmcnt(0)
	v_cndmask_b32_e64 v6, v6, 0, vcc
	v_cmp_gt_u32_e32 vcc, 56, v25
	v_add_u32_e32 v3, v3, v7
	v_add_u32_e32 v2, v2, v6
	v_cndmask_b32_e64 v7, 0, 1, vcc
	v_lshlrev_b32_e32 v7, 3, v7
	v_add_lshl_u32 v31, v7, v17, 2
	ds_bpermute_b32 v7, v31, v3
	ds_bpermute_b32 v6, v31, v2
	v_cmp_eq_u32_e32 vcc, 0, v2
	s_waitcnt lgkmcnt(1)
	s_nop 0
	v_cndmask_b32_e32 v7, 0, v7, vcc
	v_cmp_gt_u32_e32 vcc, v32, v5
	s_nop 1
	v_cndmask_b32_e64 v7, v7, 0, vcc
	s_waitcnt lgkmcnt(0)
	v_cndmask_b32_e64 v6, v6, 0, vcc
	v_cmp_gt_u32_e32 vcc, 48, v25
	v_add_u32_e32 v3, v3, v7
	v_add_u32_e32 v2, v2, v6
	;; [unrolled: 17-line block ×3, first 2 shown]
	v_cndmask_b32_e64 v7, 0, 1, vcc
	v_lshlrev_b32_e32 v7, 5, v7
	v_add_lshl_u32 v35, v7, v17, 2
	ds_bpermute_b32 v7, v35, v3
	ds_bpermute_b32 v6, v35, v2
	v_cmp_eq_u32_e32 vcc, 0, v2
	v_mov_b32_e32 v17, 0
	s_waitcnt lgkmcnt(1)
	v_cndmask_b32_e32 v7, 0, v7, vcc
	v_cmp_gt_u32_e32 vcc, v36, v5
	s_nop 1
	v_cndmask_b32_e64 v5, v7, 0, vcc
	v_add_u32_e32 v3, v5, v3
	s_waitcnt lgkmcnt(0)
	v_cndmask_b32_e64 v5, v6, 0, vcc
	v_add_u32_e32 v2, v5, v2
	s_branch .LBB590_77
.LBB590_76:                             ;   in Loop: Header=BB590_77 Depth=1
	s_or_b64 exec, exec, s[0:1]
	v_cmp_eq_u16_sdwa s[0:1], v4, v24 src0_sel:BYTE_0 src1_sel:DWORD
	v_cmp_eq_u32_e32 vcc, 0, v2
	ds_bpermute_b32 v21, v26, v2
	v_and_b32_e32 v5, s1, v19
	v_or_b32_e32 v5, 0x80000000, v5
	v_and_b32_e32 v20, s0, v18
	v_ffbl_b32_e32 v5, v5
	v_add_u32_e32 v5, 32, v5
	v_ffbl_b32_e32 v20, v20
	v_min_u32_e32 v5, v20, v5
	ds_bpermute_b32 v20, v26, v3
	v_cmp_lt_u32_e64 s[0:1], v25, v5
	s_and_b64 vcc, s[0:1], vcc
	v_subrev_u32_e32 v16, 64, v16
	s_waitcnt lgkmcnt(1)
	v_cndmask_b32_e64 v21, 0, v21, s[0:1]
	s_waitcnt lgkmcnt(0)
	v_cndmask_b32_e32 v20, 0, v20, vcc
	v_add_u32_e32 v3, v20, v3
	ds_bpermute_b32 v20, v27, v3
	v_add_u32_e32 v2, v21, v2
	v_cmp_eq_u32_e32 vcc, 0, v2
	ds_bpermute_b32 v21, v27, v2
	s_waitcnt lgkmcnt(1)
	v_cndmask_b32_e32 v20, 0, v20, vcc
	v_cmp_gt_u32_e32 vcc, v28, v5
	s_nop 1
	v_cndmask_b32_e64 v20, v20, 0, vcc
	v_add_u32_e32 v3, v20, v3
	ds_bpermute_b32 v20, v29, v3
	s_waitcnt lgkmcnt(1)
	v_cndmask_b32_e64 v21, v21, 0, vcc
	v_add_u32_e32 v2, v2, v21
	v_cmp_eq_u32_e32 vcc, 0, v2
	ds_bpermute_b32 v21, v29, v2
	s_waitcnt lgkmcnt(1)
	v_cndmask_b32_e32 v20, 0, v20, vcc
	v_cmp_gt_u32_e32 vcc, v30, v5
	s_nop 1
	v_cndmask_b32_e64 v20, v20, 0, vcc
	v_add_u32_e32 v3, v3, v20
	ds_bpermute_b32 v20, v31, v3
	s_waitcnt lgkmcnt(1)
	v_cndmask_b32_e64 v21, v21, 0, vcc
	v_add_u32_e32 v2, v2, v21
	ds_bpermute_b32 v21, v31, v2
	v_cmp_eq_u32_e32 vcc, 0, v2
	s_waitcnt lgkmcnt(1)
	s_nop 0
	v_cndmask_b32_e32 v20, 0, v20, vcc
	v_cmp_gt_u32_e32 vcc, v32, v5
	s_nop 1
	v_cndmask_b32_e64 v20, v20, 0, vcc
	v_add_u32_e32 v3, v3, v20
	ds_bpermute_b32 v20, v33, v3
	s_waitcnt lgkmcnt(1)
	v_cndmask_b32_e64 v21, v21, 0, vcc
	v_add_u32_e32 v2, v2, v21
	ds_bpermute_b32 v21, v33, v2
	v_cmp_eq_u32_e32 vcc, 0, v2
	s_waitcnt lgkmcnt(1)
	s_nop 0
	;; [unrolled: 13-line block ×3, first 2 shown]
	v_cndmask_b32_e32 v20, 0, v20, vcc
	v_cmp_gt_u32_e32 vcc, v36, v5
	s_nop 1
	v_cndmask_b32_e64 v5, v20, 0, vcc
	v_add_u32_e32 v3, v5, v3
	s_waitcnt lgkmcnt(0)
	v_cndmask_b32_e64 v5, v21, 0, vcc
	v_cmp_eq_u32_e32 vcc, 0, v6
	v_add3_u32 v2, v2, v6, v5
	s_nop 0
	v_cndmask_b32_e32 v3, 0, v3, vcc
	v_add_u32_e32 v3, v3, v7
.LBB590_77:                             ; =>This Loop Header: Depth=1
                                        ;     Child Loop BB590_80 Depth 2
                                        ;       Child Loop BB590_81 Depth 3
	v_cmp_ne_u16_sdwa s[0:1], v4, v24 src0_sel:BYTE_0 src1_sel:DWORD
	v_mov_b32_e32 v7, v3
	v_mov_b32_e32 v6, v2
	v_cndmask_b32_e64 v3, 0, 1, s[0:1]
	;;#ASMSTART
	;;#ASMEND
	s_nop 0
	v_cmp_ne_u32_e32 vcc, 0, v3
	s_cmp_lg_u64 vcc, exec
	s_cbranch_scc1 .LBB590_84
; %bb.78:                               ;   in Loop: Header=BB590_77 Depth=1
	v_lshl_add_u64 v[20:21], v[16:17], 4, s[36:37]
	;;#ASMSTART
	global_load_dwordx4 v[2:5], v[20:21] off sc1	
s_waitcnt vmcnt(0)
	;;#ASMEND
	s_nop 0
	v_and_b32_e32 v5, 0xff, v3
	v_and_b32_e32 v37, 0xff00, v3
	v_or3_b32 v2, v2, 0, 0
	v_and_b32_e32 v38, 0xff000000, v3
	v_or3_b32 v5, 0, v5, v37
	;; [unrolled: 2-line block ×3, first 2 shown]
	v_or3_b32 v2, v2, 0, 0
	v_cmp_eq_u16_sdwa s[52:53], v4, v17 src0_sel:BYTE_0 src1_sel:DWORD
	s_and_saveexec_b64 s[0:1], s[52:53]
	s_cbranch_execz .LBB590_76
; %bb.79:                               ;   in Loop: Header=BB590_77 Depth=1
	s_mov_b32 s57, 1
	s_mov_b64 s[52:53], 0
.LBB590_80:                             ;   Parent Loop BB590_77 Depth=1
                                        ; =>  This Loop Header: Depth=2
                                        ;       Child Loop BB590_81 Depth 3
	s_max_u32 s58, s57, 1
.LBB590_81:                             ;   Parent Loop BB590_77 Depth=1
                                        ;     Parent Loop BB590_80 Depth=2
                                        ; =>    This Inner Loop Header: Depth=3
	s_add_i32 s58, s58, -1
	s_cmp_eq_u32 s58, 0
	s_sleep 1
	s_cbranch_scc0 .LBB590_81
; %bb.82:                               ;   in Loop: Header=BB590_80 Depth=2
	s_cmp_lt_u32 s57, 32
	s_cselect_b64 s[58:59], -1, 0
	s_cmp_lg_u64 s[58:59], 0
	s_addc_u32 s57, s57, 0
	;;#ASMSTART
	global_load_dwordx4 v[2:5], v[20:21] off sc1	
s_waitcnt vmcnt(0)
	;;#ASMEND
	s_nop 0
	v_cmp_ne_u16_sdwa s[58:59], v4, v17 src0_sel:BYTE_0 src1_sel:DWORD
	s_or_b64 s[52:53], s[58:59], s[52:53]
	s_andn2_b64 exec, exec, s[52:53]
	s_cbranch_execnz .LBB590_80
; %bb.83:                               ;   in Loop: Header=BB590_77 Depth=1
	s_or_b64 exec, exec, s[52:53]
	s_branch .LBB590_76
.LBB590_84:                             ;   in Loop: Header=BB590_77 Depth=1
                                        ; implicit-def: $vgpr3
                                        ; implicit-def: $vgpr2
                                        ; implicit-def: $vgpr4
	s_cbranch_execz .LBB590_77
; %bb.85:
	s_and_saveexec_b64 s[0:1], s[26:27]
	s_cbranch_execz .LBB590_87
; %bb.86:
	s_cmp_eq_u32 s54, 0
	s_cselect_b64 vcc, -1, 0
	s_mov_b32 s53, 0
	v_cndmask_b32_e32 v2, 0, v7, vcc
	s_add_i32 s52, s56, 64
	v_add_u32_e32 v2, s55, v2
	s_lshl_b64 s[52:53], s[52:53], 4
	s_add_u32 s52, s36, s52
	v_and_b32_e32 v3, 0xff000000, v2
	v_and_b32_e32 v4, 0xff0000, v2
	s_addc_u32 s53, s37, s53
	v_or_b32_e32 v3, v4, v3
	v_and_b32_e32 v4, 0xff00, v2
	v_and_b32_e32 v2, 0xff, v2
	v_add_u32_e32 v16, s54, v6
	v_mov_b32_e32 v19, 0
	v_or3_b32 v17, v3, v4, v2
	v_mov_b32_e32 v18, 2
	v_mov_b64_e32 v[2:3], s[52:53]
	;;#ASMSTART
	global_store_dwordx4 v[2:3], v[16:19] off sc1	
s_waitcnt vmcnt(0)
	;;#ASMEND
	v_mov_b32_e32 v4, s54
	v_mov_b32_e32 v5, s55
	ds_write_b128 v19, v[4:7] offset:2048
.LBB590_87:
	s_or_b64 exec, exec, s[0:1]
	s_and_b64 exec, exec, s[30:31]
	s_cbranch_execz .LBB590_89
; %bb.88:
	v_mov_b32_e32 v2, 0
	ds_write_b64 v2, v[6:7] offset:2120
.LBB590_89:
	s_or_b64 exec, exec, s[48:49]
	v_mov_b32_e32 v4, 0
	s_waitcnt lgkmcnt(0)
	s_barrier
	ds_read_b64 v[2:3], v4 offset:2120
	v_cndmask_b32_e64 v6, v22, v14, s[26:27]
	v_cmp_eq_u32_e32 vcc, 0, v6
	v_cndmask_b32_e64 v5, v23, v15, s[26:27]
	s_waitcnt lgkmcnt(0)
	v_cndmask_b32_e32 v7, 0, v3, vcc
	v_add_u32_e32 v5, v7, v5
	v_cndmask_b32_e64 v43, v5, v3, s[30:31]
	v_cndmask_b32_e64 v3, v6, 0, s[30:31]
	v_cmp_eq_u32_e32 vcc, 0, v61
	v_add_u32_e32 v42, v2, v3
	v_add_u32_e32 v40, v42, v61
	v_cndmask_b32_e32 v2, 0, v43, vcc
	v_add_u32_e32 v41, v2, v44
	v_cndmask_b32_e64 v2, 0, v41, s[24:25]
	v_add_u32_e32 v39, v2, v44
	v_cndmask_b32_e64 v2, 0, v39, s[22:23]
	v_add_u32_e32 v37, v2, v44
	v_cndmask_b32_e64 v2, 0, v37, s[20:21]
	v_add_u32_e32 v35, v2, v44
	v_cndmask_b32_e64 v2, 0, v35, s[18:19]
	v_add_u32_e32 v33, v2, v44
	v_cndmask_b32_e64 v2, 0, v33, s[16:17]
	v_add_u32_e32 v31, v2, v44
	v_cndmask_b32_e64 v2, 0, v31, s[14:15]
	v_add_u32_e32 v29, v2, v44
	v_cndmask_b32_e64 v2, 0, v29, s[12:13]
	v_add_u32_e32 v38, v40, v60
	v_add_u32_e32 v27, v2, v44
	;; [unrolled: 1-line block ×3, first 2 shown]
	v_cndmask_b32_e64 v2, 0, v27, s[10:11]
	v_add_u32_e32 v34, v36, v58
	v_add_u32_e32 v25, v2, v44
	;; [unrolled: 1-line block ×3, first 2 shown]
	v_cndmask_b32_e64 v2, 0, v25, s[8:9]
	v_add_u32_e32 v30, v32, v56
	v_add_u32_e32 v23, v2, v44
	s_barrier
	ds_read_b128 v[4:7], v4 offset:2048
	v_add_u32_e32 v28, v30, v55
	v_cndmask_b32_e64 v2, 0, v23, s[6:7]
	v_add_u32_e32 v26, v28, v54
	v_add_u32_e32 v21, v2, v44
	;; [unrolled: 1-line block ×3, first 2 shown]
	v_cndmask_b32_e64 v2, 0, v21, s[4:5]
	v_add_u32_e32 v22, v24, v52
	v_add_u32_e32 v17, v2, v44
	v_add_u32_e32 v20, v22, v51
	v_cndmask_b32_e64 v2, 0, v17, s[2:3]
	s_waitcnt lgkmcnt(0)
	v_cmp_eq_u32_e32 vcc, 0, v4
	v_add_u32_e32 v16, v20, v50
	v_add_u32_e32 v19, v2, v44
	v_cndmask_b32_e32 v2, 0, v7, vcc
	v_add_u32_e32 v18, v16, v49
	v_add_u32_e32 v14, v2, v5
	s_branch .LBB590_102
.LBB590_90:
                                        ; implicit-def: $vgpr4
                                        ; implicit-def: $vgpr14
                                        ; implicit-def: $vgpr18_vgpr19
                                        ; implicit-def: $vgpr16_vgpr17
                                        ; implicit-def: $vgpr20_vgpr21
                                        ; implicit-def: $vgpr22_vgpr23
                                        ; implicit-def: $vgpr42_vgpr43
                                        ; implicit-def: $vgpr40_vgpr41
                                        ; implicit-def: $vgpr38_vgpr39
                                        ; implicit-def: $vgpr36_vgpr37
                                        ; implicit-def: $vgpr34_vgpr35
                                        ; implicit-def: $vgpr32_vgpr33
                                        ; implicit-def: $vgpr30_vgpr31
                                        ; implicit-def: $vgpr28_vgpr29
                                        ; implicit-def: $vgpr26_vgpr27
                                        ; implicit-def: $vgpr24_vgpr25
	s_cbranch_execz .LBB590_102
; %bb.91:
	s_and_b64 s[0:1], s[38:39], exec
	s_cselect_b32 s1, 0, s29
	s_cselect_b32 s0, 0, s28
	s_cmp_eq_u64 s[0:1], 0
	v_mov_b32_e32 v6, v44
	s_cbranch_scc1 .LBB590_93
; %bb.92:
	v_mov_b32_e32 v2, 0
	global_load_dword v6, v2, s[0:1]
.LBB590_93:
	v_cmp_eq_u32_e64 s[2:3], 0, v60
	v_cmp_eq_u32_e64 s[4:5], 0, v59
	v_cmp_eq_u32_e64 s[6:7], 0, v58
	v_cndmask_b32_e64 v2, 0, v44, s[2:3]
	v_add_u32_e32 v2, v2, v44
	v_cndmask_b32_e64 v2, 0, v2, s[4:5]
	v_add_u32_e32 v2, v2, v44
	v_cndmask_b32_e64 v2, 0, v2, s[6:7]
	v_add_u32_e32 v2, v2, v44
	v_cmp_eq_u32_e64 s[8:9], 0, v57
	v_cmp_eq_u32_e64 s[10:11], 0, v56
	v_cmp_eq_u32_e64 s[12:13], 0, v55
	v_cndmask_b32_e64 v2, 0, v2, s[8:9]
	v_add_u32_e32 v2, v2, v44
	v_cndmask_b32_e64 v2, 0, v2, s[10:11]
	v_add_u32_e32 v2, v2, v44
	v_cndmask_b32_e64 v2, 0, v2, s[12:13]
	v_add_u32_e32 v2, v2, v44
	;; [unrolled: 9-line block ×3, first 2 shown]
	v_cmp_eq_u32_e64 s[20:21], 0, v51
	v_cmp_eq_u32_e64 s[22:23], 0, v50
	v_add3_u32 v3, v63, v57, v56
	v_cndmask_b32_e64 v2, 0, v2, s[20:21]
	v_add_u32_e32 v2, v2, v44
	v_cndmask_b32_e64 v2, 0, v2, s[22:23]
	v_add_u32_e32 v2, v2, v44
	v_cmp_eq_u32_e32 vcc, 0, v49
	v_add3_u32 v3, v3, v55, v54
	v_add3_u32 v3, v3, v53, v52
	v_cndmask_b32_e32 v2, 0, v2, vcc
	v_add_u32_e32 v2, v2, v44
	v_cmp_eq_u32_e64 s[0:1], 0, v48
	v_add3_u32 v3, v3, v51, v50
	v_add3_u32 v3, v3, v49, v48
	v_cndmask_b32_e64 v2, 0, v2, s[0:1]
	v_add_u32_e32 v2, v2, v45
	v_mbcnt_hi_u32_b32 v7, -1, v62
	v_and_b32_e32 v4, 15, v7
	v_mov_b32_dpp v14, v2 row_shr:1 row_mask:0xf bank_mask:0xf
	v_cmp_eq_u32_e64 s[0:1], 0, v3
	v_mov_b32_dpp v5, v3 row_shr:1 row_mask:0xf bank_mask:0xf
	v_cmp_lt_u32_e64 s[24:25], 1, v4
	v_cndmask_b32_e64 v14, 0, v14, s[0:1]
	v_cmp_eq_u32_e64 s[0:1], 0, v4
	s_nop 1
	v_cndmask_b32_e64 v5, v5, 0, s[0:1]
	v_add_u32_e32 v3, v5, v3
	v_cndmask_b32_e64 v5, v14, 0, s[0:1]
	v_add_u32_e32 v2, v5, v2
	v_cmp_eq_u32_e64 s[0:1], 0, v3
	v_mov_b32_dpp v5, v3 row_shr:2 row_mask:0xf bank_mask:0xf
	v_mov_b32_dpp v14, v2 row_shr:2 row_mask:0xf bank_mask:0xf
	v_cndmask_b32_e64 v5, 0, v5, s[24:25]
	s_and_b64 s[0:1], s[24:25], s[0:1]
	v_cndmask_b32_e64 v14, 0, v14, s[0:1]
	v_add_u32_e32 v3, v3, v5
	v_add_u32_e32 v2, v14, v2
	v_cmp_eq_u32_e64 s[0:1], 0, v3
	v_mov_b32_dpp v5, v3 row_shr:4 row_mask:0xf bank_mask:0xf
	v_cmp_lt_u32_e64 s[24:25], 3, v4
	v_mov_b32_dpp v14, v2 row_shr:4 row_mask:0xf bank_mask:0xf
	s_and_b64 s[0:1], s[24:25], s[0:1]
	v_cndmask_b32_e64 v5, 0, v5, s[24:25]
	v_cndmask_b32_e64 v14, 0, v14, s[0:1]
	v_add_u32_e32 v3, v5, v3
	v_add_u32_e32 v2, v2, v14
	v_cmp_eq_u32_e64 s[0:1], 0, v3
	v_cmp_lt_u32_e64 s[24:25], 7, v4
	v_mov_b32_dpp v5, v3 row_shr:8 row_mask:0xf bank_mask:0xf
	v_mov_b32_dpp v14, v2 row_shr:8 row_mask:0xf bank_mask:0xf
	s_and_b64 s[0:1], s[24:25], s[0:1]
	v_cndmask_b32_e64 v4, 0, v5, s[24:25]
	v_cndmask_b32_e64 v5, 0, v14, s[0:1]
	v_add_u32_e32 v2, v5, v2
	v_add_u32_e32 v3, v4, v3
	v_bfe_i32 v14, v7, 4, 1
	v_mov_b32_dpp v5, v2 row_bcast:15 row_mask:0xf bank_mask:0xf
	v_mov_b32_dpp v4, v3 row_bcast:15 row_mask:0xf bank_mask:0xf
	v_cmp_eq_u32_e64 s[0:1], 0, v3
	v_and_b32_e32 v4, v14, v4
	v_add_u32_e32 v3, v4, v3
	v_cndmask_b32_e64 v5, 0, v5, s[0:1]
	v_and_b32_e32 v4, v14, v5
	v_add_u32_e32 v4, v4, v2
	v_mov_b32_dpp v2, v3 row_bcast:31 row_mask:0xf bank_mask:0xf
	v_cmp_eq_u32_e64 s[0:1], 0, v3
	v_cmp_lt_u32_e64 s[24:25], 31, v7
	v_mov_b32_dpp v5, v4 row_bcast:31 row_mask:0xf bank_mask:0xf
	s_and_b64 s[0:1], s[24:25], s[0:1]
	v_cndmask_b32_e64 v2, 0, v2, s[24:25]
	v_add_u32_e32 v2, v2, v3
	v_cndmask_b32_e64 v3, 0, v5, s[0:1]
	v_add_u32_e32 v3, v3, v4
	v_cmp_eq_u32_e64 s[0:1], v47, v0
	s_and_saveexec_b64 s[24:25], s[0:1]
	s_cbranch_execz .LBB590_95
; %bb.94:
	v_lshlrev_b32_e32 v4, 3, v46
	ds_write_b64 v4, v[2:3] offset:2064
.LBB590_95:
	s_or_b64 exec, exec, s[24:25]
	v_cmp_gt_u32_e64 s[0:1], 8, v0
	s_waitcnt lgkmcnt(0)
	s_barrier
	s_and_saveexec_b64 s[26:27], s[0:1]
	s_cbranch_execz .LBB590_97
; %bb.96:
	v_lshlrev_b32_e32 v14, 3, v0
	ds_read_b64 v[4:5], v14 offset:2064
	v_and_b32_e32 v15, 7, v7
	v_cmp_lt_u32_e64 s[24:25], 1, v15
	s_waitcnt lgkmcnt(0)
	v_mov_b32_dpp v17, v5 row_shr:1 row_mask:0xf bank_mask:0xf
	v_cmp_eq_u32_e64 s[0:1], 0, v4
	v_mov_b32_dpp v16, v4 row_shr:1 row_mask:0xf bank_mask:0xf
	s_nop 0
	v_cndmask_b32_e64 v17, 0, v17, s[0:1]
	v_cmp_eq_u32_e64 s[0:1], 0, v15
	s_nop 1
	v_cndmask_b32_e64 v16, v16, 0, s[0:1]
	v_add_u32_e32 v4, v16, v4
	v_cndmask_b32_e64 v16, v17, 0, s[0:1]
	v_add_u32_e32 v5, v16, v5
	v_cmp_eq_u32_e64 s[0:1], 0, v4
	v_mov_b32_dpp v16, v4 row_shr:2 row_mask:0xf bank_mask:0xf
	v_mov_b32_dpp v17, v5 row_shr:2 row_mask:0xf bank_mask:0xf
	v_cndmask_b32_e64 v16, 0, v16, s[24:25]
	s_and_b64 s[0:1], s[24:25], s[0:1]
	v_cndmask_b32_e64 v17, 0, v17, s[0:1]
	v_add_u32_e32 v4, v16, v4
	v_add_u32_e32 v5, v17, v5
	v_cmp_eq_u32_e64 s[0:1], 0, v4
	v_mov_b32_dpp v16, v4 row_shr:4 row_mask:0xf bank_mask:0xf
	v_cmp_lt_u32_e64 s[24:25], 3, v15
	v_mov_b32_dpp v17, v5 row_shr:4 row_mask:0xf bank_mask:0xf
	s_and_b64 s[0:1], s[24:25], s[0:1]
	v_cndmask_b32_e64 v15, 0, v16, s[24:25]
	v_add_u32_e32 v4, v15, v4
	v_cndmask_b32_e64 v15, 0, v17, s[0:1]
	v_add_u32_e32 v5, v15, v5
	ds_write_b64 v14, v[4:5] offset:2064
.LBB590_97:
	s_or_b64 exec, exec, s[26:27]
	v_cmp_lt_u32_e64 s[0:1], 63, v0
	v_mov_b32_e32 v14, 0
	v_mov_b32_e32 v4, 0
	s_waitcnt vmcnt(0)
	v_mov_b32_e32 v5, v6
	s_waitcnt lgkmcnt(0)
	s_barrier
	s_and_saveexec_b64 s[24:25], s[0:1]
	s_cbranch_execz .LBB590_99
; %bb.98:
	v_lshlrev_b32_e32 v4, 3, v46
	ds_read_b64 v[4:5], v4 offset:2056
	s_waitcnt lgkmcnt(0)
	v_cmp_eq_u32_e64 s[0:1], 0, v4
	s_nop 1
	v_cndmask_b32_e64 v15, 0, v6, s[0:1]
	v_add_u32_e32 v5, v15, v5
.LBB590_99:
	s_or_b64 exec, exec, s[24:25]
	v_cmp_eq_u32_e64 s[0:1], 0, v2
	v_add_u32_e32 v15, v4, v2
	v_and_b32_e32 v16, 64, v7
	v_cndmask_b32_e64 v2, 0, v5, s[0:1]
	v_add_u32_e32 v2, v2, v3
	v_add_u32_e32 v3, -1, v7
	v_cmp_lt_i32_e64 s[0:1], v3, v16
	s_nop 1
	v_cndmask_b32_e64 v3, v3, v7, s[0:1]
	v_lshlrev_b32_e32 v3, 2, v3
	ds_bpermute_b32 v2, v3, v2
	ds_bpermute_b32 v15, v3, v15
	v_cmp_eq_u32_e64 s[0:1], 0, v7
	s_waitcnt lgkmcnt(1)
	s_nop 0
	v_cndmask_b32_e64 v2, v2, v5, s[0:1]
	s_waitcnt lgkmcnt(0)
	v_cndmask_b32_e64 v3, v15, v4, s[0:1]
	v_cndmask_b32_e64 v43, v2, v6, s[30:31]
	v_cmp_eq_u32_e64 s[0:1], 0, v61
	v_cndmask_b32_e64 v42, v3, 0, s[30:31]
	v_add_u32_e32 v40, v42, v61
	v_cndmask_b32_e64 v2, 0, v43, s[0:1]
	v_add_u32_e32 v41, v2, v44
	;; [unrolled: 2-line block ×9, first 2 shown]
	v_add_u32_e32 v27, v2, v44
	v_add_u32_e32 v36, v38, v59
	v_cndmask_b32_e64 v2, 0, v27, s[16:17]
	v_add_u32_e32 v34, v36, v58
	v_add_u32_e32 v25, v2, v44
	;; [unrolled: 1-line block ×3, first 2 shown]
	v_cndmask_b32_e64 v2, 0, v25, s[18:19]
	v_add_u32_e32 v30, v32, v56
	v_add_u32_e32 v23, v2, v44
	ds_read_b64 v[4:5], v14 offset:2120
	v_add_u32_e32 v28, v30, v55
	v_cndmask_b32_e64 v2, 0, v23, s[20:21]
	v_add_u32_e32 v26, v28, v54
	v_add_u32_e32 v21, v2, v44
	;; [unrolled: 1-line block ×3, first 2 shown]
	v_cndmask_b32_e64 v2, 0, v21, s[22:23]
	v_add_u32_e32 v22, v24, v52
	v_add_u32_e32 v17, v2, v44
	;; [unrolled: 1-line block ×3, first 2 shown]
	v_cndmask_b32_e32 v2, 0, v17, vcc
	s_waitcnt lgkmcnt(0)
	v_cmp_eq_u32_e32 vcc, 0, v4
	v_add_u32_e32 v16, v20, v50
	v_add_u32_e32 v19, v2, v44
	v_cndmask_b32_e32 v2, 0, v6, vcc
	v_add_u32_e32 v18, v16, v49
	v_add_u32_e32 v14, v2, v5
	s_and_saveexec_b64 s[0:1], s[30:31]
	s_cbranch_execz .LBB590_101
; %bb.100:
	s_add_u32 s2, s36, 0x400
	v_and_b32_e32 v2, 0xff000000, v14
	v_and_b32_e32 v3, 0xff0000, v14
	s_addc_u32 s3, s37, 0
	v_or_b32_e32 v2, v3, v2
	v_and_b32_e32 v3, 0xff00, v14
	v_and_b32_e32 v5, 0xff, v14
	v_mov_b32_e32 v7, 0
	v_or3_b32 v5, v2, v3, v5
	v_mov_b32_e32 v6, 2
	v_mov_b64_e32 v[2:3], s[2:3]
	;;#ASMSTART
	global_store_dwordx4 v[2:3], v[4:7] off sc1	
s_waitcnt vmcnt(0)
	;;#ASMEND
.LBB590_101:
	s_or_b64 exec, exec, s[0:1]
	v_mov_b32_e32 v6, 0
.LBB590_102:
	s_and_b64 s[0:1], s[38:39], exec
	s_cselect_b32 s1, 0, s51
	s_cselect_b32 s0, 0, s50
	s_cmp_eq_u64 s[0:1], 0
	v_mov_b64_e32 v[44:45], 0
	s_barrier
	s_cbranch_scc1 .LBB590_104
; %bb.103:
	v_mov_b32_e32 v2, 0
	global_load_dwordx2 v[44:45], v2, s[0:1]
.LBB590_104:
	s_waitcnt vmcnt(0)
	v_lshlrev_b64 v[2:3], 1, v[44:45]
	v_mov_b32_e32 v7, 0
	v_lshl_add_u64 v[2:3], s[44:45], 0, v[2:3]
	v_lshlrev_b64 v[46:47], 1, v[6:7]
	v_cmp_eq_u32_e32 vcc, 0, v61
	v_lshl_add_u64 v[46:47], v[2:3], 0, v[46:47]
	s_movk_i32 s0, 0x200
	v_cndmask_b32_e64 v2, 1, 2, vcc
	v_cmp_eq_u32_e32 vcc, 0, v60
	v_cmp_ne_u32_e64 s[28:29], 0, v61
	v_cmp_ne_u32_e64 s[26:27], 0, v60
	v_cndmask_b32_e64 v3, 1, 2, vcc
	v_cmp_eq_u32_e32 vcc, 0, v59
	v_and_b32_e32 v2, v3, v2
	v_cmp_ne_u32_e64 s[24:25], 0, v59
	v_cndmask_b32_e64 v3, 1, 2, vcc
	v_cmp_eq_u32_e32 vcc, 0, v58
	v_and_b32_e32 v2, v2, v3
	;; [unrolled: 4-line block ×12, first 2 shown]
	v_cmp_ne_u32_e64 s[2:3], 0, v48
	v_cndmask_b32_e64 v3, 1, 2, vcc
	v_and_b32_e32 v2, v2, v3
	v_cmp_gt_u32_e32 vcc, s0, v4
	s_mov_b64 s[36:37], -1
	v_cmp_gt_i16_e64 s[0:1], 2, v2
	s_cbranch_vccz .LBB590_111
; %bb.105:
	s_and_saveexec_b64 s[36:37], s[0:1]
	s_cbranch_execz .LBB590_110
; %bb.106:
	v_cmp_ne_u16_e32 vcc, 1, v2
	s_mov_b64 s[38:39], 0
	s_and_saveexec_b64 s[0:1], vcc
	s_xor_b64 s[0:1], exec, s[0:1]
	s_cbranch_execnz .LBB590_153
; %bb.107:
	s_andn2_saveexec_b64 s[0:1], s[0:1]
	s_cbranch_execnz .LBB590_168
.LBB590_108:
	s_or_b64 exec, exec, s[0:1]
	s_and_b64 exec, exec, s[38:39]
	s_cbranch_execz .LBB590_110
.LBB590_109:
	v_sub_u32_e32 v62, v18, v6
	v_mov_b32_e32 v63, 0
	v_lshl_add_u64 v[62:63], v[62:63], 1, v[46:47]
	global_store_short_d16_hi v[62:63], v1, off
.LBB590_110:
	s_or_b64 exec, exec, s[36:37]
	s_mov_b64 s[36:37], 0
.LBB590_111:
	s_and_b64 vcc, exec, s[36:37]
	s_cbranch_vccz .LBB590_131
; %bb.112:
	v_cmp_gt_i16_e32 vcc, 2, v2
	s_and_saveexec_b64 s[0:1], vcc
	s_cbranch_execz .LBB590_117
; %bb.113:
	v_cmp_ne_u16_e32 vcc, 1, v2
	s_mov_b64 s[38:39], 0
	s_and_saveexec_b64 s[36:37], vcc
	s_xor_b64 s[36:37], exec, s[36:37]
	s_cbranch_execnz .LBB590_169
; %bb.114:
	s_andn2_saveexec_b64 s[2:3], s[36:37]
	s_cbranch_execnz .LBB590_184
.LBB590_115:
	s_or_b64 exec, exec, s[2:3]
	s_and_b64 exec, exec, s[38:39]
	s_cbranch_execz .LBB590_117
.LBB590_116:
	v_sub_u32_e32 v2, v18, v6
	v_lshlrev_b32_e32 v2, 1, v2
	ds_write_b16_d16_hi v2, v1
.LBB590_117:
	s_or_b64 exec, exec, s[0:1]
	v_cmp_lt_u32_e32 vcc, v0, v4
	s_waitcnt lgkmcnt(0)
	s_barrier
	s_and_saveexec_b64 s[0:1], vcc
	s_cbranch_execz .LBB590_130
; %bb.118:
	v_xad_u32 v1, v0, -1, v4
	s_movk_i32 s2, 0x5ff
	v_cmp_lt_u32_e32 vcc, s2, v1
	s_mov_b64 s[4:5], -1
	v_mov_b32_e32 v2, v0
	s_and_saveexec_b64 s[2:3], vcc
	s_cbranch_execz .LBB590_127
; %bb.119:
	v_lshrrev_b32_e32 v5, 9, v1
	v_add_u32_e32 v8, -3, v5
	v_or_b32_e32 v3, 0x600, v0
	v_or_b32_e32 v2, 0x400, v0
	v_lshrrev_b32_e32 v9, 2, v8
	v_or_b32_e32 v1, 0x200, v0
	v_add_u32_e32 v62, 1, v9
	v_cmp_lt_u32_e32 vcc, 11, v8
	v_mov_b64_e32 v[10:11], v[2:3]
	v_mov_b32_e32 v65, 0
	v_lshlrev_b32_e32 v15, 1, v0
	v_mov_b64_e32 v[8:9], v[0:1]
	s_and_saveexec_b64 s[4:5], vcc
	s_cbranch_execz .LBB590_123
; %bb.120:
	v_mov_b64_e32 v[10:11], v[2:3]
	v_and_b32_e32 v63, 0x7ffffffc, v62
	s_mov_b32 s8, 0
	s_mov_b64 s[6:7], 0
	v_mov_b32_e32 v13, 0
	v_mov_b32_e32 v64, v15
	v_mov_b64_e32 v[8:9], v[0:1]
.LBB590_121:                            ; =>This Inner Loop Header: Depth=1
	v_mov_b32_e32 v12, v8
	ds_read_u16 v1, v64
	ds_read_u16 v90, v64 offset:1024
	ds_read_u16 v91, v64 offset:2048
	;; [unrolled: 1-line block ×7, first 2 shown]
	v_lshl_add_u64 v[82:83], v[12:13], 1, v[46:47]
	v_mov_b32_e32 v12, v9
	v_lshl_add_u64 v[84:85], v[12:13], 1, v[46:47]
	v_mov_b32_e32 v12, v10
	ds_read_u16 v97, v64 offset:8192
	ds_read_u16 v98, v64 offset:9216
	ds_read_u16 v99, v64 offset:10240
	ds_read_u16 v100, v64 offset:11264
	ds_read_u16 v101, v64 offset:12288
	ds_read_u16 v102, v64 offset:13312
	ds_read_u16 v103, v64 offset:14336
	ds_read_u16 v104, v64 offset:15360
	v_lshl_add_u64 v[86:87], v[12:13], 1, v[46:47]
	v_mov_b32_e32 v12, v11
	v_add_u32_e32 v2, 0x800, v11
	v_mov_b32_e32 v3, v13
	v_lshl_add_u64 v[88:89], v[12:13], 1, v[46:47]
	v_add_u32_e32 v12, 0x800, v8
	v_add_u32_e32 v66, 0x800, v10
	;; [unrolled: 1-line block ×3, first 2 shown]
	v_mov_b32_e32 v69, v13
	v_mov_b32_e32 v67, v13
	v_add_u32_e32 v63, -4, v63
	v_lshl_add_u64 v[2:3], v[2:3], 1, v[46:47]
	s_waitcnt lgkmcnt(14)
	global_store_short v[82:83], v1, off
	global_store_short v[84:85], v90, off
	s_waitcnt lgkmcnt(13)
	global_store_short v[86:87], v91, off
	s_waitcnt lgkmcnt(12)
	global_store_short v[88:89], v92, off
	v_lshl_add_u64 v[82:83], v[12:13], 1, v[46:47]
	v_add_u32_e32 v12, 0x1000, v8
	v_add_u32_e32 v70, 0x1000, v11
	;; [unrolled: 1-line block ×4, first 2 shown]
	v_mov_b32_e32 v75, v13
	v_mov_b32_e32 v73, v13
	;; [unrolled: 1-line block ×3, first 2 shown]
	s_add_i32 s8, s8, 16
	v_lshl_add_u64 v[68:69], v[68:69], 1, v[46:47]
	v_lshl_add_u64 v[66:67], v[66:67], 1, v[46:47]
	v_cmp_eq_u32_e32 vcc, 0, v63
	s_waitcnt lgkmcnt(11)
	global_store_short v[82:83], v93, off
	s_waitcnt lgkmcnt(10)
	global_store_short v[68:69], v94, off
	;; [unrolled: 2-line block ×4, first 2 shown]
	v_lshl_add_u64 v[2:3], v[12:13], 1, v[46:47]
	v_add_u32_e32 v12, 0x1800, v8
	v_add_u32_e32 v76, 0x1800, v11
	;; [unrolled: 1-line block ×4, first 2 shown]
	v_mov_b32_e32 v81, v13
	v_mov_b32_e32 v79, v13
	;; [unrolled: 1-line block ×3, first 2 shown]
	v_add_u32_e32 v64, 0x4000, v64
	v_lshl_add_u64 v[74:75], v[74:75], 1, v[46:47]
	v_lshl_add_u64 v[72:73], v[72:73], 1, v[46:47]
	;; [unrolled: 1-line block ×3, first 2 shown]
	v_add_u32_e32 v9, 0x2000, v9
	v_mov_b32_e32 v65, s8
	v_add_u32_e32 v10, 0x2000, v10
	s_or_b64 s[6:7], vcc, s[6:7]
	v_add_u32_e32 v11, 0x2000, v11
	v_add_u32_e32 v8, 0x2000, v8
	s_waitcnt lgkmcnt(7)
	global_store_short v[2:3], v97, off
	s_waitcnt lgkmcnt(6)
	global_store_short v[74:75], v98, off
	s_waitcnt lgkmcnt(5)
	global_store_short v[72:73], v99, off
	s_waitcnt lgkmcnt(4)
	global_store_short v[70:71], v100, off
	v_lshl_add_u64 v[2:3], v[12:13], 1, v[46:47]
	v_lshl_add_u64 v[80:81], v[80:81], 1, v[46:47]
	;; [unrolled: 1-line block ×4, first 2 shown]
	s_waitcnt lgkmcnt(3)
	global_store_short v[2:3], v101, off
	s_waitcnt lgkmcnt(2)
	global_store_short v[80:81], v102, off
	;; [unrolled: 2-line block ×4, first 2 shown]
	s_andn2_b64 exec, exec, s[6:7]
	s_cbranch_execnz .LBB590_121
; %bb.122:
	s_or_b64 exec, exec, s[6:7]
.LBB590_123:
	s_or_b64 exec, exec, s[4:5]
	v_and_b32_e32 v1, 3, v62
	v_cmp_ne_u32_e32 vcc, 0, v1
	s_and_saveexec_b64 s[4:5], vcc
	s_cbranch_execz .LBB590_126
; %bb.124:
	v_lshl_or_b32 v12, v65, 10, v15
	s_mov_b64 s[6:7], 0
	v_mov_b32_e32 v3, 0
.LBB590_125:                            ; =>This Inner Loop Header: Depth=1
	ds_read_u16 v13, v12
	ds_read_u16 v15, v12 offset:1024
	ds_read_u16 v70, v12 offset:2048
	ds_read_u16 v71, v12 offset:3072
	v_mov_b32_e32 v2, v8
	v_add_u32_e32 v1, -1, v1
	v_lshl_add_u64 v[62:63], v[2:3], 1, v[46:47]
	v_mov_b32_e32 v2, v9
	v_cmp_eq_u32_e32 vcc, 0, v1
	v_lshl_add_u64 v[64:65], v[2:3], 1, v[46:47]
	v_mov_b32_e32 v2, v10
	v_add_u32_e32 v8, 0x800, v8
	v_add_u32_e32 v12, 0x1000, v12
	;; [unrolled: 1-line block ×4, first 2 shown]
	s_or_b64 s[6:7], vcc, s[6:7]
	v_lshl_add_u64 v[66:67], v[2:3], 1, v[46:47]
	v_mov_b32_e32 v2, v11
	v_add_u32_e32 v11, 0x800, v11
	v_lshl_add_u64 v[68:69], v[2:3], 1, v[46:47]
	s_waitcnt lgkmcnt(3)
	global_store_short v[62:63], v13, off
	s_waitcnt lgkmcnt(2)
	global_store_short v[64:65], v15, off
	;; [unrolled: 2-line block ×4, first 2 shown]
	s_andn2_b64 exec, exec, s[6:7]
	s_cbranch_execnz .LBB590_125
.LBB590_126:
	s_or_b64 exec, exec, s[4:5]
	v_add_u32_e32 v1, 1, v5
	v_and_b32_e32 v3, 0xfffffc, v1
	v_cmp_ne_u32_e32 vcc, v1, v3
	v_lshl_or_b32 v2, v3, 9, v0
	s_orn2_b64 s[4:5], vcc, exec
.LBB590_127:
	s_or_b64 exec, exec, s[2:3]
	s_and_b64 exec, exec, s[4:5]
	s_cbranch_execz .LBB590_130
; %bb.128:
	v_lshlrev_b32_e32 v1, 1, v2
	s_mov_b64 s[2:3], 0
	v_mov_b32_e32 v3, 0
.LBB590_129:                            ; =>This Inner Loop Header: Depth=1
	ds_read_u16 v5, v1
	v_lshl_add_u64 v[8:9], v[2:3], 1, v[46:47]
	v_add_u32_e32 v2, 0x200, v2
	v_cmp_ge_u32_e32 vcc, v2, v4
	v_add_u32_e32 v1, 0x400, v1
	s_or_b64 s[2:3], vcc, s[2:3]
	s_waitcnt lgkmcnt(0)
	global_store_short v[8:9], v5, off
	s_andn2_b64 exec, exec, s[2:3]
	s_cbranch_execnz .LBB590_129
.LBB590_130:
	s_or_b64 exec, exec, s[0:1]
.LBB590_131:
	s_cmpk_lg_i32 s33, 0x1c00
	s_cselect_b64 s[0:1], -1, 0
	v_cndmask_b32_e64 v46, 0, 1, s[42:43]
	s_and_b64 s[0:1], s[0:1], s[40:41]
	v_sub_u32_e32 v1, v4, v46
	v_cndmask_b32_e64 v2, 0, 1, s[0:1]
	s_and_b64 s[0:1], s[30:31], s[42:43]
	v_add_u32_e32 v1, v1, v2
	v_cndmask_b32_e64 v2, v61, 0, s[0:1]
	s_lshr_b32 s0, s33, 1
	s_mul_hi_u32 s0, s0, 0x92492493
	s_lshr_b32 s0, s0, 2
	v_mad_i32_i24 v3, v0, -14, s33
	v_cmp_eq_u32_e32 vcc, s0, v0
	v_cmp_ne_u32_e64 s[0:1], 0, v3
	s_and_b64 vcc, vcc, s[40:41]
	s_mov_b32 s2, 0
	v_cndmask_b32_e64 v5, 1, v2, s[0:1]
	v_cmp_ne_u32_e64 s[0:1], 1, v3
	s_movk_i32 s28, 0x200
	s_mov_b64 s[30:31], -1
	v_cndmask_b32_e64 v8, 1, v60, s[0:1]
	v_cmp_ne_u32_e64 s[0:1], 2, v3
	s_barrier
	s_nop 0
	v_cndmask_b32_e64 v9, 1, v59, s[0:1]
	v_cmp_ne_u32_e64 s[0:1], 3, v3
	s_nop 1
	v_cndmask_b32_e64 v10, 1, v58, s[0:1]
	v_cmp_ne_u32_e64 s[0:1], 4, v3
	;; [unrolled: 3-line block ×6, first 2 shown]
	v_cndmask_b32_e32 v15, v54, v15, vcc
	v_cndmask_b32_e32 v54, v55, v13, vcc
	v_cndmask_b32_e64 v47, 1, v53, s[0:1]
	v_cmp_ne_u32_e64 s[0:1], 9, v3
	v_cndmask_b32_e32 v55, v56, v12, vcc
	v_cndmask_b32_e32 v56, v57, v11, vcc
	v_cndmask_b32_e64 v61, 1, v52, s[0:1]
	v_cmp_ne_u32_e64 s[0:1], 10, v3
	;; [unrolled: 4-line block ×5, first 2 shown]
	v_cndmask_b32_e32 v49, v49, v64, vcc
	v_cndmask_b32_e32 v52, v52, v61, vcc
	v_cndmask_b32_e64 v3, 1, v48, s[0:1]
	v_cndmask_b32_e32 v48, v48, v3, vcc
	v_cndmask_b32_e32 v53, v53, v47, vcc
	v_mov_b32_e32 v47, s2
	v_cmp_eq_u32_e32 vcc, 0, v60
	v_lshl_add_u64 v[12:13], v[46:47], 0, -1
	v_add_u32_e32 v5, v6, v46
	v_cndmask_b32_e64 v46, 1, 2, vcc
	v_cmp_eq_u32_e32 vcc, 0, v59
	v_cmp_ne_u32_e64 s[12:13], 0, v15
	v_lshlrev_b64 v[8:9], 3, v[44:45]
	v_cndmask_b32_e64 v47, 1, 2, vcc
	v_cmp_eq_u32_e32 vcc, 0, v58
	v_and_b32_e32 v46, v47, v46
	v_lshl_add_u64 v[2:3], s[46:47], 0, v[8:9]
	v_cndmask_b32_e64 v47, 1, 2, vcc
	v_cmp_eq_u32_e32 vcc, 0, v57
	v_and_b32_e32 v46, v46, v47
	v_lshlrev_b64 v[10:11], 3, v[6:7]
	v_cndmask_b32_e64 v47, 1, 2, vcc
	v_cmp_eq_u32_e32 vcc, 0, v56
	v_and_b32_e32 v46, v46, v47
	v_lshl_add_u64 v[2:3], v[2:3], 0, v[10:11]
	v_cndmask_b32_e64 v47, 1, 2, vcc
	v_cmp_eq_u32_e32 vcc, 0, v55
	v_and_b32_e32 v46, v46, v47
	v_cmp_ne_u32_e64 s[26:27], 0, v60
	v_cndmask_b32_e64 v47, 1, 2, vcc
	v_cmp_eq_u32_e32 vcc, 0, v54
	v_and_b32_e32 v46, v46, v47
	v_cmp_ne_u32_e64 s[24:25], 0, v59
	;; [unrolled: 4-line block ×9, first 2 shown]
	v_cndmask_b32_e64 v46, 1, 2, vcc
	v_and_b32_e32 v15, v15, v46
	v_cmp_gt_u32_e32 vcc, s28, v1
	v_cmp_ne_u32_e64 s[6:7], 0, v51
	v_cmp_ne_u32_e64 s[4:5], 0, v50
	;; [unrolled: 1-line block ×4, first 2 shown]
	v_cmp_gt_i16_e64 s[28:29], 2, v15
	s_cbranch_vccz .LBB590_138
; %bb.132:
	s_and_saveexec_b64 s[30:31], s[28:29]
	s_cbranch_execz .LBB590_137
; %bb.133:
	v_lshlrev_b64 v[46:47], 3, v[12:13]
	v_lshl_add_u64 v[46:47], v[2:3], 0, v[46:47]
	v_cmp_ne_u16_e32 vcc, 1, v15
	s_mov_b64 s[36:37], 0
	s_and_saveexec_b64 s[28:29], vcc
	s_xor_b64 s[28:29], exec, s[28:29]
	s_cbranch_execnz .LBB590_185
; %bb.134:
	s_andn2_saveexec_b64 s[28:29], s[28:29]
	s_cbranch_execnz .LBB590_200
.LBB590_135:
	s_or_b64 exec, exec, s[28:29]
	s_and_b64 exec, exec, s[36:37]
	s_cbranch_execz .LBB590_137
.LBB590_136:
	v_mov_b32_e32 v49, 0
	v_sub_u32_e32 v50, v18, v5
	v_mov_b32_e32 v51, v49
	v_mov_b32_e32 v48, v19
	v_lshl_add_u64 v[46:47], v[50:51], 3, v[46:47]
	global_store_dwordx2 v[46:47], v[48:49], off
.LBB590_137:
	s_or_b64 exec, exec, s[30:31]
	s_mov_b64 s[30:31], 0
.LBB590_138:
	s_and_b64 vcc, exec, s[30:31]
	s_cbranch_vccz .LBB590_148
; %bb.139:
	v_cmp_gt_i16_e32 vcc, 2, v15
	s_and_saveexec_b64 s[28:29], vcc
	s_cbranch_execz .LBB590_144
; %bb.140:
	v_cmp_ne_u16_e32 vcc, 1, v15
	s_mov_b64 s[36:37], 0
	s_and_saveexec_b64 s[30:31], vcc
	s_xor_b64 s[30:31], exec, s[30:31]
	s_cbranch_execnz .LBB590_201
; %bb.141:
	s_andn2_saveexec_b64 s[0:1], s[30:31]
	s_cbranch_execnz .LBB590_216
.LBB590_142:
	s_or_b64 exec, exec, s[0:1]
	s_and_b64 exec, exec, s[36:37]
	s_cbranch_execz .LBB590_144
.LBB590_143:
	v_sub_u32_e32 v5, v18, v5
	v_lshlrev_b32_e32 v5, 2, v5
	ds_write_b32 v5, v19
.LBB590_144:
	s_or_b64 exec, exec, s[28:29]
	v_cmp_lt_u32_e32 vcc, v0, v1
	s_waitcnt lgkmcnt(0)
	s_barrier
	s_and_saveexec_b64 s[0:1], vcc
	s_cbranch_execz .LBB590_147
; %bb.145:
	v_lshlrev_b64 v[12:13], 3, v[12:13]
	v_lshl_add_u64 v[8:9], v[8:9], 0, v[12:13]
	v_lshl_add_u64 v[10:11], v[8:9], 0, v[10:11]
	v_lshlrev_b32_e32 v8, 3, v0
	v_mov_b32_e32 v9, 0
	v_lshl_add_u64 v[10:11], s[46:47], 0, v[10:11]
	v_lshlrev_b32_e32 v5, 2, v0
	v_lshl_add_u64 v[10:11], v[10:11], 0, v[8:9]
	s_mov_b64 s[2:3], 0
	s_mov_b64 s[4:5], 0x1000
	v_mov_b32_e32 v12, v0
.LBB590_146:                            ; =>This Inner Loop Header: Depth=1
	ds_read_b32 v8, v5
	v_add_u32_e32 v12, 0x200, v12
	v_cmp_ge_u32_e32 vcc, v12, v1
	v_add_u32_e32 v5, 0x800, v5
	s_or_b64 s[2:3], vcc, s[2:3]
	s_waitcnt lgkmcnt(0)
	global_store_dwordx2 v[10:11], v[8:9], off
	v_lshl_add_u64 v[10:11], v[10:11], 0, s[4:5]
	s_andn2_b64 exec, exec, s[2:3]
	s_cbranch_execnz .LBB590_146
.LBB590_147:
	s_or_b64 exec, exec, s[0:1]
.LBB590_148:
	s_movk_i32 s0, 0x1ff
	v_cmp_eq_u32_e32 vcc, s0, v0
	s_and_b64 s[0:1], vcc, s[40:41]
	s_and_saveexec_b64 s[2:3], s[0:1]
	s_cbranch_execz .LBB590_151
; %bb.149:
	v_mov_b32_e32 v5, 0
	v_lshl_add_u64 v[0:1], v[4:5], 0, v[6:7]
	v_lshl_add_u64 v[0:1], v[0:1], 0, v[44:45]
	s_cmpk_lg_i32 s33, 0x1c00
	global_store_dwordx2 v5, v[0:1], s[34:35]
	s_cbranch_scc1 .LBB590_151
; %bb.150:
	v_lshlrev_b64 v[0:1], 3, v[4:5]
	v_mov_b32_e32 v15, v5
	v_lshl_add_u64 v[0:1], v[2:3], 0, v[0:1]
	global_store_dwordx2 v[0:1], v[14:15], off offset:-8
.LBB590_151:
	s_endpgm
.LBB590_152:
	s_or_b64 exec, exec, s[8:9]
	v_mov_b32_e32 v61, s12
	s_and_saveexec_b64 s[0:1], s[4:5]
	s_cbranch_execnz .LBB590_58
	s_branch .LBB590_59
.LBB590_153:
	s_and_saveexec_b64 s[38:39], s[28:29]
	s_cbranch_execnz .LBB590_217
; %bb.154:
	s_or_b64 exec, exec, s[38:39]
	s_and_saveexec_b64 s[38:39], s[26:27]
	s_cbranch_execnz .LBB590_218
.LBB590_155:
	s_or_b64 exec, exec, s[38:39]
	s_and_saveexec_b64 s[38:39], s[24:25]
	s_cbranch_execnz .LBB590_219
.LBB590_156:
	s_or_b64 exec, exec, s[38:39]
	s_and_saveexec_b64 s[38:39], s[22:23]
	s_cbranch_execnz .LBB590_220
.LBB590_157:
	s_or_b64 exec, exec, s[38:39]
	s_and_saveexec_b64 s[38:39], s[20:21]
	s_cbranch_execnz .LBB590_221
.LBB590_158:
	s_or_b64 exec, exec, s[38:39]
	s_and_saveexec_b64 s[38:39], s[18:19]
	s_cbranch_execnz .LBB590_222
.LBB590_159:
	s_or_b64 exec, exec, s[38:39]
	s_and_saveexec_b64 s[38:39], s[16:17]
	s_cbranch_execnz .LBB590_223
.LBB590_160:
	s_or_b64 exec, exec, s[38:39]
	s_and_saveexec_b64 s[38:39], s[14:15]
	s_cbranch_execnz .LBB590_224
.LBB590_161:
	s_or_b64 exec, exec, s[38:39]
	s_and_saveexec_b64 s[38:39], s[12:13]
	s_cbranch_execnz .LBB590_225
.LBB590_162:
	s_or_b64 exec, exec, s[38:39]
	s_and_saveexec_b64 s[38:39], s[10:11]
	s_cbranch_execnz .LBB590_226
.LBB590_163:
	s_or_b64 exec, exec, s[38:39]
	s_and_saveexec_b64 s[38:39], s[8:9]
	s_cbranch_execnz .LBB590_227
.LBB590_164:
	s_or_b64 exec, exec, s[38:39]
	s_and_saveexec_b64 s[38:39], s[6:7]
	s_cbranch_execnz .LBB590_228
.LBB590_165:
	s_or_b64 exec, exec, s[38:39]
	s_and_saveexec_b64 s[38:39], s[4:5]
	s_cbranch_execz .LBB590_167
.LBB590_166:
	v_sub_u32_e32 v62, v16, v6
	v_mov_b32_e32 v63, 0
	v_lshl_add_u64 v[62:63], v[62:63], 1, v[46:47]
	global_store_short v[62:63], v1, off
.LBB590_167:
	s_or_b64 exec, exec, s[38:39]
	s_and_b64 s[38:39], s[2:3], exec
	s_andn2_saveexec_b64 s[0:1], s[0:1]
	s_cbranch_execz .LBB590_108
.LBB590_168:
	v_sub_u32_e32 v62, v42, v6
	v_mov_b32_e32 v63, 0
	v_lshl_add_u64 v[64:65], v[62:63], 1, v[46:47]
	v_sub_u32_e32 v62, v40, v6
	global_store_short v[64:65], v12, off
	v_lshl_add_u64 v[64:65], v[62:63], 1, v[46:47]
	v_sub_u32_e32 v62, v38, v6
	global_store_short_d16_hi v[64:65], v12, off
	v_lshl_add_u64 v[64:65], v[62:63], 1, v[46:47]
	v_sub_u32_e32 v62, v36, v6
	global_store_short v[64:65], v13, off
	v_lshl_add_u64 v[64:65], v[62:63], 1, v[46:47]
	v_sub_u32_e32 v62, v34, v6
	global_store_short_d16_hi v[64:65], v13, off
	;; [unrolled: 6-line block ×5, first 2 shown]
	v_lshl_add_u64 v[64:65], v[62:63], 1, v[46:47]
	v_sub_u32_e32 v62, v20, v6
	global_store_short v[64:65], v9, off
	v_lshl_add_u64 v[64:65], v[62:63], 1, v[46:47]
	v_sub_u32_e32 v62, v16, v6
	v_lshl_add_u64 v[62:63], v[62:63], 1, v[46:47]
	s_or_b64 s[38:39], s[38:39], exec
	global_store_short_d16_hi v[64:65], v9, off
	global_store_short v[62:63], v1, off
	s_or_b64 exec, exec, s[0:1]
	s_and_b64 exec, exec, s[38:39]
	s_cbranch_execnz .LBB590_109
	s_branch .LBB590_110
.LBB590_169:
	s_and_saveexec_b64 s[38:39], s[28:29]
	s_cbranch_execnz .LBB590_229
; %bb.170:
	s_or_b64 exec, exec, s[38:39]
	s_and_saveexec_b64 s[28:29], s[26:27]
	s_cbranch_execnz .LBB590_230
.LBB590_171:
	s_or_b64 exec, exec, s[28:29]
	s_and_saveexec_b64 s[26:27], s[24:25]
	s_cbranch_execnz .LBB590_231
.LBB590_172:
	s_or_b64 exec, exec, s[26:27]
	s_and_saveexec_b64 s[24:25], s[22:23]
	s_cbranch_execnz .LBB590_232
.LBB590_173:
	s_or_b64 exec, exec, s[24:25]
	s_and_saveexec_b64 s[22:23], s[20:21]
	s_cbranch_execnz .LBB590_233
.LBB590_174:
	s_or_b64 exec, exec, s[22:23]
	s_and_saveexec_b64 s[20:21], s[18:19]
	s_cbranch_execnz .LBB590_234
.LBB590_175:
	s_or_b64 exec, exec, s[20:21]
	s_and_saveexec_b64 s[18:19], s[16:17]
	s_cbranch_execnz .LBB590_235
.LBB590_176:
	s_or_b64 exec, exec, s[18:19]
	s_and_saveexec_b64 s[16:17], s[14:15]
	s_cbranch_execnz .LBB590_236
.LBB590_177:
	s_or_b64 exec, exec, s[16:17]
	s_and_saveexec_b64 s[14:15], s[12:13]
	s_cbranch_execnz .LBB590_237
.LBB590_178:
	s_or_b64 exec, exec, s[14:15]
	s_and_saveexec_b64 s[12:13], s[10:11]
	s_cbranch_execnz .LBB590_238
.LBB590_179:
	s_or_b64 exec, exec, s[12:13]
	s_and_saveexec_b64 s[10:11], s[8:9]
	s_cbranch_execnz .LBB590_239
.LBB590_180:
	s_or_b64 exec, exec, s[10:11]
	s_and_saveexec_b64 s[8:9], s[6:7]
	s_cbranch_execnz .LBB590_240
.LBB590_181:
	s_or_b64 exec, exec, s[8:9]
	s_and_saveexec_b64 s[6:7], s[4:5]
	s_cbranch_execz .LBB590_183
.LBB590_182:
	v_sub_u32_e32 v2, v16, v6
	v_lshlrev_b32_e32 v2, 1, v2
	ds_write_b16 v2, v1
.LBB590_183:
	s_or_b64 exec, exec, s[6:7]
	s_and_b64 s[38:39], s[2:3], exec
                                        ; implicit-def: $vgpr12
                                        ; implicit-def: $vgpr10
                                        ; implicit-def: $vgpr8
	s_andn2_saveexec_b64 s[2:3], s[36:37]
	s_cbranch_execz .LBB590_115
.LBB590_184:
	v_sub_u32_e32 v2, v42, v6
	v_lshlrev_b32_e32 v2, 1, v2
	ds_write_b16 v2, v12
	v_sub_u32_e32 v2, v40, v6
	v_lshlrev_b32_e32 v2, 1, v2
	ds_write_b16_d16_hi v2, v12
	v_sub_u32_e32 v2, v38, v6
	v_lshlrev_b32_e32 v2, 1, v2
	ds_write_b16 v2, v13
	v_sub_u32_e32 v2, v36, v6
	v_lshlrev_b32_e32 v2, 1, v2
	ds_write_b16_d16_hi v2, v13
	;; [unrolled: 6-line block ×6, first 2 shown]
	v_sub_u32_e32 v2, v16, v6
	v_lshlrev_b32_e32 v2, 1, v2
	s_or_b64 s[38:39], s[38:39], exec
	ds_write_b16 v2, v1
	s_or_b64 exec, exec, s[2:3]
	s_and_b64 exec, exec, s[38:39]
	s_cbranch_execnz .LBB590_116
	s_branch .LBB590_117
.LBB590_185:
	s_and_saveexec_b64 s[36:37], s[26:27]
	s_cbranch_execnz .LBB590_241
; %bb.186:
	s_or_b64 exec, exec, s[36:37]
	s_and_saveexec_b64 s[36:37], s[24:25]
	s_cbranch_execnz .LBB590_242
.LBB590_187:
	s_or_b64 exec, exec, s[36:37]
	s_and_saveexec_b64 s[36:37], s[22:23]
	s_cbranch_execnz .LBB590_243
.LBB590_188:
	s_or_b64 exec, exec, s[36:37]
	s_and_saveexec_b64 s[36:37], s[20:21]
	s_cbranch_execnz .LBB590_244
.LBB590_189:
	s_or_b64 exec, exec, s[36:37]
	s_and_saveexec_b64 s[36:37], s[18:19]
	s_cbranch_execnz .LBB590_245
.LBB590_190:
	s_or_b64 exec, exec, s[36:37]
	s_and_saveexec_b64 s[36:37], s[16:17]
	s_cbranch_execnz .LBB590_246
.LBB590_191:
	s_or_b64 exec, exec, s[36:37]
	s_and_saveexec_b64 s[36:37], s[14:15]
	s_cbranch_execnz .LBB590_247
.LBB590_192:
	s_or_b64 exec, exec, s[36:37]
	s_and_saveexec_b64 s[36:37], s[12:13]
	s_cbranch_execnz .LBB590_248
.LBB590_193:
	s_or_b64 exec, exec, s[36:37]
	s_and_saveexec_b64 s[36:37], s[10:11]
	s_cbranch_execnz .LBB590_249
.LBB590_194:
	s_or_b64 exec, exec, s[36:37]
	s_and_saveexec_b64 s[36:37], s[8:9]
	s_cbranch_execnz .LBB590_250
.LBB590_195:
	s_or_b64 exec, exec, s[36:37]
	s_and_saveexec_b64 s[36:37], s[6:7]
	s_cbranch_execnz .LBB590_251
.LBB590_196:
	s_or_b64 exec, exec, s[36:37]
	s_and_saveexec_b64 s[36:37], s[4:5]
	s_cbranch_execnz .LBB590_252
.LBB590_197:
	s_or_b64 exec, exec, s[36:37]
	s_and_saveexec_b64 s[36:37], s[2:3]
	s_cbranch_execz .LBB590_199
.LBB590_198:
	v_sub_u32_e32 v48, v16, v5
	v_mov_b32_e32 v49, 0
	v_lshl_add_u64 v[50:51], v[48:49], 3, v[46:47]
	v_mov_b32_e32 v48, v17
	global_store_dwordx2 v[50:51], v[48:49], off
.LBB590_199:
	s_or_b64 exec, exec, s[36:37]
	s_and_b64 s[36:37], s[0:1], exec
	s_andn2_saveexec_b64 s[28:29], s[28:29]
	s_cbranch_execz .LBB590_135
.LBB590_200:
	v_mov_b32_e32 v49, 0
	v_sub_u32_e32 v50, v42, v5
	v_mov_b32_e32 v51, v49
	v_mov_b32_e32 v48, v43
	v_lshl_add_u64 v[50:51], v[50:51], 3, v[46:47]
	global_store_dwordx2 v[50:51], v[48:49], off
	v_sub_u32_e32 v50, v40, v5
	v_mov_b32_e32 v51, v49
	v_mov_b32_e32 v48, v41
	v_lshl_add_u64 v[50:51], v[50:51], 3, v[46:47]
	global_store_dwordx2 v[50:51], v[48:49], off
	;; [unrolled: 5-line block ×12, first 2 shown]
	v_sub_u32_e32 v50, v16, v5
	v_mov_b32_e32 v51, v49
	v_mov_b32_e32 v48, v17
	v_lshl_add_u64 v[50:51], v[50:51], 3, v[46:47]
	s_or_b64 s[36:37], s[36:37], exec
	global_store_dwordx2 v[50:51], v[48:49], off
	s_or_b64 exec, exec, s[28:29]
	s_and_b64 exec, exec, s[36:37]
	s_cbranch_execnz .LBB590_136
	s_branch .LBB590_137
.LBB590_201:
	s_and_saveexec_b64 s[36:37], s[26:27]
	s_cbranch_execnz .LBB590_253
; %bb.202:
	s_or_b64 exec, exec, s[36:37]
	s_and_saveexec_b64 s[26:27], s[24:25]
	s_cbranch_execnz .LBB590_254
.LBB590_203:
	s_or_b64 exec, exec, s[26:27]
	s_and_saveexec_b64 s[24:25], s[22:23]
	s_cbranch_execnz .LBB590_255
.LBB590_204:
	s_or_b64 exec, exec, s[24:25]
	s_and_saveexec_b64 s[22:23], s[20:21]
	s_cbranch_execnz .LBB590_256
.LBB590_205:
	s_or_b64 exec, exec, s[22:23]
	s_and_saveexec_b64 s[20:21], s[18:19]
	s_cbranch_execnz .LBB590_257
.LBB590_206:
	s_or_b64 exec, exec, s[20:21]
	s_and_saveexec_b64 s[18:19], s[16:17]
	s_cbranch_execnz .LBB590_258
.LBB590_207:
	s_or_b64 exec, exec, s[18:19]
	s_and_saveexec_b64 s[16:17], s[14:15]
	s_cbranch_execnz .LBB590_259
.LBB590_208:
	s_or_b64 exec, exec, s[16:17]
	s_and_saveexec_b64 s[14:15], s[12:13]
	s_cbranch_execnz .LBB590_260
.LBB590_209:
	s_or_b64 exec, exec, s[14:15]
	s_and_saveexec_b64 s[12:13], s[10:11]
	s_cbranch_execnz .LBB590_261
.LBB590_210:
	s_or_b64 exec, exec, s[12:13]
	s_and_saveexec_b64 s[10:11], s[8:9]
	s_cbranch_execnz .LBB590_262
.LBB590_211:
	s_or_b64 exec, exec, s[10:11]
	s_and_saveexec_b64 s[8:9], s[6:7]
	s_cbranch_execnz .LBB590_263
.LBB590_212:
	s_or_b64 exec, exec, s[8:9]
	s_and_saveexec_b64 s[6:7], s[4:5]
	s_cbranch_execnz .LBB590_264
.LBB590_213:
	s_or_b64 exec, exec, s[6:7]
	s_and_saveexec_b64 s[4:5], s[2:3]
	s_cbranch_execz .LBB590_215
.LBB590_214:
	v_sub_u32_e32 v15, v16, v5
	v_lshlrev_b32_e32 v15, 2, v15
	ds_write_b32 v15, v17
.LBB590_215:
	s_or_b64 exec, exec, s[4:5]
	s_and_b64 s[36:37], s[0:1], exec
                                        ; implicit-def: $vgpr16_vgpr17
                                        ; implicit-def: $vgpr20_vgpr21
                                        ; implicit-def: $vgpr22_vgpr23
                                        ; implicit-def: $vgpr42_vgpr43
                                        ; implicit-def: $vgpr40_vgpr41
                                        ; implicit-def: $vgpr38_vgpr39
                                        ; implicit-def: $vgpr36_vgpr37
                                        ; implicit-def: $vgpr34_vgpr35
                                        ; implicit-def: $vgpr32_vgpr33
                                        ; implicit-def: $vgpr30_vgpr31
                                        ; implicit-def: $vgpr28_vgpr29
                                        ; implicit-def: $vgpr26_vgpr27
                                        ; implicit-def: $vgpr24_vgpr25
	s_andn2_saveexec_b64 s[0:1], s[30:31]
	s_cbranch_execz .LBB590_142
.LBB590_216:
	v_sub_u32_e32 v15, v42, v5
	v_lshlrev_b32_e32 v15, 2, v15
	ds_write_b32 v15, v43
	v_sub_u32_e32 v15, v40, v5
	v_lshlrev_b32_e32 v15, 2, v15
	ds_write_b32 v15, v41
	;; [unrolled: 3-line block ×12, first 2 shown]
	v_sub_u32_e32 v15, v16, v5
	v_lshlrev_b32_e32 v15, 2, v15
	s_or_b64 s[36:37], s[36:37], exec
	ds_write_b32 v15, v17
	s_or_b64 exec, exec, s[0:1]
	s_and_b64 exec, exec, s[36:37]
	s_cbranch_execnz .LBB590_143
	s_branch .LBB590_144
.LBB590_217:
	v_sub_u32_e32 v62, v42, v6
	v_mov_b32_e32 v63, 0
	v_lshl_add_u64 v[62:63], v[62:63], 1, v[46:47]
	global_store_short v[62:63], v12, off
	s_or_b64 exec, exec, s[38:39]
	s_and_saveexec_b64 s[38:39], s[26:27]
	s_cbranch_execz .LBB590_155
.LBB590_218:
	v_sub_u32_e32 v62, v40, v6
	v_mov_b32_e32 v63, 0
	v_lshl_add_u64 v[62:63], v[62:63], 1, v[46:47]
	global_store_short_d16_hi v[62:63], v12, off
	s_or_b64 exec, exec, s[38:39]
	s_and_saveexec_b64 s[38:39], s[24:25]
	s_cbranch_execz .LBB590_156
.LBB590_219:
	v_sub_u32_e32 v62, v38, v6
	v_mov_b32_e32 v63, 0
	v_lshl_add_u64 v[62:63], v[62:63], 1, v[46:47]
	global_store_short v[62:63], v13, off
	s_or_b64 exec, exec, s[38:39]
	s_and_saveexec_b64 s[38:39], s[22:23]
	s_cbranch_execz .LBB590_157
.LBB590_220:
	v_sub_u32_e32 v62, v36, v6
	v_mov_b32_e32 v63, 0
	v_lshl_add_u64 v[62:63], v[62:63], 1, v[46:47]
	global_store_short_d16_hi v[62:63], v13, off
	s_or_b64 exec, exec, s[38:39]
	s_and_saveexec_b64 s[38:39], s[20:21]
	s_cbranch_execz .LBB590_158
.LBB590_221:
	v_sub_u32_e32 v62, v34, v6
	v_mov_b32_e32 v63, 0
	v_lshl_add_u64 v[62:63], v[62:63], 1, v[46:47]
	global_store_short v[62:63], v10, off
	s_or_b64 exec, exec, s[38:39]
	s_and_saveexec_b64 s[38:39], s[18:19]
	s_cbranch_execz .LBB590_159
.LBB590_222:
	v_sub_u32_e32 v62, v32, v6
	v_mov_b32_e32 v63, 0
	v_lshl_add_u64 v[62:63], v[62:63], 1, v[46:47]
	global_store_short_d16_hi v[62:63], v10, off
	s_or_b64 exec, exec, s[38:39]
	s_and_saveexec_b64 s[38:39], s[16:17]
	s_cbranch_execz .LBB590_160
.LBB590_223:
	v_sub_u32_e32 v62, v30, v6
	v_mov_b32_e32 v63, 0
	v_lshl_add_u64 v[62:63], v[62:63], 1, v[46:47]
	global_store_short v[62:63], v11, off
	s_or_b64 exec, exec, s[38:39]
	s_and_saveexec_b64 s[38:39], s[14:15]
	s_cbranch_execz .LBB590_161
.LBB590_224:
	v_sub_u32_e32 v62, v28, v6
	v_mov_b32_e32 v63, 0
	v_lshl_add_u64 v[62:63], v[62:63], 1, v[46:47]
	global_store_short_d16_hi v[62:63], v11, off
	s_or_b64 exec, exec, s[38:39]
	s_and_saveexec_b64 s[38:39], s[12:13]
	s_cbranch_execz .LBB590_162
.LBB590_225:
	v_sub_u32_e32 v62, v26, v6
	v_mov_b32_e32 v63, 0
	v_lshl_add_u64 v[62:63], v[62:63], 1, v[46:47]
	global_store_short v[62:63], v8, off
	s_or_b64 exec, exec, s[38:39]
	s_and_saveexec_b64 s[38:39], s[10:11]
	s_cbranch_execz .LBB590_163
.LBB590_226:
	v_sub_u32_e32 v62, v24, v6
	v_mov_b32_e32 v63, 0
	v_lshl_add_u64 v[62:63], v[62:63], 1, v[46:47]
	global_store_short_d16_hi v[62:63], v8, off
	s_or_b64 exec, exec, s[38:39]
	s_and_saveexec_b64 s[38:39], s[8:9]
	s_cbranch_execz .LBB590_164
.LBB590_227:
	v_sub_u32_e32 v62, v22, v6
	v_mov_b32_e32 v63, 0
	v_lshl_add_u64 v[62:63], v[62:63], 1, v[46:47]
	global_store_short v[62:63], v9, off
	s_or_b64 exec, exec, s[38:39]
	s_and_saveexec_b64 s[38:39], s[6:7]
	s_cbranch_execz .LBB590_165
.LBB590_228:
	v_sub_u32_e32 v62, v20, v6
	v_mov_b32_e32 v63, 0
	v_lshl_add_u64 v[62:63], v[62:63], 1, v[46:47]
	global_store_short_d16_hi v[62:63], v9, off
	s_or_b64 exec, exec, s[38:39]
	s_and_saveexec_b64 s[38:39], s[4:5]
	s_cbranch_execnz .LBB590_166
	s_branch .LBB590_167
.LBB590_229:
	v_sub_u32_e32 v2, v42, v6
	v_lshlrev_b32_e32 v2, 1, v2
	ds_write_b16 v2, v12
	s_or_b64 exec, exec, s[38:39]
	s_and_saveexec_b64 s[28:29], s[26:27]
	s_cbranch_execz .LBB590_171
.LBB590_230:
	v_sub_u32_e32 v2, v40, v6
	v_lshlrev_b32_e32 v2, 1, v2
	ds_write_b16_d16_hi v2, v12
	s_or_b64 exec, exec, s[28:29]
	s_and_saveexec_b64 s[26:27], s[24:25]
	s_cbranch_execz .LBB590_172
.LBB590_231:
	v_sub_u32_e32 v2, v38, v6
	v_lshlrev_b32_e32 v2, 1, v2
	ds_write_b16 v2, v13
	s_or_b64 exec, exec, s[26:27]
	s_and_saveexec_b64 s[24:25], s[22:23]
	s_cbranch_execz .LBB590_173
.LBB590_232:
	v_sub_u32_e32 v2, v36, v6
	v_lshlrev_b32_e32 v2, 1, v2
	ds_write_b16_d16_hi v2, v13
	s_or_b64 exec, exec, s[24:25]
	s_and_saveexec_b64 s[22:23], s[20:21]
	s_cbranch_execz .LBB590_174
.LBB590_233:
	v_sub_u32_e32 v2, v34, v6
	v_lshlrev_b32_e32 v2, 1, v2
	ds_write_b16 v2, v10
	s_or_b64 exec, exec, s[22:23]
	s_and_saveexec_b64 s[20:21], s[18:19]
	s_cbranch_execz .LBB590_175
.LBB590_234:
	v_sub_u32_e32 v2, v32, v6
	v_lshlrev_b32_e32 v2, 1, v2
	ds_write_b16_d16_hi v2, v10
	s_or_b64 exec, exec, s[20:21]
	s_and_saveexec_b64 s[18:19], s[16:17]
	s_cbranch_execz .LBB590_176
.LBB590_235:
	v_sub_u32_e32 v2, v30, v6
	v_lshlrev_b32_e32 v2, 1, v2
	ds_write_b16 v2, v11
	s_or_b64 exec, exec, s[18:19]
	s_and_saveexec_b64 s[16:17], s[14:15]
	s_cbranch_execz .LBB590_177
.LBB590_236:
	v_sub_u32_e32 v2, v28, v6
	v_lshlrev_b32_e32 v2, 1, v2
	ds_write_b16_d16_hi v2, v11
	s_or_b64 exec, exec, s[16:17]
	s_and_saveexec_b64 s[14:15], s[12:13]
	s_cbranch_execz .LBB590_178
.LBB590_237:
	v_sub_u32_e32 v2, v26, v6
	v_lshlrev_b32_e32 v2, 1, v2
	ds_write_b16 v2, v8
	s_or_b64 exec, exec, s[14:15]
	s_and_saveexec_b64 s[12:13], s[10:11]
	s_cbranch_execz .LBB590_179
.LBB590_238:
	v_sub_u32_e32 v2, v24, v6
	v_lshlrev_b32_e32 v2, 1, v2
	ds_write_b16_d16_hi v2, v8
	s_or_b64 exec, exec, s[12:13]
	s_and_saveexec_b64 s[10:11], s[8:9]
	s_cbranch_execz .LBB590_180
.LBB590_239:
	v_sub_u32_e32 v2, v22, v6
	v_lshlrev_b32_e32 v2, 1, v2
	ds_write_b16 v2, v9
	s_or_b64 exec, exec, s[10:11]
	s_and_saveexec_b64 s[8:9], s[6:7]
	s_cbranch_execz .LBB590_181
.LBB590_240:
	v_sub_u32_e32 v2, v20, v6
	v_lshlrev_b32_e32 v2, 1, v2
	ds_write_b16_d16_hi v2, v9
	s_or_b64 exec, exec, s[8:9]
	s_and_saveexec_b64 s[6:7], s[4:5]
	s_cbranch_execnz .LBB590_182
	s_branch .LBB590_183
.LBB590_241:
	v_sub_u32_e32 v48, v42, v5
	v_mov_b32_e32 v49, 0
	v_lshl_add_u64 v[50:51], v[48:49], 3, v[46:47]
	v_mov_b32_e32 v48, v43
	global_store_dwordx2 v[50:51], v[48:49], off
	s_or_b64 exec, exec, s[36:37]
	s_and_saveexec_b64 s[36:37], s[24:25]
	s_cbranch_execz .LBB590_187
.LBB590_242:
	v_sub_u32_e32 v48, v40, v5
	v_mov_b32_e32 v49, 0
	v_lshl_add_u64 v[50:51], v[48:49], 3, v[46:47]
	v_mov_b32_e32 v48, v41
	global_store_dwordx2 v[50:51], v[48:49], off
	s_or_b64 exec, exec, s[36:37]
	s_and_saveexec_b64 s[36:37], s[22:23]
	s_cbranch_execz .LBB590_188
.LBB590_243:
	v_sub_u32_e32 v48, v38, v5
	v_mov_b32_e32 v49, 0
	v_lshl_add_u64 v[50:51], v[48:49], 3, v[46:47]
	v_mov_b32_e32 v48, v39
	global_store_dwordx2 v[50:51], v[48:49], off
	s_or_b64 exec, exec, s[36:37]
	s_and_saveexec_b64 s[36:37], s[20:21]
	s_cbranch_execz .LBB590_189
.LBB590_244:
	v_sub_u32_e32 v48, v36, v5
	v_mov_b32_e32 v49, 0
	v_lshl_add_u64 v[50:51], v[48:49], 3, v[46:47]
	v_mov_b32_e32 v48, v37
	global_store_dwordx2 v[50:51], v[48:49], off
	s_or_b64 exec, exec, s[36:37]
	s_and_saveexec_b64 s[36:37], s[18:19]
	s_cbranch_execz .LBB590_190
.LBB590_245:
	v_sub_u32_e32 v48, v34, v5
	v_mov_b32_e32 v49, 0
	v_lshl_add_u64 v[50:51], v[48:49], 3, v[46:47]
	v_mov_b32_e32 v48, v35
	global_store_dwordx2 v[50:51], v[48:49], off
	s_or_b64 exec, exec, s[36:37]
	s_and_saveexec_b64 s[36:37], s[16:17]
	s_cbranch_execz .LBB590_191
.LBB590_246:
	v_sub_u32_e32 v48, v32, v5
	v_mov_b32_e32 v49, 0
	v_lshl_add_u64 v[50:51], v[48:49], 3, v[46:47]
	v_mov_b32_e32 v48, v33
	global_store_dwordx2 v[50:51], v[48:49], off
	s_or_b64 exec, exec, s[36:37]
	s_and_saveexec_b64 s[36:37], s[14:15]
	s_cbranch_execz .LBB590_192
.LBB590_247:
	v_sub_u32_e32 v48, v30, v5
	v_mov_b32_e32 v49, 0
	v_lshl_add_u64 v[50:51], v[48:49], 3, v[46:47]
	v_mov_b32_e32 v48, v31
	global_store_dwordx2 v[50:51], v[48:49], off
	s_or_b64 exec, exec, s[36:37]
	s_and_saveexec_b64 s[36:37], s[12:13]
	s_cbranch_execz .LBB590_193
.LBB590_248:
	v_sub_u32_e32 v48, v28, v5
	v_mov_b32_e32 v49, 0
	v_lshl_add_u64 v[50:51], v[48:49], 3, v[46:47]
	v_mov_b32_e32 v48, v29
	global_store_dwordx2 v[50:51], v[48:49], off
	s_or_b64 exec, exec, s[36:37]
	s_and_saveexec_b64 s[36:37], s[10:11]
	s_cbranch_execz .LBB590_194
.LBB590_249:
	v_sub_u32_e32 v48, v26, v5
	v_mov_b32_e32 v49, 0
	v_lshl_add_u64 v[50:51], v[48:49], 3, v[46:47]
	v_mov_b32_e32 v48, v27
	global_store_dwordx2 v[50:51], v[48:49], off
	s_or_b64 exec, exec, s[36:37]
	s_and_saveexec_b64 s[36:37], s[8:9]
	s_cbranch_execz .LBB590_195
.LBB590_250:
	v_sub_u32_e32 v48, v24, v5
	v_mov_b32_e32 v49, 0
	v_lshl_add_u64 v[50:51], v[48:49], 3, v[46:47]
	v_mov_b32_e32 v48, v25
	global_store_dwordx2 v[50:51], v[48:49], off
	s_or_b64 exec, exec, s[36:37]
	s_and_saveexec_b64 s[36:37], s[6:7]
	s_cbranch_execz .LBB590_196
.LBB590_251:
	v_sub_u32_e32 v48, v22, v5
	v_mov_b32_e32 v49, 0
	v_lshl_add_u64 v[50:51], v[48:49], 3, v[46:47]
	v_mov_b32_e32 v48, v23
	global_store_dwordx2 v[50:51], v[48:49], off
	s_or_b64 exec, exec, s[36:37]
	s_and_saveexec_b64 s[36:37], s[4:5]
	s_cbranch_execz .LBB590_197
.LBB590_252:
	v_sub_u32_e32 v48, v20, v5
	v_mov_b32_e32 v49, 0
	v_lshl_add_u64 v[50:51], v[48:49], 3, v[46:47]
	v_mov_b32_e32 v48, v21
	global_store_dwordx2 v[50:51], v[48:49], off
	s_or_b64 exec, exec, s[36:37]
	s_and_saveexec_b64 s[36:37], s[2:3]
	s_cbranch_execnz .LBB590_198
	s_branch .LBB590_199
.LBB590_253:
	v_sub_u32_e32 v15, v42, v5
	v_lshlrev_b32_e32 v15, 2, v15
	ds_write_b32 v15, v43
	s_or_b64 exec, exec, s[36:37]
	s_and_saveexec_b64 s[26:27], s[24:25]
	s_cbranch_execz .LBB590_203
.LBB590_254:
	v_sub_u32_e32 v15, v40, v5
	v_lshlrev_b32_e32 v15, 2, v15
	ds_write_b32 v15, v41
	s_or_b64 exec, exec, s[26:27]
	s_and_saveexec_b64 s[24:25], s[22:23]
	s_cbranch_execz .LBB590_204
.LBB590_255:
	v_sub_u32_e32 v15, v38, v5
	v_lshlrev_b32_e32 v15, 2, v15
	ds_write_b32 v15, v39
	s_or_b64 exec, exec, s[24:25]
	s_and_saveexec_b64 s[22:23], s[20:21]
	s_cbranch_execz .LBB590_205
.LBB590_256:
	v_sub_u32_e32 v15, v36, v5
	v_lshlrev_b32_e32 v15, 2, v15
	ds_write_b32 v15, v37
	s_or_b64 exec, exec, s[22:23]
	s_and_saveexec_b64 s[20:21], s[18:19]
	s_cbranch_execz .LBB590_206
.LBB590_257:
	v_sub_u32_e32 v15, v34, v5
	v_lshlrev_b32_e32 v15, 2, v15
	ds_write_b32 v15, v35
	s_or_b64 exec, exec, s[20:21]
	s_and_saveexec_b64 s[18:19], s[16:17]
	s_cbranch_execz .LBB590_207
.LBB590_258:
	v_sub_u32_e32 v15, v32, v5
	v_lshlrev_b32_e32 v15, 2, v15
	ds_write_b32 v15, v33
	s_or_b64 exec, exec, s[18:19]
	s_and_saveexec_b64 s[16:17], s[14:15]
	s_cbranch_execz .LBB590_208
.LBB590_259:
	v_sub_u32_e32 v15, v30, v5
	v_lshlrev_b32_e32 v15, 2, v15
	ds_write_b32 v15, v31
	s_or_b64 exec, exec, s[16:17]
	s_and_saveexec_b64 s[14:15], s[12:13]
	s_cbranch_execz .LBB590_209
.LBB590_260:
	v_sub_u32_e32 v15, v28, v5
	v_lshlrev_b32_e32 v15, 2, v15
	ds_write_b32 v15, v29
	s_or_b64 exec, exec, s[14:15]
	s_and_saveexec_b64 s[12:13], s[10:11]
	s_cbranch_execz .LBB590_210
.LBB590_261:
	v_sub_u32_e32 v15, v26, v5
	v_lshlrev_b32_e32 v15, 2, v15
	ds_write_b32 v15, v27
	s_or_b64 exec, exec, s[12:13]
	s_and_saveexec_b64 s[10:11], s[8:9]
	s_cbranch_execz .LBB590_211
.LBB590_262:
	v_sub_u32_e32 v15, v24, v5
	v_lshlrev_b32_e32 v15, 2, v15
	ds_write_b32 v15, v25
	s_or_b64 exec, exec, s[10:11]
	s_and_saveexec_b64 s[8:9], s[6:7]
	s_cbranch_execz .LBB590_212
.LBB590_263:
	v_sub_u32_e32 v15, v22, v5
	v_lshlrev_b32_e32 v15, 2, v15
	ds_write_b32 v15, v23
	s_or_b64 exec, exec, s[8:9]
	s_and_saveexec_b64 s[6:7], s[4:5]
	s_cbranch_execz .LBB590_213
.LBB590_264:
	v_sub_u32_e32 v15, v20, v5
	v_lshlrev_b32_e32 v15, 2, v15
	ds_write_b32 v15, v21
	s_or_b64 exec, exec, s[6:7]
	s_and_saveexec_b64 s[4:5], s[2:3]
	s_cbranch_execnz .LBB590_214
	s_branch .LBB590_215
	.section	.rodata,"a",@progbits
	.p2align	6, 0x0
	.amdhsa_kernel _ZN7rocprim17ROCPRIM_400000_NS6detail17trampoline_kernelINS0_14default_configENS1_33run_length_encode_config_selectorIsjNS0_4plusIjEEEEZZNS1_33reduce_by_key_impl_wrapped_configILNS1_25lookback_scan_determinismE0ES3_S7_PKsNS0_17constant_iteratorIjlEEPsPlSF_S6_NS0_8equal_toIsEEEE10hipError_tPvRmT2_T3_mT4_T5_T6_T7_T8_P12ihipStream_tbENKUlT_T0_E_clISt17integral_constantIbLb1EESZ_EEDaSU_SV_EUlSU_E_NS1_11comp_targetILNS1_3genE5ELNS1_11target_archE942ELNS1_3gpuE9ELNS1_3repE0EEENS1_30default_config_static_selectorELNS0_4arch9wavefront6targetE1EEEvT1_
		.amdhsa_group_segment_fixed_size 28672
		.amdhsa_private_segment_fixed_size 0
		.amdhsa_kernarg_size 128
		.amdhsa_user_sgpr_count 2
		.amdhsa_user_sgpr_dispatch_ptr 0
		.amdhsa_user_sgpr_queue_ptr 0
		.amdhsa_user_sgpr_kernarg_segment_ptr 1
		.amdhsa_user_sgpr_dispatch_id 0
		.amdhsa_user_sgpr_kernarg_preload_length 0
		.amdhsa_user_sgpr_kernarg_preload_offset 0
		.amdhsa_user_sgpr_private_segment_size 0
		.amdhsa_uses_dynamic_stack 0
		.amdhsa_enable_private_segment 0
		.amdhsa_system_sgpr_workgroup_id_x 1
		.amdhsa_system_sgpr_workgroup_id_y 0
		.amdhsa_system_sgpr_workgroup_id_z 0
		.amdhsa_system_sgpr_workgroup_info 0
		.amdhsa_system_vgpr_workitem_id 0
		.amdhsa_next_free_vgpr 105
		.amdhsa_next_free_sgpr 64
		.amdhsa_accum_offset 108
		.amdhsa_reserve_vcc 1
		.amdhsa_float_round_mode_32 0
		.amdhsa_float_round_mode_16_64 0
		.amdhsa_float_denorm_mode_32 3
		.amdhsa_float_denorm_mode_16_64 3
		.amdhsa_dx10_clamp 1
		.amdhsa_ieee_mode 1
		.amdhsa_fp16_overflow 0
		.amdhsa_tg_split 0
		.amdhsa_exception_fp_ieee_invalid_op 0
		.amdhsa_exception_fp_denorm_src 0
		.amdhsa_exception_fp_ieee_div_zero 0
		.amdhsa_exception_fp_ieee_overflow 0
		.amdhsa_exception_fp_ieee_underflow 0
		.amdhsa_exception_fp_ieee_inexact 0
		.amdhsa_exception_int_div_zero 0
	.end_amdhsa_kernel
	.section	.text._ZN7rocprim17ROCPRIM_400000_NS6detail17trampoline_kernelINS0_14default_configENS1_33run_length_encode_config_selectorIsjNS0_4plusIjEEEEZZNS1_33reduce_by_key_impl_wrapped_configILNS1_25lookback_scan_determinismE0ES3_S7_PKsNS0_17constant_iteratorIjlEEPsPlSF_S6_NS0_8equal_toIsEEEE10hipError_tPvRmT2_T3_mT4_T5_T6_T7_T8_P12ihipStream_tbENKUlT_T0_E_clISt17integral_constantIbLb1EESZ_EEDaSU_SV_EUlSU_E_NS1_11comp_targetILNS1_3genE5ELNS1_11target_archE942ELNS1_3gpuE9ELNS1_3repE0EEENS1_30default_config_static_selectorELNS0_4arch9wavefront6targetE1EEEvT1_,"axG",@progbits,_ZN7rocprim17ROCPRIM_400000_NS6detail17trampoline_kernelINS0_14default_configENS1_33run_length_encode_config_selectorIsjNS0_4plusIjEEEEZZNS1_33reduce_by_key_impl_wrapped_configILNS1_25lookback_scan_determinismE0ES3_S7_PKsNS0_17constant_iteratorIjlEEPsPlSF_S6_NS0_8equal_toIsEEEE10hipError_tPvRmT2_T3_mT4_T5_T6_T7_T8_P12ihipStream_tbENKUlT_T0_E_clISt17integral_constantIbLb1EESZ_EEDaSU_SV_EUlSU_E_NS1_11comp_targetILNS1_3genE5ELNS1_11target_archE942ELNS1_3gpuE9ELNS1_3repE0EEENS1_30default_config_static_selectorELNS0_4arch9wavefront6targetE1EEEvT1_,comdat
.Lfunc_end590:
	.size	_ZN7rocprim17ROCPRIM_400000_NS6detail17trampoline_kernelINS0_14default_configENS1_33run_length_encode_config_selectorIsjNS0_4plusIjEEEEZZNS1_33reduce_by_key_impl_wrapped_configILNS1_25lookback_scan_determinismE0ES3_S7_PKsNS0_17constant_iteratorIjlEEPsPlSF_S6_NS0_8equal_toIsEEEE10hipError_tPvRmT2_T3_mT4_T5_T6_T7_T8_P12ihipStream_tbENKUlT_T0_E_clISt17integral_constantIbLb1EESZ_EEDaSU_SV_EUlSU_E_NS1_11comp_targetILNS1_3genE5ELNS1_11target_archE942ELNS1_3gpuE9ELNS1_3repE0EEENS1_30default_config_static_selectorELNS0_4arch9wavefront6targetE1EEEvT1_, .Lfunc_end590-_ZN7rocprim17ROCPRIM_400000_NS6detail17trampoline_kernelINS0_14default_configENS1_33run_length_encode_config_selectorIsjNS0_4plusIjEEEEZZNS1_33reduce_by_key_impl_wrapped_configILNS1_25lookback_scan_determinismE0ES3_S7_PKsNS0_17constant_iteratorIjlEEPsPlSF_S6_NS0_8equal_toIsEEEE10hipError_tPvRmT2_T3_mT4_T5_T6_T7_T8_P12ihipStream_tbENKUlT_T0_E_clISt17integral_constantIbLb1EESZ_EEDaSU_SV_EUlSU_E_NS1_11comp_targetILNS1_3genE5ELNS1_11target_archE942ELNS1_3gpuE9ELNS1_3repE0EEENS1_30default_config_static_selectorELNS0_4arch9wavefront6targetE1EEEvT1_
                                        ; -- End function
	.section	.AMDGPU.csdata,"",@progbits
; Kernel info:
; codeLenInByte = 14584
; NumSgprs: 70
; NumVgprs: 105
; NumAgprs: 0
; TotalNumVgprs: 105
; ScratchSize: 0
; MemoryBound: 0
; FloatMode: 240
; IeeeMode: 1
; LDSByteSize: 28672 bytes/workgroup (compile time only)
; SGPRBlocks: 8
; VGPRBlocks: 13
; NumSGPRsForWavesPerEU: 70
; NumVGPRsForWavesPerEU: 105
; AccumOffset: 108
; Occupancy: 4
; WaveLimiterHint : 1
; COMPUTE_PGM_RSRC2:SCRATCH_EN: 0
; COMPUTE_PGM_RSRC2:USER_SGPR: 2
; COMPUTE_PGM_RSRC2:TRAP_HANDLER: 0
; COMPUTE_PGM_RSRC2:TGID_X_EN: 1
; COMPUTE_PGM_RSRC2:TGID_Y_EN: 0
; COMPUTE_PGM_RSRC2:TGID_Z_EN: 0
; COMPUTE_PGM_RSRC2:TIDIG_COMP_CNT: 0
; COMPUTE_PGM_RSRC3_GFX90A:ACCUM_OFFSET: 26
; COMPUTE_PGM_RSRC3_GFX90A:TG_SPLIT: 0
	.section	.text._ZN7rocprim17ROCPRIM_400000_NS6detail17trampoline_kernelINS0_14default_configENS1_33run_length_encode_config_selectorIsjNS0_4plusIjEEEEZZNS1_33reduce_by_key_impl_wrapped_configILNS1_25lookback_scan_determinismE0ES3_S7_PKsNS0_17constant_iteratorIjlEEPsPlSF_S6_NS0_8equal_toIsEEEE10hipError_tPvRmT2_T3_mT4_T5_T6_T7_T8_P12ihipStream_tbENKUlT_T0_E_clISt17integral_constantIbLb1EESZ_EEDaSU_SV_EUlSU_E_NS1_11comp_targetILNS1_3genE4ELNS1_11target_archE910ELNS1_3gpuE8ELNS1_3repE0EEENS1_30default_config_static_selectorELNS0_4arch9wavefront6targetE1EEEvT1_,"axG",@progbits,_ZN7rocprim17ROCPRIM_400000_NS6detail17trampoline_kernelINS0_14default_configENS1_33run_length_encode_config_selectorIsjNS0_4plusIjEEEEZZNS1_33reduce_by_key_impl_wrapped_configILNS1_25lookback_scan_determinismE0ES3_S7_PKsNS0_17constant_iteratorIjlEEPsPlSF_S6_NS0_8equal_toIsEEEE10hipError_tPvRmT2_T3_mT4_T5_T6_T7_T8_P12ihipStream_tbENKUlT_T0_E_clISt17integral_constantIbLb1EESZ_EEDaSU_SV_EUlSU_E_NS1_11comp_targetILNS1_3genE4ELNS1_11target_archE910ELNS1_3gpuE8ELNS1_3repE0EEENS1_30default_config_static_selectorELNS0_4arch9wavefront6targetE1EEEvT1_,comdat
	.protected	_ZN7rocprim17ROCPRIM_400000_NS6detail17trampoline_kernelINS0_14default_configENS1_33run_length_encode_config_selectorIsjNS0_4plusIjEEEEZZNS1_33reduce_by_key_impl_wrapped_configILNS1_25lookback_scan_determinismE0ES3_S7_PKsNS0_17constant_iteratorIjlEEPsPlSF_S6_NS0_8equal_toIsEEEE10hipError_tPvRmT2_T3_mT4_T5_T6_T7_T8_P12ihipStream_tbENKUlT_T0_E_clISt17integral_constantIbLb1EESZ_EEDaSU_SV_EUlSU_E_NS1_11comp_targetILNS1_3genE4ELNS1_11target_archE910ELNS1_3gpuE8ELNS1_3repE0EEENS1_30default_config_static_selectorELNS0_4arch9wavefront6targetE1EEEvT1_ ; -- Begin function _ZN7rocprim17ROCPRIM_400000_NS6detail17trampoline_kernelINS0_14default_configENS1_33run_length_encode_config_selectorIsjNS0_4plusIjEEEEZZNS1_33reduce_by_key_impl_wrapped_configILNS1_25lookback_scan_determinismE0ES3_S7_PKsNS0_17constant_iteratorIjlEEPsPlSF_S6_NS0_8equal_toIsEEEE10hipError_tPvRmT2_T3_mT4_T5_T6_T7_T8_P12ihipStream_tbENKUlT_T0_E_clISt17integral_constantIbLb1EESZ_EEDaSU_SV_EUlSU_E_NS1_11comp_targetILNS1_3genE4ELNS1_11target_archE910ELNS1_3gpuE8ELNS1_3repE0EEENS1_30default_config_static_selectorELNS0_4arch9wavefront6targetE1EEEvT1_
	.globl	_ZN7rocprim17ROCPRIM_400000_NS6detail17trampoline_kernelINS0_14default_configENS1_33run_length_encode_config_selectorIsjNS0_4plusIjEEEEZZNS1_33reduce_by_key_impl_wrapped_configILNS1_25lookback_scan_determinismE0ES3_S7_PKsNS0_17constant_iteratorIjlEEPsPlSF_S6_NS0_8equal_toIsEEEE10hipError_tPvRmT2_T3_mT4_T5_T6_T7_T8_P12ihipStream_tbENKUlT_T0_E_clISt17integral_constantIbLb1EESZ_EEDaSU_SV_EUlSU_E_NS1_11comp_targetILNS1_3genE4ELNS1_11target_archE910ELNS1_3gpuE8ELNS1_3repE0EEENS1_30default_config_static_selectorELNS0_4arch9wavefront6targetE1EEEvT1_
	.p2align	8
	.type	_ZN7rocprim17ROCPRIM_400000_NS6detail17trampoline_kernelINS0_14default_configENS1_33run_length_encode_config_selectorIsjNS0_4plusIjEEEEZZNS1_33reduce_by_key_impl_wrapped_configILNS1_25lookback_scan_determinismE0ES3_S7_PKsNS0_17constant_iteratorIjlEEPsPlSF_S6_NS0_8equal_toIsEEEE10hipError_tPvRmT2_T3_mT4_T5_T6_T7_T8_P12ihipStream_tbENKUlT_T0_E_clISt17integral_constantIbLb1EESZ_EEDaSU_SV_EUlSU_E_NS1_11comp_targetILNS1_3genE4ELNS1_11target_archE910ELNS1_3gpuE8ELNS1_3repE0EEENS1_30default_config_static_selectorELNS0_4arch9wavefront6targetE1EEEvT1_,@function
_ZN7rocprim17ROCPRIM_400000_NS6detail17trampoline_kernelINS0_14default_configENS1_33run_length_encode_config_selectorIsjNS0_4plusIjEEEEZZNS1_33reduce_by_key_impl_wrapped_configILNS1_25lookback_scan_determinismE0ES3_S7_PKsNS0_17constant_iteratorIjlEEPsPlSF_S6_NS0_8equal_toIsEEEE10hipError_tPvRmT2_T3_mT4_T5_T6_T7_T8_P12ihipStream_tbENKUlT_T0_E_clISt17integral_constantIbLb1EESZ_EEDaSU_SV_EUlSU_E_NS1_11comp_targetILNS1_3genE4ELNS1_11target_archE910ELNS1_3gpuE8ELNS1_3repE0EEENS1_30default_config_static_selectorELNS0_4arch9wavefront6targetE1EEEvT1_: ; @_ZN7rocprim17ROCPRIM_400000_NS6detail17trampoline_kernelINS0_14default_configENS1_33run_length_encode_config_selectorIsjNS0_4plusIjEEEEZZNS1_33reduce_by_key_impl_wrapped_configILNS1_25lookback_scan_determinismE0ES3_S7_PKsNS0_17constant_iteratorIjlEEPsPlSF_S6_NS0_8equal_toIsEEEE10hipError_tPvRmT2_T3_mT4_T5_T6_T7_T8_P12ihipStream_tbENKUlT_T0_E_clISt17integral_constantIbLb1EESZ_EEDaSU_SV_EUlSU_E_NS1_11comp_targetILNS1_3genE4ELNS1_11target_archE910ELNS1_3gpuE8ELNS1_3repE0EEENS1_30default_config_static_selectorELNS0_4arch9wavefront6targetE1EEEvT1_
; %bb.0:
	.section	.rodata,"a",@progbits
	.p2align	6, 0x0
	.amdhsa_kernel _ZN7rocprim17ROCPRIM_400000_NS6detail17trampoline_kernelINS0_14default_configENS1_33run_length_encode_config_selectorIsjNS0_4plusIjEEEEZZNS1_33reduce_by_key_impl_wrapped_configILNS1_25lookback_scan_determinismE0ES3_S7_PKsNS0_17constant_iteratorIjlEEPsPlSF_S6_NS0_8equal_toIsEEEE10hipError_tPvRmT2_T3_mT4_T5_T6_T7_T8_P12ihipStream_tbENKUlT_T0_E_clISt17integral_constantIbLb1EESZ_EEDaSU_SV_EUlSU_E_NS1_11comp_targetILNS1_3genE4ELNS1_11target_archE910ELNS1_3gpuE8ELNS1_3repE0EEENS1_30default_config_static_selectorELNS0_4arch9wavefront6targetE1EEEvT1_
		.amdhsa_group_segment_fixed_size 0
		.amdhsa_private_segment_fixed_size 0
		.amdhsa_kernarg_size 128
		.amdhsa_user_sgpr_count 2
		.amdhsa_user_sgpr_dispatch_ptr 0
		.amdhsa_user_sgpr_queue_ptr 0
		.amdhsa_user_sgpr_kernarg_segment_ptr 1
		.amdhsa_user_sgpr_dispatch_id 0
		.amdhsa_user_sgpr_kernarg_preload_length 0
		.amdhsa_user_sgpr_kernarg_preload_offset 0
		.amdhsa_user_sgpr_private_segment_size 0
		.amdhsa_uses_dynamic_stack 0
		.amdhsa_enable_private_segment 0
		.amdhsa_system_sgpr_workgroup_id_x 1
		.amdhsa_system_sgpr_workgroup_id_y 0
		.amdhsa_system_sgpr_workgroup_id_z 0
		.amdhsa_system_sgpr_workgroup_info 0
		.amdhsa_system_vgpr_workitem_id 0
		.amdhsa_next_free_vgpr 1
		.amdhsa_next_free_sgpr 0
		.amdhsa_accum_offset 4
		.amdhsa_reserve_vcc 0
		.amdhsa_float_round_mode_32 0
		.amdhsa_float_round_mode_16_64 0
		.amdhsa_float_denorm_mode_32 3
		.amdhsa_float_denorm_mode_16_64 3
		.amdhsa_dx10_clamp 1
		.amdhsa_ieee_mode 1
		.amdhsa_fp16_overflow 0
		.amdhsa_tg_split 0
		.amdhsa_exception_fp_ieee_invalid_op 0
		.amdhsa_exception_fp_denorm_src 0
		.amdhsa_exception_fp_ieee_div_zero 0
		.amdhsa_exception_fp_ieee_overflow 0
		.amdhsa_exception_fp_ieee_underflow 0
		.amdhsa_exception_fp_ieee_inexact 0
		.amdhsa_exception_int_div_zero 0
	.end_amdhsa_kernel
	.section	.text._ZN7rocprim17ROCPRIM_400000_NS6detail17trampoline_kernelINS0_14default_configENS1_33run_length_encode_config_selectorIsjNS0_4plusIjEEEEZZNS1_33reduce_by_key_impl_wrapped_configILNS1_25lookback_scan_determinismE0ES3_S7_PKsNS0_17constant_iteratorIjlEEPsPlSF_S6_NS0_8equal_toIsEEEE10hipError_tPvRmT2_T3_mT4_T5_T6_T7_T8_P12ihipStream_tbENKUlT_T0_E_clISt17integral_constantIbLb1EESZ_EEDaSU_SV_EUlSU_E_NS1_11comp_targetILNS1_3genE4ELNS1_11target_archE910ELNS1_3gpuE8ELNS1_3repE0EEENS1_30default_config_static_selectorELNS0_4arch9wavefront6targetE1EEEvT1_,"axG",@progbits,_ZN7rocprim17ROCPRIM_400000_NS6detail17trampoline_kernelINS0_14default_configENS1_33run_length_encode_config_selectorIsjNS0_4plusIjEEEEZZNS1_33reduce_by_key_impl_wrapped_configILNS1_25lookback_scan_determinismE0ES3_S7_PKsNS0_17constant_iteratorIjlEEPsPlSF_S6_NS0_8equal_toIsEEEE10hipError_tPvRmT2_T3_mT4_T5_T6_T7_T8_P12ihipStream_tbENKUlT_T0_E_clISt17integral_constantIbLb1EESZ_EEDaSU_SV_EUlSU_E_NS1_11comp_targetILNS1_3genE4ELNS1_11target_archE910ELNS1_3gpuE8ELNS1_3repE0EEENS1_30default_config_static_selectorELNS0_4arch9wavefront6targetE1EEEvT1_,comdat
.Lfunc_end591:
	.size	_ZN7rocprim17ROCPRIM_400000_NS6detail17trampoline_kernelINS0_14default_configENS1_33run_length_encode_config_selectorIsjNS0_4plusIjEEEEZZNS1_33reduce_by_key_impl_wrapped_configILNS1_25lookback_scan_determinismE0ES3_S7_PKsNS0_17constant_iteratorIjlEEPsPlSF_S6_NS0_8equal_toIsEEEE10hipError_tPvRmT2_T3_mT4_T5_T6_T7_T8_P12ihipStream_tbENKUlT_T0_E_clISt17integral_constantIbLb1EESZ_EEDaSU_SV_EUlSU_E_NS1_11comp_targetILNS1_3genE4ELNS1_11target_archE910ELNS1_3gpuE8ELNS1_3repE0EEENS1_30default_config_static_selectorELNS0_4arch9wavefront6targetE1EEEvT1_, .Lfunc_end591-_ZN7rocprim17ROCPRIM_400000_NS6detail17trampoline_kernelINS0_14default_configENS1_33run_length_encode_config_selectorIsjNS0_4plusIjEEEEZZNS1_33reduce_by_key_impl_wrapped_configILNS1_25lookback_scan_determinismE0ES3_S7_PKsNS0_17constant_iteratorIjlEEPsPlSF_S6_NS0_8equal_toIsEEEE10hipError_tPvRmT2_T3_mT4_T5_T6_T7_T8_P12ihipStream_tbENKUlT_T0_E_clISt17integral_constantIbLb1EESZ_EEDaSU_SV_EUlSU_E_NS1_11comp_targetILNS1_3genE4ELNS1_11target_archE910ELNS1_3gpuE8ELNS1_3repE0EEENS1_30default_config_static_selectorELNS0_4arch9wavefront6targetE1EEEvT1_
                                        ; -- End function
	.section	.AMDGPU.csdata,"",@progbits
; Kernel info:
; codeLenInByte = 0
; NumSgprs: 6
; NumVgprs: 0
; NumAgprs: 0
; TotalNumVgprs: 0
; ScratchSize: 0
; MemoryBound: 0
; FloatMode: 240
; IeeeMode: 1
; LDSByteSize: 0 bytes/workgroup (compile time only)
; SGPRBlocks: 0
; VGPRBlocks: 0
; NumSGPRsForWavesPerEU: 6
; NumVGPRsForWavesPerEU: 1
; AccumOffset: 4
; Occupancy: 8
; WaveLimiterHint : 0
; COMPUTE_PGM_RSRC2:SCRATCH_EN: 0
; COMPUTE_PGM_RSRC2:USER_SGPR: 2
; COMPUTE_PGM_RSRC2:TRAP_HANDLER: 0
; COMPUTE_PGM_RSRC2:TGID_X_EN: 1
; COMPUTE_PGM_RSRC2:TGID_Y_EN: 0
; COMPUTE_PGM_RSRC2:TGID_Z_EN: 0
; COMPUTE_PGM_RSRC2:TIDIG_COMP_CNT: 0
; COMPUTE_PGM_RSRC3_GFX90A:ACCUM_OFFSET: 0
; COMPUTE_PGM_RSRC3_GFX90A:TG_SPLIT: 0
	.section	.text._ZN7rocprim17ROCPRIM_400000_NS6detail17trampoline_kernelINS0_14default_configENS1_33run_length_encode_config_selectorIsjNS0_4plusIjEEEEZZNS1_33reduce_by_key_impl_wrapped_configILNS1_25lookback_scan_determinismE0ES3_S7_PKsNS0_17constant_iteratorIjlEEPsPlSF_S6_NS0_8equal_toIsEEEE10hipError_tPvRmT2_T3_mT4_T5_T6_T7_T8_P12ihipStream_tbENKUlT_T0_E_clISt17integral_constantIbLb1EESZ_EEDaSU_SV_EUlSU_E_NS1_11comp_targetILNS1_3genE3ELNS1_11target_archE908ELNS1_3gpuE7ELNS1_3repE0EEENS1_30default_config_static_selectorELNS0_4arch9wavefront6targetE1EEEvT1_,"axG",@progbits,_ZN7rocprim17ROCPRIM_400000_NS6detail17trampoline_kernelINS0_14default_configENS1_33run_length_encode_config_selectorIsjNS0_4plusIjEEEEZZNS1_33reduce_by_key_impl_wrapped_configILNS1_25lookback_scan_determinismE0ES3_S7_PKsNS0_17constant_iteratorIjlEEPsPlSF_S6_NS0_8equal_toIsEEEE10hipError_tPvRmT2_T3_mT4_T5_T6_T7_T8_P12ihipStream_tbENKUlT_T0_E_clISt17integral_constantIbLb1EESZ_EEDaSU_SV_EUlSU_E_NS1_11comp_targetILNS1_3genE3ELNS1_11target_archE908ELNS1_3gpuE7ELNS1_3repE0EEENS1_30default_config_static_selectorELNS0_4arch9wavefront6targetE1EEEvT1_,comdat
	.protected	_ZN7rocprim17ROCPRIM_400000_NS6detail17trampoline_kernelINS0_14default_configENS1_33run_length_encode_config_selectorIsjNS0_4plusIjEEEEZZNS1_33reduce_by_key_impl_wrapped_configILNS1_25lookback_scan_determinismE0ES3_S7_PKsNS0_17constant_iteratorIjlEEPsPlSF_S6_NS0_8equal_toIsEEEE10hipError_tPvRmT2_T3_mT4_T5_T6_T7_T8_P12ihipStream_tbENKUlT_T0_E_clISt17integral_constantIbLb1EESZ_EEDaSU_SV_EUlSU_E_NS1_11comp_targetILNS1_3genE3ELNS1_11target_archE908ELNS1_3gpuE7ELNS1_3repE0EEENS1_30default_config_static_selectorELNS0_4arch9wavefront6targetE1EEEvT1_ ; -- Begin function _ZN7rocprim17ROCPRIM_400000_NS6detail17trampoline_kernelINS0_14default_configENS1_33run_length_encode_config_selectorIsjNS0_4plusIjEEEEZZNS1_33reduce_by_key_impl_wrapped_configILNS1_25lookback_scan_determinismE0ES3_S7_PKsNS0_17constant_iteratorIjlEEPsPlSF_S6_NS0_8equal_toIsEEEE10hipError_tPvRmT2_T3_mT4_T5_T6_T7_T8_P12ihipStream_tbENKUlT_T0_E_clISt17integral_constantIbLb1EESZ_EEDaSU_SV_EUlSU_E_NS1_11comp_targetILNS1_3genE3ELNS1_11target_archE908ELNS1_3gpuE7ELNS1_3repE0EEENS1_30default_config_static_selectorELNS0_4arch9wavefront6targetE1EEEvT1_
	.globl	_ZN7rocprim17ROCPRIM_400000_NS6detail17trampoline_kernelINS0_14default_configENS1_33run_length_encode_config_selectorIsjNS0_4plusIjEEEEZZNS1_33reduce_by_key_impl_wrapped_configILNS1_25lookback_scan_determinismE0ES3_S7_PKsNS0_17constant_iteratorIjlEEPsPlSF_S6_NS0_8equal_toIsEEEE10hipError_tPvRmT2_T3_mT4_T5_T6_T7_T8_P12ihipStream_tbENKUlT_T0_E_clISt17integral_constantIbLb1EESZ_EEDaSU_SV_EUlSU_E_NS1_11comp_targetILNS1_3genE3ELNS1_11target_archE908ELNS1_3gpuE7ELNS1_3repE0EEENS1_30default_config_static_selectorELNS0_4arch9wavefront6targetE1EEEvT1_
	.p2align	8
	.type	_ZN7rocprim17ROCPRIM_400000_NS6detail17trampoline_kernelINS0_14default_configENS1_33run_length_encode_config_selectorIsjNS0_4plusIjEEEEZZNS1_33reduce_by_key_impl_wrapped_configILNS1_25lookback_scan_determinismE0ES3_S7_PKsNS0_17constant_iteratorIjlEEPsPlSF_S6_NS0_8equal_toIsEEEE10hipError_tPvRmT2_T3_mT4_T5_T6_T7_T8_P12ihipStream_tbENKUlT_T0_E_clISt17integral_constantIbLb1EESZ_EEDaSU_SV_EUlSU_E_NS1_11comp_targetILNS1_3genE3ELNS1_11target_archE908ELNS1_3gpuE7ELNS1_3repE0EEENS1_30default_config_static_selectorELNS0_4arch9wavefront6targetE1EEEvT1_,@function
_ZN7rocprim17ROCPRIM_400000_NS6detail17trampoline_kernelINS0_14default_configENS1_33run_length_encode_config_selectorIsjNS0_4plusIjEEEEZZNS1_33reduce_by_key_impl_wrapped_configILNS1_25lookback_scan_determinismE0ES3_S7_PKsNS0_17constant_iteratorIjlEEPsPlSF_S6_NS0_8equal_toIsEEEE10hipError_tPvRmT2_T3_mT4_T5_T6_T7_T8_P12ihipStream_tbENKUlT_T0_E_clISt17integral_constantIbLb1EESZ_EEDaSU_SV_EUlSU_E_NS1_11comp_targetILNS1_3genE3ELNS1_11target_archE908ELNS1_3gpuE7ELNS1_3repE0EEENS1_30default_config_static_selectorELNS0_4arch9wavefront6targetE1EEEvT1_: ; @_ZN7rocprim17ROCPRIM_400000_NS6detail17trampoline_kernelINS0_14default_configENS1_33run_length_encode_config_selectorIsjNS0_4plusIjEEEEZZNS1_33reduce_by_key_impl_wrapped_configILNS1_25lookback_scan_determinismE0ES3_S7_PKsNS0_17constant_iteratorIjlEEPsPlSF_S6_NS0_8equal_toIsEEEE10hipError_tPvRmT2_T3_mT4_T5_T6_T7_T8_P12ihipStream_tbENKUlT_T0_E_clISt17integral_constantIbLb1EESZ_EEDaSU_SV_EUlSU_E_NS1_11comp_targetILNS1_3genE3ELNS1_11target_archE908ELNS1_3gpuE7ELNS1_3repE0EEENS1_30default_config_static_selectorELNS0_4arch9wavefront6targetE1EEEvT1_
; %bb.0:
	.section	.rodata,"a",@progbits
	.p2align	6, 0x0
	.amdhsa_kernel _ZN7rocprim17ROCPRIM_400000_NS6detail17trampoline_kernelINS0_14default_configENS1_33run_length_encode_config_selectorIsjNS0_4plusIjEEEEZZNS1_33reduce_by_key_impl_wrapped_configILNS1_25lookback_scan_determinismE0ES3_S7_PKsNS0_17constant_iteratorIjlEEPsPlSF_S6_NS0_8equal_toIsEEEE10hipError_tPvRmT2_T3_mT4_T5_T6_T7_T8_P12ihipStream_tbENKUlT_T0_E_clISt17integral_constantIbLb1EESZ_EEDaSU_SV_EUlSU_E_NS1_11comp_targetILNS1_3genE3ELNS1_11target_archE908ELNS1_3gpuE7ELNS1_3repE0EEENS1_30default_config_static_selectorELNS0_4arch9wavefront6targetE1EEEvT1_
		.amdhsa_group_segment_fixed_size 0
		.amdhsa_private_segment_fixed_size 0
		.amdhsa_kernarg_size 128
		.amdhsa_user_sgpr_count 2
		.amdhsa_user_sgpr_dispatch_ptr 0
		.amdhsa_user_sgpr_queue_ptr 0
		.amdhsa_user_sgpr_kernarg_segment_ptr 1
		.amdhsa_user_sgpr_dispatch_id 0
		.amdhsa_user_sgpr_kernarg_preload_length 0
		.amdhsa_user_sgpr_kernarg_preload_offset 0
		.amdhsa_user_sgpr_private_segment_size 0
		.amdhsa_uses_dynamic_stack 0
		.amdhsa_enable_private_segment 0
		.amdhsa_system_sgpr_workgroup_id_x 1
		.amdhsa_system_sgpr_workgroup_id_y 0
		.amdhsa_system_sgpr_workgroup_id_z 0
		.amdhsa_system_sgpr_workgroup_info 0
		.amdhsa_system_vgpr_workitem_id 0
		.amdhsa_next_free_vgpr 1
		.amdhsa_next_free_sgpr 0
		.amdhsa_accum_offset 4
		.amdhsa_reserve_vcc 0
		.amdhsa_float_round_mode_32 0
		.amdhsa_float_round_mode_16_64 0
		.amdhsa_float_denorm_mode_32 3
		.amdhsa_float_denorm_mode_16_64 3
		.amdhsa_dx10_clamp 1
		.amdhsa_ieee_mode 1
		.amdhsa_fp16_overflow 0
		.amdhsa_tg_split 0
		.amdhsa_exception_fp_ieee_invalid_op 0
		.amdhsa_exception_fp_denorm_src 0
		.amdhsa_exception_fp_ieee_div_zero 0
		.amdhsa_exception_fp_ieee_overflow 0
		.amdhsa_exception_fp_ieee_underflow 0
		.amdhsa_exception_fp_ieee_inexact 0
		.amdhsa_exception_int_div_zero 0
	.end_amdhsa_kernel
	.section	.text._ZN7rocprim17ROCPRIM_400000_NS6detail17trampoline_kernelINS0_14default_configENS1_33run_length_encode_config_selectorIsjNS0_4plusIjEEEEZZNS1_33reduce_by_key_impl_wrapped_configILNS1_25lookback_scan_determinismE0ES3_S7_PKsNS0_17constant_iteratorIjlEEPsPlSF_S6_NS0_8equal_toIsEEEE10hipError_tPvRmT2_T3_mT4_T5_T6_T7_T8_P12ihipStream_tbENKUlT_T0_E_clISt17integral_constantIbLb1EESZ_EEDaSU_SV_EUlSU_E_NS1_11comp_targetILNS1_3genE3ELNS1_11target_archE908ELNS1_3gpuE7ELNS1_3repE0EEENS1_30default_config_static_selectorELNS0_4arch9wavefront6targetE1EEEvT1_,"axG",@progbits,_ZN7rocprim17ROCPRIM_400000_NS6detail17trampoline_kernelINS0_14default_configENS1_33run_length_encode_config_selectorIsjNS0_4plusIjEEEEZZNS1_33reduce_by_key_impl_wrapped_configILNS1_25lookback_scan_determinismE0ES3_S7_PKsNS0_17constant_iteratorIjlEEPsPlSF_S6_NS0_8equal_toIsEEEE10hipError_tPvRmT2_T3_mT4_T5_T6_T7_T8_P12ihipStream_tbENKUlT_T0_E_clISt17integral_constantIbLb1EESZ_EEDaSU_SV_EUlSU_E_NS1_11comp_targetILNS1_3genE3ELNS1_11target_archE908ELNS1_3gpuE7ELNS1_3repE0EEENS1_30default_config_static_selectorELNS0_4arch9wavefront6targetE1EEEvT1_,comdat
.Lfunc_end592:
	.size	_ZN7rocprim17ROCPRIM_400000_NS6detail17trampoline_kernelINS0_14default_configENS1_33run_length_encode_config_selectorIsjNS0_4plusIjEEEEZZNS1_33reduce_by_key_impl_wrapped_configILNS1_25lookback_scan_determinismE0ES3_S7_PKsNS0_17constant_iteratorIjlEEPsPlSF_S6_NS0_8equal_toIsEEEE10hipError_tPvRmT2_T3_mT4_T5_T6_T7_T8_P12ihipStream_tbENKUlT_T0_E_clISt17integral_constantIbLb1EESZ_EEDaSU_SV_EUlSU_E_NS1_11comp_targetILNS1_3genE3ELNS1_11target_archE908ELNS1_3gpuE7ELNS1_3repE0EEENS1_30default_config_static_selectorELNS0_4arch9wavefront6targetE1EEEvT1_, .Lfunc_end592-_ZN7rocprim17ROCPRIM_400000_NS6detail17trampoline_kernelINS0_14default_configENS1_33run_length_encode_config_selectorIsjNS0_4plusIjEEEEZZNS1_33reduce_by_key_impl_wrapped_configILNS1_25lookback_scan_determinismE0ES3_S7_PKsNS0_17constant_iteratorIjlEEPsPlSF_S6_NS0_8equal_toIsEEEE10hipError_tPvRmT2_T3_mT4_T5_T6_T7_T8_P12ihipStream_tbENKUlT_T0_E_clISt17integral_constantIbLb1EESZ_EEDaSU_SV_EUlSU_E_NS1_11comp_targetILNS1_3genE3ELNS1_11target_archE908ELNS1_3gpuE7ELNS1_3repE0EEENS1_30default_config_static_selectorELNS0_4arch9wavefront6targetE1EEEvT1_
                                        ; -- End function
	.section	.AMDGPU.csdata,"",@progbits
; Kernel info:
; codeLenInByte = 0
; NumSgprs: 6
; NumVgprs: 0
; NumAgprs: 0
; TotalNumVgprs: 0
; ScratchSize: 0
; MemoryBound: 0
; FloatMode: 240
; IeeeMode: 1
; LDSByteSize: 0 bytes/workgroup (compile time only)
; SGPRBlocks: 0
; VGPRBlocks: 0
; NumSGPRsForWavesPerEU: 6
; NumVGPRsForWavesPerEU: 1
; AccumOffset: 4
; Occupancy: 8
; WaveLimiterHint : 0
; COMPUTE_PGM_RSRC2:SCRATCH_EN: 0
; COMPUTE_PGM_RSRC2:USER_SGPR: 2
; COMPUTE_PGM_RSRC2:TRAP_HANDLER: 0
; COMPUTE_PGM_RSRC2:TGID_X_EN: 1
; COMPUTE_PGM_RSRC2:TGID_Y_EN: 0
; COMPUTE_PGM_RSRC2:TGID_Z_EN: 0
; COMPUTE_PGM_RSRC2:TIDIG_COMP_CNT: 0
; COMPUTE_PGM_RSRC3_GFX90A:ACCUM_OFFSET: 0
; COMPUTE_PGM_RSRC3_GFX90A:TG_SPLIT: 0
	.section	.text._ZN7rocprim17ROCPRIM_400000_NS6detail17trampoline_kernelINS0_14default_configENS1_33run_length_encode_config_selectorIsjNS0_4plusIjEEEEZZNS1_33reduce_by_key_impl_wrapped_configILNS1_25lookback_scan_determinismE0ES3_S7_PKsNS0_17constant_iteratorIjlEEPsPlSF_S6_NS0_8equal_toIsEEEE10hipError_tPvRmT2_T3_mT4_T5_T6_T7_T8_P12ihipStream_tbENKUlT_T0_E_clISt17integral_constantIbLb1EESZ_EEDaSU_SV_EUlSU_E_NS1_11comp_targetILNS1_3genE2ELNS1_11target_archE906ELNS1_3gpuE6ELNS1_3repE0EEENS1_30default_config_static_selectorELNS0_4arch9wavefront6targetE1EEEvT1_,"axG",@progbits,_ZN7rocprim17ROCPRIM_400000_NS6detail17trampoline_kernelINS0_14default_configENS1_33run_length_encode_config_selectorIsjNS0_4plusIjEEEEZZNS1_33reduce_by_key_impl_wrapped_configILNS1_25lookback_scan_determinismE0ES3_S7_PKsNS0_17constant_iteratorIjlEEPsPlSF_S6_NS0_8equal_toIsEEEE10hipError_tPvRmT2_T3_mT4_T5_T6_T7_T8_P12ihipStream_tbENKUlT_T0_E_clISt17integral_constantIbLb1EESZ_EEDaSU_SV_EUlSU_E_NS1_11comp_targetILNS1_3genE2ELNS1_11target_archE906ELNS1_3gpuE6ELNS1_3repE0EEENS1_30default_config_static_selectorELNS0_4arch9wavefront6targetE1EEEvT1_,comdat
	.protected	_ZN7rocprim17ROCPRIM_400000_NS6detail17trampoline_kernelINS0_14default_configENS1_33run_length_encode_config_selectorIsjNS0_4plusIjEEEEZZNS1_33reduce_by_key_impl_wrapped_configILNS1_25lookback_scan_determinismE0ES3_S7_PKsNS0_17constant_iteratorIjlEEPsPlSF_S6_NS0_8equal_toIsEEEE10hipError_tPvRmT2_T3_mT4_T5_T6_T7_T8_P12ihipStream_tbENKUlT_T0_E_clISt17integral_constantIbLb1EESZ_EEDaSU_SV_EUlSU_E_NS1_11comp_targetILNS1_3genE2ELNS1_11target_archE906ELNS1_3gpuE6ELNS1_3repE0EEENS1_30default_config_static_selectorELNS0_4arch9wavefront6targetE1EEEvT1_ ; -- Begin function _ZN7rocprim17ROCPRIM_400000_NS6detail17trampoline_kernelINS0_14default_configENS1_33run_length_encode_config_selectorIsjNS0_4plusIjEEEEZZNS1_33reduce_by_key_impl_wrapped_configILNS1_25lookback_scan_determinismE0ES3_S7_PKsNS0_17constant_iteratorIjlEEPsPlSF_S6_NS0_8equal_toIsEEEE10hipError_tPvRmT2_T3_mT4_T5_T6_T7_T8_P12ihipStream_tbENKUlT_T0_E_clISt17integral_constantIbLb1EESZ_EEDaSU_SV_EUlSU_E_NS1_11comp_targetILNS1_3genE2ELNS1_11target_archE906ELNS1_3gpuE6ELNS1_3repE0EEENS1_30default_config_static_selectorELNS0_4arch9wavefront6targetE1EEEvT1_
	.globl	_ZN7rocprim17ROCPRIM_400000_NS6detail17trampoline_kernelINS0_14default_configENS1_33run_length_encode_config_selectorIsjNS0_4plusIjEEEEZZNS1_33reduce_by_key_impl_wrapped_configILNS1_25lookback_scan_determinismE0ES3_S7_PKsNS0_17constant_iteratorIjlEEPsPlSF_S6_NS0_8equal_toIsEEEE10hipError_tPvRmT2_T3_mT4_T5_T6_T7_T8_P12ihipStream_tbENKUlT_T0_E_clISt17integral_constantIbLb1EESZ_EEDaSU_SV_EUlSU_E_NS1_11comp_targetILNS1_3genE2ELNS1_11target_archE906ELNS1_3gpuE6ELNS1_3repE0EEENS1_30default_config_static_selectorELNS0_4arch9wavefront6targetE1EEEvT1_
	.p2align	8
	.type	_ZN7rocprim17ROCPRIM_400000_NS6detail17trampoline_kernelINS0_14default_configENS1_33run_length_encode_config_selectorIsjNS0_4plusIjEEEEZZNS1_33reduce_by_key_impl_wrapped_configILNS1_25lookback_scan_determinismE0ES3_S7_PKsNS0_17constant_iteratorIjlEEPsPlSF_S6_NS0_8equal_toIsEEEE10hipError_tPvRmT2_T3_mT4_T5_T6_T7_T8_P12ihipStream_tbENKUlT_T0_E_clISt17integral_constantIbLb1EESZ_EEDaSU_SV_EUlSU_E_NS1_11comp_targetILNS1_3genE2ELNS1_11target_archE906ELNS1_3gpuE6ELNS1_3repE0EEENS1_30default_config_static_selectorELNS0_4arch9wavefront6targetE1EEEvT1_,@function
_ZN7rocprim17ROCPRIM_400000_NS6detail17trampoline_kernelINS0_14default_configENS1_33run_length_encode_config_selectorIsjNS0_4plusIjEEEEZZNS1_33reduce_by_key_impl_wrapped_configILNS1_25lookback_scan_determinismE0ES3_S7_PKsNS0_17constant_iteratorIjlEEPsPlSF_S6_NS0_8equal_toIsEEEE10hipError_tPvRmT2_T3_mT4_T5_T6_T7_T8_P12ihipStream_tbENKUlT_T0_E_clISt17integral_constantIbLb1EESZ_EEDaSU_SV_EUlSU_E_NS1_11comp_targetILNS1_3genE2ELNS1_11target_archE906ELNS1_3gpuE6ELNS1_3repE0EEENS1_30default_config_static_selectorELNS0_4arch9wavefront6targetE1EEEvT1_: ; @_ZN7rocprim17ROCPRIM_400000_NS6detail17trampoline_kernelINS0_14default_configENS1_33run_length_encode_config_selectorIsjNS0_4plusIjEEEEZZNS1_33reduce_by_key_impl_wrapped_configILNS1_25lookback_scan_determinismE0ES3_S7_PKsNS0_17constant_iteratorIjlEEPsPlSF_S6_NS0_8equal_toIsEEEE10hipError_tPvRmT2_T3_mT4_T5_T6_T7_T8_P12ihipStream_tbENKUlT_T0_E_clISt17integral_constantIbLb1EESZ_EEDaSU_SV_EUlSU_E_NS1_11comp_targetILNS1_3genE2ELNS1_11target_archE906ELNS1_3gpuE6ELNS1_3repE0EEENS1_30default_config_static_selectorELNS0_4arch9wavefront6targetE1EEEvT1_
; %bb.0:
	.section	.rodata,"a",@progbits
	.p2align	6, 0x0
	.amdhsa_kernel _ZN7rocprim17ROCPRIM_400000_NS6detail17trampoline_kernelINS0_14default_configENS1_33run_length_encode_config_selectorIsjNS0_4plusIjEEEEZZNS1_33reduce_by_key_impl_wrapped_configILNS1_25lookback_scan_determinismE0ES3_S7_PKsNS0_17constant_iteratorIjlEEPsPlSF_S6_NS0_8equal_toIsEEEE10hipError_tPvRmT2_T3_mT4_T5_T6_T7_T8_P12ihipStream_tbENKUlT_T0_E_clISt17integral_constantIbLb1EESZ_EEDaSU_SV_EUlSU_E_NS1_11comp_targetILNS1_3genE2ELNS1_11target_archE906ELNS1_3gpuE6ELNS1_3repE0EEENS1_30default_config_static_selectorELNS0_4arch9wavefront6targetE1EEEvT1_
		.amdhsa_group_segment_fixed_size 0
		.amdhsa_private_segment_fixed_size 0
		.amdhsa_kernarg_size 128
		.amdhsa_user_sgpr_count 2
		.amdhsa_user_sgpr_dispatch_ptr 0
		.amdhsa_user_sgpr_queue_ptr 0
		.amdhsa_user_sgpr_kernarg_segment_ptr 1
		.amdhsa_user_sgpr_dispatch_id 0
		.amdhsa_user_sgpr_kernarg_preload_length 0
		.amdhsa_user_sgpr_kernarg_preload_offset 0
		.amdhsa_user_sgpr_private_segment_size 0
		.amdhsa_uses_dynamic_stack 0
		.amdhsa_enable_private_segment 0
		.amdhsa_system_sgpr_workgroup_id_x 1
		.amdhsa_system_sgpr_workgroup_id_y 0
		.amdhsa_system_sgpr_workgroup_id_z 0
		.amdhsa_system_sgpr_workgroup_info 0
		.amdhsa_system_vgpr_workitem_id 0
		.amdhsa_next_free_vgpr 1
		.amdhsa_next_free_sgpr 0
		.amdhsa_accum_offset 4
		.amdhsa_reserve_vcc 0
		.amdhsa_float_round_mode_32 0
		.amdhsa_float_round_mode_16_64 0
		.amdhsa_float_denorm_mode_32 3
		.amdhsa_float_denorm_mode_16_64 3
		.amdhsa_dx10_clamp 1
		.amdhsa_ieee_mode 1
		.amdhsa_fp16_overflow 0
		.amdhsa_tg_split 0
		.amdhsa_exception_fp_ieee_invalid_op 0
		.amdhsa_exception_fp_denorm_src 0
		.amdhsa_exception_fp_ieee_div_zero 0
		.amdhsa_exception_fp_ieee_overflow 0
		.amdhsa_exception_fp_ieee_underflow 0
		.amdhsa_exception_fp_ieee_inexact 0
		.amdhsa_exception_int_div_zero 0
	.end_amdhsa_kernel
	.section	.text._ZN7rocprim17ROCPRIM_400000_NS6detail17trampoline_kernelINS0_14default_configENS1_33run_length_encode_config_selectorIsjNS0_4plusIjEEEEZZNS1_33reduce_by_key_impl_wrapped_configILNS1_25lookback_scan_determinismE0ES3_S7_PKsNS0_17constant_iteratorIjlEEPsPlSF_S6_NS0_8equal_toIsEEEE10hipError_tPvRmT2_T3_mT4_T5_T6_T7_T8_P12ihipStream_tbENKUlT_T0_E_clISt17integral_constantIbLb1EESZ_EEDaSU_SV_EUlSU_E_NS1_11comp_targetILNS1_3genE2ELNS1_11target_archE906ELNS1_3gpuE6ELNS1_3repE0EEENS1_30default_config_static_selectorELNS0_4arch9wavefront6targetE1EEEvT1_,"axG",@progbits,_ZN7rocprim17ROCPRIM_400000_NS6detail17trampoline_kernelINS0_14default_configENS1_33run_length_encode_config_selectorIsjNS0_4plusIjEEEEZZNS1_33reduce_by_key_impl_wrapped_configILNS1_25lookback_scan_determinismE0ES3_S7_PKsNS0_17constant_iteratorIjlEEPsPlSF_S6_NS0_8equal_toIsEEEE10hipError_tPvRmT2_T3_mT4_T5_T6_T7_T8_P12ihipStream_tbENKUlT_T0_E_clISt17integral_constantIbLb1EESZ_EEDaSU_SV_EUlSU_E_NS1_11comp_targetILNS1_3genE2ELNS1_11target_archE906ELNS1_3gpuE6ELNS1_3repE0EEENS1_30default_config_static_selectorELNS0_4arch9wavefront6targetE1EEEvT1_,comdat
.Lfunc_end593:
	.size	_ZN7rocprim17ROCPRIM_400000_NS6detail17trampoline_kernelINS0_14default_configENS1_33run_length_encode_config_selectorIsjNS0_4plusIjEEEEZZNS1_33reduce_by_key_impl_wrapped_configILNS1_25lookback_scan_determinismE0ES3_S7_PKsNS0_17constant_iteratorIjlEEPsPlSF_S6_NS0_8equal_toIsEEEE10hipError_tPvRmT2_T3_mT4_T5_T6_T7_T8_P12ihipStream_tbENKUlT_T0_E_clISt17integral_constantIbLb1EESZ_EEDaSU_SV_EUlSU_E_NS1_11comp_targetILNS1_3genE2ELNS1_11target_archE906ELNS1_3gpuE6ELNS1_3repE0EEENS1_30default_config_static_selectorELNS0_4arch9wavefront6targetE1EEEvT1_, .Lfunc_end593-_ZN7rocprim17ROCPRIM_400000_NS6detail17trampoline_kernelINS0_14default_configENS1_33run_length_encode_config_selectorIsjNS0_4plusIjEEEEZZNS1_33reduce_by_key_impl_wrapped_configILNS1_25lookback_scan_determinismE0ES3_S7_PKsNS0_17constant_iteratorIjlEEPsPlSF_S6_NS0_8equal_toIsEEEE10hipError_tPvRmT2_T3_mT4_T5_T6_T7_T8_P12ihipStream_tbENKUlT_T0_E_clISt17integral_constantIbLb1EESZ_EEDaSU_SV_EUlSU_E_NS1_11comp_targetILNS1_3genE2ELNS1_11target_archE906ELNS1_3gpuE6ELNS1_3repE0EEENS1_30default_config_static_selectorELNS0_4arch9wavefront6targetE1EEEvT1_
                                        ; -- End function
	.section	.AMDGPU.csdata,"",@progbits
; Kernel info:
; codeLenInByte = 0
; NumSgprs: 6
; NumVgprs: 0
; NumAgprs: 0
; TotalNumVgprs: 0
; ScratchSize: 0
; MemoryBound: 0
; FloatMode: 240
; IeeeMode: 1
; LDSByteSize: 0 bytes/workgroup (compile time only)
; SGPRBlocks: 0
; VGPRBlocks: 0
; NumSGPRsForWavesPerEU: 6
; NumVGPRsForWavesPerEU: 1
; AccumOffset: 4
; Occupancy: 8
; WaveLimiterHint : 0
; COMPUTE_PGM_RSRC2:SCRATCH_EN: 0
; COMPUTE_PGM_RSRC2:USER_SGPR: 2
; COMPUTE_PGM_RSRC2:TRAP_HANDLER: 0
; COMPUTE_PGM_RSRC2:TGID_X_EN: 1
; COMPUTE_PGM_RSRC2:TGID_Y_EN: 0
; COMPUTE_PGM_RSRC2:TGID_Z_EN: 0
; COMPUTE_PGM_RSRC2:TIDIG_COMP_CNT: 0
; COMPUTE_PGM_RSRC3_GFX90A:ACCUM_OFFSET: 0
; COMPUTE_PGM_RSRC3_GFX90A:TG_SPLIT: 0
	.section	.text._ZN7rocprim17ROCPRIM_400000_NS6detail17trampoline_kernelINS0_14default_configENS1_33run_length_encode_config_selectorIsjNS0_4plusIjEEEEZZNS1_33reduce_by_key_impl_wrapped_configILNS1_25lookback_scan_determinismE0ES3_S7_PKsNS0_17constant_iteratorIjlEEPsPlSF_S6_NS0_8equal_toIsEEEE10hipError_tPvRmT2_T3_mT4_T5_T6_T7_T8_P12ihipStream_tbENKUlT_T0_E_clISt17integral_constantIbLb1EESZ_EEDaSU_SV_EUlSU_E_NS1_11comp_targetILNS1_3genE10ELNS1_11target_archE1201ELNS1_3gpuE5ELNS1_3repE0EEENS1_30default_config_static_selectorELNS0_4arch9wavefront6targetE1EEEvT1_,"axG",@progbits,_ZN7rocprim17ROCPRIM_400000_NS6detail17trampoline_kernelINS0_14default_configENS1_33run_length_encode_config_selectorIsjNS0_4plusIjEEEEZZNS1_33reduce_by_key_impl_wrapped_configILNS1_25lookback_scan_determinismE0ES3_S7_PKsNS0_17constant_iteratorIjlEEPsPlSF_S6_NS0_8equal_toIsEEEE10hipError_tPvRmT2_T3_mT4_T5_T6_T7_T8_P12ihipStream_tbENKUlT_T0_E_clISt17integral_constantIbLb1EESZ_EEDaSU_SV_EUlSU_E_NS1_11comp_targetILNS1_3genE10ELNS1_11target_archE1201ELNS1_3gpuE5ELNS1_3repE0EEENS1_30default_config_static_selectorELNS0_4arch9wavefront6targetE1EEEvT1_,comdat
	.protected	_ZN7rocprim17ROCPRIM_400000_NS6detail17trampoline_kernelINS0_14default_configENS1_33run_length_encode_config_selectorIsjNS0_4plusIjEEEEZZNS1_33reduce_by_key_impl_wrapped_configILNS1_25lookback_scan_determinismE0ES3_S7_PKsNS0_17constant_iteratorIjlEEPsPlSF_S6_NS0_8equal_toIsEEEE10hipError_tPvRmT2_T3_mT4_T5_T6_T7_T8_P12ihipStream_tbENKUlT_T0_E_clISt17integral_constantIbLb1EESZ_EEDaSU_SV_EUlSU_E_NS1_11comp_targetILNS1_3genE10ELNS1_11target_archE1201ELNS1_3gpuE5ELNS1_3repE0EEENS1_30default_config_static_selectorELNS0_4arch9wavefront6targetE1EEEvT1_ ; -- Begin function _ZN7rocprim17ROCPRIM_400000_NS6detail17trampoline_kernelINS0_14default_configENS1_33run_length_encode_config_selectorIsjNS0_4plusIjEEEEZZNS1_33reduce_by_key_impl_wrapped_configILNS1_25lookback_scan_determinismE0ES3_S7_PKsNS0_17constant_iteratorIjlEEPsPlSF_S6_NS0_8equal_toIsEEEE10hipError_tPvRmT2_T3_mT4_T5_T6_T7_T8_P12ihipStream_tbENKUlT_T0_E_clISt17integral_constantIbLb1EESZ_EEDaSU_SV_EUlSU_E_NS1_11comp_targetILNS1_3genE10ELNS1_11target_archE1201ELNS1_3gpuE5ELNS1_3repE0EEENS1_30default_config_static_selectorELNS0_4arch9wavefront6targetE1EEEvT1_
	.globl	_ZN7rocprim17ROCPRIM_400000_NS6detail17trampoline_kernelINS0_14default_configENS1_33run_length_encode_config_selectorIsjNS0_4plusIjEEEEZZNS1_33reduce_by_key_impl_wrapped_configILNS1_25lookback_scan_determinismE0ES3_S7_PKsNS0_17constant_iteratorIjlEEPsPlSF_S6_NS0_8equal_toIsEEEE10hipError_tPvRmT2_T3_mT4_T5_T6_T7_T8_P12ihipStream_tbENKUlT_T0_E_clISt17integral_constantIbLb1EESZ_EEDaSU_SV_EUlSU_E_NS1_11comp_targetILNS1_3genE10ELNS1_11target_archE1201ELNS1_3gpuE5ELNS1_3repE0EEENS1_30default_config_static_selectorELNS0_4arch9wavefront6targetE1EEEvT1_
	.p2align	8
	.type	_ZN7rocprim17ROCPRIM_400000_NS6detail17trampoline_kernelINS0_14default_configENS1_33run_length_encode_config_selectorIsjNS0_4plusIjEEEEZZNS1_33reduce_by_key_impl_wrapped_configILNS1_25lookback_scan_determinismE0ES3_S7_PKsNS0_17constant_iteratorIjlEEPsPlSF_S6_NS0_8equal_toIsEEEE10hipError_tPvRmT2_T3_mT4_T5_T6_T7_T8_P12ihipStream_tbENKUlT_T0_E_clISt17integral_constantIbLb1EESZ_EEDaSU_SV_EUlSU_E_NS1_11comp_targetILNS1_3genE10ELNS1_11target_archE1201ELNS1_3gpuE5ELNS1_3repE0EEENS1_30default_config_static_selectorELNS0_4arch9wavefront6targetE1EEEvT1_,@function
_ZN7rocprim17ROCPRIM_400000_NS6detail17trampoline_kernelINS0_14default_configENS1_33run_length_encode_config_selectorIsjNS0_4plusIjEEEEZZNS1_33reduce_by_key_impl_wrapped_configILNS1_25lookback_scan_determinismE0ES3_S7_PKsNS0_17constant_iteratorIjlEEPsPlSF_S6_NS0_8equal_toIsEEEE10hipError_tPvRmT2_T3_mT4_T5_T6_T7_T8_P12ihipStream_tbENKUlT_T0_E_clISt17integral_constantIbLb1EESZ_EEDaSU_SV_EUlSU_E_NS1_11comp_targetILNS1_3genE10ELNS1_11target_archE1201ELNS1_3gpuE5ELNS1_3repE0EEENS1_30default_config_static_selectorELNS0_4arch9wavefront6targetE1EEEvT1_: ; @_ZN7rocprim17ROCPRIM_400000_NS6detail17trampoline_kernelINS0_14default_configENS1_33run_length_encode_config_selectorIsjNS0_4plusIjEEEEZZNS1_33reduce_by_key_impl_wrapped_configILNS1_25lookback_scan_determinismE0ES3_S7_PKsNS0_17constant_iteratorIjlEEPsPlSF_S6_NS0_8equal_toIsEEEE10hipError_tPvRmT2_T3_mT4_T5_T6_T7_T8_P12ihipStream_tbENKUlT_T0_E_clISt17integral_constantIbLb1EESZ_EEDaSU_SV_EUlSU_E_NS1_11comp_targetILNS1_3genE10ELNS1_11target_archE1201ELNS1_3gpuE5ELNS1_3repE0EEENS1_30default_config_static_selectorELNS0_4arch9wavefront6targetE1EEEvT1_
; %bb.0:
	.section	.rodata,"a",@progbits
	.p2align	6, 0x0
	.amdhsa_kernel _ZN7rocprim17ROCPRIM_400000_NS6detail17trampoline_kernelINS0_14default_configENS1_33run_length_encode_config_selectorIsjNS0_4plusIjEEEEZZNS1_33reduce_by_key_impl_wrapped_configILNS1_25lookback_scan_determinismE0ES3_S7_PKsNS0_17constant_iteratorIjlEEPsPlSF_S6_NS0_8equal_toIsEEEE10hipError_tPvRmT2_T3_mT4_T5_T6_T7_T8_P12ihipStream_tbENKUlT_T0_E_clISt17integral_constantIbLb1EESZ_EEDaSU_SV_EUlSU_E_NS1_11comp_targetILNS1_3genE10ELNS1_11target_archE1201ELNS1_3gpuE5ELNS1_3repE0EEENS1_30default_config_static_selectorELNS0_4arch9wavefront6targetE1EEEvT1_
		.amdhsa_group_segment_fixed_size 0
		.amdhsa_private_segment_fixed_size 0
		.amdhsa_kernarg_size 128
		.amdhsa_user_sgpr_count 2
		.amdhsa_user_sgpr_dispatch_ptr 0
		.amdhsa_user_sgpr_queue_ptr 0
		.amdhsa_user_sgpr_kernarg_segment_ptr 1
		.amdhsa_user_sgpr_dispatch_id 0
		.amdhsa_user_sgpr_kernarg_preload_length 0
		.amdhsa_user_sgpr_kernarg_preload_offset 0
		.amdhsa_user_sgpr_private_segment_size 0
		.amdhsa_uses_dynamic_stack 0
		.amdhsa_enable_private_segment 0
		.amdhsa_system_sgpr_workgroup_id_x 1
		.amdhsa_system_sgpr_workgroup_id_y 0
		.amdhsa_system_sgpr_workgroup_id_z 0
		.amdhsa_system_sgpr_workgroup_info 0
		.amdhsa_system_vgpr_workitem_id 0
		.amdhsa_next_free_vgpr 1
		.amdhsa_next_free_sgpr 0
		.amdhsa_accum_offset 4
		.amdhsa_reserve_vcc 0
		.amdhsa_float_round_mode_32 0
		.amdhsa_float_round_mode_16_64 0
		.amdhsa_float_denorm_mode_32 3
		.amdhsa_float_denorm_mode_16_64 3
		.amdhsa_dx10_clamp 1
		.amdhsa_ieee_mode 1
		.amdhsa_fp16_overflow 0
		.amdhsa_tg_split 0
		.amdhsa_exception_fp_ieee_invalid_op 0
		.amdhsa_exception_fp_denorm_src 0
		.amdhsa_exception_fp_ieee_div_zero 0
		.amdhsa_exception_fp_ieee_overflow 0
		.amdhsa_exception_fp_ieee_underflow 0
		.amdhsa_exception_fp_ieee_inexact 0
		.amdhsa_exception_int_div_zero 0
	.end_amdhsa_kernel
	.section	.text._ZN7rocprim17ROCPRIM_400000_NS6detail17trampoline_kernelINS0_14default_configENS1_33run_length_encode_config_selectorIsjNS0_4plusIjEEEEZZNS1_33reduce_by_key_impl_wrapped_configILNS1_25lookback_scan_determinismE0ES3_S7_PKsNS0_17constant_iteratorIjlEEPsPlSF_S6_NS0_8equal_toIsEEEE10hipError_tPvRmT2_T3_mT4_T5_T6_T7_T8_P12ihipStream_tbENKUlT_T0_E_clISt17integral_constantIbLb1EESZ_EEDaSU_SV_EUlSU_E_NS1_11comp_targetILNS1_3genE10ELNS1_11target_archE1201ELNS1_3gpuE5ELNS1_3repE0EEENS1_30default_config_static_selectorELNS0_4arch9wavefront6targetE1EEEvT1_,"axG",@progbits,_ZN7rocprim17ROCPRIM_400000_NS6detail17trampoline_kernelINS0_14default_configENS1_33run_length_encode_config_selectorIsjNS0_4plusIjEEEEZZNS1_33reduce_by_key_impl_wrapped_configILNS1_25lookback_scan_determinismE0ES3_S7_PKsNS0_17constant_iteratorIjlEEPsPlSF_S6_NS0_8equal_toIsEEEE10hipError_tPvRmT2_T3_mT4_T5_T6_T7_T8_P12ihipStream_tbENKUlT_T0_E_clISt17integral_constantIbLb1EESZ_EEDaSU_SV_EUlSU_E_NS1_11comp_targetILNS1_3genE10ELNS1_11target_archE1201ELNS1_3gpuE5ELNS1_3repE0EEENS1_30default_config_static_selectorELNS0_4arch9wavefront6targetE1EEEvT1_,comdat
.Lfunc_end594:
	.size	_ZN7rocprim17ROCPRIM_400000_NS6detail17trampoline_kernelINS0_14default_configENS1_33run_length_encode_config_selectorIsjNS0_4plusIjEEEEZZNS1_33reduce_by_key_impl_wrapped_configILNS1_25lookback_scan_determinismE0ES3_S7_PKsNS0_17constant_iteratorIjlEEPsPlSF_S6_NS0_8equal_toIsEEEE10hipError_tPvRmT2_T3_mT4_T5_T6_T7_T8_P12ihipStream_tbENKUlT_T0_E_clISt17integral_constantIbLb1EESZ_EEDaSU_SV_EUlSU_E_NS1_11comp_targetILNS1_3genE10ELNS1_11target_archE1201ELNS1_3gpuE5ELNS1_3repE0EEENS1_30default_config_static_selectorELNS0_4arch9wavefront6targetE1EEEvT1_, .Lfunc_end594-_ZN7rocprim17ROCPRIM_400000_NS6detail17trampoline_kernelINS0_14default_configENS1_33run_length_encode_config_selectorIsjNS0_4plusIjEEEEZZNS1_33reduce_by_key_impl_wrapped_configILNS1_25lookback_scan_determinismE0ES3_S7_PKsNS0_17constant_iteratorIjlEEPsPlSF_S6_NS0_8equal_toIsEEEE10hipError_tPvRmT2_T3_mT4_T5_T6_T7_T8_P12ihipStream_tbENKUlT_T0_E_clISt17integral_constantIbLb1EESZ_EEDaSU_SV_EUlSU_E_NS1_11comp_targetILNS1_3genE10ELNS1_11target_archE1201ELNS1_3gpuE5ELNS1_3repE0EEENS1_30default_config_static_selectorELNS0_4arch9wavefront6targetE1EEEvT1_
                                        ; -- End function
	.section	.AMDGPU.csdata,"",@progbits
; Kernel info:
; codeLenInByte = 0
; NumSgprs: 6
; NumVgprs: 0
; NumAgprs: 0
; TotalNumVgprs: 0
; ScratchSize: 0
; MemoryBound: 0
; FloatMode: 240
; IeeeMode: 1
; LDSByteSize: 0 bytes/workgroup (compile time only)
; SGPRBlocks: 0
; VGPRBlocks: 0
; NumSGPRsForWavesPerEU: 6
; NumVGPRsForWavesPerEU: 1
; AccumOffset: 4
; Occupancy: 8
; WaveLimiterHint : 0
; COMPUTE_PGM_RSRC2:SCRATCH_EN: 0
; COMPUTE_PGM_RSRC2:USER_SGPR: 2
; COMPUTE_PGM_RSRC2:TRAP_HANDLER: 0
; COMPUTE_PGM_RSRC2:TGID_X_EN: 1
; COMPUTE_PGM_RSRC2:TGID_Y_EN: 0
; COMPUTE_PGM_RSRC2:TGID_Z_EN: 0
; COMPUTE_PGM_RSRC2:TIDIG_COMP_CNT: 0
; COMPUTE_PGM_RSRC3_GFX90A:ACCUM_OFFSET: 0
; COMPUTE_PGM_RSRC3_GFX90A:TG_SPLIT: 0
	.section	.text._ZN7rocprim17ROCPRIM_400000_NS6detail17trampoline_kernelINS0_14default_configENS1_33run_length_encode_config_selectorIsjNS0_4plusIjEEEEZZNS1_33reduce_by_key_impl_wrapped_configILNS1_25lookback_scan_determinismE0ES3_S7_PKsNS0_17constant_iteratorIjlEEPsPlSF_S6_NS0_8equal_toIsEEEE10hipError_tPvRmT2_T3_mT4_T5_T6_T7_T8_P12ihipStream_tbENKUlT_T0_E_clISt17integral_constantIbLb1EESZ_EEDaSU_SV_EUlSU_E_NS1_11comp_targetILNS1_3genE10ELNS1_11target_archE1200ELNS1_3gpuE4ELNS1_3repE0EEENS1_30default_config_static_selectorELNS0_4arch9wavefront6targetE1EEEvT1_,"axG",@progbits,_ZN7rocprim17ROCPRIM_400000_NS6detail17trampoline_kernelINS0_14default_configENS1_33run_length_encode_config_selectorIsjNS0_4plusIjEEEEZZNS1_33reduce_by_key_impl_wrapped_configILNS1_25lookback_scan_determinismE0ES3_S7_PKsNS0_17constant_iteratorIjlEEPsPlSF_S6_NS0_8equal_toIsEEEE10hipError_tPvRmT2_T3_mT4_T5_T6_T7_T8_P12ihipStream_tbENKUlT_T0_E_clISt17integral_constantIbLb1EESZ_EEDaSU_SV_EUlSU_E_NS1_11comp_targetILNS1_3genE10ELNS1_11target_archE1200ELNS1_3gpuE4ELNS1_3repE0EEENS1_30default_config_static_selectorELNS0_4arch9wavefront6targetE1EEEvT1_,comdat
	.protected	_ZN7rocprim17ROCPRIM_400000_NS6detail17trampoline_kernelINS0_14default_configENS1_33run_length_encode_config_selectorIsjNS0_4plusIjEEEEZZNS1_33reduce_by_key_impl_wrapped_configILNS1_25lookback_scan_determinismE0ES3_S7_PKsNS0_17constant_iteratorIjlEEPsPlSF_S6_NS0_8equal_toIsEEEE10hipError_tPvRmT2_T3_mT4_T5_T6_T7_T8_P12ihipStream_tbENKUlT_T0_E_clISt17integral_constantIbLb1EESZ_EEDaSU_SV_EUlSU_E_NS1_11comp_targetILNS1_3genE10ELNS1_11target_archE1200ELNS1_3gpuE4ELNS1_3repE0EEENS1_30default_config_static_selectorELNS0_4arch9wavefront6targetE1EEEvT1_ ; -- Begin function _ZN7rocprim17ROCPRIM_400000_NS6detail17trampoline_kernelINS0_14default_configENS1_33run_length_encode_config_selectorIsjNS0_4plusIjEEEEZZNS1_33reduce_by_key_impl_wrapped_configILNS1_25lookback_scan_determinismE0ES3_S7_PKsNS0_17constant_iteratorIjlEEPsPlSF_S6_NS0_8equal_toIsEEEE10hipError_tPvRmT2_T3_mT4_T5_T6_T7_T8_P12ihipStream_tbENKUlT_T0_E_clISt17integral_constantIbLb1EESZ_EEDaSU_SV_EUlSU_E_NS1_11comp_targetILNS1_3genE10ELNS1_11target_archE1200ELNS1_3gpuE4ELNS1_3repE0EEENS1_30default_config_static_selectorELNS0_4arch9wavefront6targetE1EEEvT1_
	.globl	_ZN7rocprim17ROCPRIM_400000_NS6detail17trampoline_kernelINS0_14default_configENS1_33run_length_encode_config_selectorIsjNS0_4plusIjEEEEZZNS1_33reduce_by_key_impl_wrapped_configILNS1_25lookback_scan_determinismE0ES3_S7_PKsNS0_17constant_iteratorIjlEEPsPlSF_S6_NS0_8equal_toIsEEEE10hipError_tPvRmT2_T3_mT4_T5_T6_T7_T8_P12ihipStream_tbENKUlT_T0_E_clISt17integral_constantIbLb1EESZ_EEDaSU_SV_EUlSU_E_NS1_11comp_targetILNS1_3genE10ELNS1_11target_archE1200ELNS1_3gpuE4ELNS1_3repE0EEENS1_30default_config_static_selectorELNS0_4arch9wavefront6targetE1EEEvT1_
	.p2align	8
	.type	_ZN7rocprim17ROCPRIM_400000_NS6detail17trampoline_kernelINS0_14default_configENS1_33run_length_encode_config_selectorIsjNS0_4plusIjEEEEZZNS1_33reduce_by_key_impl_wrapped_configILNS1_25lookback_scan_determinismE0ES3_S7_PKsNS0_17constant_iteratorIjlEEPsPlSF_S6_NS0_8equal_toIsEEEE10hipError_tPvRmT2_T3_mT4_T5_T6_T7_T8_P12ihipStream_tbENKUlT_T0_E_clISt17integral_constantIbLb1EESZ_EEDaSU_SV_EUlSU_E_NS1_11comp_targetILNS1_3genE10ELNS1_11target_archE1200ELNS1_3gpuE4ELNS1_3repE0EEENS1_30default_config_static_selectorELNS0_4arch9wavefront6targetE1EEEvT1_,@function
_ZN7rocprim17ROCPRIM_400000_NS6detail17trampoline_kernelINS0_14default_configENS1_33run_length_encode_config_selectorIsjNS0_4plusIjEEEEZZNS1_33reduce_by_key_impl_wrapped_configILNS1_25lookback_scan_determinismE0ES3_S7_PKsNS0_17constant_iteratorIjlEEPsPlSF_S6_NS0_8equal_toIsEEEE10hipError_tPvRmT2_T3_mT4_T5_T6_T7_T8_P12ihipStream_tbENKUlT_T0_E_clISt17integral_constantIbLb1EESZ_EEDaSU_SV_EUlSU_E_NS1_11comp_targetILNS1_3genE10ELNS1_11target_archE1200ELNS1_3gpuE4ELNS1_3repE0EEENS1_30default_config_static_selectorELNS0_4arch9wavefront6targetE1EEEvT1_: ; @_ZN7rocprim17ROCPRIM_400000_NS6detail17trampoline_kernelINS0_14default_configENS1_33run_length_encode_config_selectorIsjNS0_4plusIjEEEEZZNS1_33reduce_by_key_impl_wrapped_configILNS1_25lookback_scan_determinismE0ES3_S7_PKsNS0_17constant_iteratorIjlEEPsPlSF_S6_NS0_8equal_toIsEEEE10hipError_tPvRmT2_T3_mT4_T5_T6_T7_T8_P12ihipStream_tbENKUlT_T0_E_clISt17integral_constantIbLb1EESZ_EEDaSU_SV_EUlSU_E_NS1_11comp_targetILNS1_3genE10ELNS1_11target_archE1200ELNS1_3gpuE4ELNS1_3repE0EEENS1_30default_config_static_selectorELNS0_4arch9wavefront6targetE1EEEvT1_
; %bb.0:
	.section	.rodata,"a",@progbits
	.p2align	6, 0x0
	.amdhsa_kernel _ZN7rocprim17ROCPRIM_400000_NS6detail17trampoline_kernelINS0_14default_configENS1_33run_length_encode_config_selectorIsjNS0_4plusIjEEEEZZNS1_33reduce_by_key_impl_wrapped_configILNS1_25lookback_scan_determinismE0ES3_S7_PKsNS0_17constant_iteratorIjlEEPsPlSF_S6_NS0_8equal_toIsEEEE10hipError_tPvRmT2_T3_mT4_T5_T6_T7_T8_P12ihipStream_tbENKUlT_T0_E_clISt17integral_constantIbLb1EESZ_EEDaSU_SV_EUlSU_E_NS1_11comp_targetILNS1_3genE10ELNS1_11target_archE1200ELNS1_3gpuE4ELNS1_3repE0EEENS1_30default_config_static_selectorELNS0_4arch9wavefront6targetE1EEEvT1_
		.amdhsa_group_segment_fixed_size 0
		.amdhsa_private_segment_fixed_size 0
		.amdhsa_kernarg_size 128
		.amdhsa_user_sgpr_count 2
		.amdhsa_user_sgpr_dispatch_ptr 0
		.amdhsa_user_sgpr_queue_ptr 0
		.amdhsa_user_sgpr_kernarg_segment_ptr 1
		.amdhsa_user_sgpr_dispatch_id 0
		.amdhsa_user_sgpr_kernarg_preload_length 0
		.amdhsa_user_sgpr_kernarg_preload_offset 0
		.amdhsa_user_sgpr_private_segment_size 0
		.amdhsa_uses_dynamic_stack 0
		.amdhsa_enable_private_segment 0
		.amdhsa_system_sgpr_workgroup_id_x 1
		.amdhsa_system_sgpr_workgroup_id_y 0
		.amdhsa_system_sgpr_workgroup_id_z 0
		.amdhsa_system_sgpr_workgroup_info 0
		.amdhsa_system_vgpr_workitem_id 0
		.amdhsa_next_free_vgpr 1
		.amdhsa_next_free_sgpr 0
		.amdhsa_accum_offset 4
		.amdhsa_reserve_vcc 0
		.amdhsa_float_round_mode_32 0
		.amdhsa_float_round_mode_16_64 0
		.amdhsa_float_denorm_mode_32 3
		.amdhsa_float_denorm_mode_16_64 3
		.amdhsa_dx10_clamp 1
		.amdhsa_ieee_mode 1
		.amdhsa_fp16_overflow 0
		.amdhsa_tg_split 0
		.amdhsa_exception_fp_ieee_invalid_op 0
		.amdhsa_exception_fp_denorm_src 0
		.amdhsa_exception_fp_ieee_div_zero 0
		.amdhsa_exception_fp_ieee_overflow 0
		.amdhsa_exception_fp_ieee_underflow 0
		.amdhsa_exception_fp_ieee_inexact 0
		.amdhsa_exception_int_div_zero 0
	.end_amdhsa_kernel
	.section	.text._ZN7rocprim17ROCPRIM_400000_NS6detail17trampoline_kernelINS0_14default_configENS1_33run_length_encode_config_selectorIsjNS0_4plusIjEEEEZZNS1_33reduce_by_key_impl_wrapped_configILNS1_25lookback_scan_determinismE0ES3_S7_PKsNS0_17constant_iteratorIjlEEPsPlSF_S6_NS0_8equal_toIsEEEE10hipError_tPvRmT2_T3_mT4_T5_T6_T7_T8_P12ihipStream_tbENKUlT_T0_E_clISt17integral_constantIbLb1EESZ_EEDaSU_SV_EUlSU_E_NS1_11comp_targetILNS1_3genE10ELNS1_11target_archE1200ELNS1_3gpuE4ELNS1_3repE0EEENS1_30default_config_static_selectorELNS0_4arch9wavefront6targetE1EEEvT1_,"axG",@progbits,_ZN7rocprim17ROCPRIM_400000_NS6detail17trampoline_kernelINS0_14default_configENS1_33run_length_encode_config_selectorIsjNS0_4plusIjEEEEZZNS1_33reduce_by_key_impl_wrapped_configILNS1_25lookback_scan_determinismE0ES3_S7_PKsNS0_17constant_iteratorIjlEEPsPlSF_S6_NS0_8equal_toIsEEEE10hipError_tPvRmT2_T3_mT4_T5_T6_T7_T8_P12ihipStream_tbENKUlT_T0_E_clISt17integral_constantIbLb1EESZ_EEDaSU_SV_EUlSU_E_NS1_11comp_targetILNS1_3genE10ELNS1_11target_archE1200ELNS1_3gpuE4ELNS1_3repE0EEENS1_30default_config_static_selectorELNS0_4arch9wavefront6targetE1EEEvT1_,comdat
.Lfunc_end595:
	.size	_ZN7rocprim17ROCPRIM_400000_NS6detail17trampoline_kernelINS0_14default_configENS1_33run_length_encode_config_selectorIsjNS0_4plusIjEEEEZZNS1_33reduce_by_key_impl_wrapped_configILNS1_25lookback_scan_determinismE0ES3_S7_PKsNS0_17constant_iteratorIjlEEPsPlSF_S6_NS0_8equal_toIsEEEE10hipError_tPvRmT2_T3_mT4_T5_T6_T7_T8_P12ihipStream_tbENKUlT_T0_E_clISt17integral_constantIbLb1EESZ_EEDaSU_SV_EUlSU_E_NS1_11comp_targetILNS1_3genE10ELNS1_11target_archE1200ELNS1_3gpuE4ELNS1_3repE0EEENS1_30default_config_static_selectorELNS0_4arch9wavefront6targetE1EEEvT1_, .Lfunc_end595-_ZN7rocprim17ROCPRIM_400000_NS6detail17trampoline_kernelINS0_14default_configENS1_33run_length_encode_config_selectorIsjNS0_4plusIjEEEEZZNS1_33reduce_by_key_impl_wrapped_configILNS1_25lookback_scan_determinismE0ES3_S7_PKsNS0_17constant_iteratorIjlEEPsPlSF_S6_NS0_8equal_toIsEEEE10hipError_tPvRmT2_T3_mT4_T5_T6_T7_T8_P12ihipStream_tbENKUlT_T0_E_clISt17integral_constantIbLb1EESZ_EEDaSU_SV_EUlSU_E_NS1_11comp_targetILNS1_3genE10ELNS1_11target_archE1200ELNS1_3gpuE4ELNS1_3repE0EEENS1_30default_config_static_selectorELNS0_4arch9wavefront6targetE1EEEvT1_
                                        ; -- End function
	.section	.AMDGPU.csdata,"",@progbits
; Kernel info:
; codeLenInByte = 0
; NumSgprs: 6
; NumVgprs: 0
; NumAgprs: 0
; TotalNumVgprs: 0
; ScratchSize: 0
; MemoryBound: 0
; FloatMode: 240
; IeeeMode: 1
; LDSByteSize: 0 bytes/workgroup (compile time only)
; SGPRBlocks: 0
; VGPRBlocks: 0
; NumSGPRsForWavesPerEU: 6
; NumVGPRsForWavesPerEU: 1
; AccumOffset: 4
; Occupancy: 8
; WaveLimiterHint : 0
; COMPUTE_PGM_RSRC2:SCRATCH_EN: 0
; COMPUTE_PGM_RSRC2:USER_SGPR: 2
; COMPUTE_PGM_RSRC2:TRAP_HANDLER: 0
; COMPUTE_PGM_RSRC2:TGID_X_EN: 1
; COMPUTE_PGM_RSRC2:TGID_Y_EN: 0
; COMPUTE_PGM_RSRC2:TGID_Z_EN: 0
; COMPUTE_PGM_RSRC2:TIDIG_COMP_CNT: 0
; COMPUTE_PGM_RSRC3_GFX90A:ACCUM_OFFSET: 0
; COMPUTE_PGM_RSRC3_GFX90A:TG_SPLIT: 0
	.section	.text._ZN7rocprim17ROCPRIM_400000_NS6detail17trampoline_kernelINS0_14default_configENS1_33run_length_encode_config_selectorIsjNS0_4plusIjEEEEZZNS1_33reduce_by_key_impl_wrapped_configILNS1_25lookback_scan_determinismE0ES3_S7_PKsNS0_17constant_iteratorIjlEEPsPlSF_S6_NS0_8equal_toIsEEEE10hipError_tPvRmT2_T3_mT4_T5_T6_T7_T8_P12ihipStream_tbENKUlT_T0_E_clISt17integral_constantIbLb1EESZ_EEDaSU_SV_EUlSU_E_NS1_11comp_targetILNS1_3genE9ELNS1_11target_archE1100ELNS1_3gpuE3ELNS1_3repE0EEENS1_30default_config_static_selectorELNS0_4arch9wavefront6targetE1EEEvT1_,"axG",@progbits,_ZN7rocprim17ROCPRIM_400000_NS6detail17trampoline_kernelINS0_14default_configENS1_33run_length_encode_config_selectorIsjNS0_4plusIjEEEEZZNS1_33reduce_by_key_impl_wrapped_configILNS1_25lookback_scan_determinismE0ES3_S7_PKsNS0_17constant_iteratorIjlEEPsPlSF_S6_NS0_8equal_toIsEEEE10hipError_tPvRmT2_T3_mT4_T5_T6_T7_T8_P12ihipStream_tbENKUlT_T0_E_clISt17integral_constantIbLb1EESZ_EEDaSU_SV_EUlSU_E_NS1_11comp_targetILNS1_3genE9ELNS1_11target_archE1100ELNS1_3gpuE3ELNS1_3repE0EEENS1_30default_config_static_selectorELNS0_4arch9wavefront6targetE1EEEvT1_,comdat
	.protected	_ZN7rocprim17ROCPRIM_400000_NS6detail17trampoline_kernelINS0_14default_configENS1_33run_length_encode_config_selectorIsjNS0_4plusIjEEEEZZNS1_33reduce_by_key_impl_wrapped_configILNS1_25lookback_scan_determinismE0ES3_S7_PKsNS0_17constant_iteratorIjlEEPsPlSF_S6_NS0_8equal_toIsEEEE10hipError_tPvRmT2_T3_mT4_T5_T6_T7_T8_P12ihipStream_tbENKUlT_T0_E_clISt17integral_constantIbLb1EESZ_EEDaSU_SV_EUlSU_E_NS1_11comp_targetILNS1_3genE9ELNS1_11target_archE1100ELNS1_3gpuE3ELNS1_3repE0EEENS1_30default_config_static_selectorELNS0_4arch9wavefront6targetE1EEEvT1_ ; -- Begin function _ZN7rocprim17ROCPRIM_400000_NS6detail17trampoline_kernelINS0_14default_configENS1_33run_length_encode_config_selectorIsjNS0_4plusIjEEEEZZNS1_33reduce_by_key_impl_wrapped_configILNS1_25lookback_scan_determinismE0ES3_S7_PKsNS0_17constant_iteratorIjlEEPsPlSF_S6_NS0_8equal_toIsEEEE10hipError_tPvRmT2_T3_mT4_T5_T6_T7_T8_P12ihipStream_tbENKUlT_T0_E_clISt17integral_constantIbLb1EESZ_EEDaSU_SV_EUlSU_E_NS1_11comp_targetILNS1_3genE9ELNS1_11target_archE1100ELNS1_3gpuE3ELNS1_3repE0EEENS1_30default_config_static_selectorELNS0_4arch9wavefront6targetE1EEEvT1_
	.globl	_ZN7rocprim17ROCPRIM_400000_NS6detail17trampoline_kernelINS0_14default_configENS1_33run_length_encode_config_selectorIsjNS0_4plusIjEEEEZZNS1_33reduce_by_key_impl_wrapped_configILNS1_25lookback_scan_determinismE0ES3_S7_PKsNS0_17constant_iteratorIjlEEPsPlSF_S6_NS0_8equal_toIsEEEE10hipError_tPvRmT2_T3_mT4_T5_T6_T7_T8_P12ihipStream_tbENKUlT_T0_E_clISt17integral_constantIbLb1EESZ_EEDaSU_SV_EUlSU_E_NS1_11comp_targetILNS1_3genE9ELNS1_11target_archE1100ELNS1_3gpuE3ELNS1_3repE0EEENS1_30default_config_static_selectorELNS0_4arch9wavefront6targetE1EEEvT1_
	.p2align	8
	.type	_ZN7rocprim17ROCPRIM_400000_NS6detail17trampoline_kernelINS0_14default_configENS1_33run_length_encode_config_selectorIsjNS0_4plusIjEEEEZZNS1_33reduce_by_key_impl_wrapped_configILNS1_25lookback_scan_determinismE0ES3_S7_PKsNS0_17constant_iteratorIjlEEPsPlSF_S6_NS0_8equal_toIsEEEE10hipError_tPvRmT2_T3_mT4_T5_T6_T7_T8_P12ihipStream_tbENKUlT_T0_E_clISt17integral_constantIbLb1EESZ_EEDaSU_SV_EUlSU_E_NS1_11comp_targetILNS1_3genE9ELNS1_11target_archE1100ELNS1_3gpuE3ELNS1_3repE0EEENS1_30default_config_static_selectorELNS0_4arch9wavefront6targetE1EEEvT1_,@function
_ZN7rocprim17ROCPRIM_400000_NS6detail17trampoline_kernelINS0_14default_configENS1_33run_length_encode_config_selectorIsjNS0_4plusIjEEEEZZNS1_33reduce_by_key_impl_wrapped_configILNS1_25lookback_scan_determinismE0ES3_S7_PKsNS0_17constant_iteratorIjlEEPsPlSF_S6_NS0_8equal_toIsEEEE10hipError_tPvRmT2_T3_mT4_T5_T6_T7_T8_P12ihipStream_tbENKUlT_T0_E_clISt17integral_constantIbLb1EESZ_EEDaSU_SV_EUlSU_E_NS1_11comp_targetILNS1_3genE9ELNS1_11target_archE1100ELNS1_3gpuE3ELNS1_3repE0EEENS1_30default_config_static_selectorELNS0_4arch9wavefront6targetE1EEEvT1_: ; @_ZN7rocprim17ROCPRIM_400000_NS6detail17trampoline_kernelINS0_14default_configENS1_33run_length_encode_config_selectorIsjNS0_4plusIjEEEEZZNS1_33reduce_by_key_impl_wrapped_configILNS1_25lookback_scan_determinismE0ES3_S7_PKsNS0_17constant_iteratorIjlEEPsPlSF_S6_NS0_8equal_toIsEEEE10hipError_tPvRmT2_T3_mT4_T5_T6_T7_T8_P12ihipStream_tbENKUlT_T0_E_clISt17integral_constantIbLb1EESZ_EEDaSU_SV_EUlSU_E_NS1_11comp_targetILNS1_3genE9ELNS1_11target_archE1100ELNS1_3gpuE3ELNS1_3repE0EEENS1_30default_config_static_selectorELNS0_4arch9wavefront6targetE1EEEvT1_
; %bb.0:
	.section	.rodata,"a",@progbits
	.p2align	6, 0x0
	.amdhsa_kernel _ZN7rocprim17ROCPRIM_400000_NS6detail17trampoline_kernelINS0_14default_configENS1_33run_length_encode_config_selectorIsjNS0_4plusIjEEEEZZNS1_33reduce_by_key_impl_wrapped_configILNS1_25lookback_scan_determinismE0ES3_S7_PKsNS0_17constant_iteratorIjlEEPsPlSF_S6_NS0_8equal_toIsEEEE10hipError_tPvRmT2_T3_mT4_T5_T6_T7_T8_P12ihipStream_tbENKUlT_T0_E_clISt17integral_constantIbLb1EESZ_EEDaSU_SV_EUlSU_E_NS1_11comp_targetILNS1_3genE9ELNS1_11target_archE1100ELNS1_3gpuE3ELNS1_3repE0EEENS1_30default_config_static_selectorELNS0_4arch9wavefront6targetE1EEEvT1_
		.amdhsa_group_segment_fixed_size 0
		.amdhsa_private_segment_fixed_size 0
		.amdhsa_kernarg_size 128
		.amdhsa_user_sgpr_count 2
		.amdhsa_user_sgpr_dispatch_ptr 0
		.amdhsa_user_sgpr_queue_ptr 0
		.amdhsa_user_sgpr_kernarg_segment_ptr 1
		.amdhsa_user_sgpr_dispatch_id 0
		.amdhsa_user_sgpr_kernarg_preload_length 0
		.amdhsa_user_sgpr_kernarg_preload_offset 0
		.amdhsa_user_sgpr_private_segment_size 0
		.amdhsa_uses_dynamic_stack 0
		.amdhsa_enable_private_segment 0
		.amdhsa_system_sgpr_workgroup_id_x 1
		.amdhsa_system_sgpr_workgroup_id_y 0
		.amdhsa_system_sgpr_workgroup_id_z 0
		.amdhsa_system_sgpr_workgroup_info 0
		.amdhsa_system_vgpr_workitem_id 0
		.amdhsa_next_free_vgpr 1
		.amdhsa_next_free_sgpr 0
		.amdhsa_accum_offset 4
		.amdhsa_reserve_vcc 0
		.amdhsa_float_round_mode_32 0
		.amdhsa_float_round_mode_16_64 0
		.amdhsa_float_denorm_mode_32 3
		.amdhsa_float_denorm_mode_16_64 3
		.amdhsa_dx10_clamp 1
		.amdhsa_ieee_mode 1
		.amdhsa_fp16_overflow 0
		.amdhsa_tg_split 0
		.amdhsa_exception_fp_ieee_invalid_op 0
		.amdhsa_exception_fp_denorm_src 0
		.amdhsa_exception_fp_ieee_div_zero 0
		.amdhsa_exception_fp_ieee_overflow 0
		.amdhsa_exception_fp_ieee_underflow 0
		.amdhsa_exception_fp_ieee_inexact 0
		.amdhsa_exception_int_div_zero 0
	.end_amdhsa_kernel
	.section	.text._ZN7rocprim17ROCPRIM_400000_NS6detail17trampoline_kernelINS0_14default_configENS1_33run_length_encode_config_selectorIsjNS0_4plusIjEEEEZZNS1_33reduce_by_key_impl_wrapped_configILNS1_25lookback_scan_determinismE0ES3_S7_PKsNS0_17constant_iteratorIjlEEPsPlSF_S6_NS0_8equal_toIsEEEE10hipError_tPvRmT2_T3_mT4_T5_T6_T7_T8_P12ihipStream_tbENKUlT_T0_E_clISt17integral_constantIbLb1EESZ_EEDaSU_SV_EUlSU_E_NS1_11comp_targetILNS1_3genE9ELNS1_11target_archE1100ELNS1_3gpuE3ELNS1_3repE0EEENS1_30default_config_static_selectorELNS0_4arch9wavefront6targetE1EEEvT1_,"axG",@progbits,_ZN7rocprim17ROCPRIM_400000_NS6detail17trampoline_kernelINS0_14default_configENS1_33run_length_encode_config_selectorIsjNS0_4plusIjEEEEZZNS1_33reduce_by_key_impl_wrapped_configILNS1_25lookback_scan_determinismE0ES3_S7_PKsNS0_17constant_iteratorIjlEEPsPlSF_S6_NS0_8equal_toIsEEEE10hipError_tPvRmT2_T3_mT4_T5_T6_T7_T8_P12ihipStream_tbENKUlT_T0_E_clISt17integral_constantIbLb1EESZ_EEDaSU_SV_EUlSU_E_NS1_11comp_targetILNS1_3genE9ELNS1_11target_archE1100ELNS1_3gpuE3ELNS1_3repE0EEENS1_30default_config_static_selectorELNS0_4arch9wavefront6targetE1EEEvT1_,comdat
.Lfunc_end596:
	.size	_ZN7rocprim17ROCPRIM_400000_NS6detail17trampoline_kernelINS0_14default_configENS1_33run_length_encode_config_selectorIsjNS0_4plusIjEEEEZZNS1_33reduce_by_key_impl_wrapped_configILNS1_25lookback_scan_determinismE0ES3_S7_PKsNS0_17constant_iteratorIjlEEPsPlSF_S6_NS0_8equal_toIsEEEE10hipError_tPvRmT2_T3_mT4_T5_T6_T7_T8_P12ihipStream_tbENKUlT_T0_E_clISt17integral_constantIbLb1EESZ_EEDaSU_SV_EUlSU_E_NS1_11comp_targetILNS1_3genE9ELNS1_11target_archE1100ELNS1_3gpuE3ELNS1_3repE0EEENS1_30default_config_static_selectorELNS0_4arch9wavefront6targetE1EEEvT1_, .Lfunc_end596-_ZN7rocprim17ROCPRIM_400000_NS6detail17trampoline_kernelINS0_14default_configENS1_33run_length_encode_config_selectorIsjNS0_4plusIjEEEEZZNS1_33reduce_by_key_impl_wrapped_configILNS1_25lookback_scan_determinismE0ES3_S7_PKsNS0_17constant_iteratorIjlEEPsPlSF_S6_NS0_8equal_toIsEEEE10hipError_tPvRmT2_T3_mT4_T5_T6_T7_T8_P12ihipStream_tbENKUlT_T0_E_clISt17integral_constantIbLb1EESZ_EEDaSU_SV_EUlSU_E_NS1_11comp_targetILNS1_3genE9ELNS1_11target_archE1100ELNS1_3gpuE3ELNS1_3repE0EEENS1_30default_config_static_selectorELNS0_4arch9wavefront6targetE1EEEvT1_
                                        ; -- End function
	.section	.AMDGPU.csdata,"",@progbits
; Kernel info:
; codeLenInByte = 0
; NumSgprs: 6
; NumVgprs: 0
; NumAgprs: 0
; TotalNumVgprs: 0
; ScratchSize: 0
; MemoryBound: 0
; FloatMode: 240
; IeeeMode: 1
; LDSByteSize: 0 bytes/workgroup (compile time only)
; SGPRBlocks: 0
; VGPRBlocks: 0
; NumSGPRsForWavesPerEU: 6
; NumVGPRsForWavesPerEU: 1
; AccumOffset: 4
; Occupancy: 8
; WaveLimiterHint : 0
; COMPUTE_PGM_RSRC2:SCRATCH_EN: 0
; COMPUTE_PGM_RSRC2:USER_SGPR: 2
; COMPUTE_PGM_RSRC2:TRAP_HANDLER: 0
; COMPUTE_PGM_RSRC2:TGID_X_EN: 1
; COMPUTE_PGM_RSRC2:TGID_Y_EN: 0
; COMPUTE_PGM_RSRC2:TGID_Z_EN: 0
; COMPUTE_PGM_RSRC2:TIDIG_COMP_CNT: 0
; COMPUTE_PGM_RSRC3_GFX90A:ACCUM_OFFSET: 0
; COMPUTE_PGM_RSRC3_GFX90A:TG_SPLIT: 0
	.section	.text._ZN7rocprim17ROCPRIM_400000_NS6detail17trampoline_kernelINS0_14default_configENS1_33run_length_encode_config_selectorIsjNS0_4plusIjEEEEZZNS1_33reduce_by_key_impl_wrapped_configILNS1_25lookback_scan_determinismE0ES3_S7_PKsNS0_17constant_iteratorIjlEEPsPlSF_S6_NS0_8equal_toIsEEEE10hipError_tPvRmT2_T3_mT4_T5_T6_T7_T8_P12ihipStream_tbENKUlT_T0_E_clISt17integral_constantIbLb1EESZ_EEDaSU_SV_EUlSU_E_NS1_11comp_targetILNS1_3genE8ELNS1_11target_archE1030ELNS1_3gpuE2ELNS1_3repE0EEENS1_30default_config_static_selectorELNS0_4arch9wavefront6targetE1EEEvT1_,"axG",@progbits,_ZN7rocprim17ROCPRIM_400000_NS6detail17trampoline_kernelINS0_14default_configENS1_33run_length_encode_config_selectorIsjNS0_4plusIjEEEEZZNS1_33reduce_by_key_impl_wrapped_configILNS1_25lookback_scan_determinismE0ES3_S7_PKsNS0_17constant_iteratorIjlEEPsPlSF_S6_NS0_8equal_toIsEEEE10hipError_tPvRmT2_T3_mT4_T5_T6_T7_T8_P12ihipStream_tbENKUlT_T0_E_clISt17integral_constantIbLb1EESZ_EEDaSU_SV_EUlSU_E_NS1_11comp_targetILNS1_3genE8ELNS1_11target_archE1030ELNS1_3gpuE2ELNS1_3repE0EEENS1_30default_config_static_selectorELNS0_4arch9wavefront6targetE1EEEvT1_,comdat
	.protected	_ZN7rocprim17ROCPRIM_400000_NS6detail17trampoline_kernelINS0_14default_configENS1_33run_length_encode_config_selectorIsjNS0_4plusIjEEEEZZNS1_33reduce_by_key_impl_wrapped_configILNS1_25lookback_scan_determinismE0ES3_S7_PKsNS0_17constant_iteratorIjlEEPsPlSF_S6_NS0_8equal_toIsEEEE10hipError_tPvRmT2_T3_mT4_T5_T6_T7_T8_P12ihipStream_tbENKUlT_T0_E_clISt17integral_constantIbLb1EESZ_EEDaSU_SV_EUlSU_E_NS1_11comp_targetILNS1_3genE8ELNS1_11target_archE1030ELNS1_3gpuE2ELNS1_3repE0EEENS1_30default_config_static_selectorELNS0_4arch9wavefront6targetE1EEEvT1_ ; -- Begin function _ZN7rocprim17ROCPRIM_400000_NS6detail17trampoline_kernelINS0_14default_configENS1_33run_length_encode_config_selectorIsjNS0_4plusIjEEEEZZNS1_33reduce_by_key_impl_wrapped_configILNS1_25lookback_scan_determinismE0ES3_S7_PKsNS0_17constant_iteratorIjlEEPsPlSF_S6_NS0_8equal_toIsEEEE10hipError_tPvRmT2_T3_mT4_T5_T6_T7_T8_P12ihipStream_tbENKUlT_T0_E_clISt17integral_constantIbLb1EESZ_EEDaSU_SV_EUlSU_E_NS1_11comp_targetILNS1_3genE8ELNS1_11target_archE1030ELNS1_3gpuE2ELNS1_3repE0EEENS1_30default_config_static_selectorELNS0_4arch9wavefront6targetE1EEEvT1_
	.globl	_ZN7rocprim17ROCPRIM_400000_NS6detail17trampoline_kernelINS0_14default_configENS1_33run_length_encode_config_selectorIsjNS0_4plusIjEEEEZZNS1_33reduce_by_key_impl_wrapped_configILNS1_25lookback_scan_determinismE0ES3_S7_PKsNS0_17constant_iteratorIjlEEPsPlSF_S6_NS0_8equal_toIsEEEE10hipError_tPvRmT2_T3_mT4_T5_T6_T7_T8_P12ihipStream_tbENKUlT_T0_E_clISt17integral_constantIbLb1EESZ_EEDaSU_SV_EUlSU_E_NS1_11comp_targetILNS1_3genE8ELNS1_11target_archE1030ELNS1_3gpuE2ELNS1_3repE0EEENS1_30default_config_static_selectorELNS0_4arch9wavefront6targetE1EEEvT1_
	.p2align	8
	.type	_ZN7rocprim17ROCPRIM_400000_NS6detail17trampoline_kernelINS0_14default_configENS1_33run_length_encode_config_selectorIsjNS0_4plusIjEEEEZZNS1_33reduce_by_key_impl_wrapped_configILNS1_25lookback_scan_determinismE0ES3_S7_PKsNS0_17constant_iteratorIjlEEPsPlSF_S6_NS0_8equal_toIsEEEE10hipError_tPvRmT2_T3_mT4_T5_T6_T7_T8_P12ihipStream_tbENKUlT_T0_E_clISt17integral_constantIbLb1EESZ_EEDaSU_SV_EUlSU_E_NS1_11comp_targetILNS1_3genE8ELNS1_11target_archE1030ELNS1_3gpuE2ELNS1_3repE0EEENS1_30default_config_static_selectorELNS0_4arch9wavefront6targetE1EEEvT1_,@function
_ZN7rocprim17ROCPRIM_400000_NS6detail17trampoline_kernelINS0_14default_configENS1_33run_length_encode_config_selectorIsjNS0_4plusIjEEEEZZNS1_33reduce_by_key_impl_wrapped_configILNS1_25lookback_scan_determinismE0ES3_S7_PKsNS0_17constant_iteratorIjlEEPsPlSF_S6_NS0_8equal_toIsEEEE10hipError_tPvRmT2_T3_mT4_T5_T6_T7_T8_P12ihipStream_tbENKUlT_T0_E_clISt17integral_constantIbLb1EESZ_EEDaSU_SV_EUlSU_E_NS1_11comp_targetILNS1_3genE8ELNS1_11target_archE1030ELNS1_3gpuE2ELNS1_3repE0EEENS1_30default_config_static_selectorELNS0_4arch9wavefront6targetE1EEEvT1_: ; @_ZN7rocprim17ROCPRIM_400000_NS6detail17trampoline_kernelINS0_14default_configENS1_33run_length_encode_config_selectorIsjNS0_4plusIjEEEEZZNS1_33reduce_by_key_impl_wrapped_configILNS1_25lookback_scan_determinismE0ES3_S7_PKsNS0_17constant_iteratorIjlEEPsPlSF_S6_NS0_8equal_toIsEEEE10hipError_tPvRmT2_T3_mT4_T5_T6_T7_T8_P12ihipStream_tbENKUlT_T0_E_clISt17integral_constantIbLb1EESZ_EEDaSU_SV_EUlSU_E_NS1_11comp_targetILNS1_3genE8ELNS1_11target_archE1030ELNS1_3gpuE2ELNS1_3repE0EEENS1_30default_config_static_selectorELNS0_4arch9wavefront6targetE1EEEvT1_
; %bb.0:
	.section	.rodata,"a",@progbits
	.p2align	6, 0x0
	.amdhsa_kernel _ZN7rocprim17ROCPRIM_400000_NS6detail17trampoline_kernelINS0_14default_configENS1_33run_length_encode_config_selectorIsjNS0_4plusIjEEEEZZNS1_33reduce_by_key_impl_wrapped_configILNS1_25lookback_scan_determinismE0ES3_S7_PKsNS0_17constant_iteratorIjlEEPsPlSF_S6_NS0_8equal_toIsEEEE10hipError_tPvRmT2_T3_mT4_T5_T6_T7_T8_P12ihipStream_tbENKUlT_T0_E_clISt17integral_constantIbLb1EESZ_EEDaSU_SV_EUlSU_E_NS1_11comp_targetILNS1_3genE8ELNS1_11target_archE1030ELNS1_3gpuE2ELNS1_3repE0EEENS1_30default_config_static_selectorELNS0_4arch9wavefront6targetE1EEEvT1_
		.amdhsa_group_segment_fixed_size 0
		.amdhsa_private_segment_fixed_size 0
		.amdhsa_kernarg_size 128
		.amdhsa_user_sgpr_count 2
		.amdhsa_user_sgpr_dispatch_ptr 0
		.amdhsa_user_sgpr_queue_ptr 0
		.amdhsa_user_sgpr_kernarg_segment_ptr 1
		.amdhsa_user_sgpr_dispatch_id 0
		.amdhsa_user_sgpr_kernarg_preload_length 0
		.amdhsa_user_sgpr_kernarg_preload_offset 0
		.amdhsa_user_sgpr_private_segment_size 0
		.amdhsa_uses_dynamic_stack 0
		.amdhsa_enable_private_segment 0
		.amdhsa_system_sgpr_workgroup_id_x 1
		.amdhsa_system_sgpr_workgroup_id_y 0
		.amdhsa_system_sgpr_workgroup_id_z 0
		.amdhsa_system_sgpr_workgroup_info 0
		.amdhsa_system_vgpr_workitem_id 0
		.amdhsa_next_free_vgpr 1
		.amdhsa_next_free_sgpr 0
		.amdhsa_accum_offset 4
		.amdhsa_reserve_vcc 0
		.amdhsa_float_round_mode_32 0
		.amdhsa_float_round_mode_16_64 0
		.amdhsa_float_denorm_mode_32 3
		.amdhsa_float_denorm_mode_16_64 3
		.amdhsa_dx10_clamp 1
		.amdhsa_ieee_mode 1
		.amdhsa_fp16_overflow 0
		.amdhsa_tg_split 0
		.amdhsa_exception_fp_ieee_invalid_op 0
		.amdhsa_exception_fp_denorm_src 0
		.amdhsa_exception_fp_ieee_div_zero 0
		.amdhsa_exception_fp_ieee_overflow 0
		.amdhsa_exception_fp_ieee_underflow 0
		.amdhsa_exception_fp_ieee_inexact 0
		.amdhsa_exception_int_div_zero 0
	.end_amdhsa_kernel
	.section	.text._ZN7rocprim17ROCPRIM_400000_NS6detail17trampoline_kernelINS0_14default_configENS1_33run_length_encode_config_selectorIsjNS0_4plusIjEEEEZZNS1_33reduce_by_key_impl_wrapped_configILNS1_25lookback_scan_determinismE0ES3_S7_PKsNS0_17constant_iteratorIjlEEPsPlSF_S6_NS0_8equal_toIsEEEE10hipError_tPvRmT2_T3_mT4_T5_T6_T7_T8_P12ihipStream_tbENKUlT_T0_E_clISt17integral_constantIbLb1EESZ_EEDaSU_SV_EUlSU_E_NS1_11comp_targetILNS1_3genE8ELNS1_11target_archE1030ELNS1_3gpuE2ELNS1_3repE0EEENS1_30default_config_static_selectorELNS0_4arch9wavefront6targetE1EEEvT1_,"axG",@progbits,_ZN7rocprim17ROCPRIM_400000_NS6detail17trampoline_kernelINS0_14default_configENS1_33run_length_encode_config_selectorIsjNS0_4plusIjEEEEZZNS1_33reduce_by_key_impl_wrapped_configILNS1_25lookback_scan_determinismE0ES3_S7_PKsNS0_17constant_iteratorIjlEEPsPlSF_S6_NS0_8equal_toIsEEEE10hipError_tPvRmT2_T3_mT4_T5_T6_T7_T8_P12ihipStream_tbENKUlT_T0_E_clISt17integral_constantIbLb1EESZ_EEDaSU_SV_EUlSU_E_NS1_11comp_targetILNS1_3genE8ELNS1_11target_archE1030ELNS1_3gpuE2ELNS1_3repE0EEENS1_30default_config_static_selectorELNS0_4arch9wavefront6targetE1EEEvT1_,comdat
.Lfunc_end597:
	.size	_ZN7rocprim17ROCPRIM_400000_NS6detail17trampoline_kernelINS0_14default_configENS1_33run_length_encode_config_selectorIsjNS0_4plusIjEEEEZZNS1_33reduce_by_key_impl_wrapped_configILNS1_25lookback_scan_determinismE0ES3_S7_PKsNS0_17constant_iteratorIjlEEPsPlSF_S6_NS0_8equal_toIsEEEE10hipError_tPvRmT2_T3_mT4_T5_T6_T7_T8_P12ihipStream_tbENKUlT_T0_E_clISt17integral_constantIbLb1EESZ_EEDaSU_SV_EUlSU_E_NS1_11comp_targetILNS1_3genE8ELNS1_11target_archE1030ELNS1_3gpuE2ELNS1_3repE0EEENS1_30default_config_static_selectorELNS0_4arch9wavefront6targetE1EEEvT1_, .Lfunc_end597-_ZN7rocprim17ROCPRIM_400000_NS6detail17trampoline_kernelINS0_14default_configENS1_33run_length_encode_config_selectorIsjNS0_4plusIjEEEEZZNS1_33reduce_by_key_impl_wrapped_configILNS1_25lookback_scan_determinismE0ES3_S7_PKsNS0_17constant_iteratorIjlEEPsPlSF_S6_NS0_8equal_toIsEEEE10hipError_tPvRmT2_T3_mT4_T5_T6_T7_T8_P12ihipStream_tbENKUlT_T0_E_clISt17integral_constantIbLb1EESZ_EEDaSU_SV_EUlSU_E_NS1_11comp_targetILNS1_3genE8ELNS1_11target_archE1030ELNS1_3gpuE2ELNS1_3repE0EEENS1_30default_config_static_selectorELNS0_4arch9wavefront6targetE1EEEvT1_
                                        ; -- End function
	.section	.AMDGPU.csdata,"",@progbits
; Kernel info:
; codeLenInByte = 0
; NumSgprs: 6
; NumVgprs: 0
; NumAgprs: 0
; TotalNumVgprs: 0
; ScratchSize: 0
; MemoryBound: 0
; FloatMode: 240
; IeeeMode: 1
; LDSByteSize: 0 bytes/workgroup (compile time only)
; SGPRBlocks: 0
; VGPRBlocks: 0
; NumSGPRsForWavesPerEU: 6
; NumVGPRsForWavesPerEU: 1
; AccumOffset: 4
; Occupancy: 8
; WaveLimiterHint : 0
; COMPUTE_PGM_RSRC2:SCRATCH_EN: 0
; COMPUTE_PGM_RSRC2:USER_SGPR: 2
; COMPUTE_PGM_RSRC2:TRAP_HANDLER: 0
; COMPUTE_PGM_RSRC2:TGID_X_EN: 1
; COMPUTE_PGM_RSRC2:TGID_Y_EN: 0
; COMPUTE_PGM_RSRC2:TGID_Z_EN: 0
; COMPUTE_PGM_RSRC2:TIDIG_COMP_CNT: 0
; COMPUTE_PGM_RSRC3_GFX90A:ACCUM_OFFSET: 0
; COMPUTE_PGM_RSRC3_GFX90A:TG_SPLIT: 0
	.section	.text._ZN7rocprim17ROCPRIM_400000_NS6detail17trampoline_kernelINS0_14default_configENS1_33run_length_encode_config_selectorIsjNS0_4plusIjEEEEZZNS1_33reduce_by_key_impl_wrapped_configILNS1_25lookback_scan_determinismE0ES3_S7_PKsNS0_17constant_iteratorIjlEEPsPlSF_S6_NS0_8equal_toIsEEEE10hipError_tPvRmT2_T3_mT4_T5_T6_T7_T8_P12ihipStream_tbENKUlT_T0_E_clISt17integral_constantIbLb1EESY_IbLb0EEEEDaSU_SV_EUlSU_E_NS1_11comp_targetILNS1_3genE0ELNS1_11target_archE4294967295ELNS1_3gpuE0ELNS1_3repE0EEENS1_30default_config_static_selectorELNS0_4arch9wavefront6targetE1EEEvT1_,"axG",@progbits,_ZN7rocprim17ROCPRIM_400000_NS6detail17trampoline_kernelINS0_14default_configENS1_33run_length_encode_config_selectorIsjNS0_4plusIjEEEEZZNS1_33reduce_by_key_impl_wrapped_configILNS1_25lookback_scan_determinismE0ES3_S7_PKsNS0_17constant_iteratorIjlEEPsPlSF_S6_NS0_8equal_toIsEEEE10hipError_tPvRmT2_T3_mT4_T5_T6_T7_T8_P12ihipStream_tbENKUlT_T0_E_clISt17integral_constantIbLb1EESY_IbLb0EEEEDaSU_SV_EUlSU_E_NS1_11comp_targetILNS1_3genE0ELNS1_11target_archE4294967295ELNS1_3gpuE0ELNS1_3repE0EEENS1_30default_config_static_selectorELNS0_4arch9wavefront6targetE1EEEvT1_,comdat
	.protected	_ZN7rocprim17ROCPRIM_400000_NS6detail17trampoline_kernelINS0_14default_configENS1_33run_length_encode_config_selectorIsjNS0_4plusIjEEEEZZNS1_33reduce_by_key_impl_wrapped_configILNS1_25lookback_scan_determinismE0ES3_S7_PKsNS0_17constant_iteratorIjlEEPsPlSF_S6_NS0_8equal_toIsEEEE10hipError_tPvRmT2_T3_mT4_T5_T6_T7_T8_P12ihipStream_tbENKUlT_T0_E_clISt17integral_constantIbLb1EESY_IbLb0EEEEDaSU_SV_EUlSU_E_NS1_11comp_targetILNS1_3genE0ELNS1_11target_archE4294967295ELNS1_3gpuE0ELNS1_3repE0EEENS1_30default_config_static_selectorELNS0_4arch9wavefront6targetE1EEEvT1_ ; -- Begin function _ZN7rocprim17ROCPRIM_400000_NS6detail17trampoline_kernelINS0_14default_configENS1_33run_length_encode_config_selectorIsjNS0_4plusIjEEEEZZNS1_33reduce_by_key_impl_wrapped_configILNS1_25lookback_scan_determinismE0ES3_S7_PKsNS0_17constant_iteratorIjlEEPsPlSF_S6_NS0_8equal_toIsEEEE10hipError_tPvRmT2_T3_mT4_T5_T6_T7_T8_P12ihipStream_tbENKUlT_T0_E_clISt17integral_constantIbLb1EESY_IbLb0EEEEDaSU_SV_EUlSU_E_NS1_11comp_targetILNS1_3genE0ELNS1_11target_archE4294967295ELNS1_3gpuE0ELNS1_3repE0EEENS1_30default_config_static_selectorELNS0_4arch9wavefront6targetE1EEEvT1_
	.globl	_ZN7rocprim17ROCPRIM_400000_NS6detail17trampoline_kernelINS0_14default_configENS1_33run_length_encode_config_selectorIsjNS0_4plusIjEEEEZZNS1_33reduce_by_key_impl_wrapped_configILNS1_25lookback_scan_determinismE0ES3_S7_PKsNS0_17constant_iteratorIjlEEPsPlSF_S6_NS0_8equal_toIsEEEE10hipError_tPvRmT2_T3_mT4_T5_T6_T7_T8_P12ihipStream_tbENKUlT_T0_E_clISt17integral_constantIbLb1EESY_IbLb0EEEEDaSU_SV_EUlSU_E_NS1_11comp_targetILNS1_3genE0ELNS1_11target_archE4294967295ELNS1_3gpuE0ELNS1_3repE0EEENS1_30default_config_static_selectorELNS0_4arch9wavefront6targetE1EEEvT1_
	.p2align	8
	.type	_ZN7rocprim17ROCPRIM_400000_NS6detail17trampoline_kernelINS0_14default_configENS1_33run_length_encode_config_selectorIsjNS0_4plusIjEEEEZZNS1_33reduce_by_key_impl_wrapped_configILNS1_25lookback_scan_determinismE0ES3_S7_PKsNS0_17constant_iteratorIjlEEPsPlSF_S6_NS0_8equal_toIsEEEE10hipError_tPvRmT2_T3_mT4_T5_T6_T7_T8_P12ihipStream_tbENKUlT_T0_E_clISt17integral_constantIbLb1EESY_IbLb0EEEEDaSU_SV_EUlSU_E_NS1_11comp_targetILNS1_3genE0ELNS1_11target_archE4294967295ELNS1_3gpuE0ELNS1_3repE0EEENS1_30default_config_static_selectorELNS0_4arch9wavefront6targetE1EEEvT1_,@function
_ZN7rocprim17ROCPRIM_400000_NS6detail17trampoline_kernelINS0_14default_configENS1_33run_length_encode_config_selectorIsjNS0_4plusIjEEEEZZNS1_33reduce_by_key_impl_wrapped_configILNS1_25lookback_scan_determinismE0ES3_S7_PKsNS0_17constant_iteratorIjlEEPsPlSF_S6_NS0_8equal_toIsEEEE10hipError_tPvRmT2_T3_mT4_T5_T6_T7_T8_P12ihipStream_tbENKUlT_T0_E_clISt17integral_constantIbLb1EESY_IbLb0EEEEDaSU_SV_EUlSU_E_NS1_11comp_targetILNS1_3genE0ELNS1_11target_archE4294967295ELNS1_3gpuE0ELNS1_3repE0EEENS1_30default_config_static_selectorELNS0_4arch9wavefront6targetE1EEEvT1_: ; @_ZN7rocprim17ROCPRIM_400000_NS6detail17trampoline_kernelINS0_14default_configENS1_33run_length_encode_config_selectorIsjNS0_4plusIjEEEEZZNS1_33reduce_by_key_impl_wrapped_configILNS1_25lookback_scan_determinismE0ES3_S7_PKsNS0_17constant_iteratorIjlEEPsPlSF_S6_NS0_8equal_toIsEEEE10hipError_tPvRmT2_T3_mT4_T5_T6_T7_T8_P12ihipStream_tbENKUlT_T0_E_clISt17integral_constantIbLb1EESY_IbLb0EEEEDaSU_SV_EUlSU_E_NS1_11comp_targetILNS1_3genE0ELNS1_11target_archE4294967295ELNS1_3gpuE0ELNS1_3repE0EEENS1_30default_config_static_selectorELNS0_4arch9wavefront6targetE1EEEvT1_
; %bb.0:
	.section	.rodata,"a",@progbits
	.p2align	6, 0x0
	.amdhsa_kernel _ZN7rocprim17ROCPRIM_400000_NS6detail17trampoline_kernelINS0_14default_configENS1_33run_length_encode_config_selectorIsjNS0_4plusIjEEEEZZNS1_33reduce_by_key_impl_wrapped_configILNS1_25lookback_scan_determinismE0ES3_S7_PKsNS0_17constant_iteratorIjlEEPsPlSF_S6_NS0_8equal_toIsEEEE10hipError_tPvRmT2_T3_mT4_T5_T6_T7_T8_P12ihipStream_tbENKUlT_T0_E_clISt17integral_constantIbLb1EESY_IbLb0EEEEDaSU_SV_EUlSU_E_NS1_11comp_targetILNS1_3genE0ELNS1_11target_archE4294967295ELNS1_3gpuE0ELNS1_3repE0EEENS1_30default_config_static_selectorELNS0_4arch9wavefront6targetE1EEEvT1_
		.amdhsa_group_segment_fixed_size 0
		.amdhsa_private_segment_fixed_size 0
		.amdhsa_kernarg_size 128
		.amdhsa_user_sgpr_count 2
		.amdhsa_user_sgpr_dispatch_ptr 0
		.amdhsa_user_sgpr_queue_ptr 0
		.amdhsa_user_sgpr_kernarg_segment_ptr 1
		.amdhsa_user_sgpr_dispatch_id 0
		.amdhsa_user_sgpr_kernarg_preload_length 0
		.amdhsa_user_sgpr_kernarg_preload_offset 0
		.amdhsa_user_sgpr_private_segment_size 0
		.amdhsa_uses_dynamic_stack 0
		.amdhsa_enable_private_segment 0
		.amdhsa_system_sgpr_workgroup_id_x 1
		.amdhsa_system_sgpr_workgroup_id_y 0
		.amdhsa_system_sgpr_workgroup_id_z 0
		.amdhsa_system_sgpr_workgroup_info 0
		.amdhsa_system_vgpr_workitem_id 0
		.amdhsa_next_free_vgpr 1
		.amdhsa_next_free_sgpr 0
		.amdhsa_accum_offset 4
		.amdhsa_reserve_vcc 0
		.amdhsa_float_round_mode_32 0
		.amdhsa_float_round_mode_16_64 0
		.amdhsa_float_denorm_mode_32 3
		.amdhsa_float_denorm_mode_16_64 3
		.amdhsa_dx10_clamp 1
		.amdhsa_ieee_mode 1
		.amdhsa_fp16_overflow 0
		.amdhsa_tg_split 0
		.amdhsa_exception_fp_ieee_invalid_op 0
		.amdhsa_exception_fp_denorm_src 0
		.amdhsa_exception_fp_ieee_div_zero 0
		.amdhsa_exception_fp_ieee_overflow 0
		.amdhsa_exception_fp_ieee_underflow 0
		.amdhsa_exception_fp_ieee_inexact 0
		.amdhsa_exception_int_div_zero 0
	.end_amdhsa_kernel
	.section	.text._ZN7rocprim17ROCPRIM_400000_NS6detail17trampoline_kernelINS0_14default_configENS1_33run_length_encode_config_selectorIsjNS0_4plusIjEEEEZZNS1_33reduce_by_key_impl_wrapped_configILNS1_25lookback_scan_determinismE0ES3_S7_PKsNS0_17constant_iteratorIjlEEPsPlSF_S6_NS0_8equal_toIsEEEE10hipError_tPvRmT2_T3_mT4_T5_T6_T7_T8_P12ihipStream_tbENKUlT_T0_E_clISt17integral_constantIbLb1EESY_IbLb0EEEEDaSU_SV_EUlSU_E_NS1_11comp_targetILNS1_3genE0ELNS1_11target_archE4294967295ELNS1_3gpuE0ELNS1_3repE0EEENS1_30default_config_static_selectorELNS0_4arch9wavefront6targetE1EEEvT1_,"axG",@progbits,_ZN7rocprim17ROCPRIM_400000_NS6detail17trampoline_kernelINS0_14default_configENS1_33run_length_encode_config_selectorIsjNS0_4plusIjEEEEZZNS1_33reduce_by_key_impl_wrapped_configILNS1_25lookback_scan_determinismE0ES3_S7_PKsNS0_17constant_iteratorIjlEEPsPlSF_S6_NS0_8equal_toIsEEEE10hipError_tPvRmT2_T3_mT4_T5_T6_T7_T8_P12ihipStream_tbENKUlT_T0_E_clISt17integral_constantIbLb1EESY_IbLb0EEEEDaSU_SV_EUlSU_E_NS1_11comp_targetILNS1_3genE0ELNS1_11target_archE4294967295ELNS1_3gpuE0ELNS1_3repE0EEENS1_30default_config_static_selectorELNS0_4arch9wavefront6targetE1EEEvT1_,comdat
.Lfunc_end598:
	.size	_ZN7rocprim17ROCPRIM_400000_NS6detail17trampoline_kernelINS0_14default_configENS1_33run_length_encode_config_selectorIsjNS0_4plusIjEEEEZZNS1_33reduce_by_key_impl_wrapped_configILNS1_25lookback_scan_determinismE0ES3_S7_PKsNS0_17constant_iteratorIjlEEPsPlSF_S6_NS0_8equal_toIsEEEE10hipError_tPvRmT2_T3_mT4_T5_T6_T7_T8_P12ihipStream_tbENKUlT_T0_E_clISt17integral_constantIbLb1EESY_IbLb0EEEEDaSU_SV_EUlSU_E_NS1_11comp_targetILNS1_3genE0ELNS1_11target_archE4294967295ELNS1_3gpuE0ELNS1_3repE0EEENS1_30default_config_static_selectorELNS0_4arch9wavefront6targetE1EEEvT1_, .Lfunc_end598-_ZN7rocprim17ROCPRIM_400000_NS6detail17trampoline_kernelINS0_14default_configENS1_33run_length_encode_config_selectorIsjNS0_4plusIjEEEEZZNS1_33reduce_by_key_impl_wrapped_configILNS1_25lookback_scan_determinismE0ES3_S7_PKsNS0_17constant_iteratorIjlEEPsPlSF_S6_NS0_8equal_toIsEEEE10hipError_tPvRmT2_T3_mT4_T5_T6_T7_T8_P12ihipStream_tbENKUlT_T0_E_clISt17integral_constantIbLb1EESY_IbLb0EEEEDaSU_SV_EUlSU_E_NS1_11comp_targetILNS1_3genE0ELNS1_11target_archE4294967295ELNS1_3gpuE0ELNS1_3repE0EEENS1_30default_config_static_selectorELNS0_4arch9wavefront6targetE1EEEvT1_
                                        ; -- End function
	.section	.AMDGPU.csdata,"",@progbits
; Kernel info:
; codeLenInByte = 0
; NumSgprs: 6
; NumVgprs: 0
; NumAgprs: 0
; TotalNumVgprs: 0
; ScratchSize: 0
; MemoryBound: 0
; FloatMode: 240
; IeeeMode: 1
; LDSByteSize: 0 bytes/workgroup (compile time only)
; SGPRBlocks: 0
; VGPRBlocks: 0
; NumSGPRsForWavesPerEU: 6
; NumVGPRsForWavesPerEU: 1
; AccumOffset: 4
; Occupancy: 8
; WaveLimiterHint : 0
; COMPUTE_PGM_RSRC2:SCRATCH_EN: 0
; COMPUTE_PGM_RSRC2:USER_SGPR: 2
; COMPUTE_PGM_RSRC2:TRAP_HANDLER: 0
; COMPUTE_PGM_RSRC2:TGID_X_EN: 1
; COMPUTE_PGM_RSRC2:TGID_Y_EN: 0
; COMPUTE_PGM_RSRC2:TGID_Z_EN: 0
; COMPUTE_PGM_RSRC2:TIDIG_COMP_CNT: 0
; COMPUTE_PGM_RSRC3_GFX90A:ACCUM_OFFSET: 0
; COMPUTE_PGM_RSRC3_GFX90A:TG_SPLIT: 0
	.section	.text._ZN7rocprim17ROCPRIM_400000_NS6detail17trampoline_kernelINS0_14default_configENS1_33run_length_encode_config_selectorIsjNS0_4plusIjEEEEZZNS1_33reduce_by_key_impl_wrapped_configILNS1_25lookback_scan_determinismE0ES3_S7_PKsNS0_17constant_iteratorIjlEEPsPlSF_S6_NS0_8equal_toIsEEEE10hipError_tPvRmT2_T3_mT4_T5_T6_T7_T8_P12ihipStream_tbENKUlT_T0_E_clISt17integral_constantIbLb1EESY_IbLb0EEEEDaSU_SV_EUlSU_E_NS1_11comp_targetILNS1_3genE5ELNS1_11target_archE942ELNS1_3gpuE9ELNS1_3repE0EEENS1_30default_config_static_selectorELNS0_4arch9wavefront6targetE1EEEvT1_,"axG",@progbits,_ZN7rocprim17ROCPRIM_400000_NS6detail17trampoline_kernelINS0_14default_configENS1_33run_length_encode_config_selectorIsjNS0_4plusIjEEEEZZNS1_33reduce_by_key_impl_wrapped_configILNS1_25lookback_scan_determinismE0ES3_S7_PKsNS0_17constant_iteratorIjlEEPsPlSF_S6_NS0_8equal_toIsEEEE10hipError_tPvRmT2_T3_mT4_T5_T6_T7_T8_P12ihipStream_tbENKUlT_T0_E_clISt17integral_constantIbLb1EESY_IbLb0EEEEDaSU_SV_EUlSU_E_NS1_11comp_targetILNS1_3genE5ELNS1_11target_archE942ELNS1_3gpuE9ELNS1_3repE0EEENS1_30default_config_static_selectorELNS0_4arch9wavefront6targetE1EEEvT1_,comdat
	.protected	_ZN7rocprim17ROCPRIM_400000_NS6detail17trampoline_kernelINS0_14default_configENS1_33run_length_encode_config_selectorIsjNS0_4plusIjEEEEZZNS1_33reduce_by_key_impl_wrapped_configILNS1_25lookback_scan_determinismE0ES3_S7_PKsNS0_17constant_iteratorIjlEEPsPlSF_S6_NS0_8equal_toIsEEEE10hipError_tPvRmT2_T3_mT4_T5_T6_T7_T8_P12ihipStream_tbENKUlT_T0_E_clISt17integral_constantIbLb1EESY_IbLb0EEEEDaSU_SV_EUlSU_E_NS1_11comp_targetILNS1_3genE5ELNS1_11target_archE942ELNS1_3gpuE9ELNS1_3repE0EEENS1_30default_config_static_selectorELNS0_4arch9wavefront6targetE1EEEvT1_ ; -- Begin function _ZN7rocprim17ROCPRIM_400000_NS6detail17trampoline_kernelINS0_14default_configENS1_33run_length_encode_config_selectorIsjNS0_4plusIjEEEEZZNS1_33reduce_by_key_impl_wrapped_configILNS1_25lookback_scan_determinismE0ES3_S7_PKsNS0_17constant_iteratorIjlEEPsPlSF_S6_NS0_8equal_toIsEEEE10hipError_tPvRmT2_T3_mT4_T5_T6_T7_T8_P12ihipStream_tbENKUlT_T0_E_clISt17integral_constantIbLb1EESY_IbLb0EEEEDaSU_SV_EUlSU_E_NS1_11comp_targetILNS1_3genE5ELNS1_11target_archE942ELNS1_3gpuE9ELNS1_3repE0EEENS1_30default_config_static_selectorELNS0_4arch9wavefront6targetE1EEEvT1_
	.globl	_ZN7rocprim17ROCPRIM_400000_NS6detail17trampoline_kernelINS0_14default_configENS1_33run_length_encode_config_selectorIsjNS0_4plusIjEEEEZZNS1_33reduce_by_key_impl_wrapped_configILNS1_25lookback_scan_determinismE0ES3_S7_PKsNS0_17constant_iteratorIjlEEPsPlSF_S6_NS0_8equal_toIsEEEE10hipError_tPvRmT2_T3_mT4_T5_T6_T7_T8_P12ihipStream_tbENKUlT_T0_E_clISt17integral_constantIbLb1EESY_IbLb0EEEEDaSU_SV_EUlSU_E_NS1_11comp_targetILNS1_3genE5ELNS1_11target_archE942ELNS1_3gpuE9ELNS1_3repE0EEENS1_30default_config_static_selectorELNS0_4arch9wavefront6targetE1EEEvT1_
	.p2align	8
	.type	_ZN7rocprim17ROCPRIM_400000_NS6detail17trampoline_kernelINS0_14default_configENS1_33run_length_encode_config_selectorIsjNS0_4plusIjEEEEZZNS1_33reduce_by_key_impl_wrapped_configILNS1_25lookback_scan_determinismE0ES3_S7_PKsNS0_17constant_iteratorIjlEEPsPlSF_S6_NS0_8equal_toIsEEEE10hipError_tPvRmT2_T3_mT4_T5_T6_T7_T8_P12ihipStream_tbENKUlT_T0_E_clISt17integral_constantIbLb1EESY_IbLb0EEEEDaSU_SV_EUlSU_E_NS1_11comp_targetILNS1_3genE5ELNS1_11target_archE942ELNS1_3gpuE9ELNS1_3repE0EEENS1_30default_config_static_selectorELNS0_4arch9wavefront6targetE1EEEvT1_,@function
_ZN7rocprim17ROCPRIM_400000_NS6detail17trampoline_kernelINS0_14default_configENS1_33run_length_encode_config_selectorIsjNS0_4plusIjEEEEZZNS1_33reduce_by_key_impl_wrapped_configILNS1_25lookback_scan_determinismE0ES3_S7_PKsNS0_17constant_iteratorIjlEEPsPlSF_S6_NS0_8equal_toIsEEEE10hipError_tPvRmT2_T3_mT4_T5_T6_T7_T8_P12ihipStream_tbENKUlT_T0_E_clISt17integral_constantIbLb1EESY_IbLb0EEEEDaSU_SV_EUlSU_E_NS1_11comp_targetILNS1_3genE5ELNS1_11target_archE942ELNS1_3gpuE9ELNS1_3repE0EEENS1_30default_config_static_selectorELNS0_4arch9wavefront6targetE1EEEvT1_: ; @_ZN7rocprim17ROCPRIM_400000_NS6detail17trampoline_kernelINS0_14default_configENS1_33run_length_encode_config_selectorIsjNS0_4plusIjEEEEZZNS1_33reduce_by_key_impl_wrapped_configILNS1_25lookback_scan_determinismE0ES3_S7_PKsNS0_17constant_iteratorIjlEEPsPlSF_S6_NS0_8equal_toIsEEEE10hipError_tPvRmT2_T3_mT4_T5_T6_T7_T8_P12ihipStream_tbENKUlT_T0_E_clISt17integral_constantIbLb1EESY_IbLb0EEEEDaSU_SV_EUlSU_E_NS1_11comp_targetILNS1_3genE5ELNS1_11target_archE942ELNS1_3gpuE9ELNS1_3repE0EEENS1_30default_config_static_selectorELNS0_4arch9wavefront6targetE1EEEvT1_
; %bb.0:
	s_load_dwordx8 s[36:43], s[0:1], 0x40
	s_load_dwordx4 s[4:7], s[0:1], 0x0
	s_load_dword s3, s[0:1], 0x10
	s_load_dwordx4 s[28:31], s[0:1], 0x60
	s_mov_b64 s[12:13], -1
	s_waitcnt lgkmcnt(0)
	s_mul_i32 s8, s40, s39
	s_mul_hi_u32 s9, s40, s38
	s_add_i32 s8, s9, s8
	s_mul_i32 s9, s41, s38
	s_add_i32 s9, s8, s9
	s_lshl_b64 s[6:7], s[6:7], 1
	s_add_u32 s6, s4, s6
	s_addc_u32 s7, s5, s7
	s_mul_i32 s4, s2, 0x1c00
	s_mov_b32 s5, 0
	s_lshl_b64 s[4:5], s[4:5], 1
	s_add_u32 s6, s6, s4
	s_mul_i32 s8, s40, s38
	s_addc_u32 s7, s7, s5
	s_add_u32 s8, s8, s2
	s_addc_u32 s9, s9, 0
	s_add_u32 s10, s42, -1
	s_addc_u32 s11, s43, -1
	s_cmp_eq_u64 s[8:9], s[10:11]
	s_cselect_b64 s[34:35], -1, 0
	s_cmp_lg_u64 s[8:9], s[10:11]
	s_cselect_b64 s[4:5], -1, 0
	s_mul_i32 s33, s10, 0xffffe400
	s_and_b64 vcc, exec, s[34:35]
	s_cbranch_vccnz .LBB599_2
; %bb.1:
	v_lshlrev_b32_e32 v2, 1, v0
	v_mov_b32_e32 v3, 0
	v_lshl_add_u64 v[4:5], s[6:7], 0, v[2:3]
	v_add_co_u32_e32 v6, vcc, 0x1000, v4
	global_load_ushort v1, v2, s[6:7]
	global_load_ushort v3, v2, s[6:7] offset:1024
	global_load_ushort v10, v2, s[6:7] offset:2048
	;; [unrolled: 1-line block ×3, first 2 shown]
	v_addc_co_u32_e32 v7, vcc, 0, v5, vcc
	v_add_co_u32_e32 v8, vcc, 0x2000, v4
	s_nop 1
	v_addc_co_u32_e32 v9, vcc, 0, v5, vcc
	v_add_co_u32_e32 v4, vcc, 0x3000, v4
	global_load_ushort v12, v[6:7], off
	global_load_ushort v13, v[6:7], off offset:1024
	global_load_ushort v14, v[6:7], off offset:2048
	;; [unrolled: 1-line block ×3, first 2 shown]
	global_load_ushort v16, v[8:9], off
	global_load_ushort v17, v[8:9], off offset:1024
	global_load_ushort v18, v[8:9], off offset:2048
	;; [unrolled: 1-line block ×3, first 2 shown]
	v_addc_co_u32_e32 v5, vcc, 0, v5, vcc
	global_load_ushort v6, v[4:5], off
	global_load_ushort v7, v[4:5], off offset:1024
	v_mad_u32_u24 v4, v0, 26, v2
	s_mov_b64 s[10:11], -1
	s_waitcnt vmcnt(13)
	ds_write_b16 v2, v1
	s_waitcnt vmcnt(12)
	ds_write_b16 v2, v3 offset:1024
	s_waitcnt vmcnt(11)
	ds_write_b16 v2, v10 offset:2048
	;; [unrolled: 2-line block ×13, first 2 shown]
	s_waitcnt lgkmcnt(0)
	s_barrier
	ds_read2_b32 v[12:13], v4 offset1:1
	ds_read2_b32 v[10:11], v4 offset0:2 offset1:3
	ds_read2_b32 v[8:9], v4 offset0:4 offset1:5
	ds_read_b32 v1, v4 offset:24
	s_add_i32 s33, s33, s28
	s_cbranch_execz .LBB599_3
	s_branch .LBB599_32
.LBB599_2:
	s_mov_b64 s[10:11], 0
                                        ; implicit-def: $vgpr12
                                        ; implicit-def: $vgpr10
                                        ; implicit-def: $vgpr8
                                        ; implicit-def: $vgpr1
	s_add_i32 s33, s33, s28
	s_andn2_b64 vcc, exec, s[12:13]
	s_cbranch_vccnz .LBB599_32
.LBB599_3:
	v_cmp_gt_u32_e32 vcc, s33, v0
                                        ; implicit-def: $vgpr1
	s_and_saveexec_b64 s[10:11], vcc
	s_cbranch_execz .LBB599_5
; %bb.4:
	s_waitcnt lgkmcnt(0)
	v_lshlrev_b32_e32 v1, 1, v0
	global_load_ushort v1, v1, s[6:7]
.LBB599_5:
	s_or_b64 exec, exec, s[10:11]
	v_or_b32_e32 v2, 0x200, v0
	v_cmp_gt_u32_e32 vcc, s33, v2
                                        ; implicit-def: $vgpr2
	s_and_saveexec_b64 s[10:11], vcc
	s_cbranch_execz .LBB599_7
; %bb.6:
	v_lshlrev_b32_e32 v2, 1, v0
	global_load_ushort v2, v2, s[6:7] offset:1024
.LBB599_7:
	s_or_b64 exec, exec, s[10:11]
	v_or_b32_e32 v3, 0x400, v0
	v_cmp_gt_u32_e32 vcc, s33, v3
                                        ; implicit-def: $vgpr3
	s_and_saveexec_b64 s[10:11], vcc
	s_cbranch_execz .LBB599_9
; %bb.8:
	v_lshlrev_b32_e32 v3, 1, v0
	global_load_ushort v3, v3, s[6:7] offset:2048
.LBB599_9:
	s_or_b64 exec, exec, s[10:11]
	v_or_b32_e32 v4, 0x600, v0
	v_cmp_gt_u32_e32 vcc, s33, v4
                                        ; implicit-def: $vgpr4
	s_and_saveexec_b64 s[10:11], vcc
	s_cbranch_execz .LBB599_11
; %bb.10:
	v_lshlrev_b32_e32 v4, 1, v0
	global_load_ushort v4, v4, s[6:7] offset:3072
.LBB599_11:
	s_or_b64 exec, exec, s[10:11]
	v_or_b32_e32 v6, 0x800, v0
	v_cmp_gt_u32_e32 vcc, s33, v6
                                        ; implicit-def: $vgpr5
	s_and_saveexec_b64 s[10:11], vcc
	s_cbranch_execz .LBB599_13
; %bb.12:
	v_lshlrev_b32_e32 v5, 1, v6
	global_load_ushort v5, v5, s[6:7]
.LBB599_13:
	s_or_b64 exec, exec, s[10:11]
	v_or_b32_e32 v7, 0xa00, v0
	v_cmp_gt_u32_e32 vcc, s33, v7
                                        ; implicit-def: $vgpr6
	s_and_saveexec_b64 s[10:11], vcc
	s_cbranch_execz .LBB599_15
; %bb.14:
	v_lshlrev_b32_e32 v6, 1, v7
	global_load_ushort v6, v6, s[6:7]
.LBB599_15:
	s_or_b64 exec, exec, s[10:11]
	s_waitcnt lgkmcnt(1)
	v_or_b32_e32 v8, 0xc00, v0
	v_cmp_gt_u32_e32 vcc, s33, v8
                                        ; implicit-def: $vgpr7
	s_and_saveexec_b64 s[10:11], vcc
	s_cbranch_execz .LBB599_17
; %bb.16:
	v_lshlrev_b32_e32 v7, 1, v8
	global_load_ushort v7, v7, s[6:7]
.LBB599_17:
	s_or_b64 exec, exec, s[10:11]
	v_or_b32_e32 v9, 0xe00, v0
	v_cmp_gt_u32_e32 vcc, s33, v9
                                        ; implicit-def: $vgpr8
	s_and_saveexec_b64 s[10:11], vcc
	s_cbranch_execz .LBB599_19
; %bb.18:
	v_lshlrev_b32_e32 v8, 1, v9
	global_load_ushort v8, v8, s[6:7]
.LBB599_19:
	s_or_b64 exec, exec, s[10:11]
	v_or_b32_e32 v10, 0x1000, v0
	v_cmp_gt_u32_e32 vcc, s33, v10
                                        ; implicit-def: $vgpr9
	s_and_saveexec_b64 s[10:11], vcc
	s_cbranch_execz .LBB599_21
; %bb.20:
	v_lshlrev_b32_e32 v9, 1, v10
	global_load_ushort v9, v9, s[6:7]
.LBB599_21:
	s_or_b64 exec, exec, s[10:11]
	v_or_b32_e32 v11, 0x1200, v0
	v_cmp_gt_u32_e32 vcc, s33, v11
                                        ; implicit-def: $vgpr10
	s_and_saveexec_b64 s[10:11], vcc
	s_cbranch_execz .LBB599_23
; %bb.22:
	v_lshlrev_b32_e32 v10, 1, v11
	global_load_ushort v10, v10, s[6:7]
.LBB599_23:
	s_or_b64 exec, exec, s[10:11]
	v_or_b32_e32 v12, 0x1400, v0
	v_cmp_gt_u32_e32 vcc, s33, v12
                                        ; implicit-def: $vgpr11
	s_and_saveexec_b64 s[10:11], vcc
	s_cbranch_execz .LBB599_25
; %bb.24:
	v_lshlrev_b32_e32 v11, 1, v12
	global_load_ushort v11, v11, s[6:7]
.LBB599_25:
	s_or_b64 exec, exec, s[10:11]
	v_or_b32_e32 v13, 0x1600, v0
	v_cmp_gt_u32_e32 vcc, s33, v13
                                        ; implicit-def: $vgpr12
	s_and_saveexec_b64 s[10:11], vcc
	s_cbranch_execz .LBB599_27
; %bb.26:
	v_lshlrev_b32_e32 v12, 1, v13
	global_load_ushort v12, v12, s[6:7]
.LBB599_27:
	s_or_b64 exec, exec, s[10:11]
	v_or_b32_e32 v14, 0x1800, v0
	v_cmp_gt_u32_e32 vcc, s33, v14
                                        ; implicit-def: $vgpr13
	s_and_saveexec_b64 s[10:11], vcc
	s_cbranch_execz .LBB599_29
; %bb.28:
	v_lshlrev_b32_e32 v13, 1, v14
	global_load_ushort v13, v13, s[6:7]
.LBB599_29:
	s_or_b64 exec, exec, s[10:11]
	v_or_b32_e32 v15, 0x1a00, v0
	v_cmp_gt_u32_e32 vcc, s33, v15
                                        ; implicit-def: $vgpr14
	s_and_saveexec_b64 s[10:11], vcc
	s_cbranch_execz .LBB599_31
; %bb.30:
	v_lshlrev_b32_e32 v14, 1, v15
	global_load_ushort v14, v14, s[6:7]
.LBB599_31:
	s_or_b64 exec, exec, s[10:11]
	v_lshlrev_b32_e32 v15, 1, v0
	s_waitcnt vmcnt(0) lgkmcnt(0)
	ds_write_b16 v15, v1
	ds_write_b16 v15, v2 offset:1024
	ds_write_b16 v15, v3 offset:2048
	;; [unrolled: 1-line block ×13, first 2 shown]
	v_mad_u32_u24 v1, v0, 26, v15
	s_waitcnt lgkmcnt(0)
	s_barrier
	ds_read2_b32 v[12:13], v1 offset1:1
	ds_read2_b32 v[10:11], v1 offset0:2 offset1:3
	ds_read2_b32 v[8:9], v1 offset0:4 offset1:5
	ds_read_b32 v1, v1 offset:24
	v_mad_u32_u24 v2, v0, 14, 13
	v_cmp_gt_u32_e64 s[10:11], s33, v2
.LBB599_32:
	v_mov_b32_e32 v44, s3
                                        ; implicit-def: $vgpr45
	s_and_saveexec_b64 s[12:13], s[10:11]
; %bb.33:
	v_mov_b32_e32 v45, s3
; %bb.34:
	s_or_b64 exec, exec, s[12:13]
	s_load_dwordx2 s[48:49], s[0:1], 0x70
	s_cmp_eq_u64 s[8:9], 0
	s_cselect_b64 s[44:45], -1, 0
	s_cmp_lg_u64 s[8:9], 0
	s_mov_b64 s[10:11], 0
	s_cselect_b64 s[12:13], -1, 0
	s_and_b64 vcc, exec, s[4:5]
	s_waitcnt lgkmcnt(0)
	s_barrier
	s_cbranch_vccz .LBB599_40
; %bb.35:
	s_and_b64 vcc, exec, s[12:13]
	s_cbranch_vccz .LBB599_41
; %bb.36:
	v_mov_b32_e32 v2, 0
	global_load_ushort v2, v2, s[6:7] offset:-2
	v_lshrrev_b32_e32 v4, 16, v1
	v_lshlrev_b32_e32 v3, 1, v0
	v_cmp_ne_u16_e32 vcc, v1, v4
	v_cmp_ne_u16_sdwa s[10:11], v9, v1 src0_sel:WORD_1 src1_sel:DWORD
	v_cmp_ne_u16_sdwa s[14:15], v9, v9 src0_sel:DWORD src1_sel:WORD_1
	v_cmp_ne_u16_sdwa s[16:17], v8, v9 src0_sel:WORD_1 src1_sel:DWORD
	v_cmp_ne_u16_sdwa s[18:19], v8, v8 src0_sel:DWORD src1_sel:WORD_1
	;; [unrolled: 2-line block ×6, first 2 shown]
	v_cmp_ne_u32_e64 s[4:5], 0, v0
	ds_write_b16 v3, v4
	s_waitcnt lgkmcnt(0)
	s_barrier
	s_and_saveexec_b64 s[52:53], s[4:5]
	s_cbranch_execz .LBB599_38
; %bb.37:
	s_waitcnt vmcnt(0)
	v_add_u32_e32 v2, -2, v3
	ds_read_u16 v2, v2
.LBB599_38:
	s_or_b64 exec, exec, s[52:53]
	v_cndmask_b32_e64 v48, 0, 1, vcc
	v_cndmask_b32_e64 v49, 0, 1, s[10:11]
	v_cndmask_b32_e64 v50, 0, 1, s[14:15]
	;; [unrolled: 1-line block ×12, first 2 shown]
	s_waitcnt vmcnt(0) lgkmcnt(0)
	v_cmp_ne_u16_e64 s[4:5], v2, v12
	s_mov_b64 s[10:11], -1
.LBB599_39:
                                        ; implicit-def: $sgpr3
	s_branch .LBB599_53
.LBB599_40:
                                        ; implicit-def: $sgpr4_sgpr5
                                        ; implicit-def: $vgpr48
                                        ; implicit-def: $vgpr49
                                        ; implicit-def: $vgpr50
                                        ; implicit-def: $vgpr51
                                        ; implicit-def: $vgpr52
                                        ; implicit-def: $vgpr53
                                        ; implicit-def: $vgpr54
                                        ; implicit-def: $vgpr55
                                        ; implicit-def: $vgpr56
                                        ; implicit-def: $vgpr57
                                        ; implicit-def: $vgpr58
                                        ; implicit-def: $vgpr59
                                        ; implicit-def: $vgpr60
                                        ; implicit-def: $sgpr3
	s_cbranch_execnz .LBB599_45
	s_branch .LBB599_53
.LBB599_41:
                                        ; implicit-def: $sgpr4_sgpr5
                                        ; implicit-def: $vgpr48
                                        ; implicit-def: $vgpr49
                                        ; implicit-def: $vgpr50
                                        ; implicit-def: $vgpr51
                                        ; implicit-def: $vgpr52
                                        ; implicit-def: $vgpr53
                                        ; implicit-def: $vgpr54
                                        ; implicit-def: $vgpr55
                                        ; implicit-def: $vgpr56
                                        ; implicit-def: $vgpr57
                                        ; implicit-def: $vgpr58
                                        ; implicit-def: $vgpr59
                                        ; implicit-def: $vgpr60
	s_cbranch_execz .LBB599_39
; %bb.42:
	v_cmp_ne_u16_sdwa s[4:5], v9, v1 src0_sel:WORD_1 src1_sel:DWORD
	v_lshrrev_b32_e32 v3, 16, v1
	v_cmp_ne_u16_e32 vcc, v1, v3
	v_cndmask_b32_e64 v49, 0, 1, s[4:5]
	v_cmp_ne_u16_sdwa s[4:5], v9, v9 src0_sel:DWORD src1_sel:WORD_1
	s_mov_b32 s3, 1
	v_lshlrev_b32_e32 v2, 1, v0
	v_cndmask_b32_e64 v50, 0, 1, s[4:5]
	v_cmp_ne_u16_sdwa s[4:5], v8, v9 src0_sel:WORD_1 src1_sel:DWORD
	v_cndmask_b32_e64 v48, 0, 1, vcc
	v_cmp_ne_u32_e32 vcc, 0, v0
	v_cndmask_b32_e64 v51, 0, 1, s[4:5]
	v_cmp_ne_u16_sdwa s[4:5], v8, v8 src0_sel:DWORD src1_sel:WORD_1
	ds_write_b16 v2, v3
	s_waitcnt lgkmcnt(0)
	v_cndmask_b32_e64 v52, 0, 1, s[4:5]
	v_cmp_ne_u16_sdwa s[4:5], v11, v8 src0_sel:WORD_1 src1_sel:DWORD
	s_barrier
	s_nop 0
	v_cndmask_b32_e64 v53, 0, 1, s[4:5]
	v_cmp_ne_u16_sdwa s[4:5], v11, v11 src0_sel:DWORD src1_sel:WORD_1
	s_nop 1
	v_cndmask_b32_e64 v54, 0, 1, s[4:5]
	v_cmp_ne_u16_sdwa s[4:5], v10, v11 src0_sel:WORD_1 src1_sel:DWORD
	s_nop 1
	v_cndmask_b32_e64 v55, 0, 1, s[4:5]
	v_cmp_ne_u16_sdwa s[4:5], v10, v10 src0_sel:DWORD src1_sel:WORD_1
	s_nop 1
	v_cndmask_b32_e64 v56, 0, 1, s[4:5]
	v_cmp_ne_u16_sdwa s[4:5], v13, v10 src0_sel:WORD_1 src1_sel:DWORD
	;; [unrolled: 6-line block ×3, first 2 shown]
	s_nop 1
	v_cndmask_b32_e64 v59, 0, 1, s[4:5]
	v_cmp_ne_u16_sdwa s[4:5], v12, v12 src0_sel:DWORD src1_sel:WORD_1
	s_nop 1
	v_cndmask_b32_e64 v60, 0, 1, s[4:5]
                                        ; implicit-def: $sgpr4_sgpr5
	s_and_saveexec_b64 s[14:15], vcc
	s_xor_b64 s[14:15], exec, s[14:15]
	s_cbranch_execz .LBB599_44
; %bb.43:
	v_add_u32_e32 v2, -2, v2
	ds_read_u16 v2, v2
	s_or_b64 s[10:11], s[10:11], exec
	s_waitcnt lgkmcnt(0)
	v_cmp_ne_u16_e32 vcc, v2, v12
	s_and_b64 s[4:5], vcc, exec
.LBB599_44:
	s_or_b64 exec, exec, s[14:15]
	s_branch .LBB599_53
.LBB599_45:
	s_mul_hi_u32 s4, s8, 0xffffe400
	s_mul_i32 s3, s9, 0xffffe400
	s_sub_i32 s4, s4, s8
	s_add_i32 s4, s4, s3
	s_mul_i32 s3, s8, 0xffffe400
	s_add_u32 s8, s3, s28
	s_addc_u32 s9, s4, s29
	s_and_b64 vcc, exec, s[12:13]
	s_cbranch_vccz .LBB599_50
; %bb.46:
	v_mov_b32_e32 v3, 0
	global_load_ushort v6, v3, s[6:7] offset:-2
	v_lshrrev_b32_e32 v7, 16, v1
	v_mad_u32_u24 v2, v0, 14, 13
	v_cmp_gt_u64_e32 vcc, s[8:9], v[2:3]
	v_cmp_ne_u16_e64 s[4:5], v1, v7
	v_mad_u32_u24 v2, v0, 14, 12
	s_and_b64 s[4:5], vcc, s[4:5]
	v_cmp_gt_u64_e32 vcc, s[8:9], v[2:3]
	v_cmp_ne_u16_sdwa s[6:7], v9, v1 src0_sel:WORD_1 src1_sel:DWORD
	v_mad_u32_u24 v2, v0, 14, 11
	s_and_b64 s[6:7], vcc, s[6:7]
	v_cmp_gt_u64_e32 vcc, s[8:9], v[2:3]
	v_cmp_ne_u16_sdwa s[10:11], v9, v9 src0_sel:DWORD src1_sel:WORD_1
	v_mad_u32_u24 v2, v0, 14, 10
	s_and_b64 s[10:11], vcc, s[10:11]
	v_cmp_gt_u64_e32 vcc, s[8:9], v[2:3]
	v_cmp_ne_u16_sdwa s[12:13], v8, v9 src0_sel:WORD_1 src1_sel:DWORD
	v_mad_u32_u24 v2, v0, 14, 9
	s_and_b64 s[12:13], vcc, s[12:13]
	v_cmp_gt_u64_e32 vcc, s[8:9], v[2:3]
	v_cmp_ne_u16_sdwa s[14:15], v8, v8 src0_sel:DWORD src1_sel:WORD_1
	v_mad_u32_u24 v2, v0, 14, 8
	s_and_b64 s[14:15], vcc, s[14:15]
	v_cmp_gt_u64_e32 vcc, s[8:9], v[2:3]
	v_cmp_ne_u16_sdwa s[16:17], v11, v8 src0_sel:WORD_1 src1_sel:DWORD
	v_mad_u32_u24 v2, v0, 14, 7
	s_and_b64 s[16:17], vcc, s[16:17]
	v_cmp_gt_u64_e32 vcc, s[8:9], v[2:3]
	v_cmp_ne_u16_sdwa s[18:19], v11, v11 src0_sel:DWORD src1_sel:WORD_1
	v_mad_u32_u24 v2, v0, 14, 6
	s_and_b64 s[18:19], vcc, s[18:19]
	v_cmp_gt_u64_e32 vcc, s[8:9], v[2:3]
	v_cmp_ne_u16_sdwa s[20:21], v10, v11 src0_sel:WORD_1 src1_sel:DWORD
	v_mad_u32_u24 v2, v0, 14, 5
	s_and_b64 s[20:21], vcc, s[20:21]
	v_cmp_gt_u64_e32 vcc, s[8:9], v[2:3]
	v_cmp_ne_u16_sdwa s[22:23], v10, v10 src0_sel:DWORD src1_sel:WORD_1
	v_mad_u32_u24 v2, v0, 14, 4
	s_and_b64 s[22:23], vcc, s[22:23]
	v_cmp_gt_u64_e32 vcc, s[8:9], v[2:3]
	v_cmp_ne_u16_sdwa s[24:25], v13, v10 src0_sel:WORD_1 src1_sel:DWORD
	v_mad_u32_u24 v2, v0, 14, 3
	v_mul_u32_u24_e32 v4, 14, v0
	s_and_b64 s[24:25], vcc, s[24:25]
	v_cmp_gt_u64_e32 vcc, s[8:9], v[2:3]
	v_cmp_ne_u16_sdwa s[26:27], v13, v13 src0_sel:DWORD src1_sel:WORD_1
	v_mad_u32_u24 v2, v0, 14, 2
	s_and_b64 s[26:27], vcc, s[26:27]
	v_cmp_gt_u64_e32 vcc, s[8:9], v[2:3]
	v_cmp_ne_u16_sdwa s[28:29], v12, v13 src0_sel:WORD_1 src1_sel:DWORD
	v_or_b32_e32 v2, 1, v4
	s_and_b64 s[28:29], vcc, s[28:29]
	v_cmp_gt_u64_e32 vcc, s[8:9], v[2:3]
	v_cmp_ne_u16_sdwa s[40:41], v12, v12 src0_sel:DWORD src1_sel:WORD_1
	v_lshlrev_b32_e32 v5, 1, v0
	s_and_b64 s[40:41], vcc, s[40:41]
	v_cmp_ne_u32_e32 vcc, 0, v0
	ds_write_b16 v5, v7
	s_waitcnt lgkmcnt(0)
	s_barrier
	s_and_saveexec_b64 s[42:43], vcc
	s_cbranch_execz .LBB599_48
; %bb.47:
	v_add_u32_e32 v2, -2, v5
	s_waitcnt vmcnt(0)
	ds_read_u16 v6, v2
.LBB599_48:
	s_or_b64 exec, exec, s[42:43]
	v_mov_b32_e32 v5, v3
	v_cndmask_b32_e64 v48, 0, 1, s[4:5]
	v_cmp_gt_u64_e32 vcc, s[8:9], v[4:5]
	s_waitcnt vmcnt(0) lgkmcnt(0)
	v_cmp_ne_u16_e64 s[4:5], v6, v12
	v_cndmask_b32_e64 v49, 0, 1, s[6:7]
	v_cndmask_b32_e64 v50, 0, 1, s[10:11]
	;; [unrolled: 1-line block ×12, first 2 shown]
	s_and_b64 s[4:5], vcc, s[4:5]
	s_mov_b64 s[10:11], -1
.LBB599_49:
                                        ; implicit-def: $sgpr3
	v_mov_b32_e32 v61, s3
	s_and_saveexec_b64 s[6:7], s[10:11]
	s_cbranch_execnz .LBB599_54
	s_branch .LBB599_55
.LBB599_50:
                                        ; implicit-def: $sgpr4_sgpr5
                                        ; implicit-def: $vgpr48
                                        ; implicit-def: $vgpr49
                                        ; implicit-def: $vgpr50
                                        ; implicit-def: $vgpr51
                                        ; implicit-def: $vgpr52
                                        ; implicit-def: $vgpr53
                                        ; implicit-def: $vgpr54
                                        ; implicit-def: $vgpr55
                                        ; implicit-def: $vgpr56
                                        ; implicit-def: $vgpr57
                                        ; implicit-def: $vgpr58
                                        ; implicit-def: $vgpr59
                                        ; implicit-def: $vgpr60
	s_cbranch_execz .LBB599_49
; %bb.51:
	v_lshrrev_b32_e32 v6, 16, v1
	v_mad_u32_u24 v4, v0, 14, 13
	v_mov_b32_e32 v5, 0
	v_cmp_gt_u64_e32 vcc, s[8:9], v[4:5]
	v_cmp_ne_u16_e64 s[4:5], v1, v6
	s_and_b64 s[4:5], vcc, s[4:5]
	v_mad_u32_u24 v4, v0, 14, 12
	v_cndmask_b32_e64 v48, 0, 1, s[4:5]
	v_cmp_gt_u64_e32 vcc, s[8:9], v[4:5]
	v_cmp_ne_u16_sdwa s[4:5], v9, v1 src0_sel:WORD_1 src1_sel:DWORD
	s_and_b64 s[4:5], vcc, s[4:5]
	v_mad_u32_u24 v4, v0, 14, 11
	v_cndmask_b32_e64 v49, 0, 1, s[4:5]
	v_cmp_gt_u64_e32 vcc, s[8:9], v[4:5]
	v_cmp_ne_u16_sdwa s[4:5], v9, v9 src0_sel:DWORD src1_sel:WORD_1
	s_and_b64 s[4:5], vcc, s[4:5]
	v_mad_u32_u24 v4, v0, 14, 10
	v_cndmask_b32_e64 v50, 0, 1, s[4:5]
	v_cmp_gt_u64_e32 vcc, s[8:9], v[4:5]
	v_cmp_ne_u16_sdwa s[4:5], v8, v9 src0_sel:WORD_1 src1_sel:DWORD
	s_and_b64 s[4:5], vcc, s[4:5]
	v_mad_u32_u24 v4, v0, 14, 9
	v_cndmask_b32_e64 v51, 0, 1, s[4:5]
	v_cmp_gt_u64_e32 vcc, s[8:9], v[4:5]
	v_cmp_ne_u16_sdwa s[4:5], v8, v8 src0_sel:DWORD src1_sel:WORD_1
	;; [unrolled: 10-line block ×5, first 2 shown]
	s_and_b64 s[4:5], vcc, s[4:5]
	v_mad_u32_u24 v4, v0, 14, 2
	v_mul_u32_u24_e32 v2, 14, v0
	v_cndmask_b32_e64 v58, 0, 1, s[4:5]
	v_cmp_gt_u64_e32 vcc, s[8:9], v[4:5]
	v_cmp_ne_u16_sdwa s[4:5], v12, v13 src0_sel:WORD_1 src1_sel:DWORD
	s_and_b64 s[4:5], vcc, s[4:5]
	v_or_b32_e32 v4, 1, v2
	v_cndmask_b32_e64 v59, 0, 1, s[4:5]
	v_cmp_gt_u64_e32 vcc, s[8:9], v[4:5]
	v_cmp_ne_u16_sdwa s[4:5], v12, v12 src0_sel:DWORD src1_sel:WORD_1
	s_and_b64 s[4:5], vcc, s[4:5]
	s_mov_b32 s3, 1
	v_lshlrev_b32_e32 v3, 1, v0
	v_cndmask_b32_e64 v60, 0, 1, s[4:5]
	v_cmp_ne_u32_e32 vcc, 0, v0
	ds_write_b16 v3, v6
	s_waitcnt lgkmcnt(0)
	s_barrier
	s_waitcnt lgkmcnt(0)
                                        ; implicit-def: $sgpr4_sgpr5
	s_and_saveexec_b64 s[6:7], vcc
	s_cbranch_execz .LBB599_148
; %bb.52:
	v_add_u32_e32 v3, -2, v3
	ds_read_u16 v4, v3
	v_mov_b32_e32 v3, v5
	v_cmp_gt_u64_e32 vcc, s[8:9], v[2:3]
	s_or_b64 s[10:11], s[10:11], exec
	s_waitcnt lgkmcnt(0)
	v_cmp_ne_u16_e64 s[4:5], v4, v12
	s_and_b64 s[4:5], vcc, s[4:5]
	s_and_b64 s[4:5], s[4:5], exec
	s_or_b64 exec, exec, s[6:7]
.LBB599_53:
	v_mov_b32_e32 v61, s3
	s_and_saveexec_b64 s[6:7], s[10:11]
.LBB599_54:
	v_cndmask_b32_e64 v61, 0, 1, s[4:5]
.LBB599_55:
	s_or_b64 exec, exec, s[6:7]
	s_load_dwordx4 s[40:43], s[0:1], 0x20
	s_load_dwordx2 s[46:47], s[0:1], 0x30
	s_cmp_eq_u64 s[38:39], 0
	v_add_u32_e32 v2, v60, v61
	s_cselect_b64 s[38:39], -1, 0
	s_cmp_lg_u32 s2, 0
	v_cmp_eq_u32_e64 s[22:23], 0, v60
	v_cmp_eq_u32_e64 s[20:21], 0, v59
	v_add3_u32 v63, v2, v59, v58
	v_cmp_eq_u32_e64 s[18:19], 0, v58
	v_cmp_eq_u32_e64 s[16:17], 0, v57
	;; [unrolled: 1-line block ×10, first 2 shown]
	v_cmp_eq_u32_e32 vcc, 0, v48
	v_mbcnt_lo_u32_b32 v62, -1, 0
	v_lshrrev_b32_e32 v46, 6, v0
	v_or_b32_e32 v47, 63, v0
	s_cbranch_scc0 .LBB599_86
; %bb.56:
	v_cndmask_b32_e64 v2, 0, v44, s[22:23]
	v_add_u32_e32 v2, v2, v44
	v_cndmask_b32_e64 v2, 0, v2, s[20:21]
	v_add_u32_e32 v2, v2, v44
	;; [unrolled: 2-line block ×10, first 2 shown]
	v_cndmask_b32_e64 v2, 0, v2, s[26:27]
	v_add3_u32 v3, v63, v57, v56
	v_add_u32_e32 v2, v2, v44
	v_add3_u32 v3, v3, v55, v54
	v_cndmask_b32_e64 v2, 0, v2, s[0:1]
	v_add3_u32 v3, v3, v53, v52
	v_add_u32_e32 v2, v2, v44
	v_add3_u32 v3, v3, v51, v50
	v_cndmask_b32_e32 v2, 0, v2, vcc
	v_add3_u32 v3, v3, v49, v48
	v_add_u32_e32 v2, v2, v45
	v_mbcnt_hi_u32_b32 v17, -1, v62
	v_and_b32_e32 v4, 15, v17
	v_mov_b32_dpp v6, v2 row_shr:1 row_mask:0xf bank_mask:0xf
	v_cmp_eq_u32_e32 vcc, 0, v3
	v_mov_b32_dpp v5, v3 row_shr:1 row_mask:0xf bank_mask:0xf
	v_cmp_lt_u32_e64 s[24:25], 1, v4
	v_cndmask_b32_e32 v6, 0, v6, vcc
	v_cmp_eq_u32_e32 vcc, 0, v4
	s_nop 1
	v_cndmask_b32_e64 v5, v5, 0, vcc
	v_add_u32_e32 v3, v5, v3
	v_cndmask_b32_e64 v5, v6, 0, vcc
	v_add_u32_e32 v2, v5, v2
	v_cmp_eq_u32_e32 vcc, 0, v3
	v_mov_b32_dpp v5, v3 row_shr:2 row_mask:0xf bank_mask:0xf
	v_mov_b32_dpp v6, v2 row_shr:2 row_mask:0xf bank_mask:0xf
	v_cndmask_b32_e64 v5, 0, v5, s[24:25]
	s_and_b64 vcc, s[24:25], vcc
	v_cndmask_b32_e32 v6, 0, v6, vcc
	v_add_u32_e32 v3, v3, v5
	v_add_u32_e32 v2, v6, v2
	v_cmp_eq_u32_e32 vcc, 0, v3
	v_mov_b32_dpp v5, v3 row_shr:4 row_mask:0xf bank_mask:0xf
	v_cmp_lt_u32_e64 s[24:25], 3, v4
	v_mov_b32_dpp v6, v2 row_shr:4 row_mask:0xf bank_mask:0xf
	s_and_b64 vcc, s[24:25], vcc
	v_cndmask_b32_e64 v5, 0, v5, s[24:25]
	v_cndmask_b32_e32 v6, 0, v6, vcc
	v_add_u32_e32 v3, v5, v3
	v_add_u32_e32 v2, v2, v6
	v_cmp_eq_u32_e32 vcc, 0, v3
	v_cmp_lt_u32_e64 s[24:25], 7, v4
	v_mov_b32_dpp v5, v3 row_shr:8 row_mask:0xf bank_mask:0xf
	v_mov_b32_dpp v6, v2 row_shr:8 row_mask:0xf bank_mask:0xf
	s_and_b64 vcc, s[24:25], vcc
	v_cndmask_b32_e64 v4, 0, v5, s[24:25]
	v_cndmask_b32_e32 v5, 0, v6, vcc
	v_add_u32_e32 v2, v5, v2
	v_add_u32_e32 v3, v4, v3
	v_bfe_i32 v6, v17, 4, 1
	v_mov_b32_dpp v5, v2 row_bcast:15 row_mask:0xf bank_mask:0xf
	v_mov_b32_dpp v4, v3 row_bcast:15 row_mask:0xf bank_mask:0xf
	v_cmp_eq_u32_e32 vcc, 0, v3
	v_and_b32_e32 v4, v6, v4
	v_add_u32_e32 v3, v4, v3
	v_cndmask_b32_e32 v5, 0, v5, vcc
	v_and_b32_e32 v4, v6, v5
	v_add_u32_e32 v4, v4, v2
	v_mov_b32_dpp v2, v3 row_bcast:31 row_mask:0xf bank_mask:0xf
	v_cmp_eq_u32_e32 vcc, 0, v3
	v_cmp_lt_u32_e64 s[24:25], 31, v17
	v_mov_b32_dpp v5, v4 row_bcast:31 row_mask:0xf bank_mask:0xf
	s_and_b64 vcc, s[24:25], vcc
	v_cndmask_b32_e64 v2, 0, v2, s[24:25]
	v_add_u32_e32 v2, v2, v3
	v_cndmask_b32_e32 v3, 0, v5, vcc
	v_add_u32_e32 v3, v3, v4
	v_cmp_eq_u32_e32 vcc, v47, v0
	v_lshlrev_b32_e32 v4, 3, v46
	s_and_saveexec_b64 s[24:25], vcc
	s_cbranch_execz .LBB599_58
; %bb.57:
	ds_write_b64 v4, v[2:3] offset:2064
.LBB599_58:
	s_or_b64 exec, exec, s[24:25]
	v_cmp_gt_u32_e32 vcc, 8, v0
	s_waitcnt lgkmcnt(0)
	s_barrier
	s_and_saveexec_b64 s[28:29], vcc
	s_cbranch_execz .LBB599_60
; %bb.59:
	v_lshlrev_b32_e32 v5, 3, v0
	ds_read_b64 v[6:7], v5 offset:2064
	v_and_b32_e32 v14, 7, v17
	v_cmp_lt_u32_e64 s[24:25], 1, v14
	s_waitcnt lgkmcnt(0)
	v_mov_b32_dpp v16, v7 row_shr:1 row_mask:0xf bank_mask:0xf
	v_cmp_eq_u32_e32 vcc, 0, v6
	v_mov_b32_dpp v15, v6 row_shr:1 row_mask:0xf bank_mask:0xf
	s_nop 0
	v_cndmask_b32_e32 v16, 0, v16, vcc
	v_cmp_eq_u32_e32 vcc, 0, v14
	s_nop 1
	v_cndmask_b32_e64 v15, v15, 0, vcc
	v_add_u32_e32 v6, v15, v6
	v_cndmask_b32_e64 v15, v16, 0, vcc
	v_add_u32_e32 v7, v15, v7
	v_cmp_eq_u32_e32 vcc, 0, v6
	v_mov_b32_dpp v15, v6 row_shr:2 row_mask:0xf bank_mask:0xf
	v_mov_b32_dpp v16, v7 row_shr:2 row_mask:0xf bank_mask:0xf
	v_cndmask_b32_e64 v15, 0, v15, s[24:25]
	s_and_b64 vcc, s[24:25], vcc
	v_cndmask_b32_e32 v16, 0, v16, vcc
	v_add_u32_e32 v6, v15, v6
	v_add_u32_e32 v7, v16, v7
	v_cmp_eq_u32_e32 vcc, 0, v6
	v_mov_b32_dpp v15, v6 row_shr:4 row_mask:0xf bank_mask:0xf
	v_cmp_lt_u32_e64 s[24:25], 3, v14
	v_mov_b32_dpp v16, v7 row_shr:4 row_mask:0xf bank_mask:0xf
	s_and_b64 vcc, s[24:25], vcc
	v_cndmask_b32_e64 v14, 0, v15, s[24:25]
	v_add_u32_e32 v6, v14, v6
	v_cndmask_b32_e32 v14, 0, v16, vcc
	v_add_u32_e32 v7, v14, v7
	ds_write_b64 v5, v[6:7] offset:2064
.LBB599_60:
	s_or_b64 exec, exec, s[28:29]
	v_cmp_gt_u32_e32 vcc, 64, v0
	v_cmp_lt_u32_e64 s[24:25], 63, v0
	v_mov_b32_e32 v14, 0
	v_mov_b32_e32 v15, 0
	s_waitcnt lgkmcnt(0)
	s_barrier
	s_and_saveexec_b64 s[28:29], s[24:25]
	s_cbranch_execz .LBB599_62
; %bb.61:
	ds_read_b64 v[14:15], v4 offset:2056
	v_cmp_eq_u32_e64 s[24:25], 0, v2
	s_waitcnt lgkmcnt(0)
	v_add_u32_e32 v4, v14, v2
	v_cndmask_b32_e64 v2, 0, v15, s[24:25]
	v_add_u32_e32 v3, v2, v3
	v_mov_b32_e32 v2, v4
.LBB599_62:
	s_or_b64 exec, exec, s[28:29]
	v_add_u32_e32 v4, -1, v17
	v_and_b32_e32 v5, 64, v17
	v_cmp_lt_i32_e64 s[24:25], v4, v5
	s_nop 1
	v_cndmask_b32_e64 v4, v4, v17, s[24:25]
	v_lshlrev_b32_e32 v4, 2, v4
	ds_bpermute_b32 v22, v4, v2
	ds_bpermute_b32 v23, v4, v3
	v_cmp_eq_u32_e64 s[24:25], 0, v17
	s_and_saveexec_b64 s[50:51], vcc
	s_cbranch_execz .LBB599_85
; %bb.63:
	v_mov_b32_e32 v7, 0
	ds_read_b64 v[2:3], v7 offset:2120
	s_waitcnt lgkmcnt(0)
	v_readfirstlane_b32 s3, v2
	v_readfirstlane_b32 s54, v3
	s_and_saveexec_b64 s[28:29], s[24:25]
	s_cbranch_execz .LBB599_65
; %bb.64:
	s_add_i32 s52, s2, 64
	s_mov_b32 s53, 0
	s_lshl_b64 s[56:57], s[52:53], 4
	s_add_u32 s56, s36, s56
	s_addc_u32 s57, s37, s57
	s_and_b32 s59, s54, 0xff000000
	s_mov_b32 s58, s53
	s_and_b32 s61, s54, 0xff0000
	s_mov_b32 s60, s53
	s_or_b64 s[58:59], s[60:61], s[58:59]
	s_and_b32 s61, s54, 0xff00
	s_or_b64 s[58:59], s[58:59], s[60:61]
	s_and_b32 s61, s54, 0xff
	s_or_b64 s[52:53], s[58:59], s[60:61]
	v_mov_b32_e32 v4, s3
	v_mov_b32_e32 v5, s53
	;; [unrolled: 1-line block ×3, first 2 shown]
	v_mov_b64_e32 v[2:3], s[56:57]
	;;#ASMSTART
	global_store_dwordx4 v[2:3], v[4:7] off sc1	
s_waitcnt vmcnt(0)
	;;#ASMEND
.LBB599_65:
	s_or_b64 exec, exec, s[28:29]
	v_xad_u32 v16, v17, -1, s2
	v_add_u32_e32 v6, 64, v16
	v_lshl_add_u64 v[18:19], v[6:7], 4, s[36:37]
	;;#ASMSTART
	global_load_dwordx4 v[2:5], v[18:19] off sc1	
s_waitcnt vmcnt(0)
	;;#ASMEND
	s_nop 0
	v_and_b32_e32 v5, 0xff, v3
	v_and_b32_e32 v6, 0xff00, v3
	v_or3_b32 v2, v2, 0, 0
	v_and_b32_e32 v20, 0xff000000, v3
	v_or3_b32 v5, 0, v5, v6
	;; [unrolled: 2-line block ×3, first 2 shown]
	v_or3_b32 v2, v2, 0, 0
	v_cmp_eq_u16_sdwa s[52:53], v4, v7 src0_sel:BYTE_0 src1_sel:DWORD
	s_and_saveexec_b64 s[28:29], s[52:53]
	s_cbranch_execz .LBB599_71
; %bb.66:
	s_mov_b32 s55, 1
	s_mov_b64 s[52:53], 0
	v_mov_b32_e32 v6, 0
.LBB599_67:                             ; =>This Loop Header: Depth=1
                                        ;     Child Loop BB599_68 Depth 2
	s_max_u32 s56, s55, 1
.LBB599_68:                             ;   Parent Loop BB599_67 Depth=1
                                        ; =>  This Inner Loop Header: Depth=2
	s_add_i32 s56, s56, -1
	s_cmp_eq_u32 s56, 0
	s_sleep 1
	s_cbranch_scc0 .LBB599_68
; %bb.69:                               ;   in Loop: Header=BB599_67 Depth=1
	s_cmp_lt_u32 s55, 32
	s_cselect_b64 s[56:57], -1, 0
	s_cmp_lg_u64 s[56:57], 0
	s_addc_u32 s55, s55, 0
	;;#ASMSTART
	global_load_dwordx4 v[2:5], v[18:19] off sc1	
s_waitcnt vmcnt(0)
	;;#ASMEND
	s_nop 0
	v_cmp_ne_u16_sdwa s[56:57], v4, v6 src0_sel:BYTE_0 src1_sel:DWORD
	s_or_b64 s[52:53], s[56:57], s[52:53]
	s_andn2_b64 exec, exec, s[52:53]
	s_cbranch_execnz .LBB599_67
; %bb.70:
	s_or_b64 exec, exec, s[52:53]
.LBB599_71:
	s_or_b64 exec, exec, s[28:29]
	v_mov_b32_e32 v24, 2
	v_cmp_eq_u16_sdwa s[28:29], v4, v24 src0_sel:BYTE_0 src1_sel:DWORD
	v_lshlrev_b64 v[18:19], v17, -1
	v_and_b32_e32 v25, 63, v17
	v_and_b32_e32 v5, s29, v19
	v_or_b32_e32 v5, 0x80000000, v5
	v_cmp_ne_u32_e32 vcc, 63, v25
	v_and_b32_e32 v6, s28, v18
	v_ffbl_b32_e32 v5, v5
	v_addc_co_u32_e32 v7, vcc, 0, v17, vcc
	v_add_u32_e32 v5, 32, v5
	v_ffbl_b32_e32 v6, v6
	v_lshlrev_b32_e32 v26, 2, v7
	v_min_u32_e32 v5, v6, v5
	ds_bpermute_b32 v6, v26, v3
	v_cmp_eq_u32_e32 vcc, 0, v2
	v_cmp_lt_u32_e64 s[28:29], v25, v5
	ds_bpermute_b32 v7, v26, v2
	s_and_b64 vcc, s[28:29], vcc
	s_waitcnt lgkmcnt(1)
	v_cndmask_b32_e32 v6, 0, v6, vcc
	v_cmp_gt_u32_e32 vcc, 62, v25
	v_add_u32_e32 v3, v6, v3
	s_waitcnt lgkmcnt(0)
	v_cndmask_b32_e64 v7, 0, v7, s[28:29]
	v_cndmask_b32_e64 v6, 0, 1, vcc
	v_lshlrev_b32_e32 v6, 1, v6
	v_add_lshl_u32 v27, v6, v17, 2
	ds_bpermute_b32 v6, v27, v3
	v_add_u32_e32 v2, v7, v2
	ds_bpermute_b32 v7, v27, v2
	v_add_u32_e32 v28, 2, v25
	v_cmp_eq_u32_e32 vcc, 0, v2
	v_add_u32_e32 v30, 4, v25
	v_add_u32_e32 v32, 8, v25
	s_waitcnt lgkmcnt(1)
	v_cndmask_b32_e32 v6, 0, v6, vcc
	v_cmp_gt_u32_e32 vcc, v28, v5
	v_add_u32_e32 v34, 16, v25
	v_add_u32_e32 v36, 32, v25
	v_cndmask_b32_e64 v6, v6, 0, vcc
	v_add_u32_e32 v3, v6, v3
	s_waitcnt lgkmcnt(0)
	v_cndmask_b32_e64 v6, v7, 0, vcc
	v_cmp_gt_u32_e32 vcc, 60, v25
	v_add_u32_e32 v2, v2, v6
	s_nop 0
	v_cndmask_b32_e64 v7, 0, 1, vcc
	v_lshlrev_b32_e32 v7, 2, v7
	v_add_lshl_u32 v29, v7, v17, 2
	ds_bpermute_b32 v7, v29, v3
	ds_bpermute_b32 v6, v29, v2
	v_cmp_eq_u32_e32 vcc, 0, v2
	s_waitcnt lgkmcnt(1)
	s_nop 0
	v_cndmask_b32_e32 v7, 0, v7, vcc
	v_cmp_gt_u32_e32 vcc, v30, v5
	s_nop 1
	v_cndmask_b32_e64 v7, v7, 0, vcc
	s_waitcnt lgkmcnt(0)
	v_cndmask_b32_e64 v6, v6, 0, vcc
	v_cmp_gt_u32_e32 vcc, 56, v25
	v_add_u32_e32 v3, v3, v7
	v_add_u32_e32 v2, v2, v6
	v_cndmask_b32_e64 v7, 0, 1, vcc
	v_lshlrev_b32_e32 v7, 3, v7
	v_add_lshl_u32 v31, v7, v17, 2
	ds_bpermute_b32 v7, v31, v3
	ds_bpermute_b32 v6, v31, v2
	v_cmp_eq_u32_e32 vcc, 0, v2
	s_waitcnt lgkmcnt(1)
	s_nop 0
	v_cndmask_b32_e32 v7, 0, v7, vcc
	v_cmp_gt_u32_e32 vcc, v32, v5
	s_nop 1
	v_cndmask_b32_e64 v7, v7, 0, vcc
	s_waitcnt lgkmcnt(0)
	v_cndmask_b32_e64 v6, v6, 0, vcc
	v_cmp_gt_u32_e32 vcc, 48, v25
	v_add_u32_e32 v3, v3, v7
	v_add_u32_e32 v2, v2, v6
	;; [unrolled: 17-line block ×3, first 2 shown]
	v_cndmask_b32_e64 v7, 0, 1, vcc
	v_lshlrev_b32_e32 v7, 5, v7
	v_add_lshl_u32 v35, v7, v17, 2
	ds_bpermute_b32 v7, v35, v3
	ds_bpermute_b32 v6, v35, v2
	v_cmp_eq_u32_e32 vcc, 0, v2
	v_mov_b32_e32 v17, 0
	s_waitcnt lgkmcnt(1)
	v_cndmask_b32_e32 v7, 0, v7, vcc
	v_cmp_gt_u32_e32 vcc, v36, v5
	s_nop 1
	v_cndmask_b32_e64 v5, v7, 0, vcc
	v_add_u32_e32 v3, v5, v3
	s_waitcnt lgkmcnt(0)
	v_cndmask_b32_e64 v5, v6, 0, vcc
	v_add_u32_e32 v2, v5, v2
	s_branch .LBB599_73
.LBB599_72:                             ;   in Loop: Header=BB599_73 Depth=1
	s_or_b64 exec, exec, s[28:29]
	v_cmp_eq_u16_sdwa s[28:29], v4, v24 src0_sel:BYTE_0 src1_sel:DWORD
	v_cmp_eq_u32_e32 vcc, 0, v2
	ds_bpermute_b32 v21, v26, v2
	v_and_b32_e32 v5, s29, v19
	v_or_b32_e32 v5, 0x80000000, v5
	v_and_b32_e32 v20, s28, v18
	v_ffbl_b32_e32 v5, v5
	v_add_u32_e32 v5, 32, v5
	v_ffbl_b32_e32 v20, v20
	v_min_u32_e32 v5, v20, v5
	ds_bpermute_b32 v20, v26, v3
	v_cmp_lt_u32_e64 s[28:29], v25, v5
	s_and_b64 vcc, s[28:29], vcc
	v_subrev_u32_e32 v16, 64, v16
	s_waitcnt lgkmcnt(1)
	v_cndmask_b32_e64 v21, 0, v21, s[28:29]
	s_waitcnt lgkmcnt(0)
	v_cndmask_b32_e32 v20, 0, v20, vcc
	v_add_u32_e32 v3, v20, v3
	ds_bpermute_b32 v20, v27, v3
	v_add_u32_e32 v2, v21, v2
	v_cmp_eq_u32_e32 vcc, 0, v2
	ds_bpermute_b32 v21, v27, v2
	s_waitcnt lgkmcnt(1)
	v_cndmask_b32_e32 v20, 0, v20, vcc
	v_cmp_gt_u32_e32 vcc, v28, v5
	s_nop 1
	v_cndmask_b32_e64 v20, v20, 0, vcc
	v_add_u32_e32 v3, v20, v3
	ds_bpermute_b32 v20, v29, v3
	s_waitcnt lgkmcnt(1)
	v_cndmask_b32_e64 v21, v21, 0, vcc
	v_add_u32_e32 v2, v2, v21
	v_cmp_eq_u32_e32 vcc, 0, v2
	ds_bpermute_b32 v21, v29, v2
	s_waitcnt lgkmcnt(1)
	v_cndmask_b32_e32 v20, 0, v20, vcc
	v_cmp_gt_u32_e32 vcc, v30, v5
	s_nop 1
	v_cndmask_b32_e64 v20, v20, 0, vcc
	v_add_u32_e32 v3, v3, v20
	ds_bpermute_b32 v20, v31, v3
	s_waitcnt lgkmcnt(1)
	v_cndmask_b32_e64 v21, v21, 0, vcc
	v_add_u32_e32 v2, v2, v21
	ds_bpermute_b32 v21, v31, v2
	v_cmp_eq_u32_e32 vcc, 0, v2
	s_waitcnt lgkmcnt(1)
	s_nop 0
	v_cndmask_b32_e32 v20, 0, v20, vcc
	v_cmp_gt_u32_e32 vcc, v32, v5
	s_nop 1
	v_cndmask_b32_e64 v20, v20, 0, vcc
	v_add_u32_e32 v3, v3, v20
	ds_bpermute_b32 v20, v33, v3
	s_waitcnt lgkmcnt(1)
	v_cndmask_b32_e64 v21, v21, 0, vcc
	v_add_u32_e32 v2, v2, v21
	ds_bpermute_b32 v21, v33, v2
	v_cmp_eq_u32_e32 vcc, 0, v2
	s_waitcnt lgkmcnt(1)
	s_nop 0
	;; [unrolled: 13-line block ×3, first 2 shown]
	v_cndmask_b32_e32 v20, 0, v20, vcc
	v_cmp_gt_u32_e32 vcc, v36, v5
	s_nop 1
	v_cndmask_b32_e64 v5, v20, 0, vcc
	v_add_u32_e32 v3, v5, v3
	s_waitcnt lgkmcnt(0)
	v_cndmask_b32_e64 v5, v21, 0, vcc
	v_cmp_eq_u32_e32 vcc, 0, v6
	v_add3_u32 v2, v2, v6, v5
	s_nop 0
	v_cndmask_b32_e32 v3, 0, v3, vcc
	v_add_u32_e32 v3, v3, v7
.LBB599_73:                             ; =>This Loop Header: Depth=1
                                        ;     Child Loop BB599_76 Depth 2
                                        ;       Child Loop BB599_77 Depth 3
	v_cmp_ne_u16_sdwa s[28:29], v4, v24 src0_sel:BYTE_0 src1_sel:DWORD
	v_mov_b32_e32 v7, v3
	v_mov_b32_e32 v6, v2
	v_cndmask_b32_e64 v3, 0, 1, s[28:29]
	;;#ASMSTART
	;;#ASMEND
	s_nop 0
	v_cmp_ne_u32_e32 vcc, 0, v3
	s_cmp_lg_u64 vcc, exec
	s_cbranch_scc1 .LBB599_80
; %bb.74:                               ;   in Loop: Header=BB599_73 Depth=1
	v_lshl_add_u64 v[20:21], v[16:17], 4, s[36:37]
	;;#ASMSTART
	global_load_dwordx4 v[2:5], v[20:21] off sc1	
s_waitcnt vmcnt(0)
	;;#ASMEND
	s_nop 0
	v_and_b32_e32 v5, 0xff, v3
	v_and_b32_e32 v37, 0xff00, v3
	v_or3_b32 v2, v2, 0, 0
	v_and_b32_e32 v38, 0xff000000, v3
	v_or3_b32 v5, 0, v5, v37
	v_and_b32_e32 v3, 0xff0000, v3
	v_or3_b32 v3, v5, v3, v38
	v_or3_b32 v2, v2, 0, 0
	v_cmp_eq_u16_sdwa s[52:53], v4, v17 src0_sel:BYTE_0 src1_sel:DWORD
	s_and_saveexec_b64 s[28:29], s[52:53]
	s_cbranch_execz .LBB599_72
; %bb.75:                               ;   in Loop: Header=BB599_73 Depth=1
	s_mov_b32 s55, 1
	s_mov_b64 s[52:53], 0
.LBB599_76:                             ;   Parent Loop BB599_73 Depth=1
                                        ; =>  This Loop Header: Depth=2
                                        ;       Child Loop BB599_77 Depth 3
	s_max_u32 s56, s55, 1
.LBB599_77:                             ;   Parent Loop BB599_73 Depth=1
                                        ;     Parent Loop BB599_76 Depth=2
                                        ; =>    This Inner Loop Header: Depth=3
	s_add_i32 s56, s56, -1
	s_cmp_eq_u32 s56, 0
	s_sleep 1
	s_cbranch_scc0 .LBB599_77
; %bb.78:                               ;   in Loop: Header=BB599_76 Depth=2
	s_cmp_lt_u32 s55, 32
	s_cselect_b64 s[56:57], -1, 0
	s_cmp_lg_u64 s[56:57], 0
	s_addc_u32 s55, s55, 0
	;;#ASMSTART
	global_load_dwordx4 v[2:5], v[20:21] off sc1	
s_waitcnt vmcnt(0)
	;;#ASMEND
	s_nop 0
	v_cmp_ne_u16_sdwa s[56:57], v4, v17 src0_sel:BYTE_0 src1_sel:DWORD
	s_or_b64 s[52:53], s[56:57], s[52:53]
	s_andn2_b64 exec, exec, s[52:53]
	s_cbranch_execnz .LBB599_76
; %bb.79:                               ;   in Loop: Header=BB599_73 Depth=1
	s_or_b64 exec, exec, s[52:53]
	s_branch .LBB599_72
.LBB599_80:                             ;   in Loop: Header=BB599_73 Depth=1
                                        ; implicit-def: $vgpr3
                                        ; implicit-def: $vgpr2
                                        ; implicit-def: $vgpr4
	s_cbranch_execz .LBB599_73
; %bb.81:
	s_and_saveexec_b64 s[28:29], s[24:25]
	s_cbranch_execz .LBB599_83
; %bb.82:
	s_cmp_eq_u32 s3, 0
	s_cselect_b64 vcc, -1, 0
	s_mov_b32 s53, 0
	v_cndmask_b32_e32 v2, 0, v7, vcc
	s_add_i32 s52, s2, 64
	v_add_u32_e32 v2, s54, v2
	s_lshl_b64 s[52:53], s[52:53], 4
	s_add_u32 s52, s36, s52
	v_and_b32_e32 v3, 0xff000000, v2
	v_and_b32_e32 v4, 0xff0000, v2
	s_addc_u32 s53, s37, s53
	v_or_b32_e32 v3, v4, v3
	v_and_b32_e32 v4, 0xff00, v2
	v_and_b32_e32 v2, 0xff, v2
	v_add_u32_e32 v16, s3, v6
	v_mov_b32_e32 v19, 0
	v_or3_b32 v17, v3, v4, v2
	v_mov_b32_e32 v18, 2
	v_mov_b64_e32 v[2:3], s[52:53]
	;;#ASMSTART
	global_store_dwordx4 v[2:3], v[16:19] off sc1	
s_waitcnt vmcnt(0)
	;;#ASMEND
	v_mov_b32_e32 v4, s3
	v_mov_b32_e32 v5, s54
	ds_write_b128 v19, v[4:7] offset:2048
.LBB599_83:
	s_or_b64 exec, exec, s[28:29]
	v_cmp_eq_u32_e32 vcc, 0, v0
	s_and_b64 exec, exec, vcc
	s_cbranch_execz .LBB599_85
; %bb.84:
	v_mov_b32_e32 v2, 0
	ds_write_b64 v2, v[6:7] offset:2120
.LBB599_85:
	s_or_b64 exec, exec, s[50:51]
	v_mov_b32_e32 v4, 0
	s_waitcnt lgkmcnt(0)
	s_barrier
	ds_read_b64 v[2:3], v4 offset:2120
	v_cndmask_b32_e64 v6, v22, v14, s[24:25]
	v_cmp_eq_u32_e32 vcc, 0, v6
	v_cndmask_b32_e64 v5, v23, v15, s[24:25]
	s_waitcnt lgkmcnt(0)
	v_cndmask_b32_e32 v7, 0, v3, vcc
	v_add_u32_e32 v5, v7, v5
	v_cmp_eq_u32_e32 vcc, 0, v0
	s_barrier
	s_nop 0
	v_cndmask_b32_e32 v43, v5, v3, vcc
	v_cndmask_b32_e64 v3, v6, 0, vcc
	v_cmp_eq_u32_e32 vcc, 0, v61
	v_add_u32_e32 v42, v2, v3
	v_add_u32_e32 v40, v42, v61
	v_cndmask_b32_e32 v2, 0, v43, vcc
	v_add_u32_e32 v41, v2, v44
	v_cndmask_b32_e64 v2, 0, v41, s[22:23]
	v_add_u32_e32 v39, v2, v44
	v_cndmask_b32_e64 v2, 0, v39, s[20:21]
	;; [unrolled: 2-line block ×7, first 2 shown]
	v_add_u32_e32 v38, v40, v60
	v_add_u32_e32 v27, v2, v44
	;; [unrolled: 1-line block ×3, first 2 shown]
	v_cndmask_b32_e64 v2, 0, v27, s[8:9]
	v_add_u32_e32 v34, v36, v58
	v_add_u32_e32 v25, v2, v44
	;; [unrolled: 1-line block ×3, first 2 shown]
	v_cndmask_b32_e64 v2, 0, v25, s[6:7]
	v_add_u32_e32 v30, v32, v56
	v_add_u32_e32 v23, v2, v44
	ds_read_b128 v[4:7], v4 offset:2048
	v_add_u32_e32 v28, v30, v55
	v_cndmask_b32_e64 v2, 0, v23, s[4:5]
	v_add_u32_e32 v26, v28, v54
	v_add_u32_e32 v21, v2, v44
	;; [unrolled: 1-line block ×3, first 2 shown]
	v_cndmask_b32_e64 v2, 0, v21, s[26:27]
	v_add_u32_e32 v22, v24, v52
	v_add_u32_e32 v17, v2, v44
	;; [unrolled: 1-line block ×3, first 2 shown]
	v_cndmask_b32_e64 v2, 0, v17, s[0:1]
	s_waitcnt lgkmcnt(0)
	v_cmp_eq_u32_e32 vcc, 0, v4
	v_add_u32_e32 v16, v20, v50
	v_add_u32_e32 v19, v2, v44
	v_cndmask_b32_e32 v2, 0, v7, vcc
	v_add_u32_e32 v18, v16, v49
	v_add_u32_e32 v14, v2, v5
	s_branch .LBB599_98
.LBB599_86:
                                        ; implicit-def: $vgpr4
                                        ; implicit-def: $vgpr14
                                        ; implicit-def: $vgpr18_vgpr19
                                        ; implicit-def: $vgpr16_vgpr17
                                        ; implicit-def: $vgpr20_vgpr21
                                        ; implicit-def: $vgpr22_vgpr23
                                        ; implicit-def: $vgpr42_vgpr43
                                        ; implicit-def: $vgpr40_vgpr41
                                        ; implicit-def: $vgpr38_vgpr39
                                        ; implicit-def: $vgpr36_vgpr37
                                        ; implicit-def: $vgpr34_vgpr35
                                        ; implicit-def: $vgpr32_vgpr33
                                        ; implicit-def: $vgpr30_vgpr31
                                        ; implicit-def: $vgpr28_vgpr29
                                        ; implicit-def: $vgpr26_vgpr27
                                        ; implicit-def: $vgpr24_vgpr25
	s_cbranch_execz .LBB599_98
; %bb.87:
	s_and_b64 s[0:1], s[38:39], exec
	s_cselect_b32 s1, 0, s49
	s_cselect_b32 s0, 0, s48
	s_cmp_eq_u64 s[0:1], 0
	v_mov_b32_e32 v6, v44
	s_cbranch_scc1 .LBB599_89
; %bb.88:
	v_mov_b32_e32 v2, 0
	global_load_dword v6, v2, s[0:1]
.LBB599_89:
	v_cmp_eq_u32_e64 s[0:1], 0, v60
	v_cmp_eq_u32_e64 s[2:3], 0, v59
	v_cmp_eq_u32_e64 s[4:5], 0, v58
	v_cndmask_b32_e64 v2, 0, v44, s[0:1]
	v_add_u32_e32 v2, v2, v44
	v_cndmask_b32_e64 v2, 0, v2, s[2:3]
	v_add_u32_e32 v2, v2, v44
	v_cndmask_b32_e64 v2, 0, v2, s[4:5]
	v_add_u32_e32 v2, v2, v44
	v_cmp_eq_u32_e64 s[6:7], 0, v57
	v_cmp_eq_u32_e64 s[8:9], 0, v56
	v_cmp_eq_u32_e64 s[10:11], 0, v55
	v_cndmask_b32_e64 v2, 0, v2, s[6:7]
	v_add_u32_e32 v2, v2, v44
	v_cndmask_b32_e64 v2, 0, v2, s[8:9]
	v_add_u32_e32 v2, v2, v44
	v_cndmask_b32_e64 v2, 0, v2, s[10:11]
	v_add_u32_e32 v2, v2, v44
	;; [unrolled: 9-line block ×3, first 2 shown]
	v_cmp_eq_u32_e64 s[18:19], 0, v51
	v_cmp_eq_u32_e64 s[20:21], 0, v50
	v_add3_u32 v3, v63, v57, v56
	v_cndmask_b32_e64 v2, 0, v2, s[18:19]
	v_add_u32_e32 v2, v2, v44
	v_cndmask_b32_e64 v2, 0, v2, s[20:21]
	v_add_u32_e32 v2, v2, v44
	v_cmp_eq_u32_e32 vcc, 0, v49
	v_add3_u32 v3, v3, v55, v54
	v_add3_u32 v3, v3, v53, v52
	v_cndmask_b32_e32 v2, 0, v2, vcc
	v_add_u32_e32 v2, v2, v44
	v_cmp_eq_u32_e64 s[22:23], 0, v48
	v_add3_u32 v3, v3, v51, v50
	v_add3_u32 v3, v3, v49, v48
	v_cndmask_b32_e64 v2, 0, v2, s[22:23]
	v_add_u32_e32 v2, v2, v45
	v_mbcnt_hi_u32_b32 v7, -1, v62
	v_and_b32_e32 v4, 15, v7
	v_mov_b32_dpp v14, v2 row_shr:1 row_mask:0xf bank_mask:0xf
	v_cmp_eq_u32_e64 s[22:23], 0, v3
	v_mov_b32_dpp v5, v3 row_shr:1 row_mask:0xf bank_mask:0xf
	v_cmp_lt_u32_e64 s[24:25], 1, v4
	v_cndmask_b32_e64 v14, 0, v14, s[22:23]
	v_cmp_eq_u32_e64 s[22:23], 0, v4
	s_nop 1
	v_cndmask_b32_e64 v5, v5, 0, s[22:23]
	v_add_u32_e32 v3, v5, v3
	v_cndmask_b32_e64 v5, v14, 0, s[22:23]
	v_add_u32_e32 v2, v5, v2
	v_cmp_eq_u32_e64 s[22:23], 0, v3
	v_mov_b32_dpp v5, v3 row_shr:2 row_mask:0xf bank_mask:0xf
	v_mov_b32_dpp v14, v2 row_shr:2 row_mask:0xf bank_mask:0xf
	v_cndmask_b32_e64 v5, 0, v5, s[24:25]
	s_and_b64 s[22:23], s[24:25], s[22:23]
	v_cndmask_b32_e64 v14, 0, v14, s[22:23]
	v_add_u32_e32 v3, v3, v5
	v_add_u32_e32 v2, v14, v2
	v_cmp_eq_u32_e64 s[22:23], 0, v3
	v_mov_b32_dpp v5, v3 row_shr:4 row_mask:0xf bank_mask:0xf
	v_cmp_lt_u32_e64 s[24:25], 3, v4
	v_mov_b32_dpp v14, v2 row_shr:4 row_mask:0xf bank_mask:0xf
	s_and_b64 s[22:23], s[24:25], s[22:23]
	v_cndmask_b32_e64 v5, 0, v5, s[24:25]
	v_cndmask_b32_e64 v14, 0, v14, s[22:23]
	v_add_u32_e32 v3, v5, v3
	v_add_u32_e32 v2, v2, v14
	v_cmp_eq_u32_e64 s[22:23], 0, v3
	v_cmp_lt_u32_e64 s[24:25], 7, v4
	v_mov_b32_dpp v5, v3 row_shr:8 row_mask:0xf bank_mask:0xf
	v_mov_b32_dpp v14, v2 row_shr:8 row_mask:0xf bank_mask:0xf
	s_and_b64 s[22:23], s[24:25], s[22:23]
	v_cndmask_b32_e64 v4, 0, v5, s[24:25]
	v_cndmask_b32_e64 v5, 0, v14, s[22:23]
	v_add_u32_e32 v2, v5, v2
	v_add_u32_e32 v3, v4, v3
	v_bfe_i32 v14, v7, 4, 1
	v_mov_b32_dpp v5, v2 row_bcast:15 row_mask:0xf bank_mask:0xf
	v_mov_b32_dpp v4, v3 row_bcast:15 row_mask:0xf bank_mask:0xf
	v_cmp_eq_u32_e64 s[22:23], 0, v3
	v_and_b32_e32 v4, v14, v4
	v_add_u32_e32 v3, v4, v3
	v_cndmask_b32_e64 v5, 0, v5, s[22:23]
	v_and_b32_e32 v4, v14, v5
	v_add_u32_e32 v4, v4, v2
	v_mov_b32_dpp v2, v3 row_bcast:31 row_mask:0xf bank_mask:0xf
	v_cmp_eq_u32_e64 s[22:23], 0, v3
	v_cmp_lt_u32_e64 s[24:25], 31, v7
	v_mov_b32_dpp v5, v4 row_bcast:31 row_mask:0xf bank_mask:0xf
	s_and_b64 s[22:23], s[24:25], s[22:23]
	v_cndmask_b32_e64 v2, 0, v2, s[24:25]
	v_add_u32_e32 v2, v2, v3
	v_cndmask_b32_e64 v3, 0, v5, s[22:23]
	v_add_u32_e32 v3, v3, v4
	v_cmp_eq_u32_e64 s[22:23], v47, v0
	s_and_saveexec_b64 s[24:25], s[22:23]
	s_cbranch_execz .LBB599_91
; %bb.90:
	v_lshlrev_b32_e32 v4, 3, v46
	ds_write_b64 v4, v[2:3] offset:2064
.LBB599_91:
	s_or_b64 exec, exec, s[24:25]
	v_cmp_gt_u32_e64 s[22:23], 8, v0
	s_waitcnt lgkmcnt(0)
	s_barrier
	s_and_saveexec_b64 s[26:27], s[22:23]
	s_cbranch_execz .LBB599_93
; %bb.92:
	v_lshlrev_b32_e32 v14, 3, v0
	ds_read_b64 v[4:5], v14 offset:2064
	v_and_b32_e32 v15, 7, v7
	v_cmp_lt_u32_e64 s[24:25], 1, v15
	s_waitcnt lgkmcnt(0)
	v_mov_b32_dpp v17, v5 row_shr:1 row_mask:0xf bank_mask:0xf
	v_cmp_eq_u32_e64 s[22:23], 0, v4
	v_mov_b32_dpp v16, v4 row_shr:1 row_mask:0xf bank_mask:0xf
	s_nop 0
	v_cndmask_b32_e64 v17, 0, v17, s[22:23]
	v_cmp_eq_u32_e64 s[22:23], 0, v15
	s_nop 1
	v_cndmask_b32_e64 v16, v16, 0, s[22:23]
	v_add_u32_e32 v4, v16, v4
	v_cndmask_b32_e64 v16, v17, 0, s[22:23]
	v_add_u32_e32 v5, v16, v5
	v_cmp_eq_u32_e64 s[22:23], 0, v4
	v_mov_b32_dpp v16, v4 row_shr:2 row_mask:0xf bank_mask:0xf
	v_mov_b32_dpp v17, v5 row_shr:2 row_mask:0xf bank_mask:0xf
	v_cndmask_b32_e64 v16, 0, v16, s[24:25]
	s_and_b64 s[22:23], s[24:25], s[22:23]
	v_cndmask_b32_e64 v17, 0, v17, s[22:23]
	v_add_u32_e32 v4, v16, v4
	v_add_u32_e32 v5, v17, v5
	v_cmp_eq_u32_e64 s[22:23], 0, v4
	v_mov_b32_dpp v16, v4 row_shr:4 row_mask:0xf bank_mask:0xf
	v_cmp_lt_u32_e64 s[24:25], 3, v15
	v_mov_b32_dpp v17, v5 row_shr:4 row_mask:0xf bank_mask:0xf
	s_and_b64 s[22:23], s[24:25], s[22:23]
	v_cndmask_b32_e64 v15, 0, v16, s[24:25]
	v_add_u32_e32 v4, v15, v4
	v_cndmask_b32_e64 v15, 0, v17, s[22:23]
	v_add_u32_e32 v5, v15, v5
	ds_write_b64 v14, v[4:5] offset:2064
.LBB599_93:
	s_or_b64 exec, exec, s[26:27]
	v_cmp_lt_u32_e64 s[22:23], 63, v0
	v_mov_b32_e32 v14, 0
	v_mov_b32_e32 v4, 0
	s_waitcnt vmcnt(0)
	v_mov_b32_e32 v5, v6
	s_waitcnt lgkmcnt(0)
	s_barrier
	s_and_saveexec_b64 s[24:25], s[22:23]
	s_cbranch_execz .LBB599_95
; %bb.94:
	v_lshlrev_b32_e32 v4, 3, v46
	ds_read_b64 v[4:5], v4 offset:2056
	s_waitcnt lgkmcnt(0)
	v_cmp_eq_u32_e64 s[22:23], 0, v4
	s_nop 1
	v_cndmask_b32_e64 v15, 0, v6, s[22:23]
	v_add_u32_e32 v5, v15, v5
.LBB599_95:
	s_or_b64 exec, exec, s[24:25]
	v_cmp_eq_u32_e64 s[22:23], 0, v2
	v_add_u32_e32 v15, v4, v2
	v_and_b32_e32 v16, 64, v7
	v_cndmask_b32_e64 v2, 0, v5, s[22:23]
	v_add_u32_e32 v2, v2, v3
	v_add_u32_e32 v3, -1, v7
	v_cmp_lt_i32_e64 s[22:23], v3, v16
	v_cmp_eq_u32_e64 s[24:25], 0, v61
	s_nop 0
	v_cndmask_b32_e64 v3, v3, v7, s[22:23]
	v_lshlrev_b32_e32 v3, 2, v3
	ds_bpermute_b32 v15, v3, v15
	ds_bpermute_b32 v2, v3, v2
	v_cmp_eq_u32_e64 s[22:23], 0, v7
	s_waitcnt lgkmcnt(1)
	s_nop 0
	v_cndmask_b32_e64 v3, v15, v4, s[22:23]
	s_waitcnt lgkmcnt(0)
	v_cndmask_b32_e64 v2, v2, v5, s[22:23]
	v_cmp_eq_u32_e64 s[22:23], 0, v0
	ds_read_b64 v[4:5], v14 offset:2120
	s_nop 0
	v_cndmask_b32_e64 v43, v2, v6, s[22:23]
	v_cndmask_b32_e64 v2, 0, v43, s[24:25]
	v_add_u32_e32 v41, v2, v44
	v_cndmask_b32_e64 v2, 0, v41, s[0:1]
	v_add_u32_e32 v39, v2, v44
	v_cndmask_b32_e64 v2, 0, v39, s[2:3]
	v_add_u32_e32 v37, v2, v44
	v_cndmask_b32_e64 v2, 0, v37, s[4:5]
	v_add_u32_e32 v35, v2, v44
	v_cndmask_b32_e64 v2, 0, v35, s[6:7]
	v_add_u32_e32 v33, v2, v44
	v_cndmask_b32_e64 v2, 0, v33, s[8:9]
	v_add_u32_e32 v31, v2, v44
	v_cndmask_b32_e64 v2, 0, v31, s[10:11]
	v_cndmask_b32_e64 v42, v3, 0, s[22:23]
	v_add_u32_e32 v29, v2, v44
	v_add_u32_e32 v40, v42, v61
	v_cndmask_b32_e64 v2, 0, v29, s[12:13]
	v_add_u32_e32 v38, v40, v60
	v_add_u32_e32 v27, v2, v44
	v_add_u32_e32 v36, v38, v59
	v_cndmask_b32_e64 v2, 0, v27, s[14:15]
	v_add_u32_e32 v34, v36, v58
	;; [unrolled: 4-line block ×5, first 2 shown]
	v_add_u32_e32 v17, v2, v44
	v_add_u32_e32 v20, v22, v51
	v_cndmask_b32_e32 v2, 0, v17, vcc
	s_waitcnt lgkmcnt(0)
	v_cmp_eq_u32_e32 vcc, 0, v4
	v_add_u32_e32 v16, v20, v50
	v_add_u32_e32 v19, v2, v44
	v_cndmask_b32_e32 v2, 0, v6, vcc
	v_add_u32_e32 v18, v16, v49
	v_add_u32_e32 v14, v2, v5
	s_and_saveexec_b64 s[0:1], s[22:23]
	s_cbranch_execz .LBB599_97
; %bb.96:
	s_add_u32 s2, s36, 0x400
	v_and_b32_e32 v2, 0xff000000, v14
	v_and_b32_e32 v3, 0xff0000, v14
	s_addc_u32 s3, s37, 0
	v_or_b32_e32 v2, v3, v2
	v_and_b32_e32 v3, 0xff00, v14
	v_and_b32_e32 v5, 0xff, v14
	v_mov_b32_e32 v7, 0
	v_or3_b32 v5, v2, v3, v5
	v_mov_b32_e32 v6, 2
	v_mov_b64_e32 v[2:3], s[2:3]
	;;#ASMSTART
	global_store_dwordx4 v[2:3], v[4:7] off sc1	
s_waitcnt vmcnt(0)
	;;#ASMEND
.LBB599_97:
	s_or_b64 exec, exec, s[0:1]
	v_mov_b32_e32 v6, 0
.LBB599_98:
	s_and_b64 s[0:1], s[38:39], exec
	s_cselect_b32 s1, 0, s31
	s_cselect_b32 s0, 0, s30
	s_cmp_eq_u64 s[0:1], 0
	v_mov_b64_e32 v[44:45], 0
	s_waitcnt lgkmcnt(0)
	s_barrier
	s_cbranch_scc1 .LBB599_100
; %bb.99:
	v_mov_b32_e32 v2, 0
	global_load_dwordx2 v[44:45], v2, s[0:1]
.LBB599_100:
	s_waitcnt vmcnt(0)
	v_lshlrev_b64 v[2:3], 1, v[44:45]
	v_mov_b32_e32 v7, 0
	v_lshl_add_u64 v[2:3], s[40:41], 0, v[2:3]
	v_lshlrev_b64 v[46:47], 1, v[6:7]
	v_cmp_eq_u32_e32 vcc, 0, v61
	v_lshl_add_u64 v[46:47], v[2:3], 0, v[46:47]
	s_movk_i32 s28, 0x200
	v_cndmask_b32_e64 v2, 1, 2, vcc
	v_cmp_eq_u32_e32 vcc, 0, v60
	v_cmp_ne_u32_e64 s[26:27], 0, v61
	v_cmp_ne_u32_e64 s[24:25], 0, v60
	v_cndmask_b32_e64 v3, 1, 2, vcc
	v_cmp_eq_u32_e32 vcc, 0, v59
	v_and_b32_e32 v2, v3, v2
	v_cmp_ne_u32_e64 s[22:23], 0, v59
	v_cndmask_b32_e64 v3, 1, 2, vcc
	v_cmp_eq_u32_e32 vcc, 0, v58
	v_and_b32_e32 v2, v2, v3
	;; [unrolled: 4-line block ×12, first 2 shown]
	v_cmp_ne_u32_e64 s[0:1], 0, v48
	v_cndmask_b32_e64 v3, 1, 2, vcc
	v_and_b32_e32 v2, v2, v3
	v_cmp_gt_u32_e32 vcc, s28, v4
	s_mov_b64 s[30:31], -1
	v_cmp_gt_i16_e64 s[28:29], 2, v2
	s_cbranch_vccz .LBB599_107
; %bb.101:
	s_and_saveexec_b64 s[30:31], s[28:29]
	s_cbranch_execz .LBB599_106
; %bb.102:
	v_cmp_ne_u16_e32 vcc, 1, v2
	s_mov_b64 s[36:37], 0
	s_and_saveexec_b64 s[28:29], vcc
	s_xor_b64 s[28:29], exec, s[28:29]
	s_cbranch_execnz .LBB599_149
; %bb.103:
	s_andn2_saveexec_b64 s[28:29], s[28:29]
	s_cbranch_execnz .LBB599_164
.LBB599_104:
	s_or_b64 exec, exec, s[28:29]
	s_and_b64 exec, exec, s[36:37]
	s_cbranch_execz .LBB599_106
.LBB599_105:
	v_sub_u32_e32 v62, v18, v6
	v_mov_b32_e32 v63, 0
	v_lshl_add_u64 v[62:63], v[62:63], 1, v[46:47]
	global_store_short_d16_hi v[62:63], v1, off
.LBB599_106:
	s_or_b64 exec, exec, s[30:31]
	s_mov_b64 s[30:31], 0
.LBB599_107:
	s_and_b64 vcc, exec, s[30:31]
	s_cbranch_vccz .LBB599_127
; %bb.108:
	v_cmp_gt_i16_e32 vcc, 2, v2
	s_and_saveexec_b64 s[28:29], vcc
	s_cbranch_execz .LBB599_113
; %bb.109:
	v_cmp_ne_u16_e32 vcc, 1, v2
	s_mov_b64 s[36:37], 0
	s_and_saveexec_b64 s[30:31], vcc
	s_xor_b64 s[30:31], exec, s[30:31]
	s_cbranch_execnz .LBB599_165
; %bb.110:
	s_andn2_saveexec_b64 s[0:1], s[30:31]
	s_cbranch_execnz .LBB599_180
.LBB599_111:
	s_or_b64 exec, exec, s[0:1]
	s_and_b64 exec, exec, s[36:37]
	s_cbranch_execz .LBB599_113
.LBB599_112:
	v_sub_u32_e32 v2, v18, v6
	v_lshlrev_b32_e32 v2, 1, v2
	ds_write_b16_d16_hi v2, v1
.LBB599_113:
	s_or_b64 exec, exec, s[28:29]
	v_cmp_lt_u32_e32 vcc, v0, v4
	s_waitcnt lgkmcnt(0)
	s_barrier
	s_and_saveexec_b64 s[0:1], vcc
	s_cbranch_execz .LBB599_126
; %bb.114:
	v_xad_u32 v1, v0, -1, v4
	s_movk_i32 s2, 0x5ff
	v_cmp_lt_u32_e32 vcc, s2, v1
	s_mov_b64 s[4:5], -1
	v_mov_b32_e32 v2, v0
	s_and_saveexec_b64 s[2:3], vcc
	s_cbranch_execz .LBB599_123
; %bb.115:
	v_lshrrev_b32_e32 v5, 9, v1
	v_add_u32_e32 v8, -3, v5
	v_or_b32_e32 v3, 0x600, v0
	v_or_b32_e32 v2, 0x400, v0
	v_lshrrev_b32_e32 v9, 2, v8
	v_or_b32_e32 v1, 0x200, v0
	v_add_u32_e32 v62, 1, v9
	v_cmp_lt_u32_e32 vcc, 11, v8
	v_mov_b64_e32 v[10:11], v[2:3]
	v_mov_b32_e32 v65, 0
	v_lshlrev_b32_e32 v15, 1, v0
	v_mov_b64_e32 v[8:9], v[0:1]
	s_and_saveexec_b64 s[4:5], vcc
	s_cbranch_execz .LBB599_119
; %bb.116:
	v_mov_b64_e32 v[10:11], v[2:3]
	v_and_b32_e32 v63, 0x7ffffffc, v62
	s_mov_b32 s8, 0
	s_mov_b64 s[6:7], 0
	v_mov_b32_e32 v13, 0
	v_mov_b32_e32 v64, v15
	v_mov_b64_e32 v[8:9], v[0:1]
.LBB599_117:                            ; =>This Inner Loop Header: Depth=1
	v_mov_b32_e32 v12, v8
	ds_read_u16 v1, v64
	ds_read_u16 v90, v64 offset:1024
	ds_read_u16 v91, v64 offset:2048
	;; [unrolled: 1-line block ×7, first 2 shown]
	v_lshl_add_u64 v[82:83], v[12:13], 1, v[46:47]
	v_mov_b32_e32 v12, v9
	v_lshl_add_u64 v[84:85], v[12:13], 1, v[46:47]
	v_mov_b32_e32 v12, v10
	ds_read_u16 v97, v64 offset:8192
	ds_read_u16 v98, v64 offset:9216
	ds_read_u16 v99, v64 offset:10240
	ds_read_u16 v100, v64 offset:11264
	ds_read_u16 v101, v64 offset:12288
	ds_read_u16 v102, v64 offset:13312
	ds_read_u16 v103, v64 offset:14336
	ds_read_u16 v104, v64 offset:15360
	v_lshl_add_u64 v[86:87], v[12:13], 1, v[46:47]
	v_mov_b32_e32 v12, v11
	v_add_u32_e32 v2, 0x800, v11
	v_mov_b32_e32 v3, v13
	v_lshl_add_u64 v[88:89], v[12:13], 1, v[46:47]
	v_add_u32_e32 v12, 0x800, v8
	v_add_u32_e32 v66, 0x800, v10
	;; [unrolled: 1-line block ×3, first 2 shown]
	v_mov_b32_e32 v69, v13
	v_mov_b32_e32 v67, v13
	v_add_u32_e32 v63, -4, v63
	v_lshl_add_u64 v[2:3], v[2:3], 1, v[46:47]
	s_waitcnt lgkmcnt(14)
	global_store_short v[82:83], v1, off
	global_store_short v[84:85], v90, off
	s_waitcnt lgkmcnt(13)
	global_store_short v[86:87], v91, off
	s_waitcnt lgkmcnt(12)
	global_store_short v[88:89], v92, off
	v_lshl_add_u64 v[82:83], v[12:13], 1, v[46:47]
	v_add_u32_e32 v12, 0x1000, v8
	v_add_u32_e32 v70, 0x1000, v11
	;; [unrolled: 1-line block ×4, first 2 shown]
	v_mov_b32_e32 v75, v13
	v_mov_b32_e32 v73, v13
	;; [unrolled: 1-line block ×3, first 2 shown]
	s_add_i32 s8, s8, 16
	v_lshl_add_u64 v[68:69], v[68:69], 1, v[46:47]
	v_lshl_add_u64 v[66:67], v[66:67], 1, v[46:47]
	v_cmp_eq_u32_e32 vcc, 0, v63
	s_waitcnt lgkmcnt(11)
	global_store_short v[82:83], v93, off
	s_waitcnt lgkmcnt(10)
	global_store_short v[68:69], v94, off
	;; [unrolled: 2-line block ×4, first 2 shown]
	v_lshl_add_u64 v[2:3], v[12:13], 1, v[46:47]
	v_add_u32_e32 v12, 0x1800, v8
	v_add_u32_e32 v76, 0x1800, v11
	;; [unrolled: 1-line block ×4, first 2 shown]
	v_mov_b32_e32 v81, v13
	v_mov_b32_e32 v79, v13
	;; [unrolled: 1-line block ×3, first 2 shown]
	v_add_u32_e32 v64, 0x4000, v64
	v_lshl_add_u64 v[74:75], v[74:75], 1, v[46:47]
	v_lshl_add_u64 v[72:73], v[72:73], 1, v[46:47]
	;; [unrolled: 1-line block ×3, first 2 shown]
	v_add_u32_e32 v9, 0x2000, v9
	v_mov_b32_e32 v65, s8
	v_add_u32_e32 v10, 0x2000, v10
	s_or_b64 s[6:7], vcc, s[6:7]
	v_add_u32_e32 v11, 0x2000, v11
	v_add_u32_e32 v8, 0x2000, v8
	s_waitcnt lgkmcnt(7)
	global_store_short v[2:3], v97, off
	s_waitcnt lgkmcnt(6)
	global_store_short v[74:75], v98, off
	;; [unrolled: 2-line block ×4, first 2 shown]
	v_lshl_add_u64 v[2:3], v[12:13], 1, v[46:47]
	v_lshl_add_u64 v[80:81], v[80:81], 1, v[46:47]
	;; [unrolled: 1-line block ×4, first 2 shown]
	s_waitcnt lgkmcnt(3)
	global_store_short v[2:3], v101, off
	s_waitcnt lgkmcnt(2)
	global_store_short v[80:81], v102, off
	;; [unrolled: 2-line block ×4, first 2 shown]
	s_andn2_b64 exec, exec, s[6:7]
	s_cbranch_execnz .LBB599_117
; %bb.118:
	s_or_b64 exec, exec, s[6:7]
.LBB599_119:
	s_or_b64 exec, exec, s[4:5]
	v_and_b32_e32 v1, 3, v62
	v_cmp_ne_u32_e32 vcc, 0, v1
	s_and_saveexec_b64 s[4:5], vcc
	s_cbranch_execz .LBB599_122
; %bb.120:
	v_lshl_or_b32 v12, v65, 10, v15
	s_mov_b64 s[6:7], 0
	v_mov_b32_e32 v3, 0
.LBB599_121:                            ; =>This Inner Loop Header: Depth=1
	ds_read_u16 v13, v12
	ds_read_u16 v15, v12 offset:1024
	ds_read_u16 v70, v12 offset:2048
	;; [unrolled: 1-line block ×3, first 2 shown]
	v_mov_b32_e32 v2, v8
	v_add_u32_e32 v1, -1, v1
	v_lshl_add_u64 v[62:63], v[2:3], 1, v[46:47]
	v_mov_b32_e32 v2, v9
	v_cmp_eq_u32_e32 vcc, 0, v1
	v_lshl_add_u64 v[64:65], v[2:3], 1, v[46:47]
	v_mov_b32_e32 v2, v10
	v_add_u32_e32 v8, 0x800, v8
	v_add_u32_e32 v12, 0x1000, v12
	;; [unrolled: 1-line block ×4, first 2 shown]
	s_or_b64 s[6:7], vcc, s[6:7]
	v_lshl_add_u64 v[66:67], v[2:3], 1, v[46:47]
	v_mov_b32_e32 v2, v11
	v_add_u32_e32 v11, 0x800, v11
	v_lshl_add_u64 v[68:69], v[2:3], 1, v[46:47]
	s_waitcnt lgkmcnt(3)
	global_store_short v[62:63], v13, off
	s_waitcnt lgkmcnt(2)
	global_store_short v[64:65], v15, off
	;; [unrolled: 2-line block ×4, first 2 shown]
	s_andn2_b64 exec, exec, s[6:7]
	s_cbranch_execnz .LBB599_121
.LBB599_122:
	s_or_b64 exec, exec, s[4:5]
	v_add_u32_e32 v1, 1, v5
	v_and_b32_e32 v3, 0xfffffc, v1
	v_cmp_ne_u32_e32 vcc, v1, v3
	v_lshl_or_b32 v2, v3, 9, v0
	s_orn2_b64 s[4:5], vcc, exec
.LBB599_123:
	s_or_b64 exec, exec, s[2:3]
	s_and_b64 exec, exec, s[4:5]
	s_cbranch_execz .LBB599_126
; %bb.124:
	v_lshlrev_b32_e32 v1, 1, v2
	s_mov_b64 s[2:3], 0
	v_mov_b32_e32 v3, 0
.LBB599_125:                            ; =>This Inner Loop Header: Depth=1
	ds_read_u16 v5, v1
	v_lshl_add_u64 v[8:9], v[2:3], 1, v[46:47]
	v_add_u32_e32 v2, 0x200, v2
	v_cmp_ge_u32_e32 vcc, v2, v4
	v_add_u32_e32 v1, 0x400, v1
	s_or_b64 s[2:3], vcc, s[2:3]
	s_waitcnt lgkmcnt(0)
	global_store_short v[8:9], v5, off
	s_andn2_b64 exec, exec, s[2:3]
	s_cbranch_execnz .LBB599_125
.LBB599_126:
	s_or_b64 exec, exec, s[0:1]
.LBB599_127:
	s_cmpk_lg_i32 s33, 0x1c00
	s_cselect_b64 s[0:1], -1, 0
	v_cndmask_b32_e64 v46, 0, 1, s[44:45]
	s_and_b64 s[0:1], s[34:35], s[0:1]
	v_cmp_eq_u32_e32 vcc, 0, v0
	v_sub_u32_e32 v1, v4, v46
	v_cndmask_b32_e64 v2, 0, 1, s[0:1]
	s_and_b64 s[0:1], vcc, s[44:45]
	v_add_u32_e32 v1, v1, v2
	v_cndmask_b32_e64 v2, v61, 0, s[0:1]
	s_lshr_b32 s0, s33, 1
	s_mul_hi_u32 s0, s0, 0x92492493
	s_lshr_b32 s0, s0, 2
	v_mad_i32_i24 v3, v0, -14, s33
	v_cmp_eq_u32_e32 vcc, s0, v0
	v_cmp_ne_u32_e64 s[0:1], 0, v3
	s_and_b64 vcc, s[34:35], vcc
	s_mov_b32 s2, 0
	v_cndmask_b32_e64 v5, 1, v2, s[0:1]
	v_cmp_ne_u32_e64 s[0:1], 1, v3
	s_movk_i32 s28, 0x200
	s_mov_b64 s[30:31], -1
	v_cndmask_b32_e64 v8, 1, v60, s[0:1]
	v_cmp_ne_u32_e64 s[0:1], 2, v3
	s_barrier
	s_nop 0
	v_cndmask_b32_e64 v9, 1, v59, s[0:1]
	v_cmp_ne_u32_e64 s[0:1], 3, v3
	s_nop 1
	v_cndmask_b32_e64 v10, 1, v58, s[0:1]
	v_cmp_ne_u32_e64 s[0:1], 4, v3
	;; [unrolled: 3-line block ×6, first 2 shown]
	v_cndmask_b32_e32 v15, v54, v15, vcc
	v_cndmask_b32_e32 v54, v55, v13, vcc
	v_cndmask_b32_e64 v47, 1, v53, s[0:1]
	v_cmp_ne_u32_e64 s[0:1], 9, v3
	v_cndmask_b32_e32 v55, v56, v12, vcc
	v_cndmask_b32_e32 v56, v57, v11, vcc
	v_cndmask_b32_e64 v61, 1, v52, s[0:1]
	v_cmp_ne_u32_e64 s[0:1], 10, v3
	;; [unrolled: 4-line block ×5, first 2 shown]
	v_cndmask_b32_e32 v49, v49, v64, vcc
	v_cndmask_b32_e32 v52, v52, v61, vcc
	v_cndmask_b32_e64 v3, 1, v48, s[0:1]
	v_cndmask_b32_e32 v48, v48, v3, vcc
	v_cndmask_b32_e32 v53, v53, v47, vcc
	v_mov_b32_e32 v47, s2
	v_cmp_eq_u32_e32 vcc, 0, v60
	v_lshl_add_u64 v[12:13], v[46:47], 0, -1
	v_add_u32_e32 v5, v6, v46
	v_cndmask_b32_e64 v46, 1, 2, vcc
	v_cmp_eq_u32_e32 vcc, 0, v59
	v_cmp_ne_u32_e64 s[12:13], 0, v15
	v_lshlrev_b64 v[8:9], 3, v[44:45]
	v_cndmask_b32_e64 v47, 1, 2, vcc
	v_cmp_eq_u32_e32 vcc, 0, v58
	v_and_b32_e32 v46, v47, v46
	v_lshl_add_u64 v[2:3], s[42:43], 0, v[8:9]
	v_cndmask_b32_e64 v47, 1, 2, vcc
	v_cmp_eq_u32_e32 vcc, 0, v57
	v_and_b32_e32 v46, v46, v47
	v_lshlrev_b64 v[10:11], 3, v[6:7]
	v_cndmask_b32_e64 v47, 1, 2, vcc
	v_cmp_eq_u32_e32 vcc, 0, v56
	v_and_b32_e32 v46, v46, v47
	v_lshl_add_u64 v[2:3], v[2:3], 0, v[10:11]
	v_cndmask_b32_e64 v47, 1, 2, vcc
	v_cmp_eq_u32_e32 vcc, 0, v55
	v_and_b32_e32 v46, v46, v47
	v_cmp_ne_u32_e64 s[26:27], 0, v60
	v_cndmask_b32_e64 v47, 1, 2, vcc
	v_cmp_eq_u32_e32 vcc, 0, v54
	v_and_b32_e32 v46, v46, v47
	v_cmp_ne_u32_e64 s[24:25], 0, v59
	;; [unrolled: 4-line block ×9, first 2 shown]
	v_cndmask_b32_e64 v46, 1, 2, vcc
	v_and_b32_e32 v15, v15, v46
	v_cmp_gt_u32_e32 vcc, s28, v1
	v_cmp_ne_u32_e64 s[6:7], 0, v51
	v_cmp_ne_u32_e64 s[4:5], 0, v50
	;; [unrolled: 1-line block ×4, first 2 shown]
	v_cmp_gt_i16_e64 s[28:29], 2, v15
	s_cbranch_vccz .LBB599_134
; %bb.128:
	s_and_saveexec_b64 s[30:31], s[28:29]
	s_cbranch_execz .LBB599_133
; %bb.129:
	v_lshlrev_b64 v[46:47], 3, v[12:13]
	v_lshl_add_u64 v[46:47], v[2:3], 0, v[46:47]
	v_cmp_ne_u16_e32 vcc, 1, v15
	s_mov_b64 s[36:37], 0
	s_and_saveexec_b64 s[28:29], vcc
	s_xor_b64 s[28:29], exec, s[28:29]
	s_cbranch_execnz .LBB599_181
; %bb.130:
	s_andn2_saveexec_b64 s[28:29], s[28:29]
	s_cbranch_execnz .LBB599_196
.LBB599_131:
	s_or_b64 exec, exec, s[28:29]
	s_and_b64 exec, exec, s[36:37]
	s_cbranch_execz .LBB599_133
.LBB599_132:
	v_mov_b32_e32 v49, 0
	v_sub_u32_e32 v50, v18, v5
	v_mov_b32_e32 v51, v49
	v_mov_b32_e32 v48, v19
	v_lshl_add_u64 v[46:47], v[50:51], 3, v[46:47]
	global_store_dwordx2 v[46:47], v[48:49], off
.LBB599_133:
	s_or_b64 exec, exec, s[30:31]
	s_mov_b64 s[30:31], 0
.LBB599_134:
	s_and_b64 vcc, exec, s[30:31]
	s_cbranch_vccz .LBB599_144
; %bb.135:
	v_cmp_gt_i16_e32 vcc, 2, v15
	s_and_saveexec_b64 s[28:29], vcc
	s_cbranch_execz .LBB599_140
; %bb.136:
	v_cmp_ne_u16_e32 vcc, 1, v15
	s_mov_b64 s[36:37], 0
	s_and_saveexec_b64 s[30:31], vcc
	s_xor_b64 s[30:31], exec, s[30:31]
	s_cbranch_execnz .LBB599_197
; %bb.137:
	s_andn2_saveexec_b64 s[0:1], s[30:31]
	s_cbranch_execnz .LBB599_212
.LBB599_138:
	s_or_b64 exec, exec, s[0:1]
	s_and_b64 exec, exec, s[36:37]
	s_cbranch_execz .LBB599_140
.LBB599_139:
	v_sub_u32_e32 v5, v18, v5
	v_lshlrev_b32_e32 v5, 2, v5
	ds_write_b32 v5, v19
.LBB599_140:
	s_or_b64 exec, exec, s[28:29]
	v_cmp_lt_u32_e32 vcc, v0, v1
	s_waitcnt lgkmcnt(0)
	s_barrier
	s_and_saveexec_b64 s[0:1], vcc
	s_cbranch_execz .LBB599_143
; %bb.141:
	v_lshlrev_b64 v[12:13], 3, v[12:13]
	v_lshl_add_u64 v[8:9], v[8:9], 0, v[12:13]
	v_lshl_add_u64 v[10:11], v[8:9], 0, v[10:11]
	v_lshlrev_b32_e32 v8, 3, v0
	v_mov_b32_e32 v9, 0
	v_lshl_add_u64 v[10:11], s[42:43], 0, v[10:11]
	v_lshlrev_b32_e32 v5, 2, v0
	v_lshl_add_u64 v[10:11], v[10:11], 0, v[8:9]
	s_mov_b64 s[2:3], 0
	s_mov_b64 s[4:5], 0x1000
	v_mov_b32_e32 v12, v0
.LBB599_142:                            ; =>This Inner Loop Header: Depth=1
	ds_read_b32 v8, v5
	v_add_u32_e32 v12, 0x200, v12
	v_cmp_ge_u32_e32 vcc, v12, v1
	v_add_u32_e32 v5, 0x800, v5
	s_or_b64 s[2:3], vcc, s[2:3]
	s_waitcnt lgkmcnt(0)
	global_store_dwordx2 v[10:11], v[8:9], off
	v_lshl_add_u64 v[10:11], v[10:11], 0, s[4:5]
	s_andn2_b64 exec, exec, s[2:3]
	s_cbranch_execnz .LBB599_142
.LBB599_143:
	s_or_b64 exec, exec, s[0:1]
.LBB599_144:
	s_movk_i32 s0, 0x1ff
	v_cmp_eq_u32_e32 vcc, s0, v0
	s_and_b64 s[0:1], vcc, s[34:35]
	s_and_saveexec_b64 s[2:3], s[0:1]
	s_cbranch_execz .LBB599_147
; %bb.145:
	v_mov_b32_e32 v5, 0
	v_lshl_add_u64 v[0:1], v[4:5], 0, v[6:7]
	v_lshl_add_u64 v[0:1], v[0:1], 0, v[44:45]
	s_cmpk_lg_i32 s33, 0x1c00
	global_store_dwordx2 v5, v[0:1], s[46:47]
	s_cbranch_scc1 .LBB599_147
; %bb.146:
	v_lshlrev_b64 v[0:1], 3, v[4:5]
	v_mov_b32_e32 v15, v5
	v_lshl_add_u64 v[0:1], v[2:3], 0, v[0:1]
	global_store_dwordx2 v[0:1], v[14:15], off offset:-8
.LBB599_147:
	s_endpgm
.LBB599_148:
	s_or_b64 exec, exec, s[6:7]
	v_mov_b32_e32 v61, s3
	s_and_saveexec_b64 s[6:7], s[10:11]
	s_cbranch_execnz .LBB599_54
	s_branch .LBB599_55
.LBB599_149:
	s_and_saveexec_b64 s[36:37], s[26:27]
	s_cbranch_execnz .LBB599_213
; %bb.150:
	s_or_b64 exec, exec, s[36:37]
	s_and_saveexec_b64 s[36:37], s[24:25]
	s_cbranch_execnz .LBB599_214
.LBB599_151:
	s_or_b64 exec, exec, s[36:37]
	s_and_saveexec_b64 s[36:37], s[22:23]
	s_cbranch_execnz .LBB599_215
.LBB599_152:
	s_or_b64 exec, exec, s[36:37]
	s_and_saveexec_b64 s[36:37], s[20:21]
	s_cbranch_execnz .LBB599_216
.LBB599_153:
	s_or_b64 exec, exec, s[36:37]
	s_and_saveexec_b64 s[36:37], s[18:19]
	s_cbranch_execnz .LBB599_217
.LBB599_154:
	s_or_b64 exec, exec, s[36:37]
	s_and_saveexec_b64 s[36:37], s[16:17]
	s_cbranch_execnz .LBB599_218
.LBB599_155:
	s_or_b64 exec, exec, s[36:37]
	s_and_saveexec_b64 s[36:37], s[14:15]
	s_cbranch_execnz .LBB599_219
.LBB599_156:
	s_or_b64 exec, exec, s[36:37]
	s_and_saveexec_b64 s[36:37], s[12:13]
	s_cbranch_execnz .LBB599_220
.LBB599_157:
	s_or_b64 exec, exec, s[36:37]
	s_and_saveexec_b64 s[36:37], s[10:11]
	s_cbranch_execnz .LBB599_221
.LBB599_158:
	s_or_b64 exec, exec, s[36:37]
	s_and_saveexec_b64 s[36:37], s[8:9]
	s_cbranch_execnz .LBB599_222
.LBB599_159:
	s_or_b64 exec, exec, s[36:37]
	s_and_saveexec_b64 s[36:37], s[6:7]
	s_cbranch_execnz .LBB599_223
.LBB599_160:
	s_or_b64 exec, exec, s[36:37]
	s_and_saveexec_b64 s[36:37], s[4:5]
	s_cbranch_execnz .LBB599_224
.LBB599_161:
	s_or_b64 exec, exec, s[36:37]
	s_and_saveexec_b64 s[36:37], s[2:3]
	s_cbranch_execz .LBB599_163
.LBB599_162:
	v_sub_u32_e32 v62, v16, v6
	v_mov_b32_e32 v63, 0
	v_lshl_add_u64 v[62:63], v[62:63], 1, v[46:47]
	global_store_short v[62:63], v1, off
.LBB599_163:
	s_or_b64 exec, exec, s[36:37]
	s_and_b64 s[36:37], s[0:1], exec
	s_andn2_saveexec_b64 s[28:29], s[28:29]
	s_cbranch_execz .LBB599_104
.LBB599_164:
	v_sub_u32_e32 v62, v42, v6
	v_mov_b32_e32 v63, 0
	v_lshl_add_u64 v[64:65], v[62:63], 1, v[46:47]
	v_sub_u32_e32 v62, v40, v6
	global_store_short v[64:65], v12, off
	v_lshl_add_u64 v[64:65], v[62:63], 1, v[46:47]
	v_sub_u32_e32 v62, v38, v6
	global_store_short_d16_hi v[64:65], v12, off
	v_lshl_add_u64 v[64:65], v[62:63], 1, v[46:47]
	v_sub_u32_e32 v62, v36, v6
	global_store_short v[64:65], v13, off
	v_lshl_add_u64 v[64:65], v[62:63], 1, v[46:47]
	v_sub_u32_e32 v62, v34, v6
	global_store_short_d16_hi v[64:65], v13, off
	;; [unrolled: 6-line block ×5, first 2 shown]
	v_lshl_add_u64 v[64:65], v[62:63], 1, v[46:47]
	v_sub_u32_e32 v62, v20, v6
	global_store_short v[64:65], v9, off
	v_lshl_add_u64 v[64:65], v[62:63], 1, v[46:47]
	v_sub_u32_e32 v62, v16, v6
	v_lshl_add_u64 v[62:63], v[62:63], 1, v[46:47]
	s_or_b64 s[36:37], s[36:37], exec
	global_store_short_d16_hi v[64:65], v9, off
	global_store_short v[62:63], v1, off
	s_or_b64 exec, exec, s[28:29]
	s_and_b64 exec, exec, s[36:37]
	s_cbranch_execnz .LBB599_105
	s_branch .LBB599_106
.LBB599_165:
	s_and_saveexec_b64 s[36:37], s[26:27]
	s_cbranch_execnz .LBB599_225
; %bb.166:
	s_or_b64 exec, exec, s[36:37]
	s_and_saveexec_b64 s[26:27], s[24:25]
	s_cbranch_execnz .LBB599_226
.LBB599_167:
	s_or_b64 exec, exec, s[26:27]
	s_and_saveexec_b64 s[24:25], s[22:23]
	s_cbranch_execnz .LBB599_227
.LBB599_168:
	s_or_b64 exec, exec, s[24:25]
	s_and_saveexec_b64 s[22:23], s[20:21]
	s_cbranch_execnz .LBB599_228
.LBB599_169:
	s_or_b64 exec, exec, s[22:23]
	s_and_saveexec_b64 s[20:21], s[18:19]
	s_cbranch_execnz .LBB599_229
.LBB599_170:
	s_or_b64 exec, exec, s[20:21]
	s_and_saveexec_b64 s[18:19], s[16:17]
	s_cbranch_execnz .LBB599_230
.LBB599_171:
	s_or_b64 exec, exec, s[18:19]
	s_and_saveexec_b64 s[16:17], s[14:15]
	s_cbranch_execnz .LBB599_231
.LBB599_172:
	s_or_b64 exec, exec, s[16:17]
	s_and_saveexec_b64 s[14:15], s[12:13]
	s_cbranch_execnz .LBB599_232
.LBB599_173:
	s_or_b64 exec, exec, s[14:15]
	s_and_saveexec_b64 s[12:13], s[10:11]
	s_cbranch_execnz .LBB599_233
.LBB599_174:
	s_or_b64 exec, exec, s[12:13]
	s_and_saveexec_b64 s[10:11], s[8:9]
	s_cbranch_execnz .LBB599_234
.LBB599_175:
	s_or_b64 exec, exec, s[10:11]
	s_and_saveexec_b64 s[8:9], s[6:7]
	s_cbranch_execnz .LBB599_235
.LBB599_176:
	s_or_b64 exec, exec, s[8:9]
	s_and_saveexec_b64 s[6:7], s[4:5]
	s_cbranch_execnz .LBB599_236
.LBB599_177:
	s_or_b64 exec, exec, s[6:7]
	s_and_saveexec_b64 s[4:5], s[2:3]
	s_cbranch_execz .LBB599_179
.LBB599_178:
	v_sub_u32_e32 v2, v16, v6
	v_lshlrev_b32_e32 v2, 1, v2
	ds_write_b16 v2, v1
.LBB599_179:
	s_or_b64 exec, exec, s[4:5]
	s_and_b64 s[36:37], s[0:1], exec
                                        ; implicit-def: $vgpr12
                                        ; implicit-def: $vgpr10
                                        ; implicit-def: $vgpr8
	s_andn2_saveexec_b64 s[0:1], s[30:31]
	s_cbranch_execz .LBB599_111
.LBB599_180:
	v_sub_u32_e32 v2, v42, v6
	v_lshlrev_b32_e32 v2, 1, v2
	ds_write_b16 v2, v12
	v_sub_u32_e32 v2, v40, v6
	v_lshlrev_b32_e32 v2, 1, v2
	ds_write_b16_d16_hi v2, v12
	v_sub_u32_e32 v2, v38, v6
	v_lshlrev_b32_e32 v2, 1, v2
	ds_write_b16 v2, v13
	v_sub_u32_e32 v2, v36, v6
	v_lshlrev_b32_e32 v2, 1, v2
	ds_write_b16_d16_hi v2, v13
	;; [unrolled: 6-line block ×6, first 2 shown]
	v_sub_u32_e32 v2, v16, v6
	v_lshlrev_b32_e32 v2, 1, v2
	s_or_b64 s[36:37], s[36:37], exec
	ds_write_b16 v2, v1
	s_or_b64 exec, exec, s[0:1]
	s_and_b64 exec, exec, s[36:37]
	s_cbranch_execnz .LBB599_112
	s_branch .LBB599_113
.LBB599_181:
	s_and_saveexec_b64 s[36:37], s[26:27]
	s_cbranch_execnz .LBB599_237
; %bb.182:
	s_or_b64 exec, exec, s[36:37]
	s_and_saveexec_b64 s[36:37], s[24:25]
	s_cbranch_execnz .LBB599_238
.LBB599_183:
	s_or_b64 exec, exec, s[36:37]
	s_and_saveexec_b64 s[36:37], s[22:23]
	s_cbranch_execnz .LBB599_239
.LBB599_184:
	s_or_b64 exec, exec, s[36:37]
	s_and_saveexec_b64 s[36:37], s[20:21]
	s_cbranch_execnz .LBB599_240
.LBB599_185:
	s_or_b64 exec, exec, s[36:37]
	s_and_saveexec_b64 s[36:37], s[18:19]
	s_cbranch_execnz .LBB599_241
.LBB599_186:
	s_or_b64 exec, exec, s[36:37]
	s_and_saveexec_b64 s[36:37], s[16:17]
	s_cbranch_execnz .LBB599_242
.LBB599_187:
	s_or_b64 exec, exec, s[36:37]
	s_and_saveexec_b64 s[36:37], s[14:15]
	s_cbranch_execnz .LBB599_243
.LBB599_188:
	s_or_b64 exec, exec, s[36:37]
	s_and_saveexec_b64 s[36:37], s[12:13]
	s_cbranch_execnz .LBB599_244
.LBB599_189:
	s_or_b64 exec, exec, s[36:37]
	s_and_saveexec_b64 s[36:37], s[10:11]
	s_cbranch_execnz .LBB599_245
.LBB599_190:
	s_or_b64 exec, exec, s[36:37]
	s_and_saveexec_b64 s[36:37], s[8:9]
	s_cbranch_execnz .LBB599_246
.LBB599_191:
	s_or_b64 exec, exec, s[36:37]
	s_and_saveexec_b64 s[36:37], s[6:7]
	s_cbranch_execnz .LBB599_247
.LBB599_192:
	s_or_b64 exec, exec, s[36:37]
	s_and_saveexec_b64 s[36:37], s[4:5]
	s_cbranch_execnz .LBB599_248
.LBB599_193:
	s_or_b64 exec, exec, s[36:37]
	s_and_saveexec_b64 s[36:37], s[2:3]
	s_cbranch_execz .LBB599_195
.LBB599_194:
	v_sub_u32_e32 v48, v16, v5
	v_mov_b32_e32 v49, 0
	v_lshl_add_u64 v[50:51], v[48:49], 3, v[46:47]
	v_mov_b32_e32 v48, v17
	global_store_dwordx2 v[50:51], v[48:49], off
.LBB599_195:
	s_or_b64 exec, exec, s[36:37]
	s_and_b64 s[36:37], s[0:1], exec
	s_andn2_saveexec_b64 s[28:29], s[28:29]
	s_cbranch_execz .LBB599_131
.LBB599_196:
	v_mov_b32_e32 v49, 0
	v_sub_u32_e32 v50, v42, v5
	v_mov_b32_e32 v51, v49
	v_mov_b32_e32 v48, v43
	v_lshl_add_u64 v[50:51], v[50:51], 3, v[46:47]
	global_store_dwordx2 v[50:51], v[48:49], off
	v_sub_u32_e32 v50, v40, v5
	v_mov_b32_e32 v51, v49
	v_mov_b32_e32 v48, v41
	v_lshl_add_u64 v[50:51], v[50:51], 3, v[46:47]
	global_store_dwordx2 v[50:51], v[48:49], off
	;; [unrolled: 5-line block ×12, first 2 shown]
	v_sub_u32_e32 v50, v16, v5
	v_mov_b32_e32 v51, v49
	v_mov_b32_e32 v48, v17
	v_lshl_add_u64 v[50:51], v[50:51], 3, v[46:47]
	s_or_b64 s[36:37], s[36:37], exec
	global_store_dwordx2 v[50:51], v[48:49], off
	s_or_b64 exec, exec, s[28:29]
	s_and_b64 exec, exec, s[36:37]
	s_cbranch_execnz .LBB599_132
	s_branch .LBB599_133
.LBB599_197:
	s_and_saveexec_b64 s[36:37], s[26:27]
	s_cbranch_execnz .LBB599_249
; %bb.198:
	s_or_b64 exec, exec, s[36:37]
	s_and_saveexec_b64 s[26:27], s[24:25]
	s_cbranch_execnz .LBB599_250
.LBB599_199:
	s_or_b64 exec, exec, s[26:27]
	s_and_saveexec_b64 s[24:25], s[22:23]
	s_cbranch_execnz .LBB599_251
.LBB599_200:
	s_or_b64 exec, exec, s[24:25]
	s_and_saveexec_b64 s[22:23], s[20:21]
	s_cbranch_execnz .LBB599_252
.LBB599_201:
	s_or_b64 exec, exec, s[22:23]
	s_and_saveexec_b64 s[20:21], s[18:19]
	s_cbranch_execnz .LBB599_253
.LBB599_202:
	s_or_b64 exec, exec, s[20:21]
	s_and_saveexec_b64 s[18:19], s[16:17]
	s_cbranch_execnz .LBB599_254
.LBB599_203:
	s_or_b64 exec, exec, s[18:19]
	s_and_saveexec_b64 s[16:17], s[14:15]
	s_cbranch_execnz .LBB599_255
.LBB599_204:
	s_or_b64 exec, exec, s[16:17]
	s_and_saveexec_b64 s[14:15], s[12:13]
	s_cbranch_execnz .LBB599_256
.LBB599_205:
	s_or_b64 exec, exec, s[14:15]
	s_and_saveexec_b64 s[12:13], s[10:11]
	s_cbranch_execnz .LBB599_257
.LBB599_206:
	s_or_b64 exec, exec, s[12:13]
	s_and_saveexec_b64 s[10:11], s[8:9]
	s_cbranch_execnz .LBB599_258
.LBB599_207:
	s_or_b64 exec, exec, s[10:11]
	s_and_saveexec_b64 s[8:9], s[6:7]
	s_cbranch_execnz .LBB599_259
.LBB599_208:
	s_or_b64 exec, exec, s[8:9]
	s_and_saveexec_b64 s[6:7], s[4:5]
	s_cbranch_execnz .LBB599_260
.LBB599_209:
	s_or_b64 exec, exec, s[6:7]
	s_and_saveexec_b64 s[4:5], s[2:3]
	s_cbranch_execz .LBB599_211
.LBB599_210:
	v_sub_u32_e32 v15, v16, v5
	v_lshlrev_b32_e32 v15, 2, v15
	ds_write_b32 v15, v17
.LBB599_211:
	s_or_b64 exec, exec, s[4:5]
	s_and_b64 s[36:37], s[0:1], exec
                                        ; implicit-def: $vgpr16_vgpr17
                                        ; implicit-def: $vgpr20_vgpr21
                                        ; implicit-def: $vgpr22_vgpr23
                                        ; implicit-def: $vgpr42_vgpr43
                                        ; implicit-def: $vgpr40_vgpr41
                                        ; implicit-def: $vgpr38_vgpr39
                                        ; implicit-def: $vgpr36_vgpr37
                                        ; implicit-def: $vgpr34_vgpr35
                                        ; implicit-def: $vgpr32_vgpr33
                                        ; implicit-def: $vgpr30_vgpr31
                                        ; implicit-def: $vgpr28_vgpr29
                                        ; implicit-def: $vgpr26_vgpr27
                                        ; implicit-def: $vgpr24_vgpr25
	s_andn2_saveexec_b64 s[0:1], s[30:31]
	s_cbranch_execz .LBB599_138
.LBB599_212:
	v_sub_u32_e32 v15, v42, v5
	v_lshlrev_b32_e32 v15, 2, v15
	ds_write_b32 v15, v43
	v_sub_u32_e32 v15, v40, v5
	v_lshlrev_b32_e32 v15, 2, v15
	ds_write_b32 v15, v41
	;; [unrolled: 3-line block ×12, first 2 shown]
	v_sub_u32_e32 v15, v16, v5
	v_lshlrev_b32_e32 v15, 2, v15
	s_or_b64 s[36:37], s[36:37], exec
	ds_write_b32 v15, v17
	s_or_b64 exec, exec, s[0:1]
	s_and_b64 exec, exec, s[36:37]
	s_cbranch_execnz .LBB599_139
	s_branch .LBB599_140
.LBB599_213:
	v_sub_u32_e32 v62, v42, v6
	v_mov_b32_e32 v63, 0
	v_lshl_add_u64 v[62:63], v[62:63], 1, v[46:47]
	global_store_short v[62:63], v12, off
	s_or_b64 exec, exec, s[36:37]
	s_and_saveexec_b64 s[36:37], s[24:25]
	s_cbranch_execz .LBB599_151
.LBB599_214:
	v_sub_u32_e32 v62, v40, v6
	v_mov_b32_e32 v63, 0
	v_lshl_add_u64 v[62:63], v[62:63], 1, v[46:47]
	global_store_short_d16_hi v[62:63], v12, off
	s_or_b64 exec, exec, s[36:37]
	s_and_saveexec_b64 s[36:37], s[22:23]
	s_cbranch_execz .LBB599_152
.LBB599_215:
	v_sub_u32_e32 v62, v38, v6
	v_mov_b32_e32 v63, 0
	v_lshl_add_u64 v[62:63], v[62:63], 1, v[46:47]
	global_store_short v[62:63], v13, off
	s_or_b64 exec, exec, s[36:37]
	s_and_saveexec_b64 s[36:37], s[20:21]
	s_cbranch_execz .LBB599_153
.LBB599_216:
	v_sub_u32_e32 v62, v36, v6
	v_mov_b32_e32 v63, 0
	v_lshl_add_u64 v[62:63], v[62:63], 1, v[46:47]
	global_store_short_d16_hi v[62:63], v13, off
	s_or_b64 exec, exec, s[36:37]
	s_and_saveexec_b64 s[36:37], s[18:19]
	s_cbranch_execz .LBB599_154
.LBB599_217:
	v_sub_u32_e32 v62, v34, v6
	v_mov_b32_e32 v63, 0
	v_lshl_add_u64 v[62:63], v[62:63], 1, v[46:47]
	global_store_short v[62:63], v10, off
	s_or_b64 exec, exec, s[36:37]
	s_and_saveexec_b64 s[36:37], s[16:17]
	s_cbranch_execz .LBB599_155
.LBB599_218:
	v_sub_u32_e32 v62, v32, v6
	v_mov_b32_e32 v63, 0
	v_lshl_add_u64 v[62:63], v[62:63], 1, v[46:47]
	global_store_short_d16_hi v[62:63], v10, off
	s_or_b64 exec, exec, s[36:37]
	s_and_saveexec_b64 s[36:37], s[14:15]
	s_cbranch_execz .LBB599_156
.LBB599_219:
	v_sub_u32_e32 v62, v30, v6
	v_mov_b32_e32 v63, 0
	v_lshl_add_u64 v[62:63], v[62:63], 1, v[46:47]
	global_store_short v[62:63], v11, off
	s_or_b64 exec, exec, s[36:37]
	s_and_saveexec_b64 s[36:37], s[12:13]
	s_cbranch_execz .LBB599_157
.LBB599_220:
	v_sub_u32_e32 v62, v28, v6
	v_mov_b32_e32 v63, 0
	v_lshl_add_u64 v[62:63], v[62:63], 1, v[46:47]
	global_store_short_d16_hi v[62:63], v11, off
	s_or_b64 exec, exec, s[36:37]
	s_and_saveexec_b64 s[36:37], s[10:11]
	s_cbranch_execz .LBB599_158
.LBB599_221:
	v_sub_u32_e32 v62, v26, v6
	v_mov_b32_e32 v63, 0
	v_lshl_add_u64 v[62:63], v[62:63], 1, v[46:47]
	global_store_short v[62:63], v8, off
	s_or_b64 exec, exec, s[36:37]
	s_and_saveexec_b64 s[36:37], s[8:9]
	s_cbranch_execz .LBB599_159
.LBB599_222:
	v_sub_u32_e32 v62, v24, v6
	v_mov_b32_e32 v63, 0
	v_lshl_add_u64 v[62:63], v[62:63], 1, v[46:47]
	global_store_short_d16_hi v[62:63], v8, off
	s_or_b64 exec, exec, s[36:37]
	s_and_saveexec_b64 s[36:37], s[6:7]
	s_cbranch_execz .LBB599_160
.LBB599_223:
	v_sub_u32_e32 v62, v22, v6
	v_mov_b32_e32 v63, 0
	v_lshl_add_u64 v[62:63], v[62:63], 1, v[46:47]
	global_store_short v[62:63], v9, off
	s_or_b64 exec, exec, s[36:37]
	s_and_saveexec_b64 s[36:37], s[4:5]
	s_cbranch_execz .LBB599_161
.LBB599_224:
	v_sub_u32_e32 v62, v20, v6
	v_mov_b32_e32 v63, 0
	v_lshl_add_u64 v[62:63], v[62:63], 1, v[46:47]
	global_store_short_d16_hi v[62:63], v9, off
	s_or_b64 exec, exec, s[36:37]
	s_and_saveexec_b64 s[36:37], s[2:3]
	s_cbranch_execnz .LBB599_162
	s_branch .LBB599_163
.LBB599_225:
	v_sub_u32_e32 v2, v42, v6
	v_lshlrev_b32_e32 v2, 1, v2
	ds_write_b16 v2, v12
	s_or_b64 exec, exec, s[36:37]
	s_and_saveexec_b64 s[26:27], s[24:25]
	s_cbranch_execz .LBB599_167
.LBB599_226:
	v_sub_u32_e32 v2, v40, v6
	v_lshlrev_b32_e32 v2, 1, v2
	ds_write_b16_d16_hi v2, v12
	s_or_b64 exec, exec, s[26:27]
	s_and_saveexec_b64 s[24:25], s[22:23]
	s_cbranch_execz .LBB599_168
.LBB599_227:
	v_sub_u32_e32 v2, v38, v6
	v_lshlrev_b32_e32 v2, 1, v2
	ds_write_b16 v2, v13
	s_or_b64 exec, exec, s[24:25]
	s_and_saveexec_b64 s[22:23], s[20:21]
	s_cbranch_execz .LBB599_169
.LBB599_228:
	v_sub_u32_e32 v2, v36, v6
	v_lshlrev_b32_e32 v2, 1, v2
	ds_write_b16_d16_hi v2, v13
	s_or_b64 exec, exec, s[22:23]
	s_and_saveexec_b64 s[20:21], s[18:19]
	s_cbranch_execz .LBB599_170
.LBB599_229:
	v_sub_u32_e32 v2, v34, v6
	v_lshlrev_b32_e32 v2, 1, v2
	ds_write_b16 v2, v10
	s_or_b64 exec, exec, s[20:21]
	s_and_saveexec_b64 s[18:19], s[16:17]
	s_cbranch_execz .LBB599_171
.LBB599_230:
	v_sub_u32_e32 v2, v32, v6
	v_lshlrev_b32_e32 v2, 1, v2
	ds_write_b16_d16_hi v2, v10
	s_or_b64 exec, exec, s[18:19]
	s_and_saveexec_b64 s[16:17], s[14:15]
	s_cbranch_execz .LBB599_172
.LBB599_231:
	v_sub_u32_e32 v2, v30, v6
	v_lshlrev_b32_e32 v2, 1, v2
	ds_write_b16 v2, v11
	s_or_b64 exec, exec, s[16:17]
	s_and_saveexec_b64 s[14:15], s[12:13]
	s_cbranch_execz .LBB599_173
.LBB599_232:
	v_sub_u32_e32 v2, v28, v6
	v_lshlrev_b32_e32 v2, 1, v2
	ds_write_b16_d16_hi v2, v11
	s_or_b64 exec, exec, s[14:15]
	s_and_saveexec_b64 s[12:13], s[10:11]
	s_cbranch_execz .LBB599_174
.LBB599_233:
	v_sub_u32_e32 v2, v26, v6
	v_lshlrev_b32_e32 v2, 1, v2
	ds_write_b16 v2, v8
	s_or_b64 exec, exec, s[12:13]
	s_and_saveexec_b64 s[10:11], s[8:9]
	s_cbranch_execz .LBB599_175
.LBB599_234:
	v_sub_u32_e32 v2, v24, v6
	v_lshlrev_b32_e32 v2, 1, v2
	ds_write_b16_d16_hi v2, v8
	s_or_b64 exec, exec, s[10:11]
	s_and_saveexec_b64 s[8:9], s[6:7]
	s_cbranch_execz .LBB599_176
.LBB599_235:
	v_sub_u32_e32 v2, v22, v6
	v_lshlrev_b32_e32 v2, 1, v2
	ds_write_b16 v2, v9
	s_or_b64 exec, exec, s[8:9]
	s_and_saveexec_b64 s[6:7], s[4:5]
	s_cbranch_execz .LBB599_177
.LBB599_236:
	v_sub_u32_e32 v2, v20, v6
	v_lshlrev_b32_e32 v2, 1, v2
	ds_write_b16_d16_hi v2, v9
	s_or_b64 exec, exec, s[6:7]
	s_and_saveexec_b64 s[4:5], s[2:3]
	s_cbranch_execnz .LBB599_178
	s_branch .LBB599_179
.LBB599_237:
	v_sub_u32_e32 v48, v42, v5
	v_mov_b32_e32 v49, 0
	v_lshl_add_u64 v[50:51], v[48:49], 3, v[46:47]
	v_mov_b32_e32 v48, v43
	global_store_dwordx2 v[50:51], v[48:49], off
	s_or_b64 exec, exec, s[36:37]
	s_and_saveexec_b64 s[36:37], s[24:25]
	s_cbranch_execz .LBB599_183
.LBB599_238:
	v_sub_u32_e32 v48, v40, v5
	v_mov_b32_e32 v49, 0
	v_lshl_add_u64 v[50:51], v[48:49], 3, v[46:47]
	v_mov_b32_e32 v48, v41
	global_store_dwordx2 v[50:51], v[48:49], off
	s_or_b64 exec, exec, s[36:37]
	s_and_saveexec_b64 s[36:37], s[22:23]
	s_cbranch_execz .LBB599_184
.LBB599_239:
	v_sub_u32_e32 v48, v38, v5
	v_mov_b32_e32 v49, 0
	v_lshl_add_u64 v[50:51], v[48:49], 3, v[46:47]
	v_mov_b32_e32 v48, v39
	global_store_dwordx2 v[50:51], v[48:49], off
	s_or_b64 exec, exec, s[36:37]
	s_and_saveexec_b64 s[36:37], s[20:21]
	s_cbranch_execz .LBB599_185
.LBB599_240:
	v_sub_u32_e32 v48, v36, v5
	v_mov_b32_e32 v49, 0
	v_lshl_add_u64 v[50:51], v[48:49], 3, v[46:47]
	v_mov_b32_e32 v48, v37
	global_store_dwordx2 v[50:51], v[48:49], off
	s_or_b64 exec, exec, s[36:37]
	s_and_saveexec_b64 s[36:37], s[18:19]
	s_cbranch_execz .LBB599_186
.LBB599_241:
	v_sub_u32_e32 v48, v34, v5
	v_mov_b32_e32 v49, 0
	v_lshl_add_u64 v[50:51], v[48:49], 3, v[46:47]
	v_mov_b32_e32 v48, v35
	global_store_dwordx2 v[50:51], v[48:49], off
	s_or_b64 exec, exec, s[36:37]
	s_and_saveexec_b64 s[36:37], s[16:17]
	s_cbranch_execz .LBB599_187
.LBB599_242:
	v_sub_u32_e32 v48, v32, v5
	v_mov_b32_e32 v49, 0
	v_lshl_add_u64 v[50:51], v[48:49], 3, v[46:47]
	v_mov_b32_e32 v48, v33
	global_store_dwordx2 v[50:51], v[48:49], off
	s_or_b64 exec, exec, s[36:37]
	s_and_saveexec_b64 s[36:37], s[14:15]
	s_cbranch_execz .LBB599_188
.LBB599_243:
	v_sub_u32_e32 v48, v30, v5
	v_mov_b32_e32 v49, 0
	v_lshl_add_u64 v[50:51], v[48:49], 3, v[46:47]
	v_mov_b32_e32 v48, v31
	global_store_dwordx2 v[50:51], v[48:49], off
	s_or_b64 exec, exec, s[36:37]
	s_and_saveexec_b64 s[36:37], s[12:13]
	s_cbranch_execz .LBB599_189
.LBB599_244:
	v_sub_u32_e32 v48, v28, v5
	v_mov_b32_e32 v49, 0
	v_lshl_add_u64 v[50:51], v[48:49], 3, v[46:47]
	v_mov_b32_e32 v48, v29
	global_store_dwordx2 v[50:51], v[48:49], off
	s_or_b64 exec, exec, s[36:37]
	s_and_saveexec_b64 s[36:37], s[10:11]
	s_cbranch_execz .LBB599_190
.LBB599_245:
	v_sub_u32_e32 v48, v26, v5
	v_mov_b32_e32 v49, 0
	v_lshl_add_u64 v[50:51], v[48:49], 3, v[46:47]
	v_mov_b32_e32 v48, v27
	global_store_dwordx2 v[50:51], v[48:49], off
	s_or_b64 exec, exec, s[36:37]
	s_and_saveexec_b64 s[36:37], s[8:9]
	s_cbranch_execz .LBB599_191
.LBB599_246:
	v_sub_u32_e32 v48, v24, v5
	v_mov_b32_e32 v49, 0
	v_lshl_add_u64 v[50:51], v[48:49], 3, v[46:47]
	v_mov_b32_e32 v48, v25
	global_store_dwordx2 v[50:51], v[48:49], off
	s_or_b64 exec, exec, s[36:37]
	s_and_saveexec_b64 s[36:37], s[6:7]
	s_cbranch_execz .LBB599_192
.LBB599_247:
	v_sub_u32_e32 v48, v22, v5
	v_mov_b32_e32 v49, 0
	v_lshl_add_u64 v[50:51], v[48:49], 3, v[46:47]
	v_mov_b32_e32 v48, v23
	global_store_dwordx2 v[50:51], v[48:49], off
	s_or_b64 exec, exec, s[36:37]
	s_and_saveexec_b64 s[36:37], s[4:5]
	s_cbranch_execz .LBB599_193
.LBB599_248:
	v_sub_u32_e32 v48, v20, v5
	v_mov_b32_e32 v49, 0
	v_lshl_add_u64 v[50:51], v[48:49], 3, v[46:47]
	v_mov_b32_e32 v48, v21
	global_store_dwordx2 v[50:51], v[48:49], off
	s_or_b64 exec, exec, s[36:37]
	s_and_saveexec_b64 s[36:37], s[2:3]
	s_cbranch_execnz .LBB599_194
	s_branch .LBB599_195
.LBB599_249:
	v_sub_u32_e32 v15, v42, v5
	v_lshlrev_b32_e32 v15, 2, v15
	ds_write_b32 v15, v43
	s_or_b64 exec, exec, s[36:37]
	s_and_saveexec_b64 s[26:27], s[24:25]
	s_cbranch_execz .LBB599_199
.LBB599_250:
	v_sub_u32_e32 v15, v40, v5
	v_lshlrev_b32_e32 v15, 2, v15
	ds_write_b32 v15, v41
	s_or_b64 exec, exec, s[26:27]
	s_and_saveexec_b64 s[24:25], s[22:23]
	s_cbranch_execz .LBB599_200
.LBB599_251:
	v_sub_u32_e32 v15, v38, v5
	v_lshlrev_b32_e32 v15, 2, v15
	ds_write_b32 v15, v39
	s_or_b64 exec, exec, s[24:25]
	s_and_saveexec_b64 s[22:23], s[20:21]
	s_cbranch_execz .LBB599_201
.LBB599_252:
	v_sub_u32_e32 v15, v36, v5
	v_lshlrev_b32_e32 v15, 2, v15
	ds_write_b32 v15, v37
	s_or_b64 exec, exec, s[22:23]
	s_and_saveexec_b64 s[20:21], s[18:19]
	s_cbranch_execz .LBB599_202
.LBB599_253:
	v_sub_u32_e32 v15, v34, v5
	v_lshlrev_b32_e32 v15, 2, v15
	ds_write_b32 v15, v35
	s_or_b64 exec, exec, s[20:21]
	s_and_saveexec_b64 s[18:19], s[16:17]
	s_cbranch_execz .LBB599_203
.LBB599_254:
	v_sub_u32_e32 v15, v32, v5
	v_lshlrev_b32_e32 v15, 2, v15
	ds_write_b32 v15, v33
	s_or_b64 exec, exec, s[18:19]
	s_and_saveexec_b64 s[16:17], s[14:15]
	s_cbranch_execz .LBB599_204
.LBB599_255:
	v_sub_u32_e32 v15, v30, v5
	v_lshlrev_b32_e32 v15, 2, v15
	ds_write_b32 v15, v31
	s_or_b64 exec, exec, s[16:17]
	s_and_saveexec_b64 s[14:15], s[12:13]
	s_cbranch_execz .LBB599_205
.LBB599_256:
	v_sub_u32_e32 v15, v28, v5
	v_lshlrev_b32_e32 v15, 2, v15
	ds_write_b32 v15, v29
	s_or_b64 exec, exec, s[14:15]
	s_and_saveexec_b64 s[12:13], s[10:11]
	s_cbranch_execz .LBB599_206
.LBB599_257:
	v_sub_u32_e32 v15, v26, v5
	v_lshlrev_b32_e32 v15, 2, v15
	ds_write_b32 v15, v27
	s_or_b64 exec, exec, s[12:13]
	s_and_saveexec_b64 s[10:11], s[8:9]
	s_cbranch_execz .LBB599_207
.LBB599_258:
	v_sub_u32_e32 v15, v24, v5
	v_lshlrev_b32_e32 v15, 2, v15
	ds_write_b32 v15, v25
	s_or_b64 exec, exec, s[10:11]
	s_and_saveexec_b64 s[8:9], s[6:7]
	s_cbranch_execz .LBB599_208
.LBB599_259:
	v_sub_u32_e32 v15, v22, v5
	v_lshlrev_b32_e32 v15, 2, v15
	ds_write_b32 v15, v23
	s_or_b64 exec, exec, s[8:9]
	s_and_saveexec_b64 s[6:7], s[4:5]
	s_cbranch_execz .LBB599_209
.LBB599_260:
	v_sub_u32_e32 v15, v20, v5
	v_lshlrev_b32_e32 v15, 2, v15
	ds_write_b32 v15, v21
	s_or_b64 exec, exec, s[6:7]
	s_and_saveexec_b64 s[4:5], s[2:3]
	s_cbranch_execnz .LBB599_210
	s_branch .LBB599_211
	.section	.rodata,"a",@progbits
	.p2align	6, 0x0
	.amdhsa_kernel _ZN7rocprim17ROCPRIM_400000_NS6detail17trampoline_kernelINS0_14default_configENS1_33run_length_encode_config_selectorIsjNS0_4plusIjEEEEZZNS1_33reduce_by_key_impl_wrapped_configILNS1_25lookback_scan_determinismE0ES3_S7_PKsNS0_17constant_iteratorIjlEEPsPlSF_S6_NS0_8equal_toIsEEEE10hipError_tPvRmT2_T3_mT4_T5_T6_T7_T8_P12ihipStream_tbENKUlT_T0_E_clISt17integral_constantIbLb1EESY_IbLb0EEEEDaSU_SV_EUlSU_E_NS1_11comp_targetILNS1_3genE5ELNS1_11target_archE942ELNS1_3gpuE9ELNS1_3repE0EEENS1_30default_config_static_selectorELNS0_4arch9wavefront6targetE1EEEvT1_
		.amdhsa_group_segment_fixed_size 28672
		.amdhsa_private_segment_fixed_size 0
		.amdhsa_kernarg_size 128
		.amdhsa_user_sgpr_count 2
		.amdhsa_user_sgpr_dispatch_ptr 0
		.amdhsa_user_sgpr_queue_ptr 0
		.amdhsa_user_sgpr_kernarg_segment_ptr 1
		.amdhsa_user_sgpr_dispatch_id 0
		.amdhsa_user_sgpr_kernarg_preload_length 0
		.amdhsa_user_sgpr_kernarg_preload_offset 0
		.amdhsa_user_sgpr_private_segment_size 0
		.amdhsa_uses_dynamic_stack 0
		.amdhsa_enable_private_segment 0
		.amdhsa_system_sgpr_workgroup_id_x 1
		.amdhsa_system_sgpr_workgroup_id_y 0
		.amdhsa_system_sgpr_workgroup_id_z 0
		.amdhsa_system_sgpr_workgroup_info 0
		.amdhsa_system_vgpr_workitem_id 0
		.amdhsa_next_free_vgpr 105
		.amdhsa_next_free_sgpr 62
		.amdhsa_accum_offset 108
		.amdhsa_reserve_vcc 1
		.amdhsa_float_round_mode_32 0
		.amdhsa_float_round_mode_16_64 0
		.amdhsa_float_denorm_mode_32 3
		.amdhsa_float_denorm_mode_16_64 3
		.amdhsa_dx10_clamp 1
		.amdhsa_ieee_mode 1
		.amdhsa_fp16_overflow 0
		.amdhsa_tg_split 0
		.amdhsa_exception_fp_ieee_invalid_op 0
		.amdhsa_exception_fp_denorm_src 0
		.amdhsa_exception_fp_ieee_div_zero 0
		.amdhsa_exception_fp_ieee_overflow 0
		.amdhsa_exception_fp_ieee_underflow 0
		.amdhsa_exception_fp_ieee_inexact 0
		.amdhsa_exception_int_div_zero 0
	.end_amdhsa_kernel
	.section	.text._ZN7rocprim17ROCPRIM_400000_NS6detail17trampoline_kernelINS0_14default_configENS1_33run_length_encode_config_selectorIsjNS0_4plusIjEEEEZZNS1_33reduce_by_key_impl_wrapped_configILNS1_25lookback_scan_determinismE0ES3_S7_PKsNS0_17constant_iteratorIjlEEPsPlSF_S6_NS0_8equal_toIsEEEE10hipError_tPvRmT2_T3_mT4_T5_T6_T7_T8_P12ihipStream_tbENKUlT_T0_E_clISt17integral_constantIbLb1EESY_IbLb0EEEEDaSU_SV_EUlSU_E_NS1_11comp_targetILNS1_3genE5ELNS1_11target_archE942ELNS1_3gpuE9ELNS1_3repE0EEENS1_30default_config_static_selectorELNS0_4arch9wavefront6targetE1EEEvT1_,"axG",@progbits,_ZN7rocprim17ROCPRIM_400000_NS6detail17trampoline_kernelINS0_14default_configENS1_33run_length_encode_config_selectorIsjNS0_4plusIjEEEEZZNS1_33reduce_by_key_impl_wrapped_configILNS1_25lookback_scan_determinismE0ES3_S7_PKsNS0_17constant_iteratorIjlEEPsPlSF_S6_NS0_8equal_toIsEEEE10hipError_tPvRmT2_T3_mT4_T5_T6_T7_T8_P12ihipStream_tbENKUlT_T0_E_clISt17integral_constantIbLb1EESY_IbLb0EEEEDaSU_SV_EUlSU_E_NS1_11comp_targetILNS1_3genE5ELNS1_11target_archE942ELNS1_3gpuE9ELNS1_3repE0EEENS1_30default_config_static_selectorELNS0_4arch9wavefront6targetE1EEEvT1_,comdat
.Lfunc_end599:
	.size	_ZN7rocprim17ROCPRIM_400000_NS6detail17trampoline_kernelINS0_14default_configENS1_33run_length_encode_config_selectorIsjNS0_4plusIjEEEEZZNS1_33reduce_by_key_impl_wrapped_configILNS1_25lookback_scan_determinismE0ES3_S7_PKsNS0_17constant_iteratorIjlEEPsPlSF_S6_NS0_8equal_toIsEEEE10hipError_tPvRmT2_T3_mT4_T5_T6_T7_T8_P12ihipStream_tbENKUlT_T0_E_clISt17integral_constantIbLb1EESY_IbLb0EEEEDaSU_SV_EUlSU_E_NS1_11comp_targetILNS1_3genE5ELNS1_11target_archE942ELNS1_3gpuE9ELNS1_3repE0EEENS1_30default_config_static_selectorELNS0_4arch9wavefront6targetE1EEEvT1_, .Lfunc_end599-_ZN7rocprim17ROCPRIM_400000_NS6detail17trampoline_kernelINS0_14default_configENS1_33run_length_encode_config_selectorIsjNS0_4plusIjEEEEZZNS1_33reduce_by_key_impl_wrapped_configILNS1_25lookback_scan_determinismE0ES3_S7_PKsNS0_17constant_iteratorIjlEEPsPlSF_S6_NS0_8equal_toIsEEEE10hipError_tPvRmT2_T3_mT4_T5_T6_T7_T8_P12ihipStream_tbENKUlT_T0_E_clISt17integral_constantIbLb1EESY_IbLb0EEEEDaSU_SV_EUlSU_E_NS1_11comp_targetILNS1_3genE5ELNS1_11target_archE942ELNS1_3gpuE9ELNS1_3repE0EEENS1_30default_config_static_selectorELNS0_4arch9wavefront6targetE1EEEvT1_
                                        ; -- End function
	.section	.AMDGPU.csdata,"",@progbits
; Kernel info:
; codeLenInByte = 14304
; NumSgprs: 68
; NumVgprs: 105
; NumAgprs: 0
; TotalNumVgprs: 105
; ScratchSize: 0
; MemoryBound: 0
; FloatMode: 240
; IeeeMode: 1
; LDSByteSize: 28672 bytes/workgroup (compile time only)
; SGPRBlocks: 8
; VGPRBlocks: 13
; NumSGPRsForWavesPerEU: 68
; NumVGPRsForWavesPerEU: 105
; AccumOffset: 108
; Occupancy: 4
; WaveLimiterHint : 1
; COMPUTE_PGM_RSRC2:SCRATCH_EN: 0
; COMPUTE_PGM_RSRC2:USER_SGPR: 2
; COMPUTE_PGM_RSRC2:TRAP_HANDLER: 0
; COMPUTE_PGM_RSRC2:TGID_X_EN: 1
; COMPUTE_PGM_RSRC2:TGID_Y_EN: 0
; COMPUTE_PGM_RSRC2:TGID_Z_EN: 0
; COMPUTE_PGM_RSRC2:TIDIG_COMP_CNT: 0
; COMPUTE_PGM_RSRC3_GFX90A:ACCUM_OFFSET: 26
; COMPUTE_PGM_RSRC3_GFX90A:TG_SPLIT: 0
	.section	.text._ZN7rocprim17ROCPRIM_400000_NS6detail17trampoline_kernelINS0_14default_configENS1_33run_length_encode_config_selectorIsjNS0_4plusIjEEEEZZNS1_33reduce_by_key_impl_wrapped_configILNS1_25lookback_scan_determinismE0ES3_S7_PKsNS0_17constant_iteratorIjlEEPsPlSF_S6_NS0_8equal_toIsEEEE10hipError_tPvRmT2_T3_mT4_T5_T6_T7_T8_P12ihipStream_tbENKUlT_T0_E_clISt17integral_constantIbLb1EESY_IbLb0EEEEDaSU_SV_EUlSU_E_NS1_11comp_targetILNS1_3genE4ELNS1_11target_archE910ELNS1_3gpuE8ELNS1_3repE0EEENS1_30default_config_static_selectorELNS0_4arch9wavefront6targetE1EEEvT1_,"axG",@progbits,_ZN7rocprim17ROCPRIM_400000_NS6detail17trampoline_kernelINS0_14default_configENS1_33run_length_encode_config_selectorIsjNS0_4plusIjEEEEZZNS1_33reduce_by_key_impl_wrapped_configILNS1_25lookback_scan_determinismE0ES3_S7_PKsNS0_17constant_iteratorIjlEEPsPlSF_S6_NS0_8equal_toIsEEEE10hipError_tPvRmT2_T3_mT4_T5_T6_T7_T8_P12ihipStream_tbENKUlT_T0_E_clISt17integral_constantIbLb1EESY_IbLb0EEEEDaSU_SV_EUlSU_E_NS1_11comp_targetILNS1_3genE4ELNS1_11target_archE910ELNS1_3gpuE8ELNS1_3repE0EEENS1_30default_config_static_selectorELNS0_4arch9wavefront6targetE1EEEvT1_,comdat
	.protected	_ZN7rocprim17ROCPRIM_400000_NS6detail17trampoline_kernelINS0_14default_configENS1_33run_length_encode_config_selectorIsjNS0_4plusIjEEEEZZNS1_33reduce_by_key_impl_wrapped_configILNS1_25lookback_scan_determinismE0ES3_S7_PKsNS0_17constant_iteratorIjlEEPsPlSF_S6_NS0_8equal_toIsEEEE10hipError_tPvRmT2_T3_mT4_T5_T6_T7_T8_P12ihipStream_tbENKUlT_T0_E_clISt17integral_constantIbLb1EESY_IbLb0EEEEDaSU_SV_EUlSU_E_NS1_11comp_targetILNS1_3genE4ELNS1_11target_archE910ELNS1_3gpuE8ELNS1_3repE0EEENS1_30default_config_static_selectorELNS0_4arch9wavefront6targetE1EEEvT1_ ; -- Begin function _ZN7rocprim17ROCPRIM_400000_NS6detail17trampoline_kernelINS0_14default_configENS1_33run_length_encode_config_selectorIsjNS0_4plusIjEEEEZZNS1_33reduce_by_key_impl_wrapped_configILNS1_25lookback_scan_determinismE0ES3_S7_PKsNS0_17constant_iteratorIjlEEPsPlSF_S6_NS0_8equal_toIsEEEE10hipError_tPvRmT2_T3_mT4_T5_T6_T7_T8_P12ihipStream_tbENKUlT_T0_E_clISt17integral_constantIbLb1EESY_IbLb0EEEEDaSU_SV_EUlSU_E_NS1_11comp_targetILNS1_3genE4ELNS1_11target_archE910ELNS1_3gpuE8ELNS1_3repE0EEENS1_30default_config_static_selectorELNS0_4arch9wavefront6targetE1EEEvT1_
	.globl	_ZN7rocprim17ROCPRIM_400000_NS6detail17trampoline_kernelINS0_14default_configENS1_33run_length_encode_config_selectorIsjNS0_4plusIjEEEEZZNS1_33reduce_by_key_impl_wrapped_configILNS1_25lookback_scan_determinismE0ES3_S7_PKsNS0_17constant_iteratorIjlEEPsPlSF_S6_NS0_8equal_toIsEEEE10hipError_tPvRmT2_T3_mT4_T5_T6_T7_T8_P12ihipStream_tbENKUlT_T0_E_clISt17integral_constantIbLb1EESY_IbLb0EEEEDaSU_SV_EUlSU_E_NS1_11comp_targetILNS1_3genE4ELNS1_11target_archE910ELNS1_3gpuE8ELNS1_3repE0EEENS1_30default_config_static_selectorELNS0_4arch9wavefront6targetE1EEEvT1_
	.p2align	8
	.type	_ZN7rocprim17ROCPRIM_400000_NS6detail17trampoline_kernelINS0_14default_configENS1_33run_length_encode_config_selectorIsjNS0_4plusIjEEEEZZNS1_33reduce_by_key_impl_wrapped_configILNS1_25lookback_scan_determinismE0ES3_S7_PKsNS0_17constant_iteratorIjlEEPsPlSF_S6_NS0_8equal_toIsEEEE10hipError_tPvRmT2_T3_mT4_T5_T6_T7_T8_P12ihipStream_tbENKUlT_T0_E_clISt17integral_constantIbLb1EESY_IbLb0EEEEDaSU_SV_EUlSU_E_NS1_11comp_targetILNS1_3genE4ELNS1_11target_archE910ELNS1_3gpuE8ELNS1_3repE0EEENS1_30default_config_static_selectorELNS0_4arch9wavefront6targetE1EEEvT1_,@function
_ZN7rocprim17ROCPRIM_400000_NS6detail17trampoline_kernelINS0_14default_configENS1_33run_length_encode_config_selectorIsjNS0_4plusIjEEEEZZNS1_33reduce_by_key_impl_wrapped_configILNS1_25lookback_scan_determinismE0ES3_S7_PKsNS0_17constant_iteratorIjlEEPsPlSF_S6_NS0_8equal_toIsEEEE10hipError_tPvRmT2_T3_mT4_T5_T6_T7_T8_P12ihipStream_tbENKUlT_T0_E_clISt17integral_constantIbLb1EESY_IbLb0EEEEDaSU_SV_EUlSU_E_NS1_11comp_targetILNS1_3genE4ELNS1_11target_archE910ELNS1_3gpuE8ELNS1_3repE0EEENS1_30default_config_static_selectorELNS0_4arch9wavefront6targetE1EEEvT1_: ; @_ZN7rocprim17ROCPRIM_400000_NS6detail17trampoline_kernelINS0_14default_configENS1_33run_length_encode_config_selectorIsjNS0_4plusIjEEEEZZNS1_33reduce_by_key_impl_wrapped_configILNS1_25lookback_scan_determinismE0ES3_S7_PKsNS0_17constant_iteratorIjlEEPsPlSF_S6_NS0_8equal_toIsEEEE10hipError_tPvRmT2_T3_mT4_T5_T6_T7_T8_P12ihipStream_tbENKUlT_T0_E_clISt17integral_constantIbLb1EESY_IbLb0EEEEDaSU_SV_EUlSU_E_NS1_11comp_targetILNS1_3genE4ELNS1_11target_archE910ELNS1_3gpuE8ELNS1_3repE0EEENS1_30default_config_static_selectorELNS0_4arch9wavefront6targetE1EEEvT1_
; %bb.0:
	.section	.rodata,"a",@progbits
	.p2align	6, 0x0
	.amdhsa_kernel _ZN7rocprim17ROCPRIM_400000_NS6detail17trampoline_kernelINS0_14default_configENS1_33run_length_encode_config_selectorIsjNS0_4plusIjEEEEZZNS1_33reduce_by_key_impl_wrapped_configILNS1_25lookback_scan_determinismE0ES3_S7_PKsNS0_17constant_iteratorIjlEEPsPlSF_S6_NS0_8equal_toIsEEEE10hipError_tPvRmT2_T3_mT4_T5_T6_T7_T8_P12ihipStream_tbENKUlT_T0_E_clISt17integral_constantIbLb1EESY_IbLb0EEEEDaSU_SV_EUlSU_E_NS1_11comp_targetILNS1_3genE4ELNS1_11target_archE910ELNS1_3gpuE8ELNS1_3repE0EEENS1_30default_config_static_selectorELNS0_4arch9wavefront6targetE1EEEvT1_
		.amdhsa_group_segment_fixed_size 0
		.amdhsa_private_segment_fixed_size 0
		.amdhsa_kernarg_size 128
		.amdhsa_user_sgpr_count 2
		.amdhsa_user_sgpr_dispatch_ptr 0
		.amdhsa_user_sgpr_queue_ptr 0
		.amdhsa_user_sgpr_kernarg_segment_ptr 1
		.amdhsa_user_sgpr_dispatch_id 0
		.amdhsa_user_sgpr_kernarg_preload_length 0
		.amdhsa_user_sgpr_kernarg_preload_offset 0
		.amdhsa_user_sgpr_private_segment_size 0
		.amdhsa_uses_dynamic_stack 0
		.amdhsa_enable_private_segment 0
		.amdhsa_system_sgpr_workgroup_id_x 1
		.amdhsa_system_sgpr_workgroup_id_y 0
		.amdhsa_system_sgpr_workgroup_id_z 0
		.amdhsa_system_sgpr_workgroup_info 0
		.amdhsa_system_vgpr_workitem_id 0
		.amdhsa_next_free_vgpr 1
		.amdhsa_next_free_sgpr 0
		.amdhsa_accum_offset 4
		.amdhsa_reserve_vcc 0
		.amdhsa_float_round_mode_32 0
		.amdhsa_float_round_mode_16_64 0
		.amdhsa_float_denorm_mode_32 3
		.amdhsa_float_denorm_mode_16_64 3
		.amdhsa_dx10_clamp 1
		.amdhsa_ieee_mode 1
		.amdhsa_fp16_overflow 0
		.amdhsa_tg_split 0
		.amdhsa_exception_fp_ieee_invalid_op 0
		.amdhsa_exception_fp_denorm_src 0
		.amdhsa_exception_fp_ieee_div_zero 0
		.amdhsa_exception_fp_ieee_overflow 0
		.amdhsa_exception_fp_ieee_underflow 0
		.amdhsa_exception_fp_ieee_inexact 0
		.amdhsa_exception_int_div_zero 0
	.end_amdhsa_kernel
	.section	.text._ZN7rocprim17ROCPRIM_400000_NS6detail17trampoline_kernelINS0_14default_configENS1_33run_length_encode_config_selectorIsjNS0_4plusIjEEEEZZNS1_33reduce_by_key_impl_wrapped_configILNS1_25lookback_scan_determinismE0ES3_S7_PKsNS0_17constant_iteratorIjlEEPsPlSF_S6_NS0_8equal_toIsEEEE10hipError_tPvRmT2_T3_mT4_T5_T6_T7_T8_P12ihipStream_tbENKUlT_T0_E_clISt17integral_constantIbLb1EESY_IbLb0EEEEDaSU_SV_EUlSU_E_NS1_11comp_targetILNS1_3genE4ELNS1_11target_archE910ELNS1_3gpuE8ELNS1_3repE0EEENS1_30default_config_static_selectorELNS0_4arch9wavefront6targetE1EEEvT1_,"axG",@progbits,_ZN7rocprim17ROCPRIM_400000_NS6detail17trampoline_kernelINS0_14default_configENS1_33run_length_encode_config_selectorIsjNS0_4plusIjEEEEZZNS1_33reduce_by_key_impl_wrapped_configILNS1_25lookback_scan_determinismE0ES3_S7_PKsNS0_17constant_iteratorIjlEEPsPlSF_S6_NS0_8equal_toIsEEEE10hipError_tPvRmT2_T3_mT4_T5_T6_T7_T8_P12ihipStream_tbENKUlT_T0_E_clISt17integral_constantIbLb1EESY_IbLb0EEEEDaSU_SV_EUlSU_E_NS1_11comp_targetILNS1_3genE4ELNS1_11target_archE910ELNS1_3gpuE8ELNS1_3repE0EEENS1_30default_config_static_selectorELNS0_4arch9wavefront6targetE1EEEvT1_,comdat
.Lfunc_end600:
	.size	_ZN7rocprim17ROCPRIM_400000_NS6detail17trampoline_kernelINS0_14default_configENS1_33run_length_encode_config_selectorIsjNS0_4plusIjEEEEZZNS1_33reduce_by_key_impl_wrapped_configILNS1_25lookback_scan_determinismE0ES3_S7_PKsNS0_17constant_iteratorIjlEEPsPlSF_S6_NS0_8equal_toIsEEEE10hipError_tPvRmT2_T3_mT4_T5_T6_T7_T8_P12ihipStream_tbENKUlT_T0_E_clISt17integral_constantIbLb1EESY_IbLb0EEEEDaSU_SV_EUlSU_E_NS1_11comp_targetILNS1_3genE4ELNS1_11target_archE910ELNS1_3gpuE8ELNS1_3repE0EEENS1_30default_config_static_selectorELNS0_4arch9wavefront6targetE1EEEvT1_, .Lfunc_end600-_ZN7rocprim17ROCPRIM_400000_NS6detail17trampoline_kernelINS0_14default_configENS1_33run_length_encode_config_selectorIsjNS0_4plusIjEEEEZZNS1_33reduce_by_key_impl_wrapped_configILNS1_25lookback_scan_determinismE0ES3_S7_PKsNS0_17constant_iteratorIjlEEPsPlSF_S6_NS0_8equal_toIsEEEE10hipError_tPvRmT2_T3_mT4_T5_T6_T7_T8_P12ihipStream_tbENKUlT_T0_E_clISt17integral_constantIbLb1EESY_IbLb0EEEEDaSU_SV_EUlSU_E_NS1_11comp_targetILNS1_3genE4ELNS1_11target_archE910ELNS1_3gpuE8ELNS1_3repE0EEENS1_30default_config_static_selectorELNS0_4arch9wavefront6targetE1EEEvT1_
                                        ; -- End function
	.section	.AMDGPU.csdata,"",@progbits
; Kernel info:
; codeLenInByte = 0
; NumSgprs: 6
; NumVgprs: 0
; NumAgprs: 0
; TotalNumVgprs: 0
; ScratchSize: 0
; MemoryBound: 0
; FloatMode: 240
; IeeeMode: 1
; LDSByteSize: 0 bytes/workgroup (compile time only)
; SGPRBlocks: 0
; VGPRBlocks: 0
; NumSGPRsForWavesPerEU: 6
; NumVGPRsForWavesPerEU: 1
; AccumOffset: 4
; Occupancy: 8
; WaveLimiterHint : 0
; COMPUTE_PGM_RSRC2:SCRATCH_EN: 0
; COMPUTE_PGM_RSRC2:USER_SGPR: 2
; COMPUTE_PGM_RSRC2:TRAP_HANDLER: 0
; COMPUTE_PGM_RSRC2:TGID_X_EN: 1
; COMPUTE_PGM_RSRC2:TGID_Y_EN: 0
; COMPUTE_PGM_RSRC2:TGID_Z_EN: 0
; COMPUTE_PGM_RSRC2:TIDIG_COMP_CNT: 0
; COMPUTE_PGM_RSRC3_GFX90A:ACCUM_OFFSET: 0
; COMPUTE_PGM_RSRC3_GFX90A:TG_SPLIT: 0
	.section	.text._ZN7rocprim17ROCPRIM_400000_NS6detail17trampoline_kernelINS0_14default_configENS1_33run_length_encode_config_selectorIsjNS0_4plusIjEEEEZZNS1_33reduce_by_key_impl_wrapped_configILNS1_25lookback_scan_determinismE0ES3_S7_PKsNS0_17constant_iteratorIjlEEPsPlSF_S6_NS0_8equal_toIsEEEE10hipError_tPvRmT2_T3_mT4_T5_T6_T7_T8_P12ihipStream_tbENKUlT_T0_E_clISt17integral_constantIbLb1EESY_IbLb0EEEEDaSU_SV_EUlSU_E_NS1_11comp_targetILNS1_3genE3ELNS1_11target_archE908ELNS1_3gpuE7ELNS1_3repE0EEENS1_30default_config_static_selectorELNS0_4arch9wavefront6targetE1EEEvT1_,"axG",@progbits,_ZN7rocprim17ROCPRIM_400000_NS6detail17trampoline_kernelINS0_14default_configENS1_33run_length_encode_config_selectorIsjNS0_4plusIjEEEEZZNS1_33reduce_by_key_impl_wrapped_configILNS1_25lookback_scan_determinismE0ES3_S7_PKsNS0_17constant_iteratorIjlEEPsPlSF_S6_NS0_8equal_toIsEEEE10hipError_tPvRmT2_T3_mT4_T5_T6_T7_T8_P12ihipStream_tbENKUlT_T0_E_clISt17integral_constantIbLb1EESY_IbLb0EEEEDaSU_SV_EUlSU_E_NS1_11comp_targetILNS1_3genE3ELNS1_11target_archE908ELNS1_3gpuE7ELNS1_3repE0EEENS1_30default_config_static_selectorELNS0_4arch9wavefront6targetE1EEEvT1_,comdat
	.protected	_ZN7rocprim17ROCPRIM_400000_NS6detail17trampoline_kernelINS0_14default_configENS1_33run_length_encode_config_selectorIsjNS0_4plusIjEEEEZZNS1_33reduce_by_key_impl_wrapped_configILNS1_25lookback_scan_determinismE0ES3_S7_PKsNS0_17constant_iteratorIjlEEPsPlSF_S6_NS0_8equal_toIsEEEE10hipError_tPvRmT2_T3_mT4_T5_T6_T7_T8_P12ihipStream_tbENKUlT_T0_E_clISt17integral_constantIbLb1EESY_IbLb0EEEEDaSU_SV_EUlSU_E_NS1_11comp_targetILNS1_3genE3ELNS1_11target_archE908ELNS1_3gpuE7ELNS1_3repE0EEENS1_30default_config_static_selectorELNS0_4arch9wavefront6targetE1EEEvT1_ ; -- Begin function _ZN7rocprim17ROCPRIM_400000_NS6detail17trampoline_kernelINS0_14default_configENS1_33run_length_encode_config_selectorIsjNS0_4plusIjEEEEZZNS1_33reduce_by_key_impl_wrapped_configILNS1_25lookback_scan_determinismE0ES3_S7_PKsNS0_17constant_iteratorIjlEEPsPlSF_S6_NS0_8equal_toIsEEEE10hipError_tPvRmT2_T3_mT4_T5_T6_T7_T8_P12ihipStream_tbENKUlT_T0_E_clISt17integral_constantIbLb1EESY_IbLb0EEEEDaSU_SV_EUlSU_E_NS1_11comp_targetILNS1_3genE3ELNS1_11target_archE908ELNS1_3gpuE7ELNS1_3repE0EEENS1_30default_config_static_selectorELNS0_4arch9wavefront6targetE1EEEvT1_
	.globl	_ZN7rocprim17ROCPRIM_400000_NS6detail17trampoline_kernelINS0_14default_configENS1_33run_length_encode_config_selectorIsjNS0_4plusIjEEEEZZNS1_33reduce_by_key_impl_wrapped_configILNS1_25lookback_scan_determinismE0ES3_S7_PKsNS0_17constant_iteratorIjlEEPsPlSF_S6_NS0_8equal_toIsEEEE10hipError_tPvRmT2_T3_mT4_T5_T6_T7_T8_P12ihipStream_tbENKUlT_T0_E_clISt17integral_constantIbLb1EESY_IbLb0EEEEDaSU_SV_EUlSU_E_NS1_11comp_targetILNS1_3genE3ELNS1_11target_archE908ELNS1_3gpuE7ELNS1_3repE0EEENS1_30default_config_static_selectorELNS0_4arch9wavefront6targetE1EEEvT1_
	.p2align	8
	.type	_ZN7rocprim17ROCPRIM_400000_NS6detail17trampoline_kernelINS0_14default_configENS1_33run_length_encode_config_selectorIsjNS0_4plusIjEEEEZZNS1_33reduce_by_key_impl_wrapped_configILNS1_25lookback_scan_determinismE0ES3_S7_PKsNS0_17constant_iteratorIjlEEPsPlSF_S6_NS0_8equal_toIsEEEE10hipError_tPvRmT2_T3_mT4_T5_T6_T7_T8_P12ihipStream_tbENKUlT_T0_E_clISt17integral_constantIbLb1EESY_IbLb0EEEEDaSU_SV_EUlSU_E_NS1_11comp_targetILNS1_3genE3ELNS1_11target_archE908ELNS1_3gpuE7ELNS1_3repE0EEENS1_30default_config_static_selectorELNS0_4arch9wavefront6targetE1EEEvT1_,@function
_ZN7rocprim17ROCPRIM_400000_NS6detail17trampoline_kernelINS0_14default_configENS1_33run_length_encode_config_selectorIsjNS0_4plusIjEEEEZZNS1_33reduce_by_key_impl_wrapped_configILNS1_25lookback_scan_determinismE0ES3_S7_PKsNS0_17constant_iteratorIjlEEPsPlSF_S6_NS0_8equal_toIsEEEE10hipError_tPvRmT2_T3_mT4_T5_T6_T7_T8_P12ihipStream_tbENKUlT_T0_E_clISt17integral_constantIbLb1EESY_IbLb0EEEEDaSU_SV_EUlSU_E_NS1_11comp_targetILNS1_3genE3ELNS1_11target_archE908ELNS1_3gpuE7ELNS1_3repE0EEENS1_30default_config_static_selectorELNS0_4arch9wavefront6targetE1EEEvT1_: ; @_ZN7rocprim17ROCPRIM_400000_NS6detail17trampoline_kernelINS0_14default_configENS1_33run_length_encode_config_selectorIsjNS0_4plusIjEEEEZZNS1_33reduce_by_key_impl_wrapped_configILNS1_25lookback_scan_determinismE0ES3_S7_PKsNS0_17constant_iteratorIjlEEPsPlSF_S6_NS0_8equal_toIsEEEE10hipError_tPvRmT2_T3_mT4_T5_T6_T7_T8_P12ihipStream_tbENKUlT_T0_E_clISt17integral_constantIbLb1EESY_IbLb0EEEEDaSU_SV_EUlSU_E_NS1_11comp_targetILNS1_3genE3ELNS1_11target_archE908ELNS1_3gpuE7ELNS1_3repE0EEENS1_30default_config_static_selectorELNS0_4arch9wavefront6targetE1EEEvT1_
; %bb.0:
	.section	.rodata,"a",@progbits
	.p2align	6, 0x0
	.amdhsa_kernel _ZN7rocprim17ROCPRIM_400000_NS6detail17trampoline_kernelINS0_14default_configENS1_33run_length_encode_config_selectorIsjNS0_4plusIjEEEEZZNS1_33reduce_by_key_impl_wrapped_configILNS1_25lookback_scan_determinismE0ES3_S7_PKsNS0_17constant_iteratorIjlEEPsPlSF_S6_NS0_8equal_toIsEEEE10hipError_tPvRmT2_T3_mT4_T5_T6_T7_T8_P12ihipStream_tbENKUlT_T0_E_clISt17integral_constantIbLb1EESY_IbLb0EEEEDaSU_SV_EUlSU_E_NS1_11comp_targetILNS1_3genE3ELNS1_11target_archE908ELNS1_3gpuE7ELNS1_3repE0EEENS1_30default_config_static_selectorELNS0_4arch9wavefront6targetE1EEEvT1_
		.amdhsa_group_segment_fixed_size 0
		.amdhsa_private_segment_fixed_size 0
		.amdhsa_kernarg_size 128
		.amdhsa_user_sgpr_count 2
		.amdhsa_user_sgpr_dispatch_ptr 0
		.amdhsa_user_sgpr_queue_ptr 0
		.amdhsa_user_sgpr_kernarg_segment_ptr 1
		.amdhsa_user_sgpr_dispatch_id 0
		.amdhsa_user_sgpr_kernarg_preload_length 0
		.amdhsa_user_sgpr_kernarg_preload_offset 0
		.amdhsa_user_sgpr_private_segment_size 0
		.amdhsa_uses_dynamic_stack 0
		.amdhsa_enable_private_segment 0
		.amdhsa_system_sgpr_workgroup_id_x 1
		.amdhsa_system_sgpr_workgroup_id_y 0
		.amdhsa_system_sgpr_workgroup_id_z 0
		.amdhsa_system_sgpr_workgroup_info 0
		.amdhsa_system_vgpr_workitem_id 0
		.amdhsa_next_free_vgpr 1
		.amdhsa_next_free_sgpr 0
		.amdhsa_accum_offset 4
		.amdhsa_reserve_vcc 0
		.amdhsa_float_round_mode_32 0
		.amdhsa_float_round_mode_16_64 0
		.amdhsa_float_denorm_mode_32 3
		.amdhsa_float_denorm_mode_16_64 3
		.amdhsa_dx10_clamp 1
		.amdhsa_ieee_mode 1
		.amdhsa_fp16_overflow 0
		.amdhsa_tg_split 0
		.amdhsa_exception_fp_ieee_invalid_op 0
		.amdhsa_exception_fp_denorm_src 0
		.amdhsa_exception_fp_ieee_div_zero 0
		.amdhsa_exception_fp_ieee_overflow 0
		.amdhsa_exception_fp_ieee_underflow 0
		.amdhsa_exception_fp_ieee_inexact 0
		.amdhsa_exception_int_div_zero 0
	.end_amdhsa_kernel
	.section	.text._ZN7rocprim17ROCPRIM_400000_NS6detail17trampoline_kernelINS0_14default_configENS1_33run_length_encode_config_selectorIsjNS0_4plusIjEEEEZZNS1_33reduce_by_key_impl_wrapped_configILNS1_25lookback_scan_determinismE0ES3_S7_PKsNS0_17constant_iteratorIjlEEPsPlSF_S6_NS0_8equal_toIsEEEE10hipError_tPvRmT2_T3_mT4_T5_T6_T7_T8_P12ihipStream_tbENKUlT_T0_E_clISt17integral_constantIbLb1EESY_IbLb0EEEEDaSU_SV_EUlSU_E_NS1_11comp_targetILNS1_3genE3ELNS1_11target_archE908ELNS1_3gpuE7ELNS1_3repE0EEENS1_30default_config_static_selectorELNS0_4arch9wavefront6targetE1EEEvT1_,"axG",@progbits,_ZN7rocprim17ROCPRIM_400000_NS6detail17trampoline_kernelINS0_14default_configENS1_33run_length_encode_config_selectorIsjNS0_4plusIjEEEEZZNS1_33reduce_by_key_impl_wrapped_configILNS1_25lookback_scan_determinismE0ES3_S7_PKsNS0_17constant_iteratorIjlEEPsPlSF_S6_NS0_8equal_toIsEEEE10hipError_tPvRmT2_T3_mT4_T5_T6_T7_T8_P12ihipStream_tbENKUlT_T0_E_clISt17integral_constantIbLb1EESY_IbLb0EEEEDaSU_SV_EUlSU_E_NS1_11comp_targetILNS1_3genE3ELNS1_11target_archE908ELNS1_3gpuE7ELNS1_3repE0EEENS1_30default_config_static_selectorELNS0_4arch9wavefront6targetE1EEEvT1_,comdat
.Lfunc_end601:
	.size	_ZN7rocprim17ROCPRIM_400000_NS6detail17trampoline_kernelINS0_14default_configENS1_33run_length_encode_config_selectorIsjNS0_4plusIjEEEEZZNS1_33reduce_by_key_impl_wrapped_configILNS1_25lookback_scan_determinismE0ES3_S7_PKsNS0_17constant_iteratorIjlEEPsPlSF_S6_NS0_8equal_toIsEEEE10hipError_tPvRmT2_T3_mT4_T5_T6_T7_T8_P12ihipStream_tbENKUlT_T0_E_clISt17integral_constantIbLb1EESY_IbLb0EEEEDaSU_SV_EUlSU_E_NS1_11comp_targetILNS1_3genE3ELNS1_11target_archE908ELNS1_3gpuE7ELNS1_3repE0EEENS1_30default_config_static_selectorELNS0_4arch9wavefront6targetE1EEEvT1_, .Lfunc_end601-_ZN7rocprim17ROCPRIM_400000_NS6detail17trampoline_kernelINS0_14default_configENS1_33run_length_encode_config_selectorIsjNS0_4plusIjEEEEZZNS1_33reduce_by_key_impl_wrapped_configILNS1_25lookback_scan_determinismE0ES3_S7_PKsNS0_17constant_iteratorIjlEEPsPlSF_S6_NS0_8equal_toIsEEEE10hipError_tPvRmT2_T3_mT4_T5_T6_T7_T8_P12ihipStream_tbENKUlT_T0_E_clISt17integral_constantIbLb1EESY_IbLb0EEEEDaSU_SV_EUlSU_E_NS1_11comp_targetILNS1_3genE3ELNS1_11target_archE908ELNS1_3gpuE7ELNS1_3repE0EEENS1_30default_config_static_selectorELNS0_4arch9wavefront6targetE1EEEvT1_
                                        ; -- End function
	.section	.AMDGPU.csdata,"",@progbits
; Kernel info:
; codeLenInByte = 0
; NumSgprs: 6
; NumVgprs: 0
; NumAgprs: 0
; TotalNumVgprs: 0
; ScratchSize: 0
; MemoryBound: 0
; FloatMode: 240
; IeeeMode: 1
; LDSByteSize: 0 bytes/workgroup (compile time only)
; SGPRBlocks: 0
; VGPRBlocks: 0
; NumSGPRsForWavesPerEU: 6
; NumVGPRsForWavesPerEU: 1
; AccumOffset: 4
; Occupancy: 8
; WaveLimiterHint : 0
; COMPUTE_PGM_RSRC2:SCRATCH_EN: 0
; COMPUTE_PGM_RSRC2:USER_SGPR: 2
; COMPUTE_PGM_RSRC2:TRAP_HANDLER: 0
; COMPUTE_PGM_RSRC2:TGID_X_EN: 1
; COMPUTE_PGM_RSRC2:TGID_Y_EN: 0
; COMPUTE_PGM_RSRC2:TGID_Z_EN: 0
; COMPUTE_PGM_RSRC2:TIDIG_COMP_CNT: 0
; COMPUTE_PGM_RSRC3_GFX90A:ACCUM_OFFSET: 0
; COMPUTE_PGM_RSRC3_GFX90A:TG_SPLIT: 0
	.section	.text._ZN7rocprim17ROCPRIM_400000_NS6detail17trampoline_kernelINS0_14default_configENS1_33run_length_encode_config_selectorIsjNS0_4plusIjEEEEZZNS1_33reduce_by_key_impl_wrapped_configILNS1_25lookback_scan_determinismE0ES3_S7_PKsNS0_17constant_iteratorIjlEEPsPlSF_S6_NS0_8equal_toIsEEEE10hipError_tPvRmT2_T3_mT4_T5_T6_T7_T8_P12ihipStream_tbENKUlT_T0_E_clISt17integral_constantIbLb1EESY_IbLb0EEEEDaSU_SV_EUlSU_E_NS1_11comp_targetILNS1_3genE2ELNS1_11target_archE906ELNS1_3gpuE6ELNS1_3repE0EEENS1_30default_config_static_selectorELNS0_4arch9wavefront6targetE1EEEvT1_,"axG",@progbits,_ZN7rocprim17ROCPRIM_400000_NS6detail17trampoline_kernelINS0_14default_configENS1_33run_length_encode_config_selectorIsjNS0_4plusIjEEEEZZNS1_33reduce_by_key_impl_wrapped_configILNS1_25lookback_scan_determinismE0ES3_S7_PKsNS0_17constant_iteratorIjlEEPsPlSF_S6_NS0_8equal_toIsEEEE10hipError_tPvRmT2_T3_mT4_T5_T6_T7_T8_P12ihipStream_tbENKUlT_T0_E_clISt17integral_constantIbLb1EESY_IbLb0EEEEDaSU_SV_EUlSU_E_NS1_11comp_targetILNS1_3genE2ELNS1_11target_archE906ELNS1_3gpuE6ELNS1_3repE0EEENS1_30default_config_static_selectorELNS0_4arch9wavefront6targetE1EEEvT1_,comdat
	.protected	_ZN7rocprim17ROCPRIM_400000_NS6detail17trampoline_kernelINS0_14default_configENS1_33run_length_encode_config_selectorIsjNS0_4plusIjEEEEZZNS1_33reduce_by_key_impl_wrapped_configILNS1_25lookback_scan_determinismE0ES3_S7_PKsNS0_17constant_iteratorIjlEEPsPlSF_S6_NS0_8equal_toIsEEEE10hipError_tPvRmT2_T3_mT4_T5_T6_T7_T8_P12ihipStream_tbENKUlT_T0_E_clISt17integral_constantIbLb1EESY_IbLb0EEEEDaSU_SV_EUlSU_E_NS1_11comp_targetILNS1_3genE2ELNS1_11target_archE906ELNS1_3gpuE6ELNS1_3repE0EEENS1_30default_config_static_selectorELNS0_4arch9wavefront6targetE1EEEvT1_ ; -- Begin function _ZN7rocprim17ROCPRIM_400000_NS6detail17trampoline_kernelINS0_14default_configENS1_33run_length_encode_config_selectorIsjNS0_4plusIjEEEEZZNS1_33reduce_by_key_impl_wrapped_configILNS1_25lookback_scan_determinismE0ES3_S7_PKsNS0_17constant_iteratorIjlEEPsPlSF_S6_NS0_8equal_toIsEEEE10hipError_tPvRmT2_T3_mT4_T5_T6_T7_T8_P12ihipStream_tbENKUlT_T0_E_clISt17integral_constantIbLb1EESY_IbLb0EEEEDaSU_SV_EUlSU_E_NS1_11comp_targetILNS1_3genE2ELNS1_11target_archE906ELNS1_3gpuE6ELNS1_3repE0EEENS1_30default_config_static_selectorELNS0_4arch9wavefront6targetE1EEEvT1_
	.globl	_ZN7rocprim17ROCPRIM_400000_NS6detail17trampoline_kernelINS0_14default_configENS1_33run_length_encode_config_selectorIsjNS0_4plusIjEEEEZZNS1_33reduce_by_key_impl_wrapped_configILNS1_25lookback_scan_determinismE0ES3_S7_PKsNS0_17constant_iteratorIjlEEPsPlSF_S6_NS0_8equal_toIsEEEE10hipError_tPvRmT2_T3_mT4_T5_T6_T7_T8_P12ihipStream_tbENKUlT_T0_E_clISt17integral_constantIbLb1EESY_IbLb0EEEEDaSU_SV_EUlSU_E_NS1_11comp_targetILNS1_3genE2ELNS1_11target_archE906ELNS1_3gpuE6ELNS1_3repE0EEENS1_30default_config_static_selectorELNS0_4arch9wavefront6targetE1EEEvT1_
	.p2align	8
	.type	_ZN7rocprim17ROCPRIM_400000_NS6detail17trampoline_kernelINS0_14default_configENS1_33run_length_encode_config_selectorIsjNS0_4plusIjEEEEZZNS1_33reduce_by_key_impl_wrapped_configILNS1_25lookback_scan_determinismE0ES3_S7_PKsNS0_17constant_iteratorIjlEEPsPlSF_S6_NS0_8equal_toIsEEEE10hipError_tPvRmT2_T3_mT4_T5_T6_T7_T8_P12ihipStream_tbENKUlT_T0_E_clISt17integral_constantIbLb1EESY_IbLb0EEEEDaSU_SV_EUlSU_E_NS1_11comp_targetILNS1_3genE2ELNS1_11target_archE906ELNS1_3gpuE6ELNS1_3repE0EEENS1_30default_config_static_selectorELNS0_4arch9wavefront6targetE1EEEvT1_,@function
_ZN7rocprim17ROCPRIM_400000_NS6detail17trampoline_kernelINS0_14default_configENS1_33run_length_encode_config_selectorIsjNS0_4plusIjEEEEZZNS1_33reduce_by_key_impl_wrapped_configILNS1_25lookback_scan_determinismE0ES3_S7_PKsNS0_17constant_iteratorIjlEEPsPlSF_S6_NS0_8equal_toIsEEEE10hipError_tPvRmT2_T3_mT4_T5_T6_T7_T8_P12ihipStream_tbENKUlT_T0_E_clISt17integral_constantIbLb1EESY_IbLb0EEEEDaSU_SV_EUlSU_E_NS1_11comp_targetILNS1_3genE2ELNS1_11target_archE906ELNS1_3gpuE6ELNS1_3repE0EEENS1_30default_config_static_selectorELNS0_4arch9wavefront6targetE1EEEvT1_: ; @_ZN7rocprim17ROCPRIM_400000_NS6detail17trampoline_kernelINS0_14default_configENS1_33run_length_encode_config_selectorIsjNS0_4plusIjEEEEZZNS1_33reduce_by_key_impl_wrapped_configILNS1_25lookback_scan_determinismE0ES3_S7_PKsNS0_17constant_iteratorIjlEEPsPlSF_S6_NS0_8equal_toIsEEEE10hipError_tPvRmT2_T3_mT4_T5_T6_T7_T8_P12ihipStream_tbENKUlT_T0_E_clISt17integral_constantIbLb1EESY_IbLb0EEEEDaSU_SV_EUlSU_E_NS1_11comp_targetILNS1_3genE2ELNS1_11target_archE906ELNS1_3gpuE6ELNS1_3repE0EEENS1_30default_config_static_selectorELNS0_4arch9wavefront6targetE1EEEvT1_
; %bb.0:
	.section	.rodata,"a",@progbits
	.p2align	6, 0x0
	.amdhsa_kernel _ZN7rocprim17ROCPRIM_400000_NS6detail17trampoline_kernelINS0_14default_configENS1_33run_length_encode_config_selectorIsjNS0_4plusIjEEEEZZNS1_33reduce_by_key_impl_wrapped_configILNS1_25lookback_scan_determinismE0ES3_S7_PKsNS0_17constant_iteratorIjlEEPsPlSF_S6_NS0_8equal_toIsEEEE10hipError_tPvRmT2_T3_mT4_T5_T6_T7_T8_P12ihipStream_tbENKUlT_T0_E_clISt17integral_constantIbLb1EESY_IbLb0EEEEDaSU_SV_EUlSU_E_NS1_11comp_targetILNS1_3genE2ELNS1_11target_archE906ELNS1_3gpuE6ELNS1_3repE0EEENS1_30default_config_static_selectorELNS0_4arch9wavefront6targetE1EEEvT1_
		.amdhsa_group_segment_fixed_size 0
		.amdhsa_private_segment_fixed_size 0
		.amdhsa_kernarg_size 128
		.amdhsa_user_sgpr_count 2
		.amdhsa_user_sgpr_dispatch_ptr 0
		.amdhsa_user_sgpr_queue_ptr 0
		.amdhsa_user_sgpr_kernarg_segment_ptr 1
		.amdhsa_user_sgpr_dispatch_id 0
		.amdhsa_user_sgpr_kernarg_preload_length 0
		.amdhsa_user_sgpr_kernarg_preload_offset 0
		.amdhsa_user_sgpr_private_segment_size 0
		.amdhsa_uses_dynamic_stack 0
		.amdhsa_enable_private_segment 0
		.amdhsa_system_sgpr_workgroup_id_x 1
		.amdhsa_system_sgpr_workgroup_id_y 0
		.amdhsa_system_sgpr_workgroup_id_z 0
		.amdhsa_system_sgpr_workgroup_info 0
		.amdhsa_system_vgpr_workitem_id 0
		.amdhsa_next_free_vgpr 1
		.amdhsa_next_free_sgpr 0
		.amdhsa_accum_offset 4
		.amdhsa_reserve_vcc 0
		.amdhsa_float_round_mode_32 0
		.amdhsa_float_round_mode_16_64 0
		.amdhsa_float_denorm_mode_32 3
		.amdhsa_float_denorm_mode_16_64 3
		.amdhsa_dx10_clamp 1
		.amdhsa_ieee_mode 1
		.amdhsa_fp16_overflow 0
		.amdhsa_tg_split 0
		.amdhsa_exception_fp_ieee_invalid_op 0
		.amdhsa_exception_fp_denorm_src 0
		.amdhsa_exception_fp_ieee_div_zero 0
		.amdhsa_exception_fp_ieee_overflow 0
		.amdhsa_exception_fp_ieee_underflow 0
		.amdhsa_exception_fp_ieee_inexact 0
		.amdhsa_exception_int_div_zero 0
	.end_amdhsa_kernel
	.section	.text._ZN7rocprim17ROCPRIM_400000_NS6detail17trampoline_kernelINS0_14default_configENS1_33run_length_encode_config_selectorIsjNS0_4plusIjEEEEZZNS1_33reduce_by_key_impl_wrapped_configILNS1_25lookback_scan_determinismE0ES3_S7_PKsNS0_17constant_iteratorIjlEEPsPlSF_S6_NS0_8equal_toIsEEEE10hipError_tPvRmT2_T3_mT4_T5_T6_T7_T8_P12ihipStream_tbENKUlT_T0_E_clISt17integral_constantIbLb1EESY_IbLb0EEEEDaSU_SV_EUlSU_E_NS1_11comp_targetILNS1_3genE2ELNS1_11target_archE906ELNS1_3gpuE6ELNS1_3repE0EEENS1_30default_config_static_selectorELNS0_4arch9wavefront6targetE1EEEvT1_,"axG",@progbits,_ZN7rocprim17ROCPRIM_400000_NS6detail17trampoline_kernelINS0_14default_configENS1_33run_length_encode_config_selectorIsjNS0_4plusIjEEEEZZNS1_33reduce_by_key_impl_wrapped_configILNS1_25lookback_scan_determinismE0ES3_S7_PKsNS0_17constant_iteratorIjlEEPsPlSF_S6_NS0_8equal_toIsEEEE10hipError_tPvRmT2_T3_mT4_T5_T6_T7_T8_P12ihipStream_tbENKUlT_T0_E_clISt17integral_constantIbLb1EESY_IbLb0EEEEDaSU_SV_EUlSU_E_NS1_11comp_targetILNS1_3genE2ELNS1_11target_archE906ELNS1_3gpuE6ELNS1_3repE0EEENS1_30default_config_static_selectorELNS0_4arch9wavefront6targetE1EEEvT1_,comdat
.Lfunc_end602:
	.size	_ZN7rocprim17ROCPRIM_400000_NS6detail17trampoline_kernelINS0_14default_configENS1_33run_length_encode_config_selectorIsjNS0_4plusIjEEEEZZNS1_33reduce_by_key_impl_wrapped_configILNS1_25lookback_scan_determinismE0ES3_S7_PKsNS0_17constant_iteratorIjlEEPsPlSF_S6_NS0_8equal_toIsEEEE10hipError_tPvRmT2_T3_mT4_T5_T6_T7_T8_P12ihipStream_tbENKUlT_T0_E_clISt17integral_constantIbLb1EESY_IbLb0EEEEDaSU_SV_EUlSU_E_NS1_11comp_targetILNS1_3genE2ELNS1_11target_archE906ELNS1_3gpuE6ELNS1_3repE0EEENS1_30default_config_static_selectorELNS0_4arch9wavefront6targetE1EEEvT1_, .Lfunc_end602-_ZN7rocprim17ROCPRIM_400000_NS6detail17trampoline_kernelINS0_14default_configENS1_33run_length_encode_config_selectorIsjNS0_4plusIjEEEEZZNS1_33reduce_by_key_impl_wrapped_configILNS1_25lookback_scan_determinismE0ES3_S7_PKsNS0_17constant_iteratorIjlEEPsPlSF_S6_NS0_8equal_toIsEEEE10hipError_tPvRmT2_T3_mT4_T5_T6_T7_T8_P12ihipStream_tbENKUlT_T0_E_clISt17integral_constantIbLb1EESY_IbLb0EEEEDaSU_SV_EUlSU_E_NS1_11comp_targetILNS1_3genE2ELNS1_11target_archE906ELNS1_3gpuE6ELNS1_3repE0EEENS1_30default_config_static_selectorELNS0_4arch9wavefront6targetE1EEEvT1_
                                        ; -- End function
	.section	.AMDGPU.csdata,"",@progbits
; Kernel info:
; codeLenInByte = 0
; NumSgprs: 6
; NumVgprs: 0
; NumAgprs: 0
; TotalNumVgprs: 0
; ScratchSize: 0
; MemoryBound: 0
; FloatMode: 240
; IeeeMode: 1
; LDSByteSize: 0 bytes/workgroup (compile time only)
; SGPRBlocks: 0
; VGPRBlocks: 0
; NumSGPRsForWavesPerEU: 6
; NumVGPRsForWavesPerEU: 1
; AccumOffset: 4
; Occupancy: 8
; WaveLimiterHint : 0
; COMPUTE_PGM_RSRC2:SCRATCH_EN: 0
; COMPUTE_PGM_RSRC2:USER_SGPR: 2
; COMPUTE_PGM_RSRC2:TRAP_HANDLER: 0
; COMPUTE_PGM_RSRC2:TGID_X_EN: 1
; COMPUTE_PGM_RSRC2:TGID_Y_EN: 0
; COMPUTE_PGM_RSRC2:TGID_Z_EN: 0
; COMPUTE_PGM_RSRC2:TIDIG_COMP_CNT: 0
; COMPUTE_PGM_RSRC3_GFX90A:ACCUM_OFFSET: 0
; COMPUTE_PGM_RSRC3_GFX90A:TG_SPLIT: 0
	.section	.text._ZN7rocprim17ROCPRIM_400000_NS6detail17trampoline_kernelINS0_14default_configENS1_33run_length_encode_config_selectorIsjNS0_4plusIjEEEEZZNS1_33reduce_by_key_impl_wrapped_configILNS1_25lookback_scan_determinismE0ES3_S7_PKsNS0_17constant_iteratorIjlEEPsPlSF_S6_NS0_8equal_toIsEEEE10hipError_tPvRmT2_T3_mT4_T5_T6_T7_T8_P12ihipStream_tbENKUlT_T0_E_clISt17integral_constantIbLb1EESY_IbLb0EEEEDaSU_SV_EUlSU_E_NS1_11comp_targetILNS1_3genE10ELNS1_11target_archE1201ELNS1_3gpuE5ELNS1_3repE0EEENS1_30default_config_static_selectorELNS0_4arch9wavefront6targetE1EEEvT1_,"axG",@progbits,_ZN7rocprim17ROCPRIM_400000_NS6detail17trampoline_kernelINS0_14default_configENS1_33run_length_encode_config_selectorIsjNS0_4plusIjEEEEZZNS1_33reduce_by_key_impl_wrapped_configILNS1_25lookback_scan_determinismE0ES3_S7_PKsNS0_17constant_iteratorIjlEEPsPlSF_S6_NS0_8equal_toIsEEEE10hipError_tPvRmT2_T3_mT4_T5_T6_T7_T8_P12ihipStream_tbENKUlT_T0_E_clISt17integral_constantIbLb1EESY_IbLb0EEEEDaSU_SV_EUlSU_E_NS1_11comp_targetILNS1_3genE10ELNS1_11target_archE1201ELNS1_3gpuE5ELNS1_3repE0EEENS1_30default_config_static_selectorELNS0_4arch9wavefront6targetE1EEEvT1_,comdat
	.protected	_ZN7rocprim17ROCPRIM_400000_NS6detail17trampoline_kernelINS0_14default_configENS1_33run_length_encode_config_selectorIsjNS0_4plusIjEEEEZZNS1_33reduce_by_key_impl_wrapped_configILNS1_25lookback_scan_determinismE0ES3_S7_PKsNS0_17constant_iteratorIjlEEPsPlSF_S6_NS0_8equal_toIsEEEE10hipError_tPvRmT2_T3_mT4_T5_T6_T7_T8_P12ihipStream_tbENKUlT_T0_E_clISt17integral_constantIbLb1EESY_IbLb0EEEEDaSU_SV_EUlSU_E_NS1_11comp_targetILNS1_3genE10ELNS1_11target_archE1201ELNS1_3gpuE5ELNS1_3repE0EEENS1_30default_config_static_selectorELNS0_4arch9wavefront6targetE1EEEvT1_ ; -- Begin function _ZN7rocprim17ROCPRIM_400000_NS6detail17trampoline_kernelINS0_14default_configENS1_33run_length_encode_config_selectorIsjNS0_4plusIjEEEEZZNS1_33reduce_by_key_impl_wrapped_configILNS1_25lookback_scan_determinismE0ES3_S7_PKsNS0_17constant_iteratorIjlEEPsPlSF_S6_NS0_8equal_toIsEEEE10hipError_tPvRmT2_T3_mT4_T5_T6_T7_T8_P12ihipStream_tbENKUlT_T0_E_clISt17integral_constantIbLb1EESY_IbLb0EEEEDaSU_SV_EUlSU_E_NS1_11comp_targetILNS1_3genE10ELNS1_11target_archE1201ELNS1_3gpuE5ELNS1_3repE0EEENS1_30default_config_static_selectorELNS0_4arch9wavefront6targetE1EEEvT1_
	.globl	_ZN7rocprim17ROCPRIM_400000_NS6detail17trampoline_kernelINS0_14default_configENS1_33run_length_encode_config_selectorIsjNS0_4plusIjEEEEZZNS1_33reduce_by_key_impl_wrapped_configILNS1_25lookback_scan_determinismE0ES3_S7_PKsNS0_17constant_iteratorIjlEEPsPlSF_S6_NS0_8equal_toIsEEEE10hipError_tPvRmT2_T3_mT4_T5_T6_T7_T8_P12ihipStream_tbENKUlT_T0_E_clISt17integral_constantIbLb1EESY_IbLb0EEEEDaSU_SV_EUlSU_E_NS1_11comp_targetILNS1_3genE10ELNS1_11target_archE1201ELNS1_3gpuE5ELNS1_3repE0EEENS1_30default_config_static_selectorELNS0_4arch9wavefront6targetE1EEEvT1_
	.p2align	8
	.type	_ZN7rocprim17ROCPRIM_400000_NS6detail17trampoline_kernelINS0_14default_configENS1_33run_length_encode_config_selectorIsjNS0_4plusIjEEEEZZNS1_33reduce_by_key_impl_wrapped_configILNS1_25lookback_scan_determinismE0ES3_S7_PKsNS0_17constant_iteratorIjlEEPsPlSF_S6_NS0_8equal_toIsEEEE10hipError_tPvRmT2_T3_mT4_T5_T6_T7_T8_P12ihipStream_tbENKUlT_T0_E_clISt17integral_constantIbLb1EESY_IbLb0EEEEDaSU_SV_EUlSU_E_NS1_11comp_targetILNS1_3genE10ELNS1_11target_archE1201ELNS1_3gpuE5ELNS1_3repE0EEENS1_30default_config_static_selectorELNS0_4arch9wavefront6targetE1EEEvT1_,@function
_ZN7rocprim17ROCPRIM_400000_NS6detail17trampoline_kernelINS0_14default_configENS1_33run_length_encode_config_selectorIsjNS0_4plusIjEEEEZZNS1_33reduce_by_key_impl_wrapped_configILNS1_25lookback_scan_determinismE0ES3_S7_PKsNS0_17constant_iteratorIjlEEPsPlSF_S6_NS0_8equal_toIsEEEE10hipError_tPvRmT2_T3_mT4_T5_T6_T7_T8_P12ihipStream_tbENKUlT_T0_E_clISt17integral_constantIbLb1EESY_IbLb0EEEEDaSU_SV_EUlSU_E_NS1_11comp_targetILNS1_3genE10ELNS1_11target_archE1201ELNS1_3gpuE5ELNS1_3repE0EEENS1_30default_config_static_selectorELNS0_4arch9wavefront6targetE1EEEvT1_: ; @_ZN7rocprim17ROCPRIM_400000_NS6detail17trampoline_kernelINS0_14default_configENS1_33run_length_encode_config_selectorIsjNS0_4plusIjEEEEZZNS1_33reduce_by_key_impl_wrapped_configILNS1_25lookback_scan_determinismE0ES3_S7_PKsNS0_17constant_iteratorIjlEEPsPlSF_S6_NS0_8equal_toIsEEEE10hipError_tPvRmT2_T3_mT4_T5_T6_T7_T8_P12ihipStream_tbENKUlT_T0_E_clISt17integral_constantIbLb1EESY_IbLb0EEEEDaSU_SV_EUlSU_E_NS1_11comp_targetILNS1_3genE10ELNS1_11target_archE1201ELNS1_3gpuE5ELNS1_3repE0EEENS1_30default_config_static_selectorELNS0_4arch9wavefront6targetE1EEEvT1_
; %bb.0:
	.section	.rodata,"a",@progbits
	.p2align	6, 0x0
	.amdhsa_kernel _ZN7rocprim17ROCPRIM_400000_NS6detail17trampoline_kernelINS0_14default_configENS1_33run_length_encode_config_selectorIsjNS0_4plusIjEEEEZZNS1_33reduce_by_key_impl_wrapped_configILNS1_25lookback_scan_determinismE0ES3_S7_PKsNS0_17constant_iteratorIjlEEPsPlSF_S6_NS0_8equal_toIsEEEE10hipError_tPvRmT2_T3_mT4_T5_T6_T7_T8_P12ihipStream_tbENKUlT_T0_E_clISt17integral_constantIbLb1EESY_IbLb0EEEEDaSU_SV_EUlSU_E_NS1_11comp_targetILNS1_3genE10ELNS1_11target_archE1201ELNS1_3gpuE5ELNS1_3repE0EEENS1_30default_config_static_selectorELNS0_4arch9wavefront6targetE1EEEvT1_
		.amdhsa_group_segment_fixed_size 0
		.amdhsa_private_segment_fixed_size 0
		.amdhsa_kernarg_size 128
		.amdhsa_user_sgpr_count 2
		.amdhsa_user_sgpr_dispatch_ptr 0
		.amdhsa_user_sgpr_queue_ptr 0
		.amdhsa_user_sgpr_kernarg_segment_ptr 1
		.amdhsa_user_sgpr_dispatch_id 0
		.amdhsa_user_sgpr_kernarg_preload_length 0
		.amdhsa_user_sgpr_kernarg_preload_offset 0
		.amdhsa_user_sgpr_private_segment_size 0
		.amdhsa_uses_dynamic_stack 0
		.amdhsa_enable_private_segment 0
		.amdhsa_system_sgpr_workgroup_id_x 1
		.amdhsa_system_sgpr_workgroup_id_y 0
		.amdhsa_system_sgpr_workgroup_id_z 0
		.amdhsa_system_sgpr_workgroup_info 0
		.amdhsa_system_vgpr_workitem_id 0
		.amdhsa_next_free_vgpr 1
		.amdhsa_next_free_sgpr 0
		.amdhsa_accum_offset 4
		.amdhsa_reserve_vcc 0
		.amdhsa_float_round_mode_32 0
		.amdhsa_float_round_mode_16_64 0
		.amdhsa_float_denorm_mode_32 3
		.amdhsa_float_denorm_mode_16_64 3
		.amdhsa_dx10_clamp 1
		.amdhsa_ieee_mode 1
		.amdhsa_fp16_overflow 0
		.amdhsa_tg_split 0
		.amdhsa_exception_fp_ieee_invalid_op 0
		.amdhsa_exception_fp_denorm_src 0
		.amdhsa_exception_fp_ieee_div_zero 0
		.amdhsa_exception_fp_ieee_overflow 0
		.amdhsa_exception_fp_ieee_underflow 0
		.amdhsa_exception_fp_ieee_inexact 0
		.amdhsa_exception_int_div_zero 0
	.end_amdhsa_kernel
	.section	.text._ZN7rocprim17ROCPRIM_400000_NS6detail17trampoline_kernelINS0_14default_configENS1_33run_length_encode_config_selectorIsjNS0_4plusIjEEEEZZNS1_33reduce_by_key_impl_wrapped_configILNS1_25lookback_scan_determinismE0ES3_S7_PKsNS0_17constant_iteratorIjlEEPsPlSF_S6_NS0_8equal_toIsEEEE10hipError_tPvRmT2_T3_mT4_T5_T6_T7_T8_P12ihipStream_tbENKUlT_T0_E_clISt17integral_constantIbLb1EESY_IbLb0EEEEDaSU_SV_EUlSU_E_NS1_11comp_targetILNS1_3genE10ELNS1_11target_archE1201ELNS1_3gpuE5ELNS1_3repE0EEENS1_30default_config_static_selectorELNS0_4arch9wavefront6targetE1EEEvT1_,"axG",@progbits,_ZN7rocprim17ROCPRIM_400000_NS6detail17trampoline_kernelINS0_14default_configENS1_33run_length_encode_config_selectorIsjNS0_4plusIjEEEEZZNS1_33reduce_by_key_impl_wrapped_configILNS1_25lookback_scan_determinismE0ES3_S7_PKsNS0_17constant_iteratorIjlEEPsPlSF_S6_NS0_8equal_toIsEEEE10hipError_tPvRmT2_T3_mT4_T5_T6_T7_T8_P12ihipStream_tbENKUlT_T0_E_clISt17integral_constantIbLb1EESY_IbLb0EEEEDaSU_SV_EUlSU_E_NS1_11comp_targetILNS1_3genE10ELNS1_11target_archE1201ELNS1_3gpuE5ELNS1_3repE0EEENS1_30default_config_static_selectorELNS0_4arch9wavefront6targetE1EEEvT1_,comdat
.Lfunc_end603:
	.size	_ZN7rocprim17ROCPRIM_400000_NS6detail17trampoline_kernelINS0_14default_configENS1_33run_length_encode_config_selectorIsjNS0_4plusIjEEEEZZNS1_33reduce_by_key_impl_wrapped_configILNS1_25lookback_scan_determinismE0ES3_S7_PKsNS0_17constant_iteratorIjlEEPsPlSF_S6_NS0_8equal_toIsEEEE10hipError_tPvRmT2_T3_mT4_T5_T6_T7_T8_P12ihipStream_tbENKUlT_T0_E_clISt17integral_constantIbLb1EESY_IbLb0EEEEDaSU_SV_EUlSU_E_NS1_11comp_targetILNS1_3genE10ELNS1_11target_archE1201ELNS1_3gpuE5ELNS1_3repE0EEENS1_30default_config_static_selectorELNS0_4arch9wavefront6targetE1EEEvT1_, .Lfunc_end603-_ZN7rocprim17ROCPRIM_400000_NS6detail17trampoline_kernelINS0_14default_configENS1_33run_length_encode_config_selectorIsjNS0_4plusIjEEEEZZNS1_33reduce_by_key_impl_wrapped_configILNS1_25lookback_scan_determinismE0ES3_S7_PKsNS0_17constant_iteratorIjlEEPsPlSF_S6_NS0_8equal_toIsEEEE10hipError_tPvRmT2_T3_mT4_T5_T6_T7_T8_P12ihipStream_tbENKUlT_T0_E_clISt17integral_constantIbLb1EESY_IbLb0EEEEDaSU_SV_EUlSU_E_NS1_11comp_targetILNS1_3genE10ELNS1_11target_archE1201ELNS1_3gpuE5ELNS1_3repE0EEENS1_30default_config_static_selectorELNS0_4arch9wavefront6targetE1EEEvT1_
                                        ; -- End function
	.section	.AMDGPU.csdata,"",@progbits
; Kernel info:
; codeLenInByte = 0
; NumSgprs: 6
; NumVgprs: 0
; NumAgprs: 0
; TotalNumVgprs: 0
; ScratchSize: 0
; MemoryBound: 0
; FloatMode: 240
; IeeeMode: 1
; LDSByteSize: 0 bytes/workgroup (compile time only)
; SGPRBlocks: 0
; VGPRBlocks: 0
; NumSGPRsForWavesPerEU: 6
; NumVGPRsForWavesPerEU: 1
; AccumOffset: 4
; Occupancy: 8
; WaveLimiterHint : 0
; COMPUTE_PGM_RSRC2:SCRATCH_EN: 0
; COMPUTE_PGM_RSRC2:USER_SGPR: 2
; COMPUTE_PGM_RSRC2:TRAP_HANDLER: 0
; COMPUTE_PGM_RSRC2:TGID_X_EN: 1
; COMPUTE_PGM_RSRC2:TGID_Y_EN: 0
; COMPUTE_PGM_RSRC2:TGID_Z_EN: 0
; COMPUTE_PGM_RSRC2:TIDIG_COMP_CNT: 0
; COMPUTE_PGM_RSRC3_GFX90A:ACCUM_OFFSET: 0
; COMPUTE_PGM_RSRC3_GFX90A:TG_SPLIT: 0
	.section	.text._ZN7rocprim17ROCPRIM_400000_NS6detail17trampoline_kernelINS0_14default_configENS1_33run_length_encode_config_selectorIsjNS0_4plusIjEEEEZZNS1_33reduce_by_key_impl_wrapped_configILNS1_25lookback_scan_determinismE0ES3_S7_PKsNS0_17constant_iteratorIjlEEPsPlSF_S6_NS0_8equal_toIsEEEE10hipError_tPvRmT2_T3_mT4_T5_T6_T7_T8_P12ihipStream_tbENKUlT_T0_E_clISt17integral_constantIbLb1EESY_IbLb0EEEEDaSU_SV_EUlSU_E_NS1_11comp_targetILNS1_3genE10ELNS1_11target_archE1200ELNS1_3gpuE4ELNS1_3repE0EEENS1_30default_config_static_selectorELNS0_4arch9wavefront6targetE1EEEvT1_,"axG",@progbits,_ZN7rocprim17ROCPRIM_400000_NS6detail17trampoline_kernelINS0_14default_configENS1_33run_length_encode_config_selectorIsjNS0_4plusIjEEEEZZNS1_33reduce_by_key_impl_wrapped_configILNS1_25lookback_scan_determinismE0ES3_S7_PKsNS0_17constant_iteratorIjlEEPsPlSF_S6_NS0_8equal_toIsEEEE10hipError_tPvRmT2_T3_mT4_T5_T6_T7_T8_P12ihipStream_tbENKUlT_T0_E_clISt17integral_constantIbLb1EESY_IbLb0EEEEDaSU_SV_EUlSU_E_NS1_11comp_targetILNS1_3genE10ELNS1_11target_archE1200ELNS1_3gpuE4ELNS1_3repE0EEENS1_30default_config_static_selectorELNS0_4arch9wavefront6targetE1EEEvT1_,comdat
	.protected	_ZN7rocprim17ROCPRIM_400000_NS6detail17trampoline_kernelINS0_14default_configENS1_33run_length_encode_config_selectorIsjNS0_4plusIjEEEEZZNS1_33reduce_by_key_impl_wrapped_configILNS1_25lookback_scan_determinismE0ES3_S7_PKsNS0_17constant_iteratorIjlEEPsPlSF_S6_NS0_8equal_toIsEEEE10hipError_tPvRmT2_T3_mT4_T5_T6_T7_T8_P12ihipStream_tbENKUlT_T0_E_clISt17integral_constantIbLb1EESY_IbLb0EEEEDaSU_SV_EUlSU_E_NS1_11comp_targetILNS1_3genE10ELNS1_11target_archE1200ELNS1_3gpuE4ELNS1_3repE0EEENS1_30default_config_static_selectorELNS0_4arch9wavefront6targetE1EEEvT1_ ; -- Begin function _ZN7rocprim17ROCPRIM_400000_NS6detail17trampoline_kernelINS0_14default_configENS1_33run_length_encode_config_selectorIsjNS0_4plusIjEEEEZZNS1_33reduce_by_key_impl_wrapped_configILNS1_25lookback_scan_determinismE0ES3_S7_PKsNS0_17constant_iteratorIjlEEPsPlSF_S6_NS0_8equal_toIsEEEE10hipError_tPvRmT2_T3_mT4_T5_T6_T7_T8_P12ihipStream_tbENKUlT_T0_E_clISt17integral_constantIbLb1EESY_IbLb0EEEEDaSU_SV_EUlSU_E_NS1_11comp_targetILNS1_3genE10ELNS1_11target_archE1200ELNS1_3gpuE4ELNS1_3repE0EEENS1_30default_config_static_selectorELNS0_4arch9wavefront6targetE1EEEvT1_
	.globl	_ZN7rocprim17ROCPRIM_400000_NS6detail17trampoline_kernelINS0_14default_configENS1_33run_length_encode_config_selectorIsjNS0_4plusIjEEEEZZNS1_33reduce_by_key_impl_wrapped_configILNS1_25lookback_scan_determinismE0ES3_S7_PKsNS0_17constant_iteratorIjlEEPsPlSF_S6_NS0_8equal_toIsEEEE10hipError_tPvRmT2_T3_mT4_T5_T6_T7_T8_P12ihipStream_tbENKUlT_T0_E_clISt17integral_constantIbLb1EESY_IbLb0EEEEDaSU_SV_EUlSU_E_NS1_11comp_targetILNS1_3genE10ELNS1_11target_archE1200ELNS1_3gpuE4ELNS1_3repE0EEENS1_30default_config_static_selectorELNS0_4arch9wavefront6targetE1EEEvT1_
	.p2align	8
	.type	_ZN7rocprim17ROCPRIM_400000_NS6detail17trampoline_kernelINS0_14default_configENS1_33run_length_encode_config_selectorIsjNS0_4plusIjEEEEZZNS1_33reduce_by_key_impl_wrapped_configILNS1_25lookback_scan_determinismE0ES3_S7_PKsNS0_17constant_iteratorIjlEEPsPlSF_S6_NS0_8equal_toIsEEEE10hipError_tPvRmT2_T3_mT4_T5_T6_T7_T8_P12ihipStream_tbENKUlT_T0_E_clISt17integral_constantIbLb1EESY_IbLb0EEEEDaSU_SV_EUlSU_E_NS1_11comp_targetILNS1_3genE10ELNS1_11target_archE1200ELNS1_3gpuE4ELNS1_3repE0EEENS1_30default_config_static_selectorELNS0_4arch9wavefront6targetE1EEEvT1_,@function
_ZN7rocprim17ROCPRIM_400000_NS6detail17trampoline_kernelINS0_14default_configENS1_33run_length_encode_config_selectorIsjNS0_4plusIjEEEEZZNS1_33reduce_by_key_impl_wrapped_configILNS1_25lookback_scan_determinismE0ES3_S7_PKsNS0_17constant_iteratorIjlEEPsPlSF_S6_NS0_8equal_toIsEEEE10hipError_tPvRmT2_T3_mT4_T5_T6_T7_T8_P12ihipStream_tbENKUlT_T0_E_clISt17integral_constantIbLb1EESY_IbLb0EEEEDaSU_SV_EUlSU_E_NS1_11comp_targetILNS1_3genE10ELNS1_11target_archE1200ELNS1_3gpuE4ELNS1_3repE0EEENS1_30default_config_static_selectorELNS0_4arch9wavefront6targetE1EEEvT1_: ; @_ZN7rocprim17ROCPRIM_400000_NS6detail17trampoline_kernelINS0_14default_configENS1_33run_length_encode_config_selectorIsjNS0_4plusIjEEEEZZNS1_33reduce_by_key_impl_wrapped_configILNS1_25lookback_scan_determinismE0ES3_S7_PKsNS0_17constant_iteratorIjlEEPsPlSF_S6_NS0_8equal_toIsEEEE10hipError_tPvRmT2_T3_mT4_T5_T6_T7_T8_P12ihipStream_tbENKUlT_T0_E_clISt17integral_constantIbLb1EESY_IbLb0EEEEDaSU_SV_EUlSU_E_NS1_11comp_targetILNS1_3genE10ELNS1_11target_archE1200ELNS1_3gpuE4ELNS1_3repE0EEENS1_30default_config_static_selectorELNS0_4arch9wavefront6targetE1EEEvT1_
; %bb.0:
	.section	.rodata,"a",@progbits
	.p2align	6, 0x0
	.amdhsa_kernel _ZN7rocprim17ROCPRIM_400000_NS6detail17trampoline_kernelINS0_14default_configENS1_33run_length_encode_config_selectorIsjNS0_4plusIjEEEEZZNS1_33reduce_by_key_impl_wrapped_configILNS1_25lookback_scan_determinismE0ES3_S7_PKsNS0_17constant_iteratorIjlEEPsPlSF_S6_NS0_8equal_toIsEEEE10hipError_tPvRmT2_T3_mT4_T5_T6_T7_T8_P12ihipStream_tbENKUlT_T0_E_clISt17integral_constantIbLb1EESY_IbLb0EEEEDaSU_SV_EUlSU_E_NS1_11comp_targetILNS1_3genE10ELNS1_11target_archE1200ELNS1_3gpuE4ELNS1_3repE0EEENS1_30default_config_static_selectorELNS0_4arch9wavefront6targetE1EEEvT1_
		.amdhsa_group_segment_fixed_size 0
		.amdhsa_private_segment_fixed_size 0
		.amdhsa_kernarg_size 128
		.amdhsa_user_sgpr_count 2
		.amdhsa_user_sgpr_dispatch_ptr 0
		.amdhsa_user_sgpr_queue_ptr 0
		.amdhsa_user_sgpr_kernarg_segment_ptr 1
		.amdhsa_user_sgpr_dispatch_id 0
		.amdhsa_user_sgpr_kernarg_preload_length 0
		.amdhsa_user_sgpr_kernarg_preload_offset 0
		.amdhsa_user_sgpr_private_segment_size 0
		.amdhsa_uses_dynamic_stack 0
		.amdhsa_enable_private_segment 0
		.amdhsa_system_sgpr_workgroup_id_x 1
		.amdhsa_system_sgpr_workgroup_id_y 0
		.amdhsa_system_sgpr_workgroup_id_z 0
		.amdhsa_system_sgpr_workgroup_info 0
		.amdhsa_system_vgpr_workitem_id 0
		.amdhsa_next_free_vgpr 1
		.amdhsa_next_free_sgpr 0
		.amdhsa_accum_offset 4
		.amdhsa_reserve_vcc 0
		.amdhsa_float_round_mode_32 0
		.amdhsa_float_round_mode_16_64 0
		.amdhsa_float_denorm_mode_32 3
		.amdhsa_float_denorm_mode_16_64 3
		.amdhsa_dx10_clamp 1
		.amdhsa_ieee_mode 1
		.amdhsa_fp16_overflow 0
		.amdhsa_tg_split 0
		.amdhsa_exception_fp_ieee_invalid_op 0
		.amdhsa_exception_fp_denorm_src 0
		.amdhsa_exception_fp_ieee_div_zero 0
		.amdhsa_exception_fp_ieee_overflow 0
		.amdhsa_exception_fp_ieee_underflow 0
		.amdhsa_exception_fp_ieee_inexact 0
		.amdhsa_exception_int_div_zero 0
	.end_amdhsa_kernel
	.section	.text._ZN7rocprim17ROCPRIM_400000_NS6detail17trampoline_kernelINS0_14default_configENS1_33run_length_encode_config_selectorIsjNS0_4plusIjEEEEZZNS1_33reduce_by_key_impl_wrapped_configILNS1_25lookback_scan_determinismE0ES3_S7_PKsNS0_17constant_iteratorIjlEEPsPlSF_S6_NS0_8equal_toIsEEEE10hipError_tPvRmT2_T3_mT4_T5_T6_T7_T8_P12ihipStream_tbENKUlT_T0_E_clISt17integral_constantIbLb1EESY_IbLb0EEEEDaSU_SV_EUlSU_E_NS1_11comp_targetILNS1_3genE10ELNS1_11target_archE1200ELNS1_3gpuE4ELNS1_3repE0EEENS1_30default_config_static_selectorELNS0_4arch9wavefront6targetE1EEEvT1_,"axG",@progbits,_ZN7rocprim17ROCPRIM_400000_NS6detail17trampoline_kernelINS0_14default_configENS1_33run_length_encode_config_selectorIsjNS0_4plusIjEEEEZZNS1_33reduce_by_key_impl_wrapped_configILNS1_25lookback_scan_determinismE0ES3_S7_PKsNS0_17constant_iteratorIjlEEPsPlSF_S6_NS0_8equal_toIsEEEE10hipError_tPvRmT2_T3_mT4_T5_T6_T7_T8_P12ihipStream_tbENKUlT_T0_E_clISt17integral_constantIbLb1EESY_IbLb0EEEEDaSU_SV_EUlSU_E_NS1_11comp_targetILNS1_3genE10ELNS1_11target_archE1200ELNS1_3gpuE4ELNS1_3repE0EEENS1_30default_config_static_selectorELNS0_4arch9wavefront6targetE1EEEvT1_,comdat
.Lfunc_end604:
	.size	_ZN7rocprim17ROCPRIM_400000_NS6detail17trampoline_kernelINS0_14default_configENS1_33run_length_encode_config_selectorIsjNS0_4plusIjEEEEZZNS1_33reduce_by_key_impl_wrapped_configILNS1_25lookback_scan_determinismE0ES3_S7_PKsNS0_17constant_iteratorIjlEEPsPlSF_S6_NS0_8equal_toIsEEEE10hipError_tPvRmT2_T3_mT4_T5_T6_T7_T8_P12ihipStream_tbENKUlT_T0_E_clISt17integral_constantIbLb1EESY_IbLb0EEEEDaSU_SV_EUlSU_E_NS1_11comp_targetILNS1_3genE10ELNS1_11target_archE1200ELNS1_3gpuE4ELNS1_3repE0EEENS1_30default_config_static_selectorELNS0_4arch9wavefront6targetE1EEEvT1_, .Lfunc_end604-_ZN7rocprim17ROCPRIM_400000_NS6detail17trampoline_kernelINS0_14default_configENS1_33run_length_encode_config_selectorIsjNS0_4plusIjEEEEZZNS1_33reduce_by_key_impl_wrapped_configILNS1_25lookback_scan_determinismE0ES3_S7_PKsNS0_17constant_iteratorIjlEEPsPlSF_S6_NS0_8equal_toIsEEEE10hipError_tPvRmT2_T3_mT4_T5_T6_T7_T8_P12ihipStream_tbENKUlT_T0_E_clISt17integral_constantIbLb1EESY_IbLb0EEEEDaSU_SV_EUlSU_E_NS1_11comp_targetILNS1_3genE10ELNS1_11target_archE1200ELNS1_3gpuE4ELNS1_3repE0EEENS1_30default_config_static_selectorELNS0_4arch9wavefront6targetE1EEEvT1_
                                        ; -- End function
	.section	.AMDGPU.csdata,"",@progbits
; Kernel info:
; codeLenInByte = 0
; NumSgprs: 6
; NumVgprs: 0
; NumAgprs: 0
; TotalNumVgprs: 0
; ScratchSize: 0
; MemoryBound: 0
; FloatMode: 240
; IeeeMode: 1
; LDSByteSize: 0 bytes/workgroup (compile time only)
; SGPRBlocks: 0
; VGPRBlocks: 0
; NumSGPRsForWavesPerEU: 6
; NumVGPRsForWavesPerEU: 1
; AccumOffset: 4
; Occupancy: 8
; WaveLimiterHint : 0
; COMPUTE_PGM_RSRC2:SCRATCH_EN: 0
; COMPUTE_PGM_RSRC2:USER_SGPR: 2
; COMPUTE_PGM_RSRC2:TRAP_HANDLER: 0
; COMPUTE_PGM_RSRC2:TGID_X_EN: 1
; COMPUTE_PGM_RSRC2:TGID_Y_EN: 0
; COMPUTE_PGM_RSRC2:TGID_Z_EN: 0
; COMPUTE_PGM_RSRC2:TIDIG_COMP_CNT: 0
; COMPUTE_PGM_RSRC3_GFX90A:ACCUM_OFFSET: 0
; COMPUTE_PGM_RSRC3_GFX90A:TG_SPLIT: 0
	.section	.text._ZN7rocprim17ROCPRIM_400000_NS6detail17trampoline_kernelINS0_14default_configENS1_33run_length_encode_config_selectorIsjNS0_4plusIjEEEEZZNS1_33reduce_by_key_impl_wrapped_configILNS1_25lookback_scan_determinismE0ES3_S7_PKsNS0_17constant_iteratorIjlEEPsPlSF_S6_NS0_8equal_toIsEEEE10hipError_tPvRmT2_T3_mT4_T5_T6_T7_T8_P12ihipStream_tbENKUlT_T0_E_clISt17integral_constantIbLb1EESY_IbLb0EEEEDaSU_SV_EUlSU_E_NS1_11comp_targetILNS1_3genE9ELNS1_11target_archE1100ELNS1_3gpuE3ELNS1_3repE0EEENS1_30default_config_static_selectorELNS0_4arch9wavefront6targetE1EEEvT1_,"axG",@progbits,_ZN7rocprim17ROCPRIM_400000_NS6detail17trampoline_kernelINS0_14default_configENS1_33run_length_encode_config_selectorIsjNS0_4plusIjEEEEZZNS1_33reduce_by_key_impl_wrapped_configILNS1_25lookback_scan_determinismE0ES3_S7_PKsNS0_17constant_iteratorIjlEEPsPlSF_S6_NS0_8equal_toIsEEEE10hipError_tPvRmT2_T3_mT4_T5_T6_T7_T8_P12ihipStream_tbENKUlT_T0_E_clISt17integral_constantIbLb1EESY_IbLb0EEEEDaSU_SV_EUlSU_E_NS1_11comp_targetILNS1_3genE9ELNS1_11target_archE1100ELNS1_3gpuE3ELNS1_3repE0EEENS1_30default_config_static_selectorELNS0_4arch9wavefront6targetE1EEEvT1_,comdat
	.protected	_ZN7rocprim17ROCPRIM_400000_NS6detail17trampoline_kernelINS0_14default_configENS1_33run_length_encode_config_selectorIsjNS0_4plusIjEEEEZZNS1_33reduce_by_key_impl_wrapped_configILNS1_25lookback_scan_determinismE0ES3_S7_PKsNS0_17constant_iteratorIjlEEPsPlSF_S6_NS0_8equal_toIsEEEE10hipError_tPvRmT2_T3_mT4_T5_T6_T7_T8_P12ihipStream_tbENKUlT_T0_E_clISt17integral_constantIbLb1EESY_IbLb0EEEEDaSU_SV_EUlSU_E_NS1_11comp_targetILNS1_3genE9ELNS1_11target_archE1100ELNS1_3gpuE3ELNS1_3repE0EEENS1_30default_config_static_selectorELNS0_4arch9wavefront6targetE1EEEvT1_ ; -- Begin function _ZN7rocprim17ROCPRIM_400000_NS6detail17trampoline_kernelINS0_14default_configENS1_33run_length_encode_config_selectorIsjNS0_4plusIjEEEEZZNS1_33reduce_by_key_impl_wrapped_configILNS1_25lookback_scan_determinismE0ES3_S7_PKsNS0_17constant_iteratorIjlEEPsPlSF_S6_NS0_8equal_toIsEEEE10hipError_tPvRmT2_T3_mT4_T5_T6_T7_T8_P12ihipStream_tbENKUlT_T0_E_clISt17integral_constantIbLb1EESY_IbLb0EEEEDaSU_SV_EUlSU_E_NS1_11comp_targetILNS1_3genE9ELNS1_11target_archE1100ELNS1_3gpuE3ELNS1_3repE0EEENS1_30default_config_static_selectorELNS0_4arch9wavefront6targetE1EEEvT1_
	.globl	_ZN7rocprim17ROCPRIM_400000_NS6detail17trampoline_kernelINS0_14default_configENS1_33run_length_encode_config_selectorIsjNS0_4plusIjEEEEZZNS1_33reduce_by_key_impl_wrapped_configILNS1_25lookback_scan_determinismE0ES3_S7_PKsNS0_17constant_iteratorIjlEEPsPlSF_S6_NS0_8equal_toIsEEEE10hipError_tPvRmT2_T3_mT4_T5_T6_T7_T8_P12ihipStream_tbENKUlT_T0_E_clISt17integral_constantIbLb1EESY_IbLb0EEEEDaSU_SV_EUlSU_E_NS1_11comp_targetILNS1_3genE9ELNS1_11target_archE1100ELNS1_3gpuE3ELNS1_3repE0EEENS1_30default_config_static_selectorELNS0_4arch9wavefront6targetE1EEEvT1_
	.p2align	8
	.type	_ZN7rocprim17ROCPRIM_400000_NS6detail17trampoline_kernelINS0_14default_configENS1_33run_length_encode_config_selectorIsjNS0_4plusIjEEEEZZNS1_33reduce_by_key_impl_wrapped_configILNS1_25lookback_scan_determinismE0ES3_S7_PKsNS0_17constant_iteratorIjlEEPsPlSF_S6_NS0_8equal_toIsEEEE10hipError_tPvRmT2_T3_mT4_T5_T6_T7_T8_P12ihipStream_tbENKUlT_T0_E_clISt17integral_constantIbLb1EESY_IbLb0EEEEDaSU_SV_EUlSU_E_NS1_11comp_targetILNS1_3genE9ELNS1_11target_archE1100ELNS1_3gpuE3ELNS1_3repE0EEENS1_30default_config_static_selectorELNS0_4arch9wavefront6targetE1EEEvT1_,@function
_ZN7rocprim17ROCPRIM_400000_NS6detail17trampoline_kernelINS0_14default_configENS1_33run_length_encode_config_selectorIsjNS0_4plusIjEEEEZZNS1_33reduce_by_key_impl_wrapped_configILNS1_25lookback_scan_determinismE0ES3_S7_PKsNS0_17constant_iteratorIjlEEPsPlSF_S6_NS0_8equal_toIsEEEE10hipError_tPvRmT2_T3_mT4_T5_T6_T7_T8_P12ihipStream_tbENKUlT_T0_E_clISt17integral_constantIbLb1EESY_IbLb0EEEEDaSU_SV_EUlSU_E_NS1_11comp_targetILNS1_3genE9ELNS1_11target_archE1100ELNS1_3gpuE3ELNS1_3repE0EEENS1_30default_config_static_selectorELNS0_4arch9wavefront6targetE1EEEvT1_: ; @_ZN7rocprim17ROCPRIM_400000_NS6detail17trampoline_kernelINS0_14default_configENS1_33run_length_encode_config_selectorIsjNS0_4plusIjEEEEZZNS1_33reduce_by_key_impl_wrapped_configILNS1_25lookback_scan_determinismE0ES3_S7_PKsNS0_17constant_iteratorIjlEEPsPlSF_S6_NS0_8equal_toIsEEEE10hipError_tPvRmT2_T3_mT4_T5_T6_T7_T8_P12ihipStream_tbENKUlT_T0_E_clISt17integral_constantIbLb1EESY_IbLb0EEEEDaSU_SV_EUlSU_E_NS1_11comp_targetILNS1_3genE9ELNS1_11target_archE1100ELNS1_3gpuE3ELNS1_3repE0EEENS1_30default_config_static_selectorELNS0_4arch9wavefront6targetE1EEEvT1_
; %bb.0:
	.section	.rodata,"a",@progbits
	.p2align	6, 0x0
	.amdhsa_kernel _ZN7rocprim17ROCPRIM_400000_NS6detail17trampoline_kernelINS0_14default_configENS1_33run_length_encode_config_selectorIsjNS0_4plusIjEEEEZZNS1_33reduce_by_key_impl_wrapped_configILNS1_25lookback_scan_determinismE0ES3_S7_PKsNS0_17constant_iteratorIjlEEPsPlSF_S6_NS0_8equal_toIsEEEE10hipError_tPvRmT2_T3_mT4_T5_T6_T7_T8_P12ihipStream_tbENKUlT_T0_E_clISt17integral_constantIbLb1EESY_IbLb0EEEEDaSU_SV_EUlSU_E_NS1_11comp_targetILNS1_3genE9ELNS1_11target_archE1100ELNS1_3gpuE3ELNS1_3repE0EEENS1_30default_config_static_selectorELNS0_4arch9wavefront6targetE1EEEvT1_
		.amdhsa_group_segment_fixed_size 0
		.amdhsa_private_segment_fixed_size 0
		.amdhsa_kernarg_size 128
		.amdhsa_user_sgpr_count 2
		.amdhsa_user_sgpr_dispatch_ptr 0
		.amdhsa_user_sgpr_queue_ptr 0
		.amdhsa_user_sgpr_kernarg_segment_ptr 1
		.amdhsa_user_sgpr_dispatch_id 0
		.amdhsa_user_sgpr_kernarg_preload_length 0
		.amdhsa_user_sgpr_kernarg_preload_offset 0
		.amdhsa_user_sgpr_private_segment_size 0
		.amdhsa_uses_dynamic_stack 0
		.amdhsa_enable_private_segment 0
		.amdhsa_system_sgpr_workgroup_id_x 1
		.amdhsa_system_sgpr_workgroup_id_y 0
		.amdhsa_system_sgpr_workgroup_id_z 0
		.amdhsa_system_sgpr_workgroup_info 0
		.amdhsa_system_vgpr_workitem_id 0
		.amdhsa_next_free_vgpr 1
		.amdhsa_next_free_sgpr 0
		.amdhsa_accum_offset 4
		.amdhsa_reserve_vcc 0
		.amdhsa_float_round_mode_32 0
		.amdhsa_float_round_mode_16_64 0
		.amdhsa_float_denorm_mode_32 3
		.amdhsa_float_denorm_mode_16_64 3
		.amdhsa_dx10_clamp 1
		.amdhsa_ieee_mode 1
		.amdhsa_fp16_overflow 0
		.amdhsa_tg_split 0
		.amdhsa_exception_fp_ieee_invalid_op 0
		.amdhsa_exception_fp_denorm_src 0
		.amdhsa_exception_fp_ieee_div_zero 0
		.amdhsa_exception_fp_ieee_overflow 0
		.amdhsa_exception_fp_ieee_underflow 0
		.amdhsa_exception_fp_ieee_inexact 0
		.amdhsa_exception_int_div_zero 0
	.end_amdhsa_kernel
	.section	.text._ZN7rocprim17ROCPRIM_400000_NS6detail17trampoline_kernelINS0_14default_configENS1_33run_length_encode_config_selectorIsjNS0_4plusIjEEEEZZNS1_33reduce_by_key_impl_wrapped_configILNS1_25lookback_scan_determinismE0ES3_S7_PKsNS0_17constant_iteratorIjlEEPsPlSF_S6_NS0_8equal_toIsEEEE10hipError_tPvRmT2_T3_mT4_T5_T6_T7_T8_P12ihipStream_tbENKUlT_T0_E_clISt17integral_constantIbLb1EESY_IbLb0EEEEDaSU_SV_EUlSU_E_NS1_11comp_targetILNS1_3genE9ELNS1_11target_archE1100ELNS1_3gpuE3ELNS1_3repE0EEENS1_30default_config_static_selectorELNS0_4arch9wavefront6targetE1EEEvT1_,"axG",@progbits,_ZN7rocprim17ROCPRIM_400000_NS6detail17trampoline_kernelINS0_14default_configENS1_33run_length_encode_config_selectorIsjNS0_4plusIjEEEEZZNS1_33reduce_by_key_impl_wrapped_configILNS1_25lookback_scan_determinismE0ES3_S7_PKsNS0_17constant_iteratorIjlEEPsPlSF_S6_NS0_8equal_toIsEEEE10hipError_tPvRmT2_T3_mT4_T5_T6_T7_T8_P12ihipStream_tbENKUlT_T0_E_clISt17integral_constantIbLb1EESY_IbLb0EEEEDaSU_SV_EUlSU_E_NS1_11comp_targetILNS1_3genE9ELNS1_11target_archE1100ELNS1_3gpuE3ELNS1_3repE0EEENS1_30default_config_static_selectorELNS0_4arch9wavefront6targetE1EEEvT1_,comdat
.Lfunc_end605:
	.size	_ZN7rocprim17ROCPRIM_400000_NS6detail17trampoline_kernelINS0_14default_configENS1_33run_length_encode_config_selectorIsjNS0_4plusIjEEEEZZNS1_33reduce_by_key_impl_wrapped_configILNS1_25lookback_scan_determinismE0ES3_S7_PKsNS0_17constant_iteratorIjlEEPsPlSF_S6_NS0_8equal_toIsEEEE10hipError_tPvRmT2_T3_mT4_T5_T6_T7_T8_P12ihipStream_tbENKUlT_T0_E_clISt17integral_constantIbLb1EESY_IbLb0EEEEDaSU_SV_EUlSU_E_NS1_11comp_targetILNS1_3genE9ELNS1_11target_archE1100ELNS1_3gpuE3ELNS1_3repE0EEENS1_30default_config_static_selectorELNS0_4arch9wavefront6targetE1EEEvT1_, .Lfunc_end605-_ZN7rocprim17ROCPRIM_400000_NS6detail17trampoline_kernelINS0_14default_configENS1_33run_length_encode_config_selectorIsjNS0_4plusIjEEEEZZNS1_33reduce_by_key_impl_wrapped_configILNS1_25lookback_scan_determinismE0ES3_S7_PKsNS0_17constant_iteratorIjlEEPsPlSF_S6_NS0_8equal_toIsEEEE10hipError_tPvRmT2_T3_mT4_T5_T6_T7_T8_P12ihipStream_tbENKUlT_T0_E_clISt17integral_constantIbLb1EESY_IbLb0EEEEDaSU_SV_EUlSU_E_NS1_11comp_targetILNS1_3genE9ELNS1_11target_archE1100ELNS1_3gpuE3ELNS1_3repE0EEENS1_30default_config_static_selectorELNS0_4arch9wavefront6targetE1EEEvT1_
                                        ; -- End function
	.section	.AMDGPU.csdata,"",@progbits
; Kernel info:
; codeLenInByte = 0
; NumSgprs: 6
; NumVgprs: 0
; NumAgprs: 0
; TotalNumVgprs: 0
; ScratchSize: 0
; MemoryBound: 0
; FloatMode: 240
; IeeeMode: 1
; LDSByteSize: 0 bytes/workgroup (compile time only)
; SGPRBlocks: 0
; VGPRBlocks: 0
; NumSGPRsForWavesPerEU: 6
; NumVGPRsForWavesPerEU: 1
; AccumOffset: 4
; Occupancy: 8
; WaveLimiterHint : 0
; COMPUTE_PGM_RSRC2:SCRATCH_EN: 0
; COMPUTE_PGM_RSRC2:USER_SGPR: 2
; COMPUTE_PGM_RSRC2:TRAP_HANDLER: 0
; COMPUTE_PGM_RSRC2:TGID_X_EN: 1
; COMPUTE_PGM_RSRC2:TGID_Y_EN: 0
; COMPUTE_PGM_RSRC2:TGID_Z_EN: 0
; COMPUTE_PGM_RSRC2:TIDIG_COMP_CNT: 0
; COMPUTE_PGM_RSRC3_GFX90A:ACCUM_OFFSET: 0
; COMPUTE_PGM_RSRC3_GFX90A:TG_SPLIT: 0
	.section	.text._ZN7rocprim17ROCPRIM_400000_NS6detail17trampoline_kernelINS0_14default_configENS1_33run_length_encode_config_selectorIsjNS0_4plusIjEEEEZZNS1_33reduce_by_key_impl_wrapped_configILNS1_25lookback_scan_determinismE0ES3_S7_PKsNS0_17constant_iteratorIjlEEPsPlSF_S6_NS0_8equal_toIsEEEE10hipError_tPvRmT2_T3_mT4_T5_T6_T7_T8_P12ihipStream_tbENKUlT_T0_E_clISt17integral_constantIbLb1EESY_IbLb0EEEEDaSU_SV_EUlSU_E_NS1_11comp_targetILNS1_3genE8ELNS1_11target_archE1030ELNS1_3gpuE2ELNS1_3repE0EEENS1_30default_config_static_selectorELNS0_4arch9wavefront6targetE1EEEvT1_,"axG",@progbits,_ZN7rocprim17ROCPRIM_400000_NS6detail17trampoline_kernelINS0_14default_configENS1_33run_length_encode_config_selectorIsjNS0_4plusIjEEEEZZNS1_33reduce_by_key_impl_wrapped_configILNS1_25lookback_scan_determinismE0ES3_S7_PKsNS0_17constant_iteratorIjlEEPsPlSF_S6_NS0_8equal_toIsEEEE10hipError_tPvRmT2_T3_mT4_T5_T6_T7_T8_P12ihipStream_tbENKUlT_T0_E_clISt17integral_constantIbLb1EESY_IbLb0EEEEDaSU_SV_EUlSU_E_NS1_11comp_targetILNS1_3genE8ELNS1_11target_archE1030ELNS1_3gpuE2ELNS1_3repE0EEENS1_30default_config_static_selectorELNS0_4arch9wavefront6targetE1EEEvT1_,comdat
	.protected	_ZN7rocprim17ROCPRIM_400000_NS6detail17trampoline_kernelINS0_14default_configENS1_33run_length_encode_config_selectorIsjNS0_4plusIjEEEEZZNS1_33reduce_by_key_impl_wrapped_configILNS1_25lookback_scan_determinismE0ES3_S7_PKsNS0_17constant_iteratorIjlEEPsPlSF_S6_NS0_8equal_toIsEEEE10hipError_tPvRmT2_T3_mT4_T5_T6_T7_T8_P12ihipStream_tbENKUlT_T0_E_clISt17integral_constantIbLb1EESY_IbLb0EEEEDaSU_SV_EUlSU_E_NS1_11comp_targetILNS1_3genE8ELNS1_11target_archE1030ELNS1_3gpuE2ELNS1_3repE0EEENS1_30default_config_static_selectorELNS0_4arch9wavefront6targetE1EEEvT1_ ; -- Begin function _ZN7rocprim17ROCPRIM_400000_NS6detail17trampoline_kernelINS0_14default_configENS1_33run_length_encode_config_selectorIsjNS0_4plusIjEEEEZZNS1_33reduce_by_key_impl_wrapped_configILNS1_25lookback_scan_determinismE0ES3_S7_PKsNS0_17constant_iteratorIjlEEPsPlSF_S6_NS0_8equal_toIsEEEE10hipError_tPvRmT2_T3_mT4_T5_T6_T7_T8_P12ihipStream_tbENKUlT_T0_E_clISt17integral_constantIbLb1EESY_IbLb0EEEEDaSU_SV_EUlSU_E_NS1_11comp_targetILNS1_3genE8ELNS1_11target_archE1030ELNS1_3gpuE2ELNS1_3repE0EEENS1_30default_config_static_selectorELNS0_4arch9wavefront6targetE1EEEvT1_
	.globl	_ZN7rocprim17ROCPRIM_400000_NS6detail17trampoline_kernelINS0_14default_configENS1_33run_length_encode_config_selectorIsjNS0_4plusIjEEEEZZNS1_33reduce_by_key_impl_wrapped_configILNS1_25lookback_scan_determinismE0ES3_S7_PKsNS0_17constant_iteratorIjlEEPsPlSF_S6_NS0_8equal_toIsEEEE10hipError_tPvRmT2_T3_mT4_T5_T6_T7_T8_P12ihipStream_tbENKUlT_T0_E_clISt17integral_constantIbLb1EESY_IbLb0EEEEDaSU_SV_EUlSU_E_NS1_11comp_targetILNS1_3genE8ELNS1_11target_archE1030ELNS1_3gpuE2ELNS1_3repE0EEENS1_30default_config_static_selectorELNS0_4arch9wavefront6targetE1EEEvT1_
	.p2align	8
	.type	_ZN7rocprim17ROCPRIM_400000_NS6detail17trampoline_kernelINS0_14default_configENS1_33run_length_encode_config_selectorIsjNS0_4plusIjEEEEZZNS1_33reduce_by_key_impl_wrapped_configILNS1_25lookback_scan_determinismE0ES3_S7_PKsNS0_17constant_iteratorIjlEEPsPlSF_S6_NS0_8equal_toIsEEEE10hipError_tPvRmT2_T3_mT4_T5_T6_T7_T8_P12ihipStream_tbENKUlT_T0_E_clISt17integral_constantIbLb1EESY_IbLb0EEEEDaSU_SV_EUlSU_E_NS1_11comp_targetILNS1_3genE8ELNS1_11target_archE1030ELNS1_3gpuE2ELNS1_3repE0EEENS1_30default_config_static_selectorELNS0_4arch9wavefront6targetE1EEEvT1_,@function
_ZN7rocprim17ROCPRIM_400000_NS6detail17trampoline_kernelINS0_14default_configENS1_33run_length_encode_config_selectorIsjNS0_4plusIjEEEEZZNS1_33reduce_by_key_impl_wrapped_configILNS1_25lookback_scan_determinismE0ES3_S7_PKsNS0_17constant_iteratorIjlEEPsPlSF_S6_NS0_8equal_toIsEEEE10hipError_tPvRmT2_T3_mT4_T5_T6_T7_T8_P12ihipStream_tbENKUlT_T0_E_clISt17integral_constantIbLb1EESY_IbLb0EEEEDaSU_SV_EUlSU_E_NS1_11comp_targetILNS1_3genE8ELNS1_11target_archE1030ELNS1_3gpuE2ELNS1_3repE0EEENS1_30default_config_static_selectorELNS0_4arch9wavefront6targetE1EEEvT1_: ; @_ZN7rocprim17ROCPRIM_400000_NS6detail17trampoline_kernelINS0_14default_configENS1_33run_length_encode_config_selectorIsjNS0_4plusIjEEEEZZNS1_33reduce_by_key_impl_wrapped_configILNS1_25lookback_scan_determinismE0ES3_S7_PKsNS0_17constant_iteratorIjlEEPsPlSF_S6_NS0_8equal_toIsEEEE10hipError_tPvRmT2_T3_mT4_T5_T6_T7_T8_P12ihipStream_tbENKUlT_T0_E_clISt17integral_constantIbLb1EESY_IbLb0EEEEDaSU_SV_EUlSU_E_NS1_11comp_targetILNS1_3genE8ELNS1_11target_archE1030ELNS1_3gpuE2ELNS1_3repE0EEENS1_30default_config_static_selectorELNS0_4arch9wavefront6targetE1EEEvT1_
; %bb.0:
	.section	.rodata,"a",@progbits
	.p2align	6, 0x0
	.amdhsa_kernel _ZN7rocprim17ROCPRIM_400000_NS6detail17trampoline_kernelINS0_14default_configENS1_33run_length_encode_config_selectorIsjNS0_4plusIjEEEEZZNS1_33reduce_by_key_impl_wrapped_configILNS1_25lookback_scan_determinismE0ES3_S7_PKsNS0_17constant_iteratorIjlEEPsPlSF_S6_NS0_8equal_toIsEEEE10hipError_tPvRmT2_T3_mT4_T5_T6_T7_T8_P12ihipStream_tbENKUlT_T0_E_clISt17integral_constantIbLb1EESY_IbLb0EEEEDaSU_SV_EUlSU_E_NS1_11comp_targetILNS1_3genE8ELNS1_11target_archE1030ELNS1_3gpuE2ELNS1_3repE0EEENS1_30default_config_static_selectorELNS0_4arch9wavefront6targetE1EEEvT1_
		.amdhsa_group_segment_fixed_size 0
		.amdhsa_private_segment_fixed_size 0
		.amdhsa_kernarg_size 128
		.amdhsa_user_sgpr_count 2
		.amdhsa_user_sgpr_dispatch_ptr 0
		.amdhsa_user_sgpr_queue_ptr 0
		.amdhsa_user_sgpr_kernarg_segment_ptr 1
		.amdhsa_user_sgpr_dispatch_id 0
		.amdhsa_user_sgpr_kernarg_preload_length 0
		.amdhsa_user_sgpr_kernarg_preload_offset 0
		.amdhsa_user_sgpr_private_segment_size 0
		.amdhsa_uses_dynamic_stack 0
		.amdhsa_enable_private_segment 0
		.amdhsa_system_sgpr_workgroup_id_x 1
		.amdhsa_system_sgpr_workgroup_id_y 0
		.amdhsa_system_sgpr_workgroup_id_z 0
		.amdhsa_system_sgpr_workgroup_info 0
		.amdhsa_system_vgpr_workitem_id 0
		.amdhsa_next_free_vgpr 1
		.amdhsa_next_free_sgpr 0
		.amdhsa_accum_offset 4
		.amdhsa_reserve_vcc 0
		.amdhsa_float_round_mode_32 0
		.amdhsa_float_round_mode_16_64 0
		.amdhsa_float_denorm_mode_32 3
		.amdhsa_float_denorm_mode_16_64 3
		.amdhsa_dx10_clamp 1
		.amdhsa_ieee_mode 1
		.amdhsa_fp16_overflow 0
		.amdhsa_tg_split 0
		.amdhsa_exception_fp_ieee_invalid_op 0
		.amdhsa_exception_fp_denorm_src 0
		.amdhsa_exception_fp_ieee_div_zero 0
		.amdhsa_exception_fp_ieee_overflow 0
		.amdhsa_exception_fp_ieee_underflow 0
		.amdhsa_exception_fp_ieee_inexact 0
		.amdhsa_exception_int_div_zero 0
	.end_amdhsa_kernel
	.section	.text._ZN7rocprim17ROCPRIM_400000_NS6detail17trampoline_kernelINS0_14default_configENS1_33run_length_encode_config_selectorIsjNS0_4plusIjEEEEZZNS1_33reduce_by_key_impl_wrapped_configILNS1_25lookback_scan_determinismE0ES3_S7_PKsNS0_17constant_iteratorIjlEEPsPlSF_S6_NS0_8equal_toIsEEEE10hipError_tPvRmT2_T3_mT4_T5_T6_T7_T8_P12ihipStream_tbENKUlT_T0_E_clISt17integral_constantIbLb1EESY_IbLb0EEEEDaSU_SV_EUlSU_E_NS1_11comp_targetILNS1_3genE8ELNS1_11target_archE1030ELNS1_3gpuE2ELNS1_3repE0EEENS1_30default_config_static_selectorELNS0_4arch9wavefront6targetE1EEEvT1_,"axG",@progbits,_ZN7rocprim17ROCPRIM_400000_NS6detail17trampoline_kernelINS0_14default_configENS1_33run_length_encode_config_selectorIsjNS0_4plusIjEEEEZZNS1_33reduce_by_key_impl_wrapped_configILNS1_25lookback_scan_determinismE0ES3_S7_PKsNS0_17constant_iteratorIjlEEPsPlSF_S6_NS0_8equal_toIsEEEE10hipError_tPvRmT2_T3_mT4_T5_T6_T7_T8_P12ihipStream_tbENKUlT_T0_E_clISt17integral_constantIbLb1EESY_IbLb0EEEEDaSU_SV_EUlSU_E_NS1_11comp_targetILNS1_3genE8ELNS1_11target_archE1030ELNS1_3gpuE2ELNS1_3repE0EEENS1_30default_config_static_selectorELNS0_4arch9wavefront6targetE1EEEvT1_,comdat
.Lfunc_end606:
	.size	_ZN7rocprim17ROCPRIM_400000_NS6detail17trampoline_kernelINS0_14default_configENS1_33run_length_encode_config_selectorIsjNS0_4plusIjEEEEZZNS1_33reduce_by_key_impl_wrapped_configILNS1_25lookback_scan_determinismE0ES3_S7_PKsNS0_17constant_iteratorIjlEEPsPlSF_S6_NS0_8equal_toIsEEEE10hipError_tPvRmT2_T3_mT4_T5_T6_T7_T8_P12ihipStream_tbENKUlT_T0_E_clISt17integral_constantIbLb1EESY_IbLb0EEEEDaSU_SV_EUlSU_E_NS1_11comp_targetILNS1_3genE8ELNS1_11target_archE1030ELNS1_3gpuE2ELNS1_3repE0EEENS1_30default_config_static_selectorELNS0_4arch9wavefront6targetE1EEEvT1_, .Lfunc_end606-_ZN7rocprim17ROCPRIM_400000_NS6detail17trampoline_kernelINS0_14default_configENS1_33run_length_encode_config_selectorIsjNS0_4plusIjEEEEZZNS1_33reduce_by_key_impl_wrapped_configILNS1_25lookback_scan_determinismE0ES3_S7_PKsNS0_17constant_iteratorIjlEEPsPlSF_S6_NS0_8equal_toIsEEEE10hipError_tPvRmT2_T3_mT4_T5_T6_T7_T8_P12ihipStream_tbENKUlT_T0_E_clISt17integral_constantIbLb1EESY_IbLb0EEEEDaSU_SV_EUlSU_E_NS1_11comp_targetILNS1_3genE8ELNS1_11target_archE1030ELNS1_3gpuE2ELNS1_3repE0EEENS1_30default_config_static_selectorELNS0_4arch9wavefront6targetE1EEEvT1_
                                        ; -- End function
	.section	.AMDGPU.csdata,"",@progbits
; Kernel info:
; codeLenInByte = 0
; NumSgprs: 6
; NumVgprs: 0
; NumAgprs: 0
; TotalNumVgprs: 0
; ScratchSize: 0
; MemoryBound: 0
; FloatMode: 240
; IeeeMode: 1
; LDSByteSize: 0 bytes/workgroup (compile time only)
; SGPRBlocks: 0
; VGPRBlocks: 0
; NumSGPRsForWavesPerEU: 6
; NumVGPRsForWavesPerEU: 1
; AccumOffset: 4
; Occupancy: 8
; WaveLimiterHint : 0
; COMPUTE_PGM_RSRC2:SCRATCH_EN: 0
; COMPUTE_PGM_RSRC2:USER_SGPR: 2
; COMPUTE_PGM_RSRC2:TRAP_HANDLER: 0
; COMPUTE_PGM_RSRC2:TGID_X_EN: 1
; COMPUTE_PGM_RSRC2:TGID_Y_EN: 0
; COMPUTE_PGM_RSRC2:TGID_Z_EN: 0
; COMPUTE_PGM_RSRC2:TIDIG_COMP_CNT: 0
; COMPUTE_PGM_RSRC3_GFX90A:ACCUM_OFFSET: 0
; COMPUTE_PGM_RSRC3_GFX90A:TG_SPLIT: 0
	.section	.text._ZN7rocprim17ROCPRIM_400000_NS6detail17trampoline_kernelINS0_14default_configENS1_33run_length_encode_config_selectorIsjNS0_4plusIjEEEEZZNS1_33reduce_by_key_impl_wrapped_configILNS1_25lookback_scan_determinismE0ES3_S7_PKsNS0_17constant_iteratorIjlEEPsPlSF_S6_NS0_8equal_toIsEEEE10hipError_tPvRmT2_T3_mT4_T5_T6_T7_T8_P12ihipStream_tbENKUlT_T0_E_clISt17integral_constantIbLb0EESY_IbLb1EEEEDaSU_SV_EUlSU_E_NS1_11comp_targetILNS1_3genE0ELNS1_11target_archE4294967295ELNS1_3gpuE0ELNS1_3repE0EEENS1_30default_config_static_selectorELNS0_4arch9wavefront6targetE1EEEvT1_,"axG",@progbits,_ZN7rocprim17ROCPRIM_400000_NS6detail17trampoline_kernelINS0_14default_configENS1_33run_length_encode_config_selectorIsjNS0_4plusIjEEEEZZNS1_33reduce_by_key_impl_wrapped_configILNS1_25lookback_scan_determinismE0ES3_S7_PKsNS0_17constant_iteratorIjlEEPsPlSF_S6_NS0_8equal_toIsEEEE10hipError_tPvRmT2_T3_mT4_T5_T6_T7_T8_P12ihipStream_tbENKUlT_T0_E_clISt17integral_constantIbLb0EESY_IbLb1EEEEDaSU_SV_EUlSU_E_NS1_11comp_targetILNS1_3genE0ELNS1_11target_archE4294967295ELNS1_3gpuE0ELNS1_3repE0EEENS1_30default_config_static_selectorELNS0_4arch9wavefront6targetE1EEEvT1_,comdat
	.protected	_ZN7rocprim17ROCPRIM_400000_NS6detail17trampoline_kernelINS0_14default_configENS1_33run_length_encode_config_selectorIsjNS0_4plusIjEEEEZZNS1_33reduce_by_key_impl_wrapped_configILNS1_25lookback_scan_determinismE0ES3_S7_PKsNS0_17constant_iteratorIjlEEPsPlSF_S6_NS0_8equal_toIsEEEE10hipError_tPvRmT2_T3_mT4_T5_T6_T7_T8_P12ihipStream_tbENKUlT_T0_E_clISt17integral_constantIbLb0EESY_IbLb1EEEEDaSU_SV_EUlSU_E_NS1_11comp_targetILNS1_3genE0ELNS1_11target_archE4294967295ELNS1_3gpuE0ELNS1_3repE0EEENS1_30default_config_static_selectorELNS0_4arch9wavefront6targetE1EEEvT1_ ; -- Begin function _ZN7rocprim17ROCPRIM_400000_NS6detail17trampoline_kernelINS0_14default_configENS1_33run_length_encode_config_selectorIsjNS0_4plusIjEEEEZZNS1_33reduce_by_key_impl_wrapped_configILNS1_25lookback_scan_determinismE0ES3_S7_PKsNS0_17constant_iteratorIjlEEPsPlSF_S6_NS0_8equal_toIsEEEE10hipError_tPvRmT2_T3_mT4_T5_T6_T7_T8_P12ihipStream_tbENKUlT_T0_E_clISt17integral_constantIbLb0EESY_IbLb1EEEEDaSU_SV_EUlSU_E_NS1_11comp_targetILNS1_3genE0ELNS1_11target_archE4294967295ELNS1_3gpuE0ELNS1_3repE0EEENS1_30default_config_static_selectorELNS0_4arch9wavefront6targetE1EEEvT1_
	.globl	_ZN7rocprim17ROCPRIM_400000_NS6detail17trampoline_kernelINS0_14default_configENS1_33run_length_encode_config_selectorIsjNS0_4plusIjEEEEZZNS1_33reduce_by_key_impl_wrapped_configILNS1_25lookback_scan_determinismE0ES3_S7_PKsNS0_17constant_iteratorIjlEEPsPlSF_S6_NS0_8equal_toIsEEEE10hipError_tPvRmT2_T3_mT4_T5_T6_T7_T8_P12ihipStream_tbENKUlT_T0_E_clISt17integral_constantIbLb0EESY_IbLb1EEEEDaSU_SV_EUlSU_E_NS1_11comp_targetILNS1_3genE0ELNS1_11target_archE4294967295ELNS1_3gpuE0ELNS1_3repE0EEENS1_30default_config_static_selectorELNS0_4arch9wavefront6targetE1EEEvT1_
	.p2align	8
	.type	_ZN7rocprim17ROCPRIM_400000_NS6detail17trampoline_kernelINS0_14default_configENS1_33run_length_encode_config_selectorIsjNS0_4plusIjEEEEZZNS1_33reduce_by_key_impl_wrapped_configILNS1_25lookback_scan_determinismE0ES3_S7_PKsNS0_17constant_iteratorIjlEEPsPlSF_S6_NS0_8equal_toIsEEEE10hipError_tPvRmT2_T3_mT4_T5_T6_T7_T8_P12ihipStream_tbENKUlT_T0_E_clISt17integral_constantIbLb0EESY_IbLb1EEEEDaSU_SV_EUlSU_E_NS1_11comp_targetILNS1_3genE0ELNS1_11target_archE4294967295ELNS1_3gpuE0ELNS1_3repE0EEENS1_30default_config_static_selectorELNS0_4arch9wavefront6targetE1EEEvT1_,@function
_ZN7rocprim17ROCPRIM_400000_NS6detail17trampoline_kernelINS0_14default_configENS1_33run_length_encode_config_selectorIsjNS0_4plusIjEEEEZZNS1_33reduce_by_key_impl_wrapped_configILNS1_25lookback_scan_determinismE0ES3_S7_PKsNS0_17constant_iteratorIjlEEPsPlSF_S6_NS0_8equal_toIsEEEE10hipError_tPvRmT2_T3_mT4_T5_T6_T7_T8_P12ihipStream_tbENKUlT_T0_E_clISt17integral_constantIbLb0EESY_IbLb1EEEEDaSU_SV_EUlSU_E_NS1_11comp_targetILNS1_3genE0ELNS1_11target_archE4294967295ELNS1_3gpuE0ELNS1_3repE0EEENS1_30default_config_static_selectorELNS0_4arch9wavefront6targetE1EEEvT1_: ; @_ZN7rocprim17ROCPRIM_400000_NS6detail17trampoline_kernelINS0_14default_configENS1_33run_length_encode_config_selectorIsjNS0_4plusIjEEEEZZNS1_33reduce_by_key_impl_wrapped_configILNS1_25lookback_scan_determinismE0ES3_S7_PKsNS0_17constant_iteratorIjlEEPsPlSF_S6_NS0_8equal_toIsEEEE10hipError_tPvRmT2_T3_mT4_T5_T6_T7_T8_P12ihipStream_tbENKUlT_T0_E_clISt17integral_constantIbLb0EESY_IbLb1EEEEDaSU_SV_EUlSU_E_NS1_11comp_targetILNS1_3genE0ELNS1_11target_archE4294967295ELNS1_3gpuE0ELNS1_3repE0EEENS1_30default_config_static_selectorELNS0_4arch9wavefront6targetE1EEEvT1_
; %bb.0:
	.section	.rodata,"a",@progbits
	.p2align	6, 0x0
	.amdhsa_kernel _ZN7rocprim17ROCPRIM_400000_NS6detail17trampoline_kernelINS0_14default_configENS1_33run_length_encode_config_selectorIsjNS0_4plusIjEEEEZZNS1_33reduce_by_key_impl_wrapped_configILNS1_25lookback_scan_determinismE0ES3_S7_PKsNS0_17constant_iteratorIjlEEPsPlSF_S6_NS0_8equal_toIsEEEE10hipError_tPvRmT2_T3_mT4_T5_T6_T7_T8_P12ihipStream_tbENKUlT_T0_E_clISt17integral_constantIbLb0EESY_IbLb1EEEEDaSU_SV_EUlSU_E_NS1_11comp_targetILNS1_3genE0ELNS1_11target_archE4294967295ELNS1_3gpuE0ELNS1_3repE0EEENS1_30default_config_static_selectorELNS0_4arch9wavefront6targetE1EEEvT1_
		.amdhsa_group_segment_fixed_size 0
		.amdhsa_private_segment_fixed_size 0
		.amdhsa_kernarg_size 128
		.amdhsa_user_sgpr_count 2
		.amdhsa_user_sgpr_dispatch_ptr 0
		.amdhsa_user_sgpr_queue_ptr 0
		.amdhsa_user_sgpr_kernarg_segment_ptr 1
		.amdhsa_user_sgpr_dispatch_id 0
		.amdhsa_user_sgpr_kernarg_preload_length 0
		.amdhsa_user_sgpr_kernarg_preload_offset 0
		.amdhsa_user_sgpr_private_segment_size 0
		.amdhsa_uses_dynamic_stack 0
		.amdhsa_enable_private_segment 0
		.amdhsa_system_sgpr_workgroup_id_x 1
		.amdhsa_system_sgpr_workgroup_id_y 0
		.amdhsa_system_sgpr_workgroup_id_z 0
		.amdhsa_system_sgpr_workgroup_info 0
		.amdhsa_system_vgpr_workitem_id 0
		.amdhsa_next_free_vgpr 1
		.amdhsa_next_free_sgpr 0
		.amdhsa_accum_offset 4
		.amdhsa_reserve_vcc 0
		.amdhsa_float_round_mode_32 0
		.amdhsa_float_round_mode_16_64 0
		.amdhsa_float_denorm_mode_32 3
		.amdhsa_float_denorm_mode_16_64 3
		.amdhsa_dx10_clamp 1
		.amdhsa_ieee_mode 1
		.amdhsa_fp16_overflow 0
		.amdhsa_tg_split 0
		.amdhsa_exception_fp_ieee_invalid_op 0
		.amdhsa_exception_fp_denorm_src 0
		.amdhsa_exception_fp_ieee_div_zero 0
		.amdhsa_exception_fp_ieee_overflow 0
		.amdhsa_exception_fp_ieee_underflow 0
		.amdhsa_exception_fp_ieee_inexact 0
		.amdhsa_exception_int_div_zero 0
	.end_amdhsa_kernel
	.section	.text._ZN7rocprim17ROCPRIM_400000_NS6detail17trampoline_kernelINS0_14default_configENS1_33run_length_encode_config_selectorIsjNS0_4plusIjEEEEZZNS1_33reduce_by_key_impl_wrapped_configILNS1_25lookback_scan_determinismE0ES3_S7_PKsNS0_17constant_iteratorIjlEEPsPlSF_S6_NS0_8equal_toIsEEEE10hipError_tPvRmT2_T3_mT4_T5_T6_T7_T8_P12ihipStream_tbENKUlT_T0_E_clISt17integral_constantIbLb0EESY_IbLb1EEEEDaSU_SV_EUlSU_E_NS1_11comp_targetILNS1_3genE0ELNS1_11target_archE4294967295ELNS1_3gpuE0ELNS1_3repE0EEENS1_30default_config_static_selectorELNS0_4arch9wavefront6targetE1EEEvT1_,"axG",@progbits,_ZN7rocprim17ROCPRIM_400000_NS6detail17trampoline_kernelINS0_14default_configENS1_33run_length_encode_config_selectorIsjNS0_4plusIjEEEEZZNS1_33reduce_by_key_impl_wrapped_configILNS1_25lookback_scan_determinismE0ES3_S7_PKsNS0_17constant_iteratorIjlEEPsPlSF_S6_NS0_8equal_toIsEEEE10hipError_tPvRmT2_T3_mT4_T5_T6_T7_T8_P12ihipStream_tbENKUlT_T0_E_clISt17integral_constantIbLb0EESY_IbLb1EEEEDaSU_SV_EUlSU_E_NS1_11comp_targetILNS1_3genE0ELNS1_11target_archE4294967295ELNS1_3gpuE0ELNS1_3repE0EEENS1_30default_config_static_selectorELNS0_4arch9wavefront6targetE1EEEvT1_,comdat
.Lfunc_end607:
	.size	_ZN7rocprim17ROCPRIM_400000_NS6detail17trampoline_kernelINS0_14default_configENS1_33run_length_encode_config_selectorIsjNS0_4plusIjEEEEZZNS1_33reduce_by_key_impl_wrapped_configILNS1_25lookback_scan_determinismE0ES3_S7_PKsNS0_17constant_iteratorIjlEEPsPlSF_S6_NS0_8equal_toIsEEEE10hipError_tPvRmT2_T3_mT4_T5_T6_T7_T8_P12ihipStream_tbENKUlT_T0_E_clISt17integral_constantIbLb0EESY_IbLb1EEEEDaSU_SV_EUlSU_E_NS1_11comp_targetILNS1_3genE0ELNS1_11target_archE4294967295ELNS1_3gpuE0ELNS1_3repE0EEENS1_30default_config_static_selectorELNS0_4arch9wavefront6targetE1EEEvT1_, .Lfunc_end607-_ZN7rocprim17ROCPRIM_400000_NS6detail17trampoline_kernelINS0_14default_configENS1_33run_length_encode_config_selectorIsjNS0_4plusIjEEEEZZNS1_33reduce_by_key_impl_wrapped_configILNS1_25lookback_scan_determinismE0ES3_S7_PKsNS0_17constant_iteratorIjlEEPsPlSF_S6_NS0_8equal_toIsEEEE10hipError_tPvRmT2_T3_mT4_T5_T6_T7_T8_P12ihipStream_tbENKUlT_T0_E_clISt17integral_constantIbLb0EESY_IbLb1EEEEDaSU_SV_EUlSU_E_NS1_11comp_targetILNS1_3genE0ELNS1_11target_archE4294967295ELNS1_3gpuE0ELNS1_3repE0EEENS1_30default_config_static_selectorELNS0_4arch9wavefront6targetE1EEEvT1_
                                        ; -- End function
	.section	.AMDGPU.csdata,"",@progbits
; Kernel info:
; codeLenInByte = 0
; NumSgprs: 6
; NumVgprs: 0
; NumAgprs: 0
; TotalNumVgprs: 0
; ScratchSize: 0
; MemoryBound: 0
; FloatMode: 240
; IeeeMode: 1
; LDSByteSize: 0 bytes/workgroup (compile time only)
; SGPRBlocks: 0
; VGPRBlocks: 0
; NumSGPRsForWavesPerEU: 6
; NumVGPRsForWavesPerEU: 1
; AccumOffset: 4
; Occupancy: 8
; WaveLimiterHint : 0
; COMPUTE_PGM_RSRC2:SCRATCH_EN: 0
; COMPUTE_PGM_RSRC2:USER_SGPR: 2
; COMPUTE_PGM_RSRC2:TRAP_HANDLER: 0
; COMPUTE_PGM_RSRC2:TGID_X_EN: 1
; COMPUTE_PGM_RSRC2:TGID_Y_EN: 0
; COMPUTE_PGM_RSRC2:TGID_Z_EN: 0
; COMPUTE_PGM_RSRC2:TIDIG_COMP_CNT: 0
; COMPUTE_PGM_RSRC3_GFX90A:ACCUM_OFFSET: 0
; COMPUTE_PGM_RSRC3_GFX90A:TG_SPLIT: 0
	.section	.text._ZN7rocprim17ROCPRIM_400000_NS6detail17trampoline_kernelINS0_14default_configENS1_33run_length_encode_config_selectorIsjNS0_4plusIjEEEEZZNS1_33reduce_by_key_impl_wrapped_configILNS1_25lookback_scan_determinismE0ES3_S7_PKsNS0_17constant_iteratorIjlEEPsPlSF_S6_NS0_8equal_toIsEEEE10hipError_tPvRmT2_T3_mT4_T5_T6_T7_T8_P12ihipStream_tbENKUlT_T0_E_clISt17integral_constantIbLb0EESY_IbLb1EEEEDaSU_SV_EUlSU_E_NS1_11comp_targetILNS1_3genE5ELNS1_11target_archE942ELNS1_3gpuE9ELNS1_3repE0EEENS1_30default_config_static_selectorELNS0_4arch9wavefront6targetE1EEEvT1_,"axG",@progbits,_ZN7rocprim17ROCPRIM_400000_NS6detail17trampoline_kernelINS0_14default_configENS1_33run_length_encode_config_selectorIsjNS0_4plusIjEEEEZZNS1_33reduce_by_key_impl_wrapped_configILNS1_25lookback_scan_determinismE0ES3_S7_PKsNS0_17constant_iteratorIjlEEPsPlSF_S6_NS0_8equal_toIsEEEE10hipError_tPvRmT2_T3_mT4_T5_T6_T7_T8_P12ihipStream_tbENKUlT_T0_E_clISt17integral_constantIbLb0EESY_IbLb1EEEEDaSU_SV_EUlSU_E_NS1_11comp_targetILNS1_3genE5ELNS1_11target_archE942ELNS1_3gpuE9ELNS1_3repE0EEENS1_30default_config_static_selectorELNS0_4arch9wavefront6targetE1EEEvT1_,comdat
	.protected	_ZN7rocprim17ROCPRIM_400000_NS6detail17trampoline_kernelINS0_14default_configENS1_33run_length_encode_config_selectorIsjNS0_4plusIjEEEEZZNS1_33reduce_by_key_impl_wrapped_configILNS1_25lookback_scan_determinismE0ES3_S7_PKsNS0_17constant_iteratorIjlEEPsPlSF_S6_NS0_8equal_toIsEEEE10hipError_tPvRmT2_T3_mT4_T5_T6_T7_T8_P12ihipStream_tbENKUlT_T0_E_clISt17integral_constantIbLb0EESY_IbLb1EEEEDaSU_SV_EUlSU_E_NS1_11comp_targetILNS1_3genE5ELNS1_11target_archE942ELNS1_3gpuE9ELNS1_3repE0EEENS1_30default_config_static_selectorELNS0_4arch9wavefront6targetE1EEEvT1_ ; -- Begin function _ZN7rocprim17ROCPRIM_400000_NS6detail17trampoline_kernelINS0_14default_configENS1_33run_length_encode_config_selectorIsjNS0_4plusIjEEEEZZNS1_33reduce_by_key_impl_wrapped_configILNS1_25lookback_scan_determinismE0ES3_S7_PKsNS0_17constant_iteratorIjlEEPsPlSF_S6_NS0_8equal_toIsEEEE10hipError_tPvRmT2_T3_mT4_T5_T6_T7_T8_P12ihipStream_tbENKUlT_T0_E_clISt17integral_constantIbLb0EESY_IbLb1EEEEDaSU_SV_EUlSU_E_NS1_11comp_targetILNS1_3genE5ELNS1_11target_archE942ELNS1_3gpuE9ELNS1_3repE0EEENS1_30default_config_static_selectorELNS0_4arch9wavefront6targetE1EEEvT1_
	.globl	_ZN7rocprim17ROCPRIM_400000_NS6detail17trampoline_kernelINS0_14default_configENS1_33run_length_encode_config_selectorIsjNS0_4plusIjEEEEZZNS1_33reduce_by_key_impl_wrapped_configILNS1_25lookback_scan_determinismE0ES3_S7_PKsNS0_17constant_iteratorIjlEEPsPlSF_S6_NS0_8equal_toIsEEEE10hipError_tPvRmT2_T3_mT4_T5_T6_T7_T8_P12ihipStream_tbENKUlT_T0_E_clISt17integral_constantIbLb0EESY_IbLb1EEEEDaSU_SV_EUlSU_E_NS1_11comp_targetILNS1_3genE5ELNS1_11target_archE942ELNS1_3gpuE9ELNS1_3repE0EEENS1_30default_config_static_selectorELNS0_4arch9wavefront6targetE1EEEvT1_
	.p2align	8
	.type	_ZN7rocprim17ROCPRIM_400000_NS6detail17trampoline_kernelINS0_14default_configENS1_33run_length_encode_config_selectorIsjNS0_4plusIjEEEEZZNS1_33reduce_by_key_impl_wrapped_configILNS1_25lookback_scan_determinismE0ES3_S7_PKsNS0_17constant_iteratorIjlEEPsPlSF_S6_NS0_8equal_toIsEEEE10hipError_tPvRmT2_T3_mT4_T5_T6_T7_T8_P12ihipStream_tbENKUlT_T0_E_clISt17integral_constantIbLb0EESY_IbLb1EEEEDaSU_SV_EUlSU_E_NS1_11comp_targetILNS1_3genE5ELNS1_11target_archE942ELNS1_3gpuE9ELNS1_3repE0EEENS1_30default_config_static_selectorELNS0_4arch9wavefront6targetE1EEEvT1_,@function
_ZN7rocprim17ROCPRIM_400000_NS6detail17trampoline_kernelINS0_14default_configENS1_33run_length_encode_config_selectorIsjNS0_4plusIjEEEEZZNS1_33reduce_by_key_impl_wrapped_configILNS1_25lookback_scan_determinismE0ES3_S7_PKsNS0_17constant_iteratorIjlEEPsPlSF_S6_NS0_8equal_toIsEEEE10hipError_tPvRmT2_T3_mT4_T5_T6_T7_T8_P12ihipStream_tbENKUlT_T0_E_clISt17integral_constantIbLb0EESY_IbLb1EEEEDaSU_SV_EUlSU_E_NS1_11comp_targetILNS1_3genE5ELNS1_11target_archE942ELNS1_3gpuE9ELNS1_3repE0EEENS1_30default_config_static_selectorELNS0_4arch9wavefront6targetE1EEEvT1_: ; @_ZN7rocprim17ROCPRIM_400000_NS6detail17trampoline_kernelINS0_14default_configENS1_33run_length_encode_config_selectorIsjNS0_4plusIjEEEEZZNS1_33reduce_by_key_impl_wrapped_configILNS1_25lookback_scan_determinismE0ES3_S7_PKsNS0_17constant_iteratorIjlEEPsPlSF_S6_NS0_8equal_toIsEEEE10hipError_tPvRmT2_T3_mT4_T5_T6_T7_T8_P12ihipStream_tbENKUlT_T0_E_clISt17integral_constantIbLb0EESY_IbLb1EEEEDaSU_SV_EUlSU_E_NS1_11comp_targetILNS1_3genE5ELNS1_11target_archE942ELNS1_3gpuE9ELNS1_3repE0EEENS1_30default_config_static_selectorELNS0_4arch9wavefront6targetE1EEEvT1_
; %bb.0:
	s_load_dword s10, s[0:1], 0x10
	s_load_dwordx4 s[44:47], s[0:1], 0x20
	s_load_dwordx2 s[34:35], s[0:1], 0x30
	s_load_dwordx2 s[28:29], s[0:1], 0x70
	s_load_dwordx4 s[48:51], s[0:1], 0x60
	s_load_dwordx8 s[36:43], s[0:1], 0x40
	v_cmp_ne_u32_e64 s[2:3], 0, v0
	v_cmp_eq_u32_e64 s[30:31], 0, v0
	s_and_saveexec_b64 s[4:5], s[30:31]
	s_cbranch_execz .LBB608_4
; %bb.1:
	s_mov_b64 s[8:9], exec
	v_mbcnt_lo_u32_b32 v1, s8, 0
	v_mbcnt_hi_u32_b32 v1, s9, v1
	v_cmp_eq_u32_e32 vcc, 0, v1
                                        ; implicit-def: $vgpr2
	s_and_saveexec_b64 s[6:7], vcc
	s_cbranch_execz .LBB608_3
; %bb.2:
	s_load_dwordx2 s[12:13], s[0:1], 0x78
	s_bcnt1_i32_b64 s8, s[8:9]
	v_mov_b32_e32 v2, 0
	v_mov_b32_e32 v3, s8
	s_waitcnt lgkmcnt(0)
	global_atomic_add v2, v2, v3, s[12:13] sc0
.LBB608_3:
	s_or_b64 exec, exec, s[6:7]
	s_waitcnt vmcnt(0)
	v_readfirstlane_b32 s6, v2
	v_mov_b32_e32 v2, 0
	s_nop 0
	v_add_u32_e32 v1, s6, v1
	ds_write_b32 v2, v1
.LBB608_4:
	s_or_b64 exec, exec, s[4:5]
	s_load_dwordx4 s[4:7], s[0:1], 0x0
	v_mov_b32_e32 v5, 0
	s_waitcnt lgkmcnt(0)
	s_barrier
	ds_read_b32 v1, v5
	s_mul_i32 s0, s40, s39
	s_mul_hi_u32 s1, s40, s38
	s_add_i32 s0, s1, s0
	s_mul_i32 s1, s41, s38
	s_add_i32 s8, s0, s1
	s_lshl_b64 s[0:1], s[6:7], 1
	s_add_u32 s0, s4, s0
	s_movk_i32 s4, 0x1c00
	s_waitcnt lgkmcnt(0)
	v_mul_lo_u32 v4, v1, s4
	s_mul_i32 s9, s40, s38
	s_addc_u32 s1, s5, s1
	v_readfirstlane_b32 s56, v1
	v_lshlrev_b64 v[2:3], 1, v[4:5]
	v_lshl_add_u64 v[2:3], s[0:1], 0, v[2:3]
	s_add_u32 s0, s9, s56
	s_addc_u32 s1, s8, 0
	s_add_u32 s4, s42, -1
	s_addc_u32 s5, s43, -1
	s_cmp_eq_u64 s[0:1], s[4:5]
	s_cselect_b64 s[40:41], -1, 0
	s_cmp_lg_u64 s[0:1], s[4:5]
	s_mov_b64 s[8:9], -1
	s_cselect_b64 s[6:7], -1, 0
	s_mul_i32 s33, s4, 0xffffe400
	s_and_b64 vcc, exec, s[40:41]
	s_barrier
	s_cbranch_vccnz .LBB608_6
; %bb.5:
	v_lshlrev_b32_e32 v4, 1, v0
	v_lshl_add_u64 v[6:7], v[2:3], 0, v[4:5]
	v_add_co_u32_e32 v8, vcc, 0x1000, v6
	v_readfirstlane_b32 s4, v2
	s_nop 0
	v_addc_co_u32_e32 v9, vcc, 0, v7, vcc
	v_add_co_u32_e32 v10, vcc, 0x2000, v6
	v_readfirstlane_b32 s5, v3
	s_nop 0
	v_addc_co_u32_e32 v11, vcc, 0, v7, vcc
	v_add_co_u32_e32 v6, vcc, 0x3000, v6
	s_nop 1
	global_load_ushort v1, v4, s[4:5]
	global_load_ushort v5, v4, s[4:5] offset:1024
	global_load_ushort v12, v4, s[4:5] offset:2048
	;; [unrolled: 1-line block ×3, first 2 shown]
	v_addc_co_u32_e32 v7, vcc, 0, v7, vcc
	global_load_ushort v14, v[8:9], off
	global_load_ushort v15, v[8:9], off offset:1024
	global_load_ushort v16, v[8:9], off offset:2048
	;; [unrolled: 1-line block ×3, first 2 shown]
	global_load_ushort v18, v[10:11], off
	global_load_ushort v19, v[10:11], off offset:1024
	global_load_ushort v20, v[10:11], off offset:2048
	;; [unrolled: 1-line block ×3, first 2 shown]
	s_nop 0
	global_load_ushort v8, v[6:7], off
	global_load_ushort v9, v[6:7], off offset:1024
	v_mad_u32_u24 v6, v0, 26, v4
	s_mov_b64 s[4:5], -1
	s_waitcnt vmcnt(13)
	ds_write_b16 v4, v1
	s_waitcnt vmcnt(12)
	ds_write_b16 v4, v5 offset:1024
	s_waitcnt vmcnt(11)
	ds_write_b16 v4, v12 offset:2048
	;; [unrolled: 2-line block ×13, first 2 shown]
	s_waitcnt lgkmcnt(0)
	s_barrier
	ds_read2_b32 v[12:13], v6 offset1:1
	ds_read2_b32 v[10:11], v6 offset0:2 offset1:3
	ds_read2_b32 v[8:9], v6 offset0:4 offset1:5
	ds_read_b32 v1, v6 offset:24
	s_add_i32 s33, s33, s48
	s_cbranch_execz .LBB608_7
	s_branch .LBB608_36
.LBB608_6:
	s_mov_b64 s[4:5], 0
                                        ; implicit-def: $vgpr12
                                        ; implicit-def: $vgpr10
                                        ; implicit-def: $vgpr8
                                        ; implicit-def: $vgpr1
	s_add_i32 s33, s33, s48
	s_andn2_b64 vcc, exec, s[8:9]
	s_cbranch_vccnz .LBB608_36
.LBB608_7:
	v_cmp_gt_u32_e32 vcc, s33, v0
                                        ; implicit-def: $vgpr1
	s_and_saveexec_b64 s[4:5], vcc
	s_cbranch_execz .LBB608_9
; %bb.8:
	s_waitcnt lgkmcnt(0)
	v_lshlrev_b32_e32 v1, 1, v0
	v_readfirstlane_b32 s8, v2
	v_readfirstlane_b32 s9, v3
	s_nop 4
	global_load_ushort v1, v1, s[8:9]
.LBB608_9:
	s_or_b64 exec, exec, s[4:5]
	v_or_b32_e32 v4, 0x200, v0
	v_cmp_gt_u32_e32 vcc, s33, v4
                                        ; implicit-def: $vgpr4
	s_and_saveexec_b64 s[4:5], vcc
	s_cbranch_execz .LBB608_11
; %bb.10:
	v_lshlrev_b32_e32 v4, 1, v0
	v_readfirstlane_b32 s8, v2
	v_readfirstlane_b32 s9, v3
	s_nop 4
	global_load_ushort v4, v4, s[8:9] offset:1024
.LBB608_11:
	s_or_b64 exec, exec, s[4:5]
	v_or_b32_e32 v5, 0x400, v0
	v_cmp_gt_u32_e32 vcc, s33, v5
                                        ; implicit-def: $vgpr5
	s_and_saveexec_b64 s[4:5], vcc
	s_cbranch_execz .LBB608_13
; %bb.12:
	v_lshlrev_b32_e32 v5, 1, v0
	v_readfirstlane_b32 s8, v2
	v_readfirstlane_b32 s9, v3
	s_nop 4
	global_load_ushort v5, v5, s[8:9] offset:2048
.LBB608_13:
	s_or_b64 exec, exec, s[4:5]
	v_or_b32_e32 v6, 0x600, v0
	v_cmp_gt_u32_e32 vcc, s33, v6
                                        ; implicit-def: $vgpr6
	s_and_saveexec_b64 s[4:5], vcc
	s_cbranch_execz .LBB608_15
; %bb.14:
	v_lshlrev_b32_e32 v6, 1, v0
	v_readfirstlane_b32 s8, v2
	v_readfirstlane_b32 s9, v3
	s_nop 4
	global_load_ushort v6, v6, s[8:9] offset:3072
.LBB608_15:
	s_or_b64 exec, exec, s[4:5]
	s_waitcnt lgkmcnt(1)
	v_or_b32_e32 v8, 0x800, v0
	v_cmp_gt_u32_e32 vcc, s33, v8
                                        ; implicit-def: $vgpr7
	s_and_saveexec_b64 s[4:5], vcc
	s_cbranch_execz .LBB608_17
; %bb.16:
	v_lshlrev_b32_e32 v7, 1, v8
	v_readfirstlane_b32 s8, v2
	v_readfirstlane_b32 s9, v3
	s_nop 4
	global_load_ushort v7, v7, s[8:9]
.LBB608_17:
	s_or_b64 exec, exec, s[4:5]
	v_or_b32_e32 v9, 0xa00, v0
	v_cmp_gt_u32_e32 vcc, s33, v9
                                        ; implicit-def: $vgpr8
	s_and_saveexec_b64 s[4:5], vcc
	s_cbranch_execz .LBB608_19
; %bb.18:
	v_lshlrev_b32_e32 v8, 1, v9
	v_readfirstlane_b32 s8, v2
	v_readfirstlane_b32 s9, v3
	s_nop 4
	global_load_ushort v8, v8, s[8:9]
.LBB608_19:
	s_or_b64 exec, exec, s[4:5]
	v_or_b32_e32 v10, 0xc00, v0
	v_cmp_gt_u32_e32 vcc, s33, v10
                                        ; implicit-def: $vgpr9
	s_and_saveexec_b64 s[4:5], vcc
	s_cbranch_execz .LBB608_21
; %bb.20:
	v_lshlrev_b32_e32 v9, 1, v10
	v_readfirstlane_b32 s8, v2
	v_readfirstlane_b32 s9, v3
	s_nop 4
	global_load_ushort v9, v9, s[8:9]
.LBB608_21:
	s_or_b64 exec, exec, s[4:5]
	v_or_b32_e32 v11, 0xe00, v0
	v_cmp_gt_u32_e32 vcc, s33, v11
                                        ; implicit-def: $vgpr10
	s_and_saveexec_b64 s[4:5], vcc
	s_cbranch_execz .LBB608_23
; %bb.22:
	v_lshlrev_b32_e32 v10, 1, v11
	v_readfirstlane_b32 s8, v2
	v_readfirstlane_b32 s9, v3
	s_nop 4
	global_load_ushort v10, v10, s[8:9]
.LBB608_23:
	s_or_b64 exec, exec, s[4:5]
	v_or_b32_e32 v12, 0x1000, v0
	v_cmp_gt_u32_e32 vcc, s33, v12
                                        ; implicit-def: $vgpr11
	s_and_saveexec_b64 s[4:5], vcc
	s_cbranch_execz .LBB608_25
; %bb.24:
	v_lshlrev_b32_e32 v11, 1, v12
	v_readfirstlane_b32 s8, v2
	v_readfirstlane_b32 s9, v3
	s_nop 4
	global_load_ushort v11, v11, s[8:9]
.LBB608_25:
	s_or_b64 exec, exec, s[4:5]
	v_or_b32_e32 v13, 0x1200, v0
	v_cmp_gt_u32_e32 vcc, s33, v13
                                        ; implicit-def: $vgpr12
	s_and_saveexec_b64 s[4:5], vcc
	s_cbranch_execz .LBB608_27
; %bb.26:
	v_lshlrev_b32_e32 v12, 1, v13
	v_readfirstlane_b32 s8, v2
	v_readfirstlane_b32 s9, v3
	s_nop 4
	global_load_ushort v12, v12, s[8:9]
.LBB608_27:
	s_or_b64 exec, exec, s[4:5]
	v_or_b32_e32 v14, 0x1400, v0
	v_cmp_gt_u32_e32 vcc, s33, v14
                                        ; implicit-def: $vgpr13
	s_and_saveexec_b64 s[4:5], vcc
	s_cbranch_execz .LBB608_29
; %bb.28:
	v_lshlrev_b32_e32 v13, 1, v14
	v_readfirstlane_b32 s8, v2
	v_readfirstlane_b32 s9, v3
	s_nop 4
	global_load_ushort v13, v13, s[8:9]
.LBB608_29:
	s_or_b64 exec, exec, s[4:5]
	v_or_b32_e32 v15, 0x1600, v0
	v_cmp_gt_u32_e32 vcc, s33, v15
                                        ; implicit-def: $vgpr14
	s_and_saveexec_b64 s[4:5], vcc
	s_cbranch_execz .LBB608_31
; %bb.30:
	v_lshlrev_b32_e32 v14, 1, v15
	v_readfirstlane_b32 s8, v2
	v_readfirstlane_b32 s9, v3
	s_nop 4
	global_load_ushort v14, v14, s[8:9]
.LBB608_31:
	s_or_b64 exec, exec, s[4:5]
	v_or_b32_e32 v16, 0x1800, v0
	v_cmp_gt_u32_e32 vcc, s33, v16
                                        ; implicit-def: $vgpr15
	s_and_saveexec_b64 s[4:5], vcc
	s_cbranch_execz .LBB608_33
; %bb.32:
	v_lshlrev_b32_e32 v15, 1, v16
	v_readfirstlane_b32 s8, v2
	v_readfirstlane_b32 s9, v3
	s_nop 4
	global_load_ushort v15, v15, s[8:9]
.LBB608_33:
	s_or_b64 exec, exec, s[4:5]
	v_or_b32_e32 v17, 0x1a00, v0
	v_cmp_gt_u32_e32 vcc, s33, v17
                                        ; implicit-def: $vgpr16
	s_and_saveexec_b64 s[4:5], vcc
	s_cbranch_execz .LBB608_35
; %bb.34:
	v_lshlrev_b32_e32 v16, 1, v17
	v_readfirstlane_b32 s8, v2
	v_readfirstlane_b32 s9, v3
	s_nop 4
	global_load_ushort v16, v16, s[8:9]
.LBB608_35:
	s_or_b64 exec, exec, s[4:5]
	v_lshlrev_b32_e32 v17, 1, v0
	s_waitcnt vmcnt(0) lgkmcnt(0)
	ds_write_b16 v17, v1
	ds_write_b16 v17, v4 offset:1024
	ds_write_b16 v17, v5 offset:2048
	;; [unrolled: 1-line block ×13, first 2 shown]
	v_mad_u32_u24 v1, v0, 26, v17
	s_waitcnt lgkmcnt(0)
	s_barrier
	ds_read2_b32 v[12:13], v1 offset1:1
	ds_read2_b32 v[10:11], v1 offset0:2 offset1:3
	ds_read2_b32 v[8:9], v1 offset0:4 offset1:5
	ds_read_b32 v1, v1 offset:24
	v_mad_u32_u24 v4, v0, 14, 13
	v_cmp_gt_u32_e64 s[4:5], s33, v4
.LBB608_36:
	v_mov_b32_e32 v44, s10
                                        ; implicit-def: $vgpr45
	s_and_saveexec_b64 s[8:9], s[4:5]
; %bb.37:
	v_mov_b32_e32 v45, s10
; %bb.38:
	s_or_b64 exec, exec, s[8:9]
	s_cmp_eq_u64 s[0:1], 0
	s_cselect_b64 s[42:43], -1, 0
	s_cmp_lg_u64 s[0:1], 0
	s_mov_b64 s[4:5], 0
	s_cselect_b64 s[8:9], -1, 0
	s_and_b64 vcc, exec, s[6:7]
	s_waitcnt lgkmcnt(0)
	s_barrier
	s_cbranch_vccz .LBB608_44
; %bb.39:
	s_and_b64 vcc, exec, s[8:9]
	s_cbranch_vccz .LBB608_45
; %bb.40:
	global_load_ushort v4, v[2:3], off offset:-2
	v_lshrrev_b32_e32 v6, 16, v1
	v_lshlrev_b32_e32 v5, 1, v0
	v_cmp_ne_u16_e32 vcc, v1, v6
	v_cmp_ne_u16_sdwa s[4:5], v9, v1 src0_sel:WORD_1 src1_sel:DWORD
	v_cmp_ne_u16_sdwa s[6:7], v9, v9 src0_sel:DWORD src1_sel:WORD_1
	v_cmp_ne_u16_sdwa s[10:11], v8, v9 src0_sel:WORD_1 src1_sel:DWORD
	v_cmp_ne_u16_sdwa s[12:13], v8, v8 src0_sel:DWORD src1_sel:WORD_1
	;; [unrolled: 2-line block ×6, first 2 shown]
	ds_write_b16 v5, v6
	s_waitcnt lgkmcnt(0)
	s_barrier
	s_and_saveexec_b64 s[54:55], s[2:3]
	s_cbranch_execz .LBB608_42
; %bb.41:
	s_waitcnt vmcnt(0)
	v_add_u32_e32 v4, -2, v5
	ds_read_u16 v4, v4
.LBB608_42:
	s_or_b64 exec, exec, s[54:55]
	v_cndmask_b32_e64 v48, 0, 1, vcc
	v_cndmask_b32_e64 v49, 0, 1, s[4:5]
	v_cndmask_b32_e64 v50, 0, 1, s[6:7]
	;; [unrolled: 1-line block ×12, first 2 shown]
	s_waitcnt vmcnt(0) lgkmcnt(0)
	v_cmp_ne_u16_e64 s[6:7], v4, v12
	s_mov_b64 s[4:5], -1
.LBB608_43:
                                        ; implicit-def: $sgpr12
	s_branch .LBB608_57
.LBB608_44:
                                        ; implicit-def: $sgpr6_sgpr7
                                        ; implicit-def: $vgpr48
                                        ; implicit-def: $vgpr49
                                        ; implicit-def: $vgpr50
                                        ; implicit-def: $vgpr51
                                        ; implicit-def: $vgpr52
                                        ; implicit-def: $vgpr53
                                        ; implicit-def: $vgpr54
                                        ; implicit-def: $vgpr55
                                        ; implicit-def: $vgpr56
                                        ; implicit-def: $vgpr57
                                        ; implicit-def: $vgpr58
                                        ; implicit-def: $vgpr59
                                        ; implicit-def: $vgpr60
                                        ; implicit-def: $sgpr12
	s_cbranch_execnz .LBB608_49
	s_branch .LBB608_57
.LBB608_45:
                                        ; implicit-def: $sgpr6_sgpr7
                                        ; implicit-def: $vgpr48
                                        ; implicit-def: $vgpr49
                                        ; implicit-def: $vgpr50
                                        ; implicit-def: $vgpr51
                                        ; implicit-def: $vgpr52
                                        ; implicit-def: $vgpr53
                                        ; implicit-def: $vgpr54
                                        ; implicit-def: $vgpr55
                                        ; implicit-def: $vgpr56
                                        ; implicit-def: $vgpr57
                                        ; implicit-def: $vgpr58
                                        ; implicit-def: $vgpr59
                                        ; implicit-def: $vgpr60
	s_cbranch_execz .LBB608_43
; %bb.46:
	v_cmp_ne_u16_sdwa s[6:7], v9, v1 src0_sel:WORD_1 src1_sel:DWORD
	v_lshrrev_b32_e32 v5, 16, v1
	v_cmp_ne_u16_e32 vcc, v1, v5
	v_cndmask_b32_e64 v49, 0, 1, s[6:7]
	v_cmp_ne_u16_sdwa s[6:7], v9, v9 src0_sel:DWORD src1_sel:WORD_1
	s_mov_b32 s12, 1
	v_lshlrev_b32_e32 v4, 1, v0
	v_cndmask_b32_e64 v50, 0, 1, s[6:7]
	v_cmp_ne_u16_sdwa s[6:7], v8, v9 src0_sel:WORD_1 src1_sel:DWORD
	v_cndmask_b32_e64 v48, 0, 1, vcc
	ds_write_b16 v4, v5
	v_cndmask_b32_e64 v51, 0, 1, s[6:7]
	v_cmp_ne_u16_sdwa s[6:7], v8, v8 src0_sel:DWORD src1_sel:WORD_1
	s_waitcnt lgkmcnt(0)
	s_barrier
	v_cndmask_b32_e64 v52, 0, 1, s[6:7]
	v_cmp_ne_u16_sdwa s[6:7], v11, v8 src0_sel:WORD_1 src1_sel:DWORD
	s_nop 1
	v_cndmask_b32_e64 v53, 0, 1, s[6:7]
	v_cmp_ne_u16_sdwa s[6:7], v11, v11 src0_sel:DWORD src1_sel:WORD_1
	s_nop 1
	v_cndmask_b32_e64 v54, 0, 1, s[6:7]
	v_cmp_ne_u16_sdwa s[6:7], v10, v11 src0_sel:WORD_1 src1_sel:DWORD
	s_nop 1
	v_cndmask_b32_e64 v55, 0, 1, s[6:7]
	v_cmp_ne_u16_sdwa s[6:7], v10, v10 src0_sel:DWORD src1_sel:WORD_1
	s_nop 1
	;; [unrolled: 6-line block ×4, first 2 shown]
	v_cndmask_b32_e64 v60, 0, 1, s[6:7]
                                        ; implicit-def: $sgpr6_sgpr7
	s_and_saveexec_b64 s[10:11], s[2:3]
	s_xor_b64 s[10:11], exec, s[10:11]
	s_cbranch_execz .LBB608_48
; %bb.47:
	v_add_u32_e32 v4, -2, v4
	ds_read_u16 v4, v4
	s_or_b64 s[4:5], s[4:5], exec
	s_waitcnt lgkmcnt(0)
	v_cmp_ne_u16_e32 vcc, v4, v12
	s_and_b64 s[6:7], vcc, exec
.LBB608_48:
	s_or_b64 exec, exec, s[10:11]
	s_branch .LBB608_57
.LBB608_49:
	s_mul_hi_u32 s6, s0, 0xffffe400
	s_mulk_i32 s1, 0xe400
	s_sub_i32 s6, s6, s0
	s_add_i32 s6, s6, s1
	s_mulk_i32 s0, 0xe400
	s_add_u32 s10, s0, s48
	s_addc_u32 s11, s6, s49
	s_and_b64 vcc, exec, s[8:9]
	v_lshrrev_b32_e32 v36, 16, v1
	v_mul_u32_u24_e32 v4, 14, v0
	v_mad_u32_u24 v6, v0, 14, 13
	v_mad_u32_u24 v34, v0, 14, 12
	v_cmp_ne_u16_sdwa s[52:53], v9, v1 src0_sel:WORD_1 src1_sel:DWORD
	v_mad_u32_u24 v32, v0, 14, 11
	v_cmp_ne_u16_sdwa s[6:7], v9, v9 src0_sel:DWORD src1_sel:WORD_1
	v_mad_u32_u24 v30, v0, 14, 10
	v_cmp_ne_u16_sdwa s[12:13], v8, v9 src0_sel:WORD_1 src1_sel:DWORD
	v_mad_u32_u24 v28, v0, 14, 9
	v_cmp_ne_u16_sdwa s[16:17], v8, v8 src0_sel:DWORD src1_sel:WORD_1
	;; [unrolled: 4-line block ×5, first 2 shown]
	v_mad_u32_u24 v14, v0, 14, 2
	v_cmp_ne_u16_sdwa s[14:15], v12, v13 src0_sel:WORD_1 src1_sel:DWORD
	v_cmp_ne_u16_sdwa s[8:9], v12, v12 src0_sel:DWORD src1_sel:WORD_1
	s_cbranch_vccz .LBB608_54
; %bb.50:
	global_load_ushort v2, v[2:3], off offset:-2
	v_mov_b32_e32 v7, 0
	v_cmp_gt_u64_e32 vcc, s[10:11], v[6:7]
	v_cmp_ne_u16_e64 s[0:1], v1, v36
	v_mov_b32_e32 v35, v7
	s_and_b64 s[0:1], vcc, s[0:1]
	v_cmp_gt_u64_e32 vcc, s[10:11], v[34:35]
	v_mov_b32_e32 v33, v7
	s_and_b64 s[4:5], vcc, s[52:53]
	v_cmp_gt_u64_e32 vcc, s[10:11], v[32:33]
	;; [unrolled: 3-line block ×11, first 2 shown]
	v_or_b32_e32 v38, 1, v4
	v_mov_b32_e32 v39, v7
	s_and_b64 s[14:15], vcc, s[14:15]
	v_cmp_gt_u64_e32 vcc, s[10:11], v[38:39]
	v_lshlrev_b32_e32 v3, 1, v0
	s_and_b64 s[8:9], vcc, s[8:9]
	ds_write_b16 v3, v36
	s_waitcnt lgkmcnt(0)
	s_barrier
	s_and_saveexec_b64 s[52:53], s[2:3]
	s_cbranch_execz .LBB608_52
; %bb.51:
	s_waitcnt vmcnt(0)
	v_add_u32_e32 v2, -2, v3
	ds_read_u16 v2, v2
.LBB608_52:
	s_or_b64 exec, exec, s[52:53]
	v_mov_b32_e32 v5, v7
	v_cndmask_b32_e64 v48, 0, 1, s[0:1]
	v_cmp_gt_u64_e32 vcc, s[10:11], v[4:5]
	s_waitcnt vmcnt(0) lgkmcnt(0)
	v_cmp_ne_u16_e64 s[0:1], v2, v12
	v_cndmask_b32_e64 v49, 0, 1, s[4:5]
	v_cndmask_b32_e64 v50, 0, 1, s[6:7]
	;; [unrolled: 1-line block ×12, first 2 shown]
	s_and_b64 s[6:7], vcc, s[0:1]
	s_mov_b64 s[4:5], -1
.LBB608_53:
                                        ; implicit-def: $sgpr12
	v_mov_b32_e32 v61, s12
	s_and_saveexec_b64 s[0:1], s[4:5]
	s_cbranch_execnz .LBB608_58
	s_branch .LBB608_59
.LBB608_54:
                                        ; implicit-def: $sgpr6_sgpr7
                                        ; implicit-def: $vgpr48
                                        ; implicit-def: $vgpr49
                                        ; implicit-def: $vgpr50
                                        ; implicit-def: $vgpr51
                                        ; implicit-def: $vgpr52
                                        ; implicit-def: $vgpr53
                                        ; implicit-def: $vgpr54
                                        ; implicit-def: $vgpr55
                                        ; implicit-def: $vgpr56
                                        ; implicit-def: $vgpr57
                                        ; implicit-def: $vgpr58
                                        ; implicit-def: $vgpr59
                                        ; implicit-def: $vgpr60
	s_cbranch_execz .LBB608_53
; %bb.55:
	v_mov_b32_e32 v7, 0
	v_cmp_gt_u64_e32 vcc, s[10:11], v[6:7]
	v_cmp_ne_u16_e64 s[0:1], v1, v36
	s_and_b64 s[0:1], vcc, s[0:1]
	v_mov_b32_e32 v35, v7
	v_cndmask_b32_e64 v48, 0, 1, s[0:1]
	v_cmp_gt_u64_e32 vcc, s[10:11], v[34:35]
	v_cmp_ne_u16_sdwa s[0:1], v9, v1 src0_sel:WORD_1 src1_sel:DWORD
	s_and_b64 s[0:1], vcc, s[0:1]
	v_mov_b32_e32 v33, v7
	v_cndmask_b32_e64 v49, 0, 1, s[0:1]
	v_cmp_gt_u64_e32 vcc, s[10:11], v[32:33]
	v_cmp_ne_u16_sdwa s[0:1], v9, v9 src0_sel:DWORD src1_sel:WORD_1
	s_and_b64 s[0:1], vcc, s[0:1]
	v_mov_b32_e32 v31, v7
	v_cndmask_b32_e64 v50, 0, 1, s[0:1]
	v_cmp_gt_u64_e32 vcc, s[10:11], v[30:31]
	v_cmp_ne_u16_sdwa s[0:1], v8, v9 src0_sel:WORD_1 src1_sel:DWORD
	s_and_b64 s[0:1], vcc, s[0:1]
	v_mov_b32_e32 v29, v7
	v_cndmask_b32_e64 v51, 0, 1, s[0:1]
	v_cmp_gt_u64_e32 vcc, s[10:11], v[28:29]
	v_cmp_ne_u16_sdwa s[0:1], v8, v8 src0_sel:DWORD src1_sel:WORD_1
	;; [unrolled: 10-line block ×5, first 2 shown]
	s_and_b64 s[0:1], vcc, s[0:1]
	v_mov_b32_e32 v15, v7
	v_cndmask_b32_e64 v58, 0, 1, s[0:1]
	v_cmp_gt_u64_e32 vcc, s[10:11], v[14:15]
	v_cmp_ne_u16_sdwa s[0:1], v12, v13 src0_sel:WORD_1 src1_sel:DWORD
	s_and_b64 s[0:1], vcc, s[0:1]
	v_or_b32_e32 v6, 1, v4
	v_cndmask_b32_e64 v59, 0, 1, s[0:1]
	v_cmp_gt_u64_e32 vcc, s[10:11], v[6:7]
	v_cmp_ne_u16_sdwa s[0:1], v12, v12 src0_sel:DWORD src1_sel:WORD_1
	s_and_b64 s[0:1], vcc, s[0:1]
	s_mov_b32 s12, 1
	v_lshlrev_b32_e32 v2, 1, v0
	v_cndmask_b32_e64 v60, 0, 1, s[0:1]
	ds_write_b16 v2, v36
	s_waitcnt lgkmcnt(0)
	s_barrier
	s_waitcnt lgkmcnt(0)
                                        ; implicit-def: $sgpr6_sgpr7
	s_and_saveexec_b64 s[8:9], s[2:3]
	s_cbranch_execz .LBB608_148
; %bb.56:
	v_add_u32_e32 v2, -2, v2
	ds_read_u16 v2, v2
	v_mov_b32_e32 v5, v7
	v_cmp_gt_u64_e32 vcc, s[10:11], v[4:5]
	s_or_b64 s[4:5], s[4:5], exec
	s_waitcnt lgkmcnt(0)
	v_cmp_ne_u16_e64 s[0:1], v2, v12
	s_and_b64 s[0:1], vcc, s[0:1]
	s_and_b64 s[6:7], s[0:1], exec
	s_or_b64 exec, exec, s[8:9]
.LBB608_57:
	v_mov_b32_e32 v61, s12
	s_and_saveexec_b64 s[0:1], s[4:5]
.LBB608_58:
	v_cndmask_b32_e64 v61, 0, 1, s[6:7]
.LBB608_59:
	s_or_b64 exec, exec, s[0:1]
	s_cmp_eq_u64 s[38:39], 0
	v_add_u32_e32 v2, v60, v61
	s_cselect_b64 s[38:39], -1, 0
	s_cmp_lg_u32 s56, 0
	v_cmp_eq_u32_e64 s[24:25], 0, v60
	v_cmp_eq_u32_e64 s[22:23], 0, v59
	v_add3_u32 v63, v2, v59, v58
	v_cmp_eq_u32_e64 s[20:21], 0, v58
	v_cmp_eq_u32_e64 s[18:19], 0, v57
	;; [unrolled: 1-line block ×10, first 2 shown]
	v_cmp_eq_u32_e32 vcc, 0, v48
	v_mbcnt_lo_u32_b32 v62, -1, 0
	v_lshrrev_b32_e32 v46, 6, v0
	v_or_b32_e32 v47, 63, v0
	s_cbranch_scc0 .LBB608_86
; %bb.60:
	v_cndmask_b32_e64 v2, 0, v44, s[24:25]
	v_add_u32_e32 v2, v2, v44
	v_cndmask_b32_e64 v2, 0, v2, s[22:23]
	v_add_u32_e32 v2, v2, v44
	;; [unrolled: 2-line block ×10, first 2 shown]
	v_cndmask_b32_e64 v2, 0, v2, s[4:5]
	v_add3_u32 v3, v63, v57, v56
	v_add_u32_e32 v2, v2, v44
	v_add3_u32 v3, v3, v55, v54
	v_cndmask_b32_e64 v2, 0, v2, s[2:3]
	v_add3_u32 v3, v3, v53, v52
	v_add_u32_e32 v2, v2, v44
	v_add3_u32 v3, v3, v51, v50
	v_cndmask_b32_e32 v2, 0, v2, vcc
	v_add3_u32 v3, v3, v49, v48
	v_add_u32_e32 v2, v2, v45
	v_mbcnt_hi_u32_b32 v17, -1, v62
	v_and_b32_e32 v4, 15, v17
	v_mov_b32_dpp v6, v2 row_shr:1 row_mask:0xf bank_mask:0xf
	v_cmp_eq_u32_e32 vcc, 0, v3
	v_mov_b32_dpp v5, v3 row_shr:1 row_mask:0xf bank_mask:0xf
	v_cmp_lt_u32_e64 s[0:1], 1, v4
	v_cndmask_b32_e32 v6, 0, v6, vcc
	v_cmp_eq_u32_e32 vcc, 0, v4
	s_nop 1
	v_cndmask_b32_e64 v5, v5, 0, vcc
	v_add_u32_e32 v3, v5, v3
	v_cndmask_b32_e64 v5, v6, 0, vcc
	v_add_u32_e32 v2, v5, v2
	v_cmp_eq_u32_e32 vcc, 0, v3
	v_mov_b32_dpp v5, v3 row_shr:2 row_mask:0xf bank_mask:0xf
	v_mov_b32_dpp v6, v2 row_shr:2 row_mask:0xf bank_mask:0xf
	v_cndmask_b32_e64 v5, 0, v5, s[0:1]
	s_and_b64 vcc, s[0:1], vcc
	v_cndmask_b32_e32 v6, 0, v6, vcc
	v_add_u32_e32 v3, v3, v5
	v_add_u32_e32 v2, v6, v2
	v_cmp_eq_u32_e32 vcc, 0, v3
	v_mov_b32_dpp v5, v3 row_shr:4 row_mask:0xf bank_mask:0xf
	v_cmp_lt_u32_e64 s[0:1], 3, v4
	v_mov_b32_dpp v6, v2 row_shr:4 row_mask:0xf bank_mask:0xf
	s_and_b64 vcc, s[0:1], vcc
	v_cndmask_b32_e64 v5, 0, v5, s[0:1]
	v_cndmask_b32_e32 v6, 0, v6, vcc
	v_add_u32_e32 v3, v5, v3
	v_add_u32_e32 v2, v2, v6
	v_cmp_eq_u32_e32 vcc, 0, v3
	v_cmp_lt_u32_e64 s[0:1], 7, v4
	v_mov_b32_dpp v5, v3 row_shr:8 row_mask:0xf bank_mask:0xf
	v_mov_b32_dpp v6, v2 row_shr:8 row_mask:0xf bank_mask:0xf
	s_and_b64 vcc, s[0:1], vcc
	v_cndmask_b32_e64 v4, 0, v5, s[0:1]
	v_cndmask_b32_e32 v5, 0, v6, vcc
	v_add_u32_e32 v2, v5, v2
	v_add_u32_e32 v3, v4, v3
	v_bfe_i32 v6, v17, 4, 1
	v_mov_b32_dpp v5, v2 row_bcast:15 row_mask:0xf bank_mask:0xf
	v_mov_b32_dpp v4, v3 row_bcast:15 row_mask:0xf bank_mask:0xf
	v_cmp_eq_u32_e32 vcc, 0, v3
	v_and_b32_e32 v4, v6, v4
	v_add_u32_e32 v3, v4, v3
	v_cndmask_b32_e32 v5, 0, v5, vcc
	v_and_b32_e32 v4, v6, v5
	v_add_u32_e32 v4, v4, v2
	v_mov_b32_dpp v2, v3 row_bcast:31 row_mask:0xf bank_mask:0xf
	v_cmp_eq_u32_e32 vcc, 0, v3
	v_cmp_lt_u32_e64 s[0:1], 31, v17
	v_mov_b32_dpp v5, v4 row_bcast:31 row_mask:0xf bank_mask:0xf
	s_and_b64 vcc, s[0:1], vcc
	v_cndmask_b32_e64 v2, 0, v2, s[0:1]
	v_add_u32_e32 v2, v2, v3
	v_cndmask_b32_e32 v3, 0, v5, vcc
	v_add_u32_e32 v3, v3, v4
	v_cmp_eq_u32_e32 vcc, v47, v0
	v_lshlrev_b32_e32 v4, 3, v46
	s_and_saveexec_b64 s[0:1], vcc
	s_cbranch_execz .LBB608_62
; %bb.61:
	ds_write_b64 v4, v[2:3] offset:2064
.LBB608_62:
	s_or_b64 exec, exec, s[0:1]
	v_cmp_gt_u32_e32 vcc, 8, v0
	s_waitcnt lgkmcnt(0)
	s_barrier
	s_and_saveexec_b64 s[26:27], vcc
	s_cbranch_execz .LBB608_64
; %bb.63:
	v_lshlrev_b32_e32 v5, 3, v0
	ds_read_b64 v[6:7], v5 offset:2064
	v_and_b32_e32 v14, 7, v17
	v_cmp_lt_u32_e64 s[0:1], 1, v14
	s_waitcnt lgkmcnt(0)
	v_mov_b32_dpp v16, v7 row_shr:1 row_mask:0xf bank_mask:0xf
	v_cmp_eq_u32_e32 vcc, 0, v6
	v_mov_b32_dpp v15, v6 row_shr:1 row_mask:0xf bank_mask:0xf
	s_nop 0
	v_cndmask_b32_e32 v16, 0, v16, vcc
	v_cmp_eq_u32_e32 vcc, 0, v14
	s_nop 1
	v_cndmask_b32_e64 v15, v15, 0, vcc
	v_add_u32_e32 v6, v15, v6
	v_cndmask_b32_e64 v15, v16, 0, vcc
	v_add_u32_e32 v7, v15, v7
	v_cmp_eq_u32_e32 vcc, 0, v6
	v_mov_b32_dpp v15, v6 row_shr:2 row_mask:0xf bank_mask:0xf
	v_mov_b32_dpp v16, v7 row_shr:2 row_mask:0xf bank_mask:0xf
	v_cndmask_b32_e64 v15, 0, v15, s[0:1]
	s_and_b64 vcc, s[0:1], vcc
	v_cndmask_b32_e32 v16, 0, v16, vcc
	v_add_u32_e32 v6, v15, v6
	v_add_u32_e32 v7, v16, v7
	v_cmp_eq_u32_e32 vcc, 0, v6
	v_mov_b32_dpp v15, v6 row_shr:4 row_mask:0xf bank_mask:0xf
	v_cmp_lt_u32_e64 s[0:1], 3, v14
	v_mov_b32_dpp v16, v7 row_shr:4 row_mask:0xf bank_mask:0xf
	s_and_b64 vcc, s[0:1], vcc
	v_cndmask_b32_e64 v14, 0, v15, s[0:1]
	v_add_u32_e32 v6, v14, v6
	v_cndmask_b32_e32 v14, 0, v16, vcc
	v_add_u32_e32 v7, v14, v7
	ds_write_b64 v5, v[6:7] offset:2064
.LBB608_64:
	s_or_b64 exec, exec, s[26:27]
	v_cmp_gt_u32_e32 vcc, 64, v0
	v_cmp_lt_u32_e64 s[0:1], 63, v0
	v_mov_b32_e32 v14, 0
	v_mov_b32_e32 v15, 0
	s_waitcnt lgkmcnt(0)
	s_barrier
	s_and_saveexec_b64 s[26:27], s[0:1]
	s_cbranch_execz .LBB608_66
; %bb.65:
	ds_read_b64 v[14:15], v4 offset:2056
	v_cmp_eq_u32_e64 s[0:1], 0, v2
	s_waitcnt lgkmcnt(0)
	v_add_u32_e32 v4, v14, v2
	v_cndmask_b32_e64 v2, 0, v15, s[0:1]
	v_add_u32_e32 v3, v2, v3
	v_mov_b32_e32 v2, v4
.LBB608_66:
	s_or_b64 exec, exec, s[26:27]
	v_add_u32_e32 v4, -1, v17
	v_and_b32_e32 v5, 64, v17
	v_cmp_lt_i32_e64 s[0:1], v4, v5
	v_cmp_eq_u32_e64 s[26:27], 0, v17
	s_nop 0
	v_cndmask_b32_e64 v4, v4, v17, s[0:1]
	v_lshlrev_b32_e32 v4, 2, v4
	ds_bpermute_b32 v22, v4, v2
	ds_bpermute_b32 v23, v4, v3
	s_and_saveexec_b64 s[48:49], vcc
	s_cbranch_execz .LBB608_85
; %bb.67:
	v_mov_b32_e32 v7, 0
	ds_read_b64 v[2:3], v7 offset:2120
	s_waitcnt lgkmcnt(0)
	v_readfirstlane_b32 s54, v2
	v_readfirstlane_b32 s55, v3
	s_and_saveexec_b64 s[0:1], s[26:27]
	s_cbranch_execz .LBB608_69
; %bb.68:
	s_add_i32 s52, s56, 64
	s_mov_b32 s53, 0
	s_lshl_b64 s[58:59], s[52:53], 4
	s_add_u32 s58, s36, s58
	s_addc_u32 s59, s37, s59
	s_and_b32 s61, s55, 0xff000000
	s_mov_b32 s60, s53
	s_and_b32 s63, s55, 0xff0000
	s_mov_b32 s62, s53
	s_or_b64 s[60:61], s[62:63], s[60:61]
	s_and_b32 s63, s55, 0xff00
	s_or_b64 s[60:61], s[60:61], s[62:63]
	s_and_b32 s63, s55, 0xff
	s_or_b64 s[52:53], s[60:61], s[62:63]
	v_mov_b32_e32 v4, s54
	v_mov_b32_e32 v5, s53
	;; [unrolled: 1-line block ×3, first 2 shown]
	v_mov_b64_e32 v[2:3], s[58:59]
	;;#ASMSTART
	global_store_dwordx4 v[2:3], v[4:7] off sc1	
s_waitcnt vmcnt(0)
	;;#ASMEND
.LBB608_69:
	s_or_b64 exec, exec, s[0:1]
	v_xad_u32 v16, v17, -1, s56
	v_add_u32_e32 v6, 64, v16
	v_lshl_add_u64 v[18:19], v[6:7], 4, s[36:37]
	;;#ASMSTART
	global_load_dwordx4 v[2:5], v[18:19] off sc1	
s_waitcnt vmcnt(0)
	;;#ASMEND
	s_nop 0
	v_and_b32_e32 v5, 0xff, v3
	v_and_b32_e32 v6, 0xff00, v3
	v_or3_b32 v2, v2, 0, 0
	v_and_b32_e32 v20, 0xff000000, v3
	v_or3_b32 v5, 0, v5, v6
	;; [unrolled: 2-line block ×3, first 2 shown]
	v_or3_b32 v2, v2, 0, 0
	v_cmp_eq_u16_sdwa s[52:53], v4, v7 src0_sel:BYTE_0 src1_sel:DWORD
	s_and_saveexec_b64 s[0:1], s[52:53]
	s_cbranch_execz .LBB608_73
; %bb.70:
	s_mov_b64 s[52:53], 0
	v_mov_b32_e32 v6, 0
.LBB608_71:                             ; =>This Inner Loop Header: Depth=1
	;;#ASMSTART
	global_load_dwordx4 v[2:5], v[18:19] off sc1	
s_waitcnt vmcnt(0)
	;;#ASMEND
	s_nop 0
	v_cmp_ne_u16_sdwa s[58:59], v4, v6 src0_sel:BYTE_0 src1_sel:DWORD
	s_or_b64 s[52:53], s[58:59], s[52:53]
	s_andn2_b64 exec, exec, s[52:53]
	s_cbranch_execnz .LBB608_71
; %bb.72:
	s_or_b64 exec, exec, s[52:53]
.LBB608_73:
	s_or_b64 exec, exec, s[0:1]
	v_mov_b32_e32 v24, 2
	v_cmp_eq_u16_sdwa s[0:1], v4, v24 src0_sel:BYTE_0 src1_sel:DWORD
	v_lshlrev_b64 v[18:19], v17, -1
	v_and_b32_e32 v25, 63, v17
	v_and_b32_e32 v5, s1, v19
	v_or_b32_e32 v5, 0x80000000, v5
	v_cmp_ne_u32_e32 vcc, 63, v25
	v_and_b32_e32 v6, s0, v18
	v_ffbl_b32_e32 v5, v5
	v_addc_co_u32_e32 v7, vcc, 0, v17, vcc
	v_add_u32_e32 v5, 32, v5
	v_ffbl_b32_e32 v6, v6
	v_lshlrev_b32_e32 v26, 2, v7
	v_min_u32_e32 v5, v6, v5
	ds_bpermute_b32 v6, v26, v3
	v_cmp_eq_u32_e32 vcc, 0, v2
	v_cmp_lt_u32_e64 s[0:1], v25, v5
	ds_bpermute_b32 v7, v26, v2
	s_and_b64 vcc, s[0:1], vcc
	s_waitcnt lgkmcnt(1)
	v_cndmask_b32_e32 v6, 0, v6, vcc
	v_cmp_gt_u32_e32 vcc, 62, v25
	v_add_u32_e32 v3, v6, v3
	s_waitcnt lgkmcnt(0)
	v_cndmask_b32_e64 v7, 0, v7, s[0:1]
	v_cndmask_b32_e64 v6, 0, 1, vcc
	v_lshlrev_b32_e32 v6, 1, v6
	v_add_lshl_u32 v27, v6, v17, 2
	ds_bpermute_b32 v6, v27, v3
	v_add_u32_e32 v2, v7, v2
	ds_bpermute_b32 v7, v27, v2
	v_add_u32_e32 v28, 2, v25
	v_cmp_eq_u32_e32 vcc, 0, v2
	v_add_u32_e32 v30, 4, v25
	v_add_u32_e32 v32, 8, v25
	s_waitcnt lgkmcnt(1)
	v_cndmask_b32_e32 v6, 0, v6, vcc
	v_cmp_gt_u32_e32 vcc, v28, v5
	v_add_u32_e32 v34, 16, v25
	v_add_u32_e32 v36, 32, v25
	v_cndmask_b32_e64 v6, v6, 0, vcc
	v_add_u32_e32 v3, v6, v3
	s_waitcnt lgkmcnt(0)
	v_cndmask_b32_e64 v6, v7, 0, vcc
	v_cmp_gt_u32_e32 vcc, 60, v25
	v_add_u32_e32 v2, v2, v6
	s_nop 0
	v_cndmask_b32_e64 v7, 0, 1, vcc
	v_lshlrev_b32_e32 v7, 2, v7
	v_add_lshl_u32 v29, v7, v17, 2
	ds_bpermute_b32 v7, v29, v3
	ds_bpermute_b32 v6, v29, v2
	v_cmp_eq_u32_e32 vcc, 0, v2
	s_waitcnt lgkmcnt(1)
	s_nop 0
	v_cndmask_b32_e32 v7, 0, v7, vcc
	v_cmp_gt_u32_e32 vcc, v30, v5
	s_nop 1
	v_cndmask_b32_e64 v7, v7, 0, vcc
	s_waitcnt lgkmcnt(0)
	v_cndmask_b32_e64 v6, v6, 0, vcc
	v_cmp_gt_u32_e32 vcc, 56, v25
	v_add_u32_e32 v3, v3, v7
	v_add_u32_e32 v2, v2, v6
	v_cndmask_b32_e64 v7, 0, 1, vcc
	v_lshlrev_b32_e32 v7, 3, v7
	v_add_lshl_u32 v31, v7, v17, 2
	ds_bpermute_b32 v7, v31, v3
	ds_bpermute_b32 v6, v31, v2
	v_cmp_eq_u32_e32 vcc, 0, v2
	s_waitcnt lgkmcnt(1)
	s_nop 0
	v_cndmask_b32_e32 v7, 0, v7, vcc
	v_cmp_gt_u32_e32 vcc, v32, v5
	s_nop 1
	v_cndmask_b32_e64 v7, v7, 0, vcc
	s_waitcnt lgkmcnt(0)
	v_cndmask_b32_e64 v6, v6, 0, vcc
	v_cmp_gt_u32_e32 vcc, 48, v25
	v_add_u32_e32 v3, v3, v7
	v_add_u32_e32 v2, v2, v6
	;; [unrolled: 17-line block ×3, first 2 shown]
	v_cndmask_b32_e64 v7, 0, 1, vcc
	v_lshlrev_b32_e32 v7, 5, v7
	v_add_lshl_u32 v35, v7, v17, 2
	ds_bpermute_b32 v7, v35, v3
	ds_bpermute_b32 v6, v35, v2
	v_cmp_eq_u32_e32 vcc, 0, v2
	v_mov_b32_e32 v17, 0
	s_waitcnt lgkmcnt(1)
	v_cndmask_b32_e32 v7, 0, v7, vcc
	v_cmp_gt_u32_e32 vcc, v36, v5
	s_nop 1
	v_cndmask_b32_e64 v5, v7, 0, vcc
	v_add_u32_e32 v3, v5, v3
	s_waitcnt lgkmcnt(0)
	v_cndmask_b32_e64 v5, v6, 0, vcc
	v_add_u32_e32 v2, v5, v2
	s_branch .LBB608_75
.LBB608_74:                             ;   in Loop: Header=BB608_75 Depth=1
	s_or_b64 exec, exec, s[0:1]
	v_cmp_eq_u16_sdwa s[0:1], v4, v24 src0_sel:BYTE_0 src1_sel:DWORD
	v_cmp_eq_u32_e32 vcc, 0, v2
	ds_bpermute_b32 v21, v26, v2
	v_and_b32_e32 v5, s1, v19
	v_or_b32_e32 v5, 0x80000000, v5
	v_and_b32_e32 v20, s0, v18
	v_ffbl_b32_e32 v5, v5
	v_add_u32_e32 v5, 32, v5
	v_ffbl_b32_e32 v20, v20
	v_min_u32_e32 v5, v20, v5
	ds_bpermute_b32 v20, v26, v3
	v_cmp_lt_u32_e64 s[0:1], v25, v5
	s_and_b64 vcc, s[0:1], vcc
	v_subrev_u32_e32 v16, 64, v16
	s_waitcnt lgkmcnt(1)
	v_cndmask_b32_e64 v21, 0, v21, s[0:1]
	s_waitcnt lgkmcnt(0)
	v_cndmask_b32_e32 v20, 0, v20, vcc
	v_add_u32_e32 v3, v20, v3
	ds_bpermute_b32 v20, v27, v3
	v_add_u32_e32 v2, v21, v2
	v_cmp_eq_u32_e32 vcc, 0, v2
	ds_bpermute_b32 v21, v27, v2
	s_waitcnt lgkmcnt(1)
	v_cndmask_b32_e32 v20, 0, v20, vcc
	v_cmp_gt_u32_e32 vcc, v28, v5
	s_nop 1
	v_cndmask_b32_e64 v20, v20, 0, vcc
	v_add_u32_e32 v3, v20, v3
	ds_bpermute_b32 v20, v29, v3
	s_waitcnt lgkmcnt(1)
	v_cndmask_b32_e64 v21, v21, 0, vcc
	v_add_u32_e32 v2, v2, v21
	v_cmp_eq_u32_e32 vcc, 0, v2
	ds_bpermute_b32 v21, v29, v2
	s_waitcnt lgkmcnt(1)
	v_cndmask_b32_e32 v20, 0, v20, vcc
	v_cmp_gt_u32_e32 vcc, v30, v5
	s_nop 1
	v_cndmask_b32_e64 v20, v20, 0, vcc
	v_add_u32_e32 v3, v3, v20
	ds_bpermute_b32 v20, v31, v3
	s_waitcnt lgkmcnt(1)
	v_cndmask_b32_e64 v21, v21, 0, vcc
	v_add_u32_e32 v2, v2, v21
	ds_bpermute_b32 v21, v31, v2
	v_cmp_eq_u32_e32 vcc, 0, v2
	s_waitcnt lgkmcnt(1)
	s_nop 0
	v_cndmask_b32_e32 v20, 0, v20, vcc
	v_cmp_gt_u32_e32 vcc, v32, v5
	s_nop 1
	v_cndmask_b32_e64 v20, v20, 0, vcc
	v_add_u32_e32 v3, v3, v20
	ds_bpermute_b32 v20, v33, v3
	s_waitcnt lgkmcnt(1)
	v_cndmask_b32_e64 v21, v21, 0, vcc
	v_add_u32_e32 v2, v2, v21
	ds_bpermute_b32 v21, v33, v2
	v_cmp_eq_u32_e32 vcc, 0, v2
	s_waitcnt lgkmcnt(1)
	s_nop 0
	;; [unrolled: 13-line block ×3, first 2 shown]
	v_cndmask_b32_e32 v20, 0, v20, vcc
	v_cmp_gt_u32_e32 vcc, v36, v5
	s_nop 1
	v_cndmask_b32_e64 v5, v20, 0, vcc
	v_add_u32_e32 v3, v5, v3
	s_waitcnt lgkmcnt(0)
	v_cndmask_b32_e64 v5, v21, 0, vcc
	v_cmp_eq_u32_e32 vcc, 0, v6
	v_add3_u32 v2, v2, v6, v5
	s_nop 0
	v_cndmask_b32_e32 v3, 0, v3, vcc
	v_add_u32_e32 v3, v3, v7
.LBB608_75:                             ; =>This Loop Header: Depth=1
                                        ;     Child Loop BB608_78 Depth 2
	v_cmp_ne_u16_sdwa s[0:1], v4, v24 src0_sel:BYTE_0 src1_sel:DWORD
	v_mov_b32_e32 v7, v3
	v_mov_b32_e32 v6, v2
	v_cndmask_b32_e64 v3, 0, 1, s[0:1]
	;;#ASMSTART
	;;#ASMEND
	s_nop 0
	v_cmp_ne_u32_e32 vcc, 0, v3
	s_cmp_lg_u64 vcc, exec
	s_cbranch_scc1 .LBB608_80
; %bb.76:                               ;   in Loop: Header=BB608_75 Depth=1
	v_lshl_add_u64 v[20:21], v[16:17], 4, s[36:37]
	;;#ASMSTART
	global_load_dwordx4 v[2:5], v[20:21] off sc1	
s_waitcnt vmcnt(0)
	;;#ASMEND
	s_nop 0
	v_and_b32_e32 v5, 0xff, v3
	v_and_b32_e32 v37, 0xff00, v3
	v_or3_b32 v2, v2, 0, 0
	v_and_b32_e32 v38, 0xff000000, v3
	v_or3_b32 v5, 0, v5, v37
	;; [unrolled: 2-line block ×3, first 2 shown]
	v_or3_b32 v2, v2, 0, 0
	v_cmp_eq_u16_sdwa s[52:53], v4, v17 src0_sel:BYTE_0 src1_sel:DWORD
	s_and_saveexec_b64 s[0:1], s[52:53]
	s_cbranch_execz .LBB608_74
; %bb.77:                               ;   in Loop: Header=BB608_75 Depth=1
	s_mov_b64 s[52:53], 0
.LBB608_78:                             ;   Parent Loop BB608_75 Depth=1
                                        ; =>  This Inner Loop Header: Depth=2
	;;#ASMSTART
	global_load_dwordx4 v[2:5], v[20:21] off sc1	
s_waitcnt vmcnt(0)
	;;#ASMEND
	s_nop 0
	v_cmp_ne_u16_sdwa s[58:59], v4, v17 src0_sel:BYTE_0 src1_sel:DWORD
	s_or_b64 s[52:53], s[58:59], s[52:53]
	s_andn2_b64 exec, exec, s[52:53]
	s_cbranch_execnz .LBB608_78
; %bb.79:                               ;   in Loop: Header=BB608_75 Depth=1
	s_or_b64 exec, exec, s[52:53]
	s_branch .LBB608_74
.LBB608_80:                             ;   in Loop: Header=BB608_75 Depth=1
                                        ; implicit-def: $vgpr3
                                        ; implicit-def: $vgpr2
                                        ; implicit-def: $vgpr4
	s_cbranch_execz .LBB608_75
; %bb.81:
	s_and_saveexec_b64 s[0:1], s[26:27]
	s_cbranch_execz .LBB608_83
; %bb.82:
	s_cmp_eq_u32 s54, 0
	s_cselect_b64 vcc, -1, 0
	s_mov_b32 s53, 0
	v_cndmask_b32_e32 v2, 0, v7, vcc
	s_add_i32 s52, s56, 64
	v_add_u32_e32 v2, s55, v2
	s_lshl_b64 s[52:53], s[52:53], 4
	s_add_u32 s52, s36, s52
	v_and_b32_e32 v3, 0xff000000, v2
	v_and_b32_e32 v4, 0xff0000, v2
	s_addc_u32 s53, s37, s53
	v_or_b32_e32 v3, v4, v3
	v_and_b32_e32 v4, 0xff00, v2
	v_and_b32_e32 v2, 0xff, v2
	v_add_u32_e32 v16, s54, v6
	v_mov_b32_e32 v19, 0
	v_or3_b32 v17, v3, v4, v2
	v_mov_b32_e32 v18, 2
	v_mov_b64_e32 v[2:3], s[52:53]
	;;#ASMSTART
	global_store_dwordx4 v[2:3], v[16:19] off sc1	
s_waitcnt vmcnt(0)
	;;#ASMEND
	v_mov_b32_e32 v4, s54
	v_mov_b32_e32 v5, s55
	ds_write_b128 v19, v[4:7] offset:2048
.LBB608_83:
	s_or_b64 exec, exec, s[0:1]
	s_and_b64 exec, exec, s[30:31]
	s_cbranch_execz .LBB608_85
; %bb.84:
	v_mov_b32_e32 v2, 0
	ds_write_b64 v2, v[6:7] offset:2120
.LBB608_85:
	s_or_b64 exec, exec, s[48:49]
	v_mov_b32_e32 v4, 0
	s_waitcnt lgkmcnt(0)
	s_barrier
	ds_read_b64 v[2:3], v4 offset:2120
	v_cndmask_b32_e64 v6, v22, v14, s[26:27]
	v_cmp_eq_u32_e32 vcc, 0, v6
	v_cndmask_b32_e64 v5, v23, v15, s[26:27]
	s_waitcnt lgkmcnt(0)
	v_cndmask_b32_e32 v7, 0, v3, vcc
	v_add_u32_e32 v5, v7, v5
	v_cndmask_b32_e64 v43, v5, v3, s[30:31]
	v_cndmask_b32_e64 v3, v6, 0, s[30:31]
	v_cmp_eq_u32_e32 vcc, 0, v61
	v_add_u32_e32 v42, v2, v3
	v_add_u32_e32 v40, v42, v61
	v_cndmask_b32_e32 v2, 0, v43, vcc
	v_add_u32_e32 v41, v2, v44
	v_cndmask_b32_e64 v2, 0, v41, s[24:25]
	v_add_u32_e32 v39, v2, v44
	v_cndmask_b32_e64 v2, 0, v39, s[22:23]
	;; [unrolled: 2-line block ×7, first 2 shown]
	v_add_u32_e32 v38, v40, v60
	v_add_u32_e32 v27, v2, v44
	;; [unrolled: 1-line block ×3, first 2 shown]
	v_cndmask_b32_e64 v2, 0, v27, s[10:11]
	v_add_u32_e32 v34, v36, v58
	v_add_u32_e32 v25, v2, v44
	v_add_u32_e32 v32, v34, v57
	v_cndmask_b32_e64 v2, 0, v25, s[8:9]
	v_add_u32_e32 v30, v32, v56
	v_add_u32_e32 v23, v2, v44
	s_barrier
	ds_read_b128 v[4:7], v4 offset:2048
	v_add_u32_e32 v28, v30, v55
	v_cndmask_b32_e64 v2, 0, v23, s[6:7]
	v_add_u32_e32 v26, v28, v54
	v_add_u32_e32 v21, v2, v44
	;; [unrolled: 1-line block ×3, first 2 shown]
	v_cndmask_b32_e64 v2, 0, v21, s[4:5]
	v_add_u32_e32 v22, v24, v52
	v_add_u32_e32 v17, v2, v44
	;; [unrolled: 1-line block ×3, first 2 shown]
	v_cndmask_b32_e64 v2, 0, v17, s[2:3]
	s_waitcnt lgkmcnt(0)
	v_cmp_eq_u32_e32 vcc, 0, v4
	v_add_u32_e32 v16, v20, v50
	v_add_u32_e32 v19, v2, v44
	v_cndmask_b32_e32 v2, 0, v7, vcc
	v_add_u32_e32 v18, v16, v49
	v_add_u32_e32 v14, v2, v5
	s_branch .LBB608_98
.LBB608_86:
                                        ; implicit-def: $vgpr4
                                        ; implicit-def: $vgpr14
                                        ; implicit-def: $vgpr18_vgpr19
                                        ; implicit-def: $vgpr16_vgpr17
                                        ; implicit-def: $vgpr20_vgpr21
                                        ; implicit-def: $vgpr22_vgpr23
                                        ; implicit-def: $vgpr42_vgpr43
                                        ; implicit-def: $vgpr40_vgpr41
                                        ; implicit-def: $vgpr38_vgpr39
                                        ; implicit-def: $vgpr36_vgpr37
                                        ; implicit-def: $vgpr34_vgpr35
                                        ; implicit-def: $vgpr32_vgpr33
                                        ; implicit-def: $vgpr30_vgpr31
                                        ; implicit-def: $vgpr28_vgpr29
                                        ; implicit-def: $vgpr26_vgpr27
                                        ; implicit-def: $vgpr24_vgpr25
	s_cbranch_execz .LBB608_98
; %bb.87:
	s_and_b64 s[0:1], s[38:39], exec
	s_cselect_b32 s1, 0, s29
	s_cselect_b32 s0, 0, s28
	s_cmp_eq_u64 s[0:1], 0
	v_mov_b32_e32 v6, v44
	s_cbranch_scc1 .LBB608_89
; %bb.88:
	v_mov_b32_e32 v2, 0
	global_load_dword v6, v2, s[0:1]
.LBB608_89:
	v_cmp_eq_u32_e64 s[2:3], 0, v60
	v_cmp_eq_u32_e64 s[4:5], 0, v59
	v_cmp_eq_u32_e64 s[6:7], 0, v58
	v_cndmask_b32_e64 v2, 0, v44, s[2:3]
	v_add_u32_e32 v2, v2, v44
	v_cndmask_b32_e64 v2, 0, v2, s[4:5]
	v_add_u32_e32 v2, v2, v44
	v_cndmask_b32_e64 v2, 0, v2, s[6:7]
	v_add_u32_e32 v2, v2, v44
	v_cmp_eq_u32_e64 s[8:9], 0, v57
	v_cmp_eq_u32_e64 s[10:11], 0, v56
	v_cmp_eq_u32_e64 s[12:13], 0, v55
	v_cndmask_b32_e64 v2, 0, v2, s[8:9]
	v_add_u32_e32 v2, v2, v44
	v_cndmask_b32_e64 v2, 0, v2, s[10:11]
	v_add_u32_e32 v2, v2, v44
	v_cndmask_b32_e64 v2, 0, v2, s[12:13]
	v_add_u32_e32 v2, v2, v44
	;; [unrolled: 9-line block ×3, first 2 shown]
	v_cmp_eq_u32_e64 s[20:21], 0, v51
	v_cmp_eq_u32_e64 s[22:23], 0, v50
	v_add3_u32 v3, v63, v57, v56
	v_cndmask_b32_e64 v2, 0, v2, s[20:21]
	v_add_u32_e32 v2, v2, v44
	v_cndmask_b32_e64 v2, 0, v2, s[22:23]
	v_add_u32_e32 v2, v2, v44
	v_cmp_eq_u32_e32 vcc, 0, v49
	v_add3_u32 v3, v3, v55, v54
	v_add3_u32 v3, v3, v53, v52
	v_cndmask_b32_e32 v2, 0, v2, vcc
	v_add_u32_e32 v2, v2, v44
	v_cmp_eq_u32_e64 s[0:1], 0, v48
	v_add3_u32 v3, v3, v51, v50
	v_add3_u32 v3, v3, v49, v48
	v_cndmask_b32_e64 v2, 0, v2, s[0:1]
	v_add_u32_e32 v2, v2, v45
	v_mbcnt_hi_u32_b32 v7, -1, v62
	v_and_b32_e32 v4, 15, v7
	v_mov_b32_dpp v14, v2 row_shr:1 row_mask:0xf bank_mask:0xf
	v_cmp_eq_u32_e64 s[0:1], 0, v3
	v_mov_b32_dpp v5, v3 row_shr:1 row_mask:0xf bank_mask:0xf
	v_cmp_lt_u32_e64 s[24:25], 1, v4
	v_cndmask_b32_e64 v14, 0, v14, s[0:1]
	v_cmp_eq_u32_e64 s[0:1], 0, v4
	s_nop 1
	v_cndmask_b32_e64 v5, v5, 0, s[0:1]
	v_add_u32_e32 v3, v5, v3
	v_cndmask_b32_e64 v5, v14, 0, s[0:1]
	v_add_u32_e32 v2, v5, v2
	v_cmp_eq_u32_e64 s[0:1], 0, v3
	v_mov_b32_dpp v5, v3 row_shr:2 row_mask:0xf bank_mask:0xf
	v_mov_b32_dpp v14, v2 row_shr:2 row_mask:0xf bank_mask:0xf
	v_cndmask_b32_e64 v5, 0, v5, s[24:25]
	s_and_b64 s[0:1], s[24:25], s[0:1]
	v_cndmask_b32_e64 v14, 0, v14, s[0:1]
	v_add_u32_e32 v3, v3, v5
	v_add_u32_e32 v2, v14, v2
	v_cmp_eq_u32_e64 s[0:1], 0, v3
	v_mov_b32_dpp v5, v3 row_shr:4 row_mask:0xf bank_mask:0xf
	v_cmp_lt_u32_e64 s[24:25], 3, v4
	v_mov_b32_dpp v14, v2 row_shr:4 row_mask:0xf bank_mask:0xf
	s_and_b64 s[0:1], s[24:25], s[0:1]
	v_cndmask_b32_e64 v5, 0, v5, s[24:25]
	v_cndmask_b32_e64 v14, 0, v14, s[0:1]
	v_add_u32_e32 v3, v5, v3
	v_add_u32_e32 v2, v2, v14
	v_cmp_eq_u32_e64 s[0:1], 0, v3
	v_cmp_lt_u32_e64 s[24:25], 7, v4
	v_mov_b32_dpp v5, v3 row_shr:8 row_mask:0xf bank_mask:0xf
	v_mov_b32_dpp v14, v2 row_shr:8 row_mask:0xf bank_mask:0xf
	s_and_b64 s[0:1], s[24:25], s[0:1]
	v_cndmask_b32_e64 v4, 0, v5, s[24:25]
	v_cndmask_b32_e64 v5, 0, v14, s[0:1]
	v_add_u32_e32 v2, v5, v2
	v_add_u32_e32 v3, v4, v3
	v_bfe_i32 v14, v7, 4, 1
	v_mov_b32_dpp v5, v2 row_bcast:15 row_mask:0xf bank_mask:0xf
	v_mov_b32_dpp v4, v3 row_bcast:15 row_mask:0xf bank_mask:0xf
	v_cmp_eq_u32_e64 s[0:1], 0, v3
	v_and_b32_e32 v4, v14, v4
	v_add_u32_e32 v3, v4, v3
	v_cndmask_b32_e64 v5, 0, v5, s[0:1]
	v_and_b32_e32 v4, v14, v5
	v_add_u32_e32 v4, v4, v2
	v_mov_b32_dpp v2, v3 row_bcast:31 row_mask:0xf bank_mask:0xf
	v_cmp_eq_u32_e64 s[0:1], 0, v3
	v_cmp_lt_u32_e64 s[24:25], 31, v7
	v_mov_b32_dpp v5, v4 row_bcast:31 row_mask:0xf bank_mask:0xf
	s_and_b64 s[0:1], s[24:25], s[0:1]
	v_cndmask_b32_e64 v2, 0, v2, s[24:25]
	v_add_u32_e32 v2, v2, v3
	v_cndmask_b32_e64 v3, 0, v5, s[0:1]
	v_add_u32_e32 v3, v3, v4
	v_cmp_eq_u32_e64 s[0:1], v47, v0
	v_lshlrev_b32_e32 v5, 3, v46
	s_and_saveexec_b64 s[24:25], s[0:1]
	s_cbranch_execz .LBB608_91
; %bb.90:
	ds_write_b64 v5, v[2:3] offset:2064
.LBB608_91:
	s_or_b64 exec, exec, s[24:25]
	v_cmp_gt_u32_e64 s[0:1], 8, v0
	s_waitcnt lgkmcnt(0)
	s_barrier
	s_and_saveexec_b64 s[26:27], s[0:1]
	s_cbranch_execz .LBB608_93
; %bb.92:
	v_lshlrev_b32_e32 v4, 3, v0
	ds_read_b64 v[14:15], v4 offset:2064
	v_and_b32_e32 v16, 7, v7
	v_cmp_lt_u32_e64 s[24:25], 1, v16
	s_waitcnt lgkmcnt(0)
	v_mov_b32_dpp v18, v15 row_shr:1 row_mask:0xf bank_mask:0xf
	v_cmp_eq_u32_e64 s[0:1], 0, v14
	v_mov_b32_dpp v17, v14 row_shr:1 row_mask:0xf bank_mask:0xf
	s_nop 0
	v_cndmask_b32_e64 v18, 0, v18, s[0:1]
	v_cmp_eq_u32_e64 s[0:1], 0, v16
	s_nop 1
	v_cndmask_b32_e64 v17, v17, 0, s[0:1]
	v_add_u32_e32 v14, v17, v14
	v_cndmask_b32_e64 v17, v18, 0, s[0:1]
	v_add_u32_e32 v15, v17, v15
	v_cmp_eq_u32_e64 s[0:1], 0, v14
	v_mov_b32_dpp v17, v14 row_shr:2 row_mask:0xf bank_mask:0xf
	v_mov_b32_dpp v18, v15 row_shr:2 row_mask:0xf bank_mask:0xf
	v_cndmask_b32_e64 v17, 0, v17, s[24:25]
	s_and_b64 s[0:1], s[24:25], s[0:1]
	v_cndmask_b32_e64 v18, 0, v18, s[0:1]
	v_add_u32_e32 v14, v17, v14
	v_add_u32_e32 v15, v18, v15
	v_cmp_eq_u32_e64 s[0:1], 0, v14
	v_mov_b32_dpp v17, v14 row_shr:4 row_mask:0xf bank_mask:0xf
	v_cmp_lt_u32_e64 s[24:25], 3, v16
	v_mov_b32_dpp v18, v15 row_shr:4 row_mask:0xf bank_mask:0xf
	s_and_b64 s[0:1], s[24:25], s[0:1]
	v_cndmask_b32_e64 v16, 0, v17, s[24:25]
	v_add_u32_e32 v14, v16, v14
	v_cndmask_b32_e64 v16, 0, v18, s[0:1]
	v_add_u32_e32 v15, v16, v15
	ds_write_b64 v4, v[14:15] offset:2064
.LBB608_93:
	s_or_b64 exec, exec, s[26:27]
	v_cmp_lt_u32_e64 s[0:1], 63, v0
	v_mov_b32_e32 v14, 0
	v_mov_b32_e32 v4, 0
	s_waitcnt vmcnt(0)
	v_mov_b32_e32 v15, v6
	s_waitcnt lgkmcnt(0)
	s_barrier
	s_and_saveexec_b64 s[24:25], s[0:1]
	s_cbranch_execz .LBB608_95
; %bb.94:
	ds_read_b64 v[4:5], v5 offset:2056
	s_waitcnt lgkmcnt(0)
	v_cmp_eq_u32_e64 s[0:1], 0, v4
	s_nop 1
	v_cndmask_b32_e64 v15, 0, v6, s[0:1]
	v_add_u32_e32 v15, v15, v5
.LBB608_95:
	s_or_b64 exec, exec, s[24:25]
	v_cmp_eq_u32_e64 s[0:1], 0, v2
	v_add_u32_e32 v5, v4, v2
	v_and_b32_e32 v16, 64, v7
	v_cndmask_b32_e64 v2, 0, v15, s[0:1]
	v_add_u32_e32 v2, v2, v3
	v_add_u32_e32 v3, -1, v7
	v_cmp_lt_i32_e64 s[0:1], v3, v16
	s_nop 1
	v_cndmask_b32_e64 v3, v3, v7, s[0:1]
	v_lshlrev_b32_e32 v3, 2, v3
	ds_bpermute_b32 v2, v3, v2
	ds_bpermute_b32 v5, v3, v5
	v_cmp_eq_u32_e64 s[0:1], 0, v7
	s_waitcnt lgkmcnt(1)
	s_nop 0
	v_cndmask_b32_e64 v2, v2, v15, s[0:1]
	s_waitcnt lgkmcnt(0)
	v_cndmask_b32_e64 v3, v5, v4, s[0:1]
	v_cndmask_b32_e64 v43, v2, v6, s[30:31]
	v_cmp_eq_u32_e64 s[0:1], 0, v61
	v_cndmask_b32_e64 v42, v3, 0, s[30:31]
	v_add_u32_e32 v40, v42, v61
	v_cndmask_b32_e64 v2, 0, v43, s[0:1]
	v_add_u32_e32 v41, v2, v44
	v_cndmask_b32_e64 v2, 0, v41, s[2:3]
	v_add_u32_e32 v39, v2, v44
	v_cndmask_b32_e64 v2, 0, v39, s[4:5]
	v_add_u32_e32 v37, v2, v44
	v_cndmask_b32_e64 v2, 0, v37, s[6:7]
	v_add_u32_e32 v35, v2, v44
	v_cndmask_b32_e64 v2, 0, v35, s[8:9]
	v_add_u32_e32 v33, v2, v44
	v_cndmask_b32_e64 v2, 0, v33, s[10:11]
	v_add_u32_e32 v31, v2, v44
	v_cndmask_b32_e64 v2, 0, v31, s[12:13]
	v_add_u32_e32 v29, v2, v44
	v_cndmask_b32_e64 v2, 0, v29, s[14:15]
	v_add_u32_e32 v38, v40, v60
	v_add_u32_e32 v27, v2, v44
	v_add_u32_e32 v36, v38, v59
	v_cndmask_b32_e64 v2, 0, v27, s[16:17]
	v_add_u32_e32 v34, v36, v58
	v_add_u32_e32 v25, v2, v44
	;; [unrolled: 1-line block ×3, first 2 shown]
	v_cndmask_b32_e64 v2, 0, v25, s[18:19]
	v_add_u32_e32 v30, v32, v56
	v_add_u32_e32 v23, v2, v44
	ds_read_b64 v[4:5], v14 offset:2120
	v_add_u32_e32 v28, v30, v55
	v_cndmask_b32_e64 v2, 0, v23, s[20:21]
	v_add_u32_e32 v26, v28, v54
	v_add_u32_e32 v21, v2, v44
	;; [unrolled: 1-line block ×3, first 2 shown]
	v_cndmask_b32_e64 v2, 0, v21, s[22:23]
	v_add_u32_e32 v22, v24, v52
	v_add_u32_e32 v17, v2, v44
	;; [unrolled: 1-line block ×3, first 2 shown]
	v_cndmask_b32_e32 v2, 0, v17, vcc
	s_waitcnt lgkmcnt(0)
	v_cmp_eq_u32_e32 vcc, 0, v4
	v_add_u32_e32 v16, v20, v50
	v_add_u32_e32 v19, v2, v44
	v_cndmask_b32_e32 v2, 0, v6, vcc
	v_add_u32_e32 v18, v16, v49
	v_add_u32_e32 v14, v2, v5
	s_and_saveexec_b64 s[0:1], s[30:31]
	s_cbranch_execz .LBB608_97
; %bb.96:
	s_add_u32 s2, s36, 0x400
	v_and_b32_e32 v2, 0xff000000, v14
	v_and_b32_e32 v3, 0xff0000, v14
	s_addc_u32 s3, s37, 0
	v_or_b32_e32 v2, v3, v2
	v_and_b32_e32 v3, 0xff00, v14
	v_and_b32_e32 v5, 0xff, v14
	v_mov_b32_e32 v7, 0
	v_or3_b32 v5, v2, v3, v5
	v_mov_b32_e32 v6, 2
	v_mov_b64_e32 v[2:3], s[2:3]
	;;#ASMSTART
	global_store_dwordx4 v[2:3], v[4:7] off sc1	
s_waitcnt vmcnt(0)
	;;#ASMEND
.LBB608_97:
	s_or_b64 exec, exec, s[0:1]
	v_mov_b32_e32 v6, 0
.LBB608_98:
	s_and_b64 s[0:1], s[38:39], exec
	s_cselect_b32 s1, 0, s51
	s_cselect_b32 s0, 0, s50
	s_cmp_eq_u64 s[0:1], 0
	v_mov_b64_e32 v[44:45], 0
	s_barrier
	s_cbranch_scc1 .LBB608_100
; %bb.99:
	v_mov_b32_e32 v2, 0
	global_load_dwordx2 v[44:45], v2, s[0:1]
.LBB608_100:
	s_waitcnt vmcnt(0)
	v_lshlrev_b64 v[2:3], 1, v[44:45]
	v_mov_b32_e32 v7, 0
	v_lshl_add_u64 v[2:3], s[44:45], 0, v[2:3]
	v_lshlrev_b64 v[46:47], 1, v[6:7]
	v_cmp_eq_u32_e32 vcc, 0, v61
	v_lshl_add_u64 v[46:47], v[2:3], 0, v[46:47]
	s_movk_i32 s0, 0x200
	v_cndmask_b32_e64 v2, 1, 2, vcc
	v_cmp_eq_u32_e32 vcc, 0, v60
	v_cmp_ne_u32_e64 s[28:29], 0, v61
	v_cmp_ne_u32_e64 s[26:27], 0, v60
	v_cndmask_b32_e64 v3, 1, 2, vcc
	v_cmp_eq_u32_e32 vcc, 0, v59
	v_and_b32_e32 v2, v3, v2
	v_cmp_ne_u32_e64 s[24:25], 0, v59
	v_cndmask_b32_e64 v3, 1, 2, vcc
	v_cmp_eq_u32_e32 vcc, 0, v58
	v_and_b32_e32 v2, v2, v3
	;; [unrolled: 4-line block ×12, first 2 shown]
	v_cmp_ne_u32_e64 s[2:3], 0, v48
	v_cndmask_b32_e64 v3, 1, 2, vcc
	v_and_b32_e32 v2, v2, v3
	v_cmp_gt_u32_e32 vcc, s0, v4
	s_mov_b64 s[36:37], -1
	v_cmp_gt_i16_e64 s[0:1], 2, v2
	s_cbranch_vccz .LBB608_107
; %bb.101:
	s_and_saveexec_b64 s[36:37], s[0:1]
	s_cbranch_execz .LBB608_106
; %bb.102:
	v_cmp_ne_u16_e32 vcc, 1, v2
	s_mov_b64 s[38:39], 0
	s_and_saveexec_b64 s[0:1], vcc
	s_xor_b64 s[0:1], exec, s[0:1]
	s_cbranch_execnz .LBB608_149
; %bb.103:
	s_andn2_saveexec_b64 s[0:1], s[0:1]
	s_cbranch_execnz .LBB608_164
.LBB608_104:
	s_or_b64 exec, exec, s[0:1]
	s_and_b64 exec, exec, s[38:39]
	s_cbranch_execz .LBB608_106
.LBB608_105:
	v_sub_u32_e32 v62, v18, v6
	v_mov_b32_e32 v63, 0
	v_lshl_add_u64 v[62:63], v[62:63], 1, v[46:47]
	global_store_short_d16_hi v[62:63], v1, off
.LBB608_106:
	s_or_b64 exec, exec, s[36:37]
	s_mov_b64 s[36:37], 0
.LBB608_107:
	s_and_b64 vcc, exec, s[36:37]
	s_cbranch_vccz .LBB608_127
; %bb.108:
	v_cmp_gt_i16_e32 vcc, 2, v2
	s_and_saveexec_b64 s[0:1], vcc
	s_cbranch_execz .LBB608_113
; %bb.109:
	v_cmp_ne_u16_e32 vcc, 1, v2
	s_mov_b64 s[38:39], 0
	s_and_saveexec_b64 s[36:37], vcc
	s_xor_b64 s[36:37], exec, s[36:37]
	s_cbranch_execnz .LBB608_165
; %bb.110:
	s_andn2_saveexec_b64 s[2:3], s[36:37]
	s_cbranch_execnz .LBB608_180
.LBB608_111:
	s_or_b64 exec, exec, s[2:3]
	s_and_b64 exec, exec, s[38:39]
	s_cbranch_execz .LBB608_113
.LBB608_112:
	v_sub_u32_e32 v2, v18, v6
	v_lshlrev_b32_e32 v2, 1, v2
	ds_write_b16_d16_hi v2, v1
.LBB608_113:
	s_or_b64 exec, exec, s[0:1]
	v_cmp_lt_u32_e32 vcc, v0, v4
	s_waitcnt lgkmcnt(0)
	s_barrier
	s_and_saveexec_b64 s[0:1], vcc
	s_cbranch_execz .LBB608_126
; %bb.114:
	v_xad_u32 v1, v0, -1, v4
	s_movk_i32 s2, 0x5ff
	v_cmp_lt_u32_e32 vcc, s2, v1
	s_mov_b64 s[4:5], -1
	v_mov_b32_e32 v2, v0
	s_and_saveexec_b64 s[2:3], vcc
	s_cbranch_execz .LBB608_123
; %bb.115:
	v_lshrrev_b32_e32 v5, 9, v1
	v_add_u32_e32 v8, -3, v5
	v_or_b32_e32 v3, 0x600, v0
	v_or_b32_e32 v2, 0x400, v0
	v_lshrrev_b32_e32 v9, 2, v8
	v_or_b32_e32 v1, 0x200, v0
	v_add_u32_e32 v15, 1, v9
	v_cmp_lt_u32_e32 vcc, 11, v8
	v_mov_b64_e32 v[10:11], v[2:3]
	v_mov_b32_e32 v64, 0
	v_mov_b64_e32 v[8:9], v[0:1]
	s_and_saveexec_b64 s[4:5], vcc
	s_cbranch_execz .LBB608_119
; %bb.116:
	v_mov_b64_e32 v[10:11], v[2:3]
	v_and_b32_e32 v62, 0x7ffffffc, v15
	v_lshlrev_b32_e32 v63, 1, v0
	s_mov_b32 s8, 0
	s_mov_b64 s[6:7], 0
	v_mov_b32_e32 v13, 0
	v_mov_b64_e32 v[8:9], v[0:1]
.LBB608_117:                            ; =>This Inner Loop Header: Depth=1
	v_mov_b32_e32 v12, v8
	ds_read_u16 v1, v63
	ds_read_u16 v90, v63 offset:1024
	ds_read_u16 v91, v63 offset:2048
	;; [unrolled: 1-line block ×7, first 2 shown]
	v_lshl_add_u64 v[80:81], v[12:13], 1, v[46:47]
	v_mov_b32_e32 v12, v9
	v_lshl_add_u64 v[84:85], v[12:13], 1, v[46:47]
	v_mov_b32_e32 v12, v10
	ds_read_u16 v97, v63 offset:8192
	ds_read_u16 v98, v63 offset:9216
	;; [unrolled: 1-line block ×8, first 2 shown]
	v_lshl_add_u64 v[86:87], v[12:13], 1, v[46:47]
	v_mov_b32_e32 v12, v11
	v_add_u32_e32 v2, 0x800, v11
	v_mov_b32_e32 v3, v13
	v_lshl_add_u64 v[88:89], v[12:13], 1, v[46:47]
	v_add_u32_e32 v12, 0x800, v8
	v_add_u32_e32 v64, 0x800, v10
	;; [unrolled: 1-line block ×3, first 2 shown]
	v_mov_b32_e32 v67, v13
	v_mov_b32_e32 v65, v13
	v_add_u32_e32 v62, -4, v62
	v_lshl_add_u64 v[2:3], v[2:3], 1, v[46:47]
	s_waitcnt lgkmcnt(14)
	global_store_short v[80:81], v1, off
	global_store_short v[84:85], v90, off
	s_waitcnt lgkmcnt(13)
	global_store_short v[86:87], v91, off
	s_waitcnt lgkmcnt(12)
	global_store_short v[88:89], v92, off
	v_lshl_add_u64 v[80:81], v[12:13], 1, v[46:47]
	v_add_u32_e32 v12, 0x1000, v8
	v_add_u32_e32 v68, 0x1000, v11
	v_add_u32_e32 v70, 0x1000, v10
	v_add_u32_e32 v72, 0x1000, v9
	v_mov_b32_e32 v73, v13
	v_mov_b32_e32 v71, v13
	v_mov_b32_e32 v69, v13
	s_add_i32 s8, s8, 16
	v_lshl_add_u64 v[66:67], v[66:67], 1, v[46:47]
	v_lshl_add_u64 v[82:83], v[64:65], 1, v[46:47]
	v_cmp_eq_u32_e32 vcc, 0, v62
	s_waitcnt lgkmcnt(11)
	global_store_short v[80:81], v93, off
	s_waitcnt lgkmcnt(10)
	global_store_short v[66:67], v94, off
	;; [unrolled: 2-line block ×4, first 2 shown]
	v_lshl_add_u64 v[2:3], v[12:13], 1, v[46:47]
	v_add_u32_e32 v12, 0x1800, v8
	v_add_u32_e32 v74, 0x1800, v11
	;; [unrolled: 1-line block ×4, first 2 shown]
	v_mov_b32_e32 v79, v13
	v_mov_b32_e32 v77, v13
	;; [unrolled: 1-line block ×3, first 2 shown]
	v_add_u32_e32 v63, 0x4000, v63
	v_lshl_add_u64 v[72:73], v[72:73], 1, v[46:47]
	v_lshl_add_u64 v[70:71], v[70:71], 1, v[46:47]
	;; [unrolled: 1-line block ×3, first 2 shown]
	v_add_u32_e32 v9, 0x2000, v9
	v_mov_b32_e32 v64, s8
	v_add_u32_e32 v10, 0x2000, v10
	s_or_b64 s[6:7], vcc, s[6:7]
	v_add_u32_e32 v11, 0x2000, v11
	v_add_u32_e32 v8, 0x2000, v8
	s_waitcnt lgkmcnt(7)
	global_store_short v[2:3], v97, off
	s_waitcnt lgkmcnt(6)
	global_store_short v[72:73], v98, off
	;; [unrolled: 2-line block ×4, first 2 shown]
	v_lshl_add_u64 v[2:3], v[12:13], 1, v[46:47]
	v_lshl_add_u64 v[78:79], v[78:79], 1, v[46:47]
	;; [unrolled: 1-line block ×4, first 2 shown]
	s_waitcnt lgkmcnt(3)
	global_store_short v[2:3], v101, off
	s_waitcnt lgkmcnt(2)
	global_store_short v[78:79], v102, off
	;; [unrolled: 2-line block ×4, first 2 shown]
	s_andn2_b64 exec, exec, s[6:7]
	s_cbranch_execnz .LBB608_117
; %bb.118:
	s_or_b64 exec, exec, s[6:7]
.LBB608_119:
	s_or_b64 exec, exec, s[4:5]
	v_and_b32_e32 v1, 3, v15
	v_cmp_ne_u32_e32 vcc, 0, v1
	s_and_saveexec_b64 s[4:5], vcc
	s_cbranch_execz .LBB608_122
; %bb.120:
	v_lshlrev_b32_e32 v2, 1, v0
	v_lshl_or_b32 v12, v64, 10, v2
	s_mov_b64 s[6:7], 0
	v_mov_b32_e32 v3, 0
.LBB608_121:                            ; =>This Inner Loop Header: Depth=1
	ds_read_u16 v13, v12
	ds_read_u16 v15, v12 offset:1024
	ds_read_u16 v70, v12 offset:2048
	;; [unrolled: 1-line block ×3, first 2 shown]
	v_mov_b32_e32 v2, v8
	v_add_u32_e32 v1, -1, v1
	v_lshl_add_u64 v[62:63], v[2:3], 1, v[46:47]
	v_mov_b32_e32 v2, v9
	v_cmp_eq_u32_e32 vcc, 0, v1
	v_lshl_add_u64 v[64:65], v[2:3], 1, v[46:47]
	v_mov_b32_e32 v2, v10
	v_add_u32_e32 v8, 0x800, v8
	v_add_u32_e32 v12, 0x1000, v12
	;; [unrolled: 1-line block ×4, first 2 shown]
	s_or_b64 s[6:7], vcc, s[6:7]
	v_lshl_add_u64 v[66:67], v[2:3], 1, v[46:47]
	v_mov_b32_e32 v2, v11
	v_add_u32_e32 v11, 0x800, v11
	v_lshl_add_u64 v[68:69], v[2:3], 1, v[46:47]
	s_waitcnt lgkmcnt(3)
	global_store_short v[62:63], v13, off
	s_waitcnt lgkmcnt(2)
	global_store_short v[64:65], v15, off
	;; [unrolled: 2-line block ×4, first 2 shown]
	s_andn2_b64 exec, exec, s[6:7]
	s_cbranch_execnz .LBB608_121
.LBB608_122:
	s_or_b64 exec, exec, s[4:5]
	v_add_u32_e32 v1, 1, v5
	v_and_b32_e32 v3, 0xfffffc, v1
	v_cmp_ne_u32_e32 vcc, v1, v3
	v_lshl_or_b32 v2, v3, 9, v0
	s_orn2_b64 s[4:5], vcc, exec
.LBB608_123:
	s_or_b64 exec, exec, s[2:3]
	s_and_b64 exec, exec, s[4:5]
	s_cbranch_execz .LBB608_126
; %bb.124:
	v_lshlrev_b32_e32 v1, 1, v2
	s_mov_b64 s[2:3], 0
	v_mov_b32_e32 v3, 0
.LBB608_125:                            ; =>This Inner Loop Header: Depth=1
	ds_read_u16 v5, v1
	v_lshl_add_u64 v[8:9], v[2:3], 1, v[46:47]
	v_add_u32_e32 v2, 0x200, v2
	v_cmp_ge_u32_e32 vcc, v2, v4
	v_add_u32_e32 v1, 0x400, v1
	s_or_b64 s[2:3], vcc, s[2:3]
	s_waitcnt lgkmcnt(0)
	global_store_short v[8:9], v5, off
	s_andn2_b64 exec, exec, s[2:3]
	s_cbranch_execnz .LBB608_125
.LBB608_126:
	s_or_b64 exec, exec, s[0:1]
.LBB608_127:
	s_cmpk_lg_i32 s33, 0x1c00
	s_cselect_b64 s[0:1], -1, 0
	v_cndmask_b32_e64 v46, 0, 1, s[42:43]
	s_and_b64 s[0:1], s[0:1], s[40:41]
	v_sub_u32_e32 v1, v4, v46
	v_cndmask_b32_e64 v2, 0, 1, s[0:1]
	s_and_b64 s[0:1], s[30:31], s[42:43]
	v_add_u32_e32 v1, v1, v2
	v_cndmask_b32_e64 v2, v61, 0, s[0:1]
	s_lshr_b32 s0, s33, 1
	s_mul_hi_u32 s0, s0, 0x92492493
	s_lshr_b32 s0, s0, 2
	v_mad_i32_i24 v3, v0, -14, s33
	v_cmp_eq_u32_e32 vcc, s0, v0
	v_cmp_ne_u32_e64 s[0:1], 0, v3
	s_and_b64 vcc, vcc, s[40:41]
	s_mov_b32 s2, 0
	v_cndmask_b32_e64 v5, 1, v2, s[0:1]
	v_cmp_ne_u32_e64 s[0:1], 1, v3
	s_movk_i32 s28, 0x200
	s_mov_b64 s[30:31], -1
	v_cndmask_b32_e64 v8, 1, v60, s[0:1]
	v_cmp_ne_u32_e64 s[0:1], 2, v3
	s_barrier
	s_nop 0
	v_cndmask_b32_e64 v9, 1, v59, s[0:1]
	v_cmp_ne_u32_e64 s[0:1], 3, v3
	s_nop 1
	v_cndmask_b32_e64 v10, 1, v58, s[0:1]
	v_cmp_ne_u32_e64 s[0:1], 4, v3
	;; [unrolled: 3-line block ×6, first 2 shown]
	v_cndmask_b32_e32 v15, v54, v15, vcc
	v_cndmask_b32_e32 v54, v55, v13, vcc
	v_cndmask_b32_e64 v47, 1, v53, s[0:1]
	v_cmp_ne_u32_e64 s[0:1], 9, v3
	v_cndmask_b32_e32 v55, v56, v12, vcc
	v_cndmask_b32_e32 v56, v57, v11, vcc
	v_cndmask_b32_e64 v61, 1, v52, s[0:1]
	v_cmp_ne_u32_e64 s[0:1], 10, v3
	;; [unrolled: 4-line block ×5, first 2 shown]
	v_cndmask_b32_e32 v49, v49, v64, vcc
	v_cndmask_b32_e32 v52, v52, v61, vcc
	v_cndmask_b32_e64 v3, 1, v48, s[0:1]
	v_cndmask_b32_e32 v48, v48, v3, vcc
	v_cndmask_b32_e32 v53, v53, v47, vcc
	v_mov_b32_e32 v47, s2
	v_cmp_eq_u32_e32 vcc, 0, v60
	v_lshl_add_u64 v[12:13], v[46:47], 0, -1
	v_add_u32_e32 v5, v6, v46
	v_cndmask_b32_e64 v46, 1, 2, vcc
	v_cmp_eq_u32_e32 vcc, 0, v59
	v_cmp_ne_u32_e64 s[12:13], 0, v15
	v_lshlrev_b64 v[8:9], 3, v[44:45]
	v_cndmask_b32_e64 v47, 1, 2, vcc
	v_cmp_eq_u32_e32 vcc, 0, v58
	v_and_b32_e32 v46, v47, v46
	v_lshl_add_u64 v[2:3], s[46:47], 0, v[8:9]
	v_cndmask_b32_e64 v47, 1, 2, vcc
	v_cmp_eq_u32_e32 vcc, 0, v57
	v_and_b32_e32 v46, v46, v47
	v_lshlrev_b64 v[10:11], 3, v[6:7]
	v_cndmask_b32_e64 v47, 1, 2, vcc
	v_cmp_eq_u32_e32 vcc, 0, v56
	v_and_b32_e32 v46, v46, v47
	v_lshl_add_u64 v[2:3], v[2:3], 0, v[10:11]
	v_cndmask_b32_e64 v47, 1, 2, vcc
	v_cmp_eq_u32_e32 vcc, 0, v55
	v_and_b32_e32 v46, v46, v47
	v_cmp_ne_u32_e64 s[26:27], 0, v60
	v_cndmask_b32_e64 v47, 1, 2, vcc
	v_cmp_eq_u32_e32 vcc, 0, v54
	v_and_b32_e32 v46, v46, v47
	v_cmp_ne_u32_e64 s[24:25], 0, v59
	;; [unrolled: 4-line block ×9, first 2 shown]
	v_cndmask_b32_e64 v46, 1, 2, vcc
	v_and_b32_e32 v15, v15, v46
	v_cmp_gt_u32_e32 vcc, s28, v1
	v_cmp_ne_u32_e64 s[6:7], 0, v51
	v_cmp_ne_u32_e64 s[4:5], 0, v50
	v_cmp_ne_u32_e64 s[2:3], 0, v49
	v_cmp_ne_u32_e64 s[0:1], 0, v48
	v_cmp_gt_i16_e64 s[28:29], 2, v15
	s_cbranch_vccz .LBB608_134
; %bb.128:
	s_and_saveexec_b64 s[30:31], s[28:29]
	s_cbranch_execz .LBB608_133
; %bb.129:
	v_lshlrev_b64 v[46:47], 3, v[12:13]
	v_lshl_add_u64 v[46:47], v[2:3], 0, v[46:47]
	v_cmp_ne_u16_e32 vcc, 1, v15
	s_mov_b64 s[36:37], 0
	s_and_saveexec_b64 s[28:29], vcc
	s_xor_b64 s[28:29], exec, s[28:29]
	s_cbranch_execnz .LBB608_181
; %bb.130:
	s_andn2_saveexec_b64 s[28:29], s[28:29]
	s_cbranch_execnz .LBB608_196
.LBB608_131:
	s_or_b64 exec, exec, s[28:29]
	s_and_b64 exec, exec, s[36:37]
	s_cbranch_execz .LBB608_133
.LBB608_132:
	v_mov_b32_e32 v49, 0
	v_sub_u32_e32 v50, v18, v5
	v_mov_b32_e32 v51, v49
	v_mov_b32_e32 v48, v19
	v_lshl_add_u64 v[46:47], v[50:51], 3, v[46:47]
	global_store_dwordx2 v[46:47], v[48:49], off
.LBB608_133:
	s_or_b64 exec, exec, s[30:31]
	s_mov_b64 s[30:31], 0
.LBB608_134:
	s_and_b64 vcc, exec, s[30:31]
	s_cbranch_vccz .LBB608_144
; %bb.135:
	v_cmp_gt_i16_e32 vcc, 2, v15
	s_and_saveexec_b64 s[28:29], vcc
	s_cbranch_execz .LBB608_140
; %bb.136:
	v_cmp_ne_u16_e32 vcc, 1, v15
	s_mov_b64 s[36:37], 0
	s_and_saveexec_b64 s[30:31], vcc
	s_xor_b64 s[30:31], exec, s[30:31]
	s_cbranch_execnz .LBB608_197
; %bb.137:
	s_andn2_saveexec_b64 s[0:1], s[30:31]
	s_cbranch_execnz .LBB608_212
.LBB608_138:
	s_or_b64 exec, exec, s[0:1]
	s_and_b64 exec, exec, s[36:37]
	s_cbranch_execz .LBB608_140
.LBB608_139:
	v_sub_u32_e32 v5, v18, v5
	v_lshlrev_b32_e32 v5, 2, v5
	ds_write_b32 v5, v19
.LBB608_140:
	s_or_b64 exec, exec, s[28:29]
	v_cmp_lt_u32_e32 vcc, v0, v1
	s_waitcnt lgkmcnt(0)
	s_barrier
	s_and_saveexec_b64 s[0:1], vcc
	s_cbranch_execz .LBB608_143
; %bb.141:
	v_lshlrev_b64 v[12:13], 3, v[12:13]
	v_lshl_add_u64 v[8:9], v[8:9], 0, v[12:13]
	v_lshl_add_u64 v[10:11], v[8:9], 0, v[10:11]
	v_lshlrev_b32_e32 v8, 3, v0
	v_mov_b32_e32 v9, 0
	v_lshl_add_u64 v[10:11], s[46:47], 0, v[10:11]
	v_lshlrev_b32_e32 v5, 2, v0
	v_lshl_add_u64 v[10:11], v[10:11], 0, v[8:9]
	s_mov_b64 s[2:3], 0
	s_mov_b64 s[4:5], 0x1000
	v_mov_b32_e32 v12, v0
.LBB608_142:                            ; =>This Inner Loop Header: Depth=1
	ds_read_b32 v8, v5
	v_add_u32_e32 v12, 0x200, v12
	v_cmp_ge_u32_e32 vcc, v12, v1
	v_add_u32_e32 v5, 0x800, v5
	s_or_b64 s[2:3], vcc, s[2:3]
	s_waitcnt lgkmcnt(0)
	global_store_dwordx2 v[10:11], v[8:9], off
	v_lshl_add_u64 v[10:11], v[10:11], 0, s[4:5]
	s_andn2_b64 exec, exec, s[2:3]
	s_cbranch_execnz .LBB608_142
.LBB608_143:
	s_or_b64 exec, exec, s[0:1]
.LBB608_144:
	s_movk_i32 s0, 0x1ff
	v_cmp_eq_u32_e32 vcc, s0, v0
	s_and_b64 s[0:1], vcc, s[40:41]
	s_and_saveexec_b64 s[2:3], s[0:1]
	s_cbranch_execz .LBB608_147
; %bb.145:
	v_mov_b32_e32 v5, 0
	v_lshl_add_u64 v[0:1], v[4:5], 0, v[6:7]
	v_lshl_add_u64 v[0:1], v[0:1], 0, v[44:45]
	s_cmpk_lg_i32 s33, 0x1c00
	global_store_dwordx2 v5, v[0:1], s[34:35]
	s_cbranch_scc1 .LBB608_147
; %bb.146:
	v_lshlrev_b64 v[0:1], 3, v[4:5]
	v_mov_b32_e32 v15, v5
	v_lshl_add_u64 v[0:1], v[2:3], 0, v[0:1]
	global_store_dwordx2 v[0:1], v[14:15], off offset:-8
.LBB608_147:
	s_endpgm
.LBB608_148:
	s_or_b64 exec, exec, s[8:9]
	v_mov_b32_e32 v61, s12
	s_and_saveexec_b64 s[0:1], s[4:5]
	s_cbranch_execnz .LBB608_58
	s_branch .LBB608_59
.LBB608_149:
	s_and_saveexec_b64 s[38:39], s[28:29]
	s_cbranch_execnz .LBB608_213
; %bb.150:
	s_or_b64 exec, exec, s[38:39]
	s_and_saveexec_b64 s[38:39], s[26:27]
	s_cbranch_execnz .LBB608_214
.LBB608_151:
	s_or_b64 exec, exec, s[38:39]
	s_and_saveexec_b64 s[38:39], s[24:25]
	s_cbranch_execnz .LBB608_215
.LBB608_152:
	s_or_b64 exec, exec, s[38:39]
	s_and_saveexec_b64 s[38:39], s[22:23]
	s_cbranch_execnz .LBB608_216
.LBB608_153:
	s_or_b64 exec, exec, s[38:39]
	s_and_saveexec_b64 s[38:39], s[20:21]
	s_cbranch_execnz .LBB608_217
.LBB608_154:
	s_or_b64 exec, exec, s[38:39]
	s_and_saveexec_b64 s[38:39], s[18:19]
	s_cbranch_execnz .LBB608_218
.LBB608_155:
	s_or_b64 exec, exec, s[38:39]
	s_and_saveexec_b64 s[38:39], s[16:17]
	s_cbranch_execnz .LBB608_219
.LBB608_156:
	s_or_b64 exec, exec, s[38:39]
	s_and_saveexec_b64 s[38:39], s[14:15]
	s_cbranch_execnz .LBB608_220
.LBB608_157:
	s_or_b64 exec, exec, s[38:39]
	s_and_saveexec_b64 s[38:39], s[12:13]
	s_cbranch_execnz .LBB608_221
.LBB608_158:
	s_or_b64 exec, exec, s[38:39]
	s_and_saveexec_b64 s[38:39], s[10:11]
	s_cbranch_execnz .LBB608_222
.LBB608_159:
	s_or_b64 exec, exec, s[38:39]
	s_and_saveexec_b64 s[38:39], s[8:9]
	s_cbranch_execnz .LBB608_223
.LBB608_160:
	s_or_b64 exec, exec, s[38:39]
	s_and_saveexec_b64 s[38:39], s[6:7]
	s_cbranch_execnz .LBB608_224
.LBB608_161:
	s_or_b64 exec, exec, s[38:39]
	s_and_saveexec_b64 s[38:39], s[4:5]
	s_cbranch_execz .LBB608_163
.LBB608_162:
	v_sub_u32_e32 v62, v16, v6
	v_mov_b32_e32 v63, 0
	v_lshl_add_u64 v[62:63], v[62:63], 1, v[46:47]
	global_store_short v[62:63], v1, off
.LBB608_163:
	s_or_b64 exec, exec, s[38:39]
	s_and_b64 s[38:39], s[2:3], exec
	s_andn2_saveexec_b64 s[0:1], s[0:1]
	s_cbranch_execz .LBB608_104
.LBB608_164:
	v_sub_u32_e32 v62, v42, v6
	v_mov_b32_e32 v63, 0
	v_lshl_add_u64 v[64:65], v[62:63], 1, v[46:47]
	v_sub_u32_e32 v62, v40, v6
	global_store_short v[64:65], v12, off
	v_lshl_add_u64 v[64:65], v[62:63], 1, v[46:47]
	v_sub_u32_e32 v62, v38, v6
	global_store_short_d16_hi v[64:65], v12, off
	v_lshl_add_u64 v[64:65], v[62:63], 1, v[46:47]
	v_sub_u32_e32 v62, v36, v6
	global_store_short v[64:65], v13, off
	v_lshl_add_u64 v[64:65], v[62:63], 1, v[46:47]
	v_sub_u32_e32 v62, v34, v6
	global_store_short_d16_hi v[64:65], v13, off
	;; [unrolled: 6-line block ×5, first 2 shown]
	v_lshl_add_u64 v[64:65], v[62:63], 1, v[46:47]
	v_sub_u32_e32 v62, v20, v6
	global_store_short v[64:65], v9, off
	v_lshl_add_u64 v[64:65], v[62:63], 1, v[46:47]
	v_sub_u32_e32 v62, v16, v6
	v_lshl_add_u64 v[62:63], v[62:63], 1, v[46:47]
	s_or_b64 s[38:39], s[38:39], exec
	global_store_short_d16_hi v[64:65], v9, off
	global_store_short v[62:63], v1, off
	s_or_b64 exec, exec, s[0:1]
	s_and_b64 exec, exec, s[38:39]
	s_cbranch_execnz .LBB608_105
	s_branch .LBB608_106
.LBB608_165:
	s_and_saveexec_b64 s[38:39], s[28:29]
	s_cbranch_execnz .LBB608_225
; %bb.166:
	s_or_b64 exec, exec, s[38:39]
	s_and_saveexec_b64 s[28:29], s[26:27]
	s_cbranch_execnz .LBB608_226
.LBB608_167:
	s_or_b64 exec, exec, s[28:29]
	s_and_saveexec_b64 s[26:27], s[24:25]
	s_cbranch_execnz .LBB608_227
.LBB608_168:
	s_or_b64 exec, exec, s[26:27]
	s_and_saveexec_b64 s[24:25], s[22:23]
	s_cbranch_execnz .LBB608_228
.LBB608_169:
	s_or_b64 exec, exec, s[24:25]
	s_and_saveexec_b64 s[22:23], s[20:21]
	s_cbranch_execnz .LBB608_229
.LBB608_170:
	s_or_b64 exec, exec, s[22:23]
	s_and_saveexec_b64 s[20:21], s[18:19]
	s_cbranch_execnz .LBB608_230
.LBB608_171:
	s_or_b64 exec, exec, s[20:21]
	s_and_saveexec_b64 s[18:19], s[16:17]
	s_cbranch_execnz .LBB608_231
.LBB608_172:
	s_or_b64 exec, exec, s[18:19]
	s_and_saveexec_b64 s[16:17], s[14:15]
	s_cbranch_execnz .LBB608_232
.LBB608_173:
	s_or_b64 exec, exec, s[16:17]
	s_and_saveexec_b64 s[14:15], s[12:13]
	s_cbranch_execnz .LBB608_233
.LBB608_174:
	s_or_b64 exec, exec, s[14:15]
	s_and_saveexec_b64 s[12:13], s[10:11]
	s_cbranch_execnz .LBB608_234
.LBB608_175:
	s_or_b64 exec, exec, s[12:13]
	s_and_saveexec_b64 s[10:11], s[8:9]
	s_cbranch_execnz .LBB608_235
.LBB608_176:
	s_or_b64 exec, exec, s[10:11]
	s_and_saveexec_b64 s[8:9], s[6:7]
	s_cbranch_execnz .LBB608_236
.LBB608_177:
	s_or_b64 exec, exec, s[8:9]
	s_and_saveexec_b64 s[6:7], s[4:5]
	s_cbranch_execz .LBB608_179
.LBB608_178:
	v_sub_u32_e32 v2, v16, v6
	v_lshlrev_b32_e32 v2, 1, v2
	ds_write_b16 v2, v1
.LBB608_179:
	s_or_b64 exec, exec, s[6:7]
	s_and_b64 s[38:39], s[2:3], exec
                                        ; implicit-def: $vgpr12
                                        ; implicit-def: $vgpr10
                                        ; implicit-def: $vgpr8
	s_andn2_saveexec_b64 s[2:3], s[36:37]
	s_cbranch_execz .LBB608_111
.LBB608_180:
	v_sub_u32_e32 v2, v42, v6
	v_lshlrev_b32_e32 v2, 1, v2
	ds_write_b16 v2, v12
	v_sub_u32_e32 v2, v40, v6
	v_lshlrev_b32_e32 v2, 1, v2
	ds_write_b16_d16_hi v2, v12
	v_sub_u32_e32 v2, v38, v6
	v_lshlrev_b32_e32 v2, 1, v2
	ds_write_b16 v2, v13
	v_sub_u32_e32 v2, v36, v6
	v_lshlrev_b32_e32 v2, 1, v2
	ds_write_b16_d16_hi v2, v13
	;; [unrolled: 6-line block ×6, first 2 shown]
	v_sub_u32_e32 v2, v16, v6
	v_lshlrev_b32_e32 v2, 1, v2
	s_or_b64 s[38:39], s[38:39], exec
	ds_write_b16 v2, v1
	s_or_b64 exec, exec, s[2:3]
	s_and_b64 exec, exec, s[38:39]
	s_cbranch_execnz .LBB608_112
	s_branch .LBB608_113
.LBB608_181:
	s_and_saveexec_b64 s[36:37], s[26:27]
	s_cbranch_execnz .LBB608_237
; %bb.182:
	s_or_b64 exec, exec, s[36:37]
	s_and_saveexec_b64 s[36:37], s[24:25]
	s_cbranch_execnz .LBB608_238
.LBB608_183:
	s_or_b64 exec, exec, s[36:37]
	s_and_saveexec_b64 s[36:37], s[22:23]
	s_cbranch_execnz .LBB608_239
.LBB608_184:
	s_or_b64 exec, exec, s[36:37]
	s_and_saveexec_b64 s[36:37], s[20:21]
	s_cbranch_execnz .LBB608_240
.LBB608_185:
	s_or_b64 exec, exec, s[36:37]
	s_and_saveexec_b64 s[36:37], s[18:19]
	s_cbranch_execnz .LBB608_241
.LBB608_186:
	s_or_b64 exec, exec, s[36:37]
	s_and_saveexec_b64 s[36:37], s[16:17]
	s_cbranch_execnz .LBB608_242
.LBB608_187:
	s_or_b64 exec, exec, s[36:37]
	s_and_saveexec_b64 s[36:37], s[14:15]
	s_cbranch_execnz .LBB608_243
.LBB608_188:
	s_or_b64 exec, exec, s[36:37]
	s_and_saveexec_b64 s[36:37], s[12:13]
	s_cbranch_execnz .LBB608_244
.LBB608_189:
	s_or_b64 exec, exec, s[36:37]
	s_and_saveexec_b64 s[36:37], s[10:11]
	s_cbranch_execnz .LBB608_245
.LBB608_190:
	s_or_b64 exec, exec, s[36:37]
	s_and_saveexec_b64 s[36:37], s[8:9]
	s_cbranch_execnz .LBB608_246
.LBB608_191:
	s_or_b64 exec, exec, s[36:37]
	s_and_saveexec_b64 s[36:37], s[6:7]
	s_cbranch_execnz .LBB608_247
.LBB608_192:
	s_or_b64 exec, exec, s[36:37]
	s_and_saveexec_b64 s[36:37], s[4:5]
	s_cbranch_execnz .LBB608_248
.LBB608_193:
	s_or_b64 exec, exec, s[36:37]
	s_and_saveexec_b64 s[36:37], s[2:3]
	s_cbranch_execz .LBB608_195
.LBB608_194:
	v_sub_u32_e32 v48, v16, v5
	v_mov_b32_e32 v49, 0
	v_lshl_add_u64 v[50:51], v[48:49], 3, v[46:47]
	v_mov_b32_e32 v48, v17
	global_store_dwordx2 v[50:51], v[48:49], off
.LBB608_195:
	s_or_b64 exec, exec, s[36:37]
	s_and_b64 s[36:37], s[0:1], exec
	s_andn2_saveexec_b64 s[28:29], s[28:29]
	s_cbranch_execz .LBB608_131
.LBB608_196:
	v_mov_b32_e32 v49, 0
	v_sub_u32_e32 v50, v42, v5
	v_mov_b32_e32 v51, v49
	v_mov_b32_e32 v48, v43
	v_lshl_add_u64 v[50:51], v[50:51], 3, v[46:47]
	global_store_dwordx2 v[50:51], v[48:49], off
	v_sub_u32_e32 v50, v40, v5
	v_mov_b32_e32 v51, v49
	v_mov_b32_e32 v48, v41
	v_lshl_add_u64 v[50:51], v[50:51], 3, v[46:47]
	global_store_dwordx2 v[50:51], v[48:49], off
	;; [unrolled: 5-line block ×12, first 2 shown]
	v_sub_u32_e32 v50, v16, v5
	v_mov_b32_e32 v51, v49
	v_mov_b32_e32 v48, v17
	v_lshl_add_u64 v[50:51], v[50:51], 3, v[46:47]
	s_or_b64 s[36:37], s[36:37], exec
	global_store_dwordx2 v[50:51], v[48:49], off
	s_or_b64 exec, exec, s[28:29]
	s_and_b64 exec, exec, s[36:37]
	s_cbranch_execnz .LBB608_132
	s_branch .LBB608_133
.LBB608_197:
	s_and_saveexec_b64 s[36:37], s[26:27]
	s_cbranch_execnz .LBB608_249
; %bb.198:
	s_or_b64 exec, exec, s[36:37]
	s_and_saveexec_b64 s[26:27], s[24:25]
	s_cbranch_execnz .LBB608_250
.LBB608_199:
	s_or_b64 exec, exec, s[26:27]
	s_and_saveexec_b64 s[24:25], s[22:23]
	s_cbranch_execnz .LBB608_251
.LBB608_200:
	s_or_b64 exec, exec, s[24:25]
	s_and_saveexec_b64 s[22:23], s[20:21]
	s_cbranch_execnz .LBB608_252
.LBB608_201:
	s_or_b64 exec, exec, s[22:23]
	s_and_saveexec_b64 s[20:21], s[18:19]
	s_cbranch_execnz .LBB608_253
.LBB608_202:
	s_or_b64 exec, exec, s[20:21]
	s_and_saveexec_b64 s[18:19], s[16:17]
	s_cbranch_execnz .LBB608_254
.LBB608_203:
	s_or_b64 exec, exec, s[18:19]
	s_and_saveexec_b64 s[16:17], s[14:15]
	s_cbranch_execnz .LBB608_255
.LBB608_204:
	s_or_b64 exec, exec, s[16:17]
	s_and_saveexec_b64 s[14:15], s[12:13]
	s_cbranch_execnz .LBB608_256
.LBB608_205:
	s_or_b64 exec, exec, s[14:15]
	s_and_saveexec_b64 s[12:13], s[10:11]
	s_cbranch_execnz .LBB608_257
.LBB608_206:
	s_or_b64 exec, exec, s[12:13]
	s_and_saveexec_b64 s[10:11], s[8:9]
	s_cbranch_execnz .LBB608_258
.LBB608_207:
	s_or_b64 exec, exec, s[10:11]
	s_and_saveexec_b64 s[8:9], s[6:7]
	s_cbranch_execnz .LBB608_259
.LBB608_208:
	s_or_b64 exec, exec, s[8:9]
	s_and_saveexec_b64 s[6:7], s[4:5]
	s_cbranch_execnz .LBB608_260
.LBB608_209:
	s_or_b64 exec, exec, s[6:7]
	s_and_saveexec_b64 s[4:5], s[2:3]
	s_cbranch_execz .LBB608_211
.LBB608_210:
	v_sub_u32_e32 v15, v16, v5
	v_lshlrev_b32_e32 v15, 2, v15
	ds_write_b32 v15, v17
.LBB608_211:
	s_or_b64 exec, exec, s[4:5]
	s_and_b64 s[36:37], s[0:1], exec
                                        ; implicit-def: $vgpr16_vgpr17
                                        ; implicit-def: $vgpr20_vgpr21
                                        ; implicit-def: $vgpr22_vgpr23
                                        ; implicit-def: $vgpr42_vgpr43
                                        ; implicit-def: $vgpr40_vgpr41
                                        ; implicit-def: $vgpr38_vgpr39
                                        ; implicit-def: $vgpr36_vgpr37
                                        ; implicit-def: $vgpr34_vgpr35
                                        ; implicit-def: $vgpr32_vgpr33
                                        ; implicit-def: $vgpr30_vgpr31
                                        ; implicit-def: $vgpr28_vgpr29
                                        ; implicit-def: $vgpr26_vgpr27
                                        ; implicit-def: $vgpr24_vgpr25
	s_andn2_saveexec_b64 s[0:1], s[30:31]
	s_cbranch_execz .LBB608_138
.LBB608_212:
	v_sub_u32_e32 v15, v42, v5
	v_lshlrev_b32_e32 v15, 2, v15
	ds_write_b32 v15, v43
	v_sub_u32_e32 v15, v40, v5
	v_lshlrev_b32_e32 v15, 2, v15
	ds_write_b32 v15, v41
	;; [unrolled: 3-line block ×12, first 2 shown]
	v_sub_u32_e32 v15, v16, v5
	v_lshlrev_b32_e32 v15, 2, v15
	s_or_b64 s[36:37], s[36:37], exec
	ds_write_b32 v15, v17
	s_or_b64 exec, exec, s[0:1]
	s_and_b64 exec, exec, s[36:37]
	s_cbranch_execnz .LBB608_139
	s_branch .LBB608_140
.LBB608_213:
	v_sub_u32_e32 v62, v42, v6
	v_mov_b32_e32 v63, 0
	v_lshl_add_u64 v[62:63], v[62:63], 1, v[46:47]
	global_store_short v[62:63], v12, off
	s_or_b64 exec, exec, s[38:39]
	s_and_saveexec_b64 s[38:39], s[26:27]
	s_cbranch_execz .LBB608_151
.LBB608_214:
	v_sub_u32_e32 v62, v40, v6
	v_mov_b32_e32 v63, 0
	v_lshl_add_u64 v[62:63], v[62:63], 1, v[46:47]
	global_store_short_d16_hi v[62:63], v12, off
	s_or_b64 exec, exec, s[38:39]
	s_and_saveexec_b64 s[38:39], s[24:25]
	s_cbranch_execz .LBB608_152
.LBB608_215:
	v_sub_u32_e32 v62, v38, v6
	v_mov_b32_e32 v63, 0
	v_lshl_add_u64 v[62:63], v[62:63], 1, v[46:47]
	global_store_short v[62:63], v13, off
	s_or_b64 exec, exec, s[38:39]
	s_and_saveexec_b64 s[38:39], s[22:23]
	s_cbranch_execz .LBB608_153
.LBB608_216:
	v_sub_u32_e32 v62, v36, v6
	v_mov_b32_e32 v63, 0
	v_lshl_add_u64 v[62:63], v[62:63], 1, v[46:47]
	global_store_short_d16_hi v[62:63], v13, off
	s_or_b64 exec, exec, s[38:39]
	s_and_saveexec_b64 s[38:39], s[20:21]
	s_cbranch_execz .LBB608_154
.LBB608_217:
	v_sub_u32_e32 v62, v34, v6
	v_mov_b32_e32 v63, 0
	v_lshl_add_u64 v[62:63], v[62:63], 1, v[46:47]
	global_store_short v[62:63], v10, off
	s_or_b64 exec, exec, s[38:39]
	s_and_saveexec_b64 s[38:39], s[18:19]
	s_cbranch_execz .LBB608_155
.LBB608_218:
	v_sub_u32_e32 v62, v32, v6
	v_mov_b32_e32 v63, 0
	v_lshl_add_u64 v[62:63], v[62:63], 1, v[46:47]
	global_store_short_d16_hi v[62:63], v10, off
	s_or_b64 exec, exec, s[38:39]
	s_and_saveexec_b64 s[38:39], s[16:17]
	s_cbranch_execz .LBB608_156
.LBB608_219:
	v_sub_u32_e32 v62, v30, v6
	v_mov_b32_e32 v63, 0
	v_lshl_add_u64 v[62:63], v[62:63], 1, v[46:47]
	global_store_short v[62:63], v11, off
	s_or_b64 exec, exec, s[38:39]
	s_and_saveexec_b64 s[38:39], s[14:15]
	s_cbranch_execz .LBB608_157
.LBB608_220:
	v_sub_u32_e32 v62, v28, v6
	v_mov_b32_e32 v63, 0
	v_lshl_add_u64 v[62:63], v[62:63], 1, v[46:47]
	global_store_short_d16_hi v[62:63], v11, off
	s_or_b64 exec, exec, s[38:39]
	s_and_saveexec_b64 s[38:39], s[12:13]
	s_cbranch_execz .LBB608_158
.LBB608_221:
	v_sub_u32_e32 v62, v26, v6
	v_mov_b32_e32 v63, 0
	v_lshl_add_u64 v[62:63], v[62:63], 1, v[46:47]
	global_store_short v[62:63], v8, off
	s_or_b64 exec, exec, s[38:39]
	s_and_saveexec_b64 s[38:39], s[10:11]
	s_cbranch_execz .LBB608_159
.LBB608_222:
	v_sub_u32_e32 v62, v24, v6
	v_mov_b32_e32 v63, 0
	v_lshl_add_u64 v[62:63], v[62:63], 1, v[46:47]
	global_store_short_d16_hi v[62:63], v8, off
	s_or_b64 exec, exec, s[38:39]
	s_and_saveexec_b64 s[38:39], s[8:9]
	s_cbranch_execz .LBB608_160
.LBB608_223:
	v_sub_u32_e32 v62, v22, v6
	v_mov_b32_e32 v63, 0
	v_lshl_add_u64 v[62:63], v[62:63], 1, v[46:47]
	global_store_short v[62:63], v9, off
	s_or_b64 exec, exec, s[38:39]
	s_and_saveexec_b64 s[38:39], s[6:7]
	s_cbranch_execz .LBB608_161
.LBB608_224:
	v_sub_u32_e32 v62, v20, v6
	v_mov_b32_e32 v63, 0
	v_lshl_add_u64 v[62:63], v[62:63], 1, v[46:47]
	global_store_short_d16_hi v[62:63], v9, off
	s_or_b64 exec, exec, s[38:39]
	s_and_saveexec_b64 s[38:39], s[4:5]
	s_cbranch_execnz .LBB608_162
	s_branch .LBB608_163
.LBB608_225:
	v_sub_u32_e32 v2, v42, v6
	v_lshlrev_b32_e32 v2, 1, v2
	ds_write_b16 v2, v12
	s_or_b64 exec, exec, s[38:39]
	s_and_saveexec_b64 s[28:29], s[26:27]
	s_cbranch_execz .LBB608_167
.LBB608_226:
	v_sub_u32_e32 v2, v40, v6
	v_lshlrev_b32_e32 v2, 1, v2
	ds_write_b16_d16_hi v2, v12
	s_or_b64 exec, exec, s[28:29]
	s_and_saveexec_b64 s[26:27], s[24:25]
	s_cbranch_execz .LBB608_168
.LBB608_227:
	v_sub_u32_e32 v2, v38, v6
	v_lshlrev_b32_e32 v2, 1, v2
	ds_write_b16 v2, v13
	s_or_b64 exec, exec, s[26:27]
	s_and_saveexec_b64 s[24:25], s[22:23]
	s_cbranch_execz .LBB608_169
.LBB608_228:
	v_sub_u32_e32 v2, v36, v6
	v_lshlrev_b32_e32 v2, 1, v2
	ds_write_b16_d16_hi v2, v13
	s_or_b64 exec, exec, s[24:25]
	s_and_saveexec_b64 s[22:23], s[20:21]
	s_cbranch_execz .LBB608_170
.LBB608_229:
	v_sub_u32_e32 v2, v34, v6
	v_lshlrev_b32_e32 v2, 1, v2
	ds_write_b16 v2, v10
	s_or_b64 exec, exec, s[22:23]
	s_and_saveexec_b64 s[20:21], s[18:19]
	s_cbranch_execz .LBB608_171
.LBB608_230:
	v_sub_u32_e32 v2, v32, v6
	v_lshlrev_b32_e32 v2, 1, v2
	ds_write_b16_d16_hi v2, v10
	s_or_b64 exec, exec, s[20:21]
	s_and_saveexec_b64 s[18:19], s[16:17]
	s_cbranch_execz .LBB608_172
.LBB608_231:
	v_sub_u32_e32 v2, v30, v6
	v_lshlrev_b32_e32 v2, 1, v2
	ds_write_b16 v2, v11
	s_or_b64 exec, exec, s[18:19]
	s_and_saveexec_b64 s[16:17], s[14:15]
	s_cbranch_execz .LBB608_173
.LBB608_232:
	v_sub_u32_e32 v2, v28, v6
	v_lshlrev_b32_e32 v2, 1, v2
	ds_write_b16_d16_hi v2, v11
	s_or_b64 exec, exec, s[16:17]
	s_and_saveexec_b64 s[14:15], s[12:13]
	s_cbranch_execz .LBB608_174
.LBB608_233:
	v_sub_u32_e32 v2, v26, v6
	v_lshlrev_b32_e32 v2, 1, v2
	ds_write_b16 v2, v8
	s_or_b64 exec, exec, s[14:15]
	s_and_saveexec_b64 s[12:13], s[10:11]
	s_cbranch_execz .LBB608_175
.LBB608_234:
	v_sub_u32_e32 v2, v24, v6
	v_lshlrev_b32_e32 v2, 1, v2
	ds_write_b16_d16_hi v2, v8
	s_or_b64 exec, exec, s[12:13]
	s_and_saveexec_b64 s[10:11], s[8:9]
	s_cbranch_execz .LBB608_176
.LBB608_235:
	v_sub_u32_e32 v2, v22, v6
	v_lshlrev_b32_e32 v2, 1, v2
	ds_write_b16 v2, v9
	s_or_b64 exec, exec, s[10:11]
	s_and_saveexec_b64 s[8:9], s[6:7]
	s_cbranch_execz .LBB608_177
.LBB608_236:
	v_sub_u32_e32 v2, v20, v6
	v_lshlrev_b32_e32 v2, 1, v2
	ds_write_b16_d16_hi v2, v9
	s_or_b64 exec, exec, s[8:9]
	s_and_saveexec_b64 s[6:7], s[4:5]
	s_cbranch_execnz .LBB608_178
	s_branch .LBB608_179
.LBB608_237:
	v_sub_u32_e32 v48, v42, v5
	v_mov_b32_e32 v49, 0
	v_lshl_add_u64 v[50:51], v[48:49], 3, v[46:47]
	v_mov_b32_e32 v48, v43
	global_store_dwordx2 v[50:51], v[48:49], off
	s_or_b64 exec, exec, s[36:37]
	s_and_saveexec_b64 s[36:37], s[24:25]
	s_cbranch_execz .LBB608_183
.LBB608_238:
	v_sub_u32_e32 v48, v40, v5
	v_mov_b32_e32 v49, 0
	v_lshl_add_u64 v[50:51], v[48:49], 3, v[46:47]
	v_mov_b32_e32 v48, v41
	global_store_dwordx2 v[50:51], v[48:49], off
	s_or_b64 exec, exec, s[36:37]
	s_and_saveexec_b64 s[36:37], s[22:23]
	s_cbranch_execz .LBB608_184
.LBB608_239:
	v_sub_u32_e32 v48, v38, v5
	v_mov_b32_e32 v49, 0
	v_lshl_add_u64 v[50:51], v[48:49], 3, v[46:47]
	v_mov_b32_e32 v48, v39
	global_store_dwordx2 v[50:51], v[48:49], off
	s_or_b64 exec, exec, s[36:37]
	s_and_saveexec_b64 s[36:37], s[20:21]
	s_cbranch_execz .LBB608_185
.LBB608_240:
	v_sub_u32_e32 v48, v36, v5
	v_mov_b32_e32 v49, 0
	v_lshl_add_u64 v[50:51], v[48:49], 3, v[46:47]
	v_mov_b32_e32 v48, v37
	global_store_dwordx2 v[50:51], v[48:49], off
	s_or_b64 exec, exec, s[36:37]
	s_and_saveexec_b64 s[36:37], s[18:19]
	s_cbranch_execz .LBB608_186
.LBB608_241:
	v_sub_u32_e32 v48, v34, v5
	v_mov_b32_e32 v49, 0
	v_lshl_add_u64 v[50:51], v[48:49], 3, v[46:47]
	v_mov_b32_e32 v48, v35
	global_store_dwordx2 v[50:51], v[48:49], off
	s_or_b64 exec, exec, s[36:37]
	s_and_saveexec_b64 s[36:37], s[16:17]
	s_cbranch_execz .LBB608_187
.LBB608_242:
	v_sub_u32_e32 v48, v32, v5
	v_mov_b32_e32 v49, 0
	v_lshl_add_u64 v[50:51], v[48:49], 3, v[46:47]
	v_mov_b32_e32 v48, v33
	global_store_dwordx2 v[50:51], v[48:49], off
	s_or_b64 exec, exec, s[36:37]
	s_and_saveexec_b64 s[36:37], s[14:15]
	s_cbranch_execz .LBB608_188
.LBB608_243:
	v_sub_u32_e32 v48, v30, v5
	v_mov_b32_e32 v49, 0
	v_lshl_add_u64 v[50:51], v[48:49], 3, v[46:47]
	v_mov_b32_e32 v48, v31
	global_store_dwordx2 v[50:51], v[48:49], off
	s_or_b64 exec, exec, s[36:37]
	s_and_saveexec_b64 s[36:37], s[12:13]
	s_cbranch_execz .LBB608_189
.LBB608_244:
	v_sub_u32_e32 v48, v28, v5
	v_mov_b32_e32 v49, 0
	v_lshl_add_u64 v[50:51], v[48:49], 3, v[46:47]
	v_mov_b32_e32 v48, v29
	global_store_dwordx2 v[50:51], v[48:49], off
	s_or_b64 exec, exec, s[36:37]
	s_and_saveexec_b64 s[36:37], s[10:11]
	s_cbranch_execz .LBB608_190
.LBB608_245:
	v_sub_u32_e32 v48, v26, v5
	v_mov_b32_e32 v49, 0
	v_lshl_add_u64 v[50:51], v[48:49], 3, v[46:47]
	v_mov_b32_e32 v48, v27
	global_store_dwordx2 v[50:51], v[48:49], off
	s_or_b64 exec, exec, s[36:37]
	s_and_saveexec_b64 s[36:37], s[8:9]
	s_cbranch_execz .LBB608_191
.LBB608_246:
	v_sub_u32_e32 v48, v24, v5
	v_mov_b32_e32 v49, 0
	v_lshl_add_u64 v[50:51], v[48:49], 3, v[46:47]
	v_mov_b32_e32 v48, v25
	global_store_dwordx2 v[50:51], v[48:49], off
	s_or_b64 exec, exec, s[36:37]
	s_and_saveexec_b64 s[36:37], s[6:7]
	s_cbranch_execz .LBB608_192
.LBB608_247:
	v_sub_u32_e32 v48, v22, v5
	v_mov_b32_e32 v49, 0
	v_lshl_add_u64 v[50:51], v[48:49], 3, v[46:47]
	v_mov_b32_e32 v48, v23
	global_store_dwordx2 v[50:51], v[48:49], off
	s_or_b64 exec, exec, s[36:37]
	s_and_saveexec_b64 s[36:37], s[4:5]
	s_cbranch_execz .LBB608_193
.LBB608_248:
	v_sub_u32_e32 v48, v20, v5
	v_mov_b32_e32 v49, 0
	v_lshl_add_u64 v[50:51], v[48:49], 3, v[46:47]
	v_mov_b32_e32 v48, v21
	global_store_dwordx2 v[50:51], v[48:49], off
	s_or_b64 exec, exec, s[36:37]
	s_and_saveexec_b64 s[36:37], s[2:3]
	s_cbranch_execnz .LBB608_194
	s_branch .LBB608_195
.LBB608_249:
	v_sub_u32_e32 v15, v42, v5
	v_lshlrev_b32_e32 v15, 2, v15
	ds_write_b32 v15, v43
	s_or_b64 exec, exec, s[36:37]
	s_and_saveexec_b64 s[26:27], s[24:25]
	s_cbranch_execz .LBB608_199
.LBB608_250:
	v_sub_u32_e32 v15, v40, v5
	v_lshlrev_b32_e32 v15, 2, v15
	ds_write_b32 v15, v41
	s_or_b64 exec, exec, s[26:27]
	s_and_saveexec_b64 s[24:25], s[22:23]
	s_cbranch_execz .LBB608_200
.LBB608_251:
	v_sub_u32_e32 v15, v38, v5
	v_lshlrev_b32_e32 v15, 2, v15
	ds_write_b32 v15, v39
	s_or_b64 exec, exec, s[24:25]
	s_and_saveexec_b64 s[22:23], s[20:21]
	s_cbranch_execz .LBB608_201
.LBB608_252:
	v_sub_u32_e32 v15, v36, v5
	v_lshlrev_b32_e32 v15, 2, v15
	ds_write_b32 v15, v37
	s_or_b64 exec, exec, s[22:23]
	s_and_saveexec_b64 s[20:21], s[18:19]
	s_cbranch_execz .LBB608_202
.LBB608_253:
	v_sub_u32_e32 v15, v34, v5
	v_lshlrev_b32_e32 v15, 2, v15
	ds_write_b32 v15, v35
	s_or_b64 exec, exec, s[20:21]
	s_and_saveexec_b64 s[18:19], s[16:17]
	s_cbranch_execz .LBB608_203
.LBB608_254:
	v_sub_u32_e32 v15, v32, v5
	v_lshlrev_b32_e32 v15, 2, v15
	ds_write_b32 v15, v33
	s_or_b64 exec, exec, s[18:19]
	s_and_saveexec_b64 s[16:17], s[14:15]
	s_cbranch_execz .LBB608_204
.LBB608_255:
	v_sub_u32_e32 v15, v30, v5
	v_lshlrev_b32_e32 v15, 2, v15
	ds_write_b32 v15, v31
	s_or_b64 exec, exec, s[16:17]
	s_and_saveexec_b64 s[14:15], s[12:13]
	s_cbranch_execz .LBB608_205
.LBB608_256:
	v_sub_u32_e32 v15, v28, v5
	v_lshlrev_b32_e32 v15, 2, v15
	ds_write_b32 v15, v29
	s_or_b64 exec, exec, s[14:15]
	s_and_saveexec_b64 s[12:13], s[10:11]
	s_cbranch_execz .LBB608_206
.LBB608_257:
	v_sub_u32_e32 v15, v26, v5
	v_lshlrev_b32_e32 v15, 2, v15
	ds_write_b32 v15, v27
	s_or_b64 exec, exec, s[12:13]
	s_and_saveexec_b64 s[10:11], s[8:9]
	s_cbranch_execz .LBB608_207
.LBB608_258:
	v_sub_u32_e32 v15, v24, v5
	v_lshlrev_b32_e32 v15, 2, v15
	ds_write_b32 v15, v25
	s_or_b64 exec, exec, s[10:11]
	s_and_saveexec_b64 s[8:9], s[6:7]
	s_cbranch_execz .LBB608_208
.LBB608_259:
	v_sub_u32_e32 v15, v22, v5
	v_lshlrev_b32_e32 v15, 2, v15
	ds_write_b32 v15, v23
	s_or_b64 exec, exec, s[8:9]
	s_and_saveexec_b64 s[6:7], s[4:5]
	s_cbranch_execz .LBB608_209
.LBB608_260:
	v_sub_u32_e32 v15, v20, v5
	v_lshlrev_b32_e32 v15, 2, v15
	ds_write_b32 v15, v21
	s_or_b64 exec, exec, s[6:7]
	s_and_saveexec_b64 s[4:5], s[2:3]
	s_cbranch_execnz .LBB608_210
	s_branch .LBB608_211
	.section	.rodata,"a",@progbits
	.p2align	6, 0x0
	.amdhsa_kernel _ZN7rocprim17ROCPRIM_400000_NS6detail17trampoline_kernelINS0_14default_configENS1_33run_length_encode_config_selectorIsjNS0_4plusIjEEEEZZNS1_33reduce_by_key_impl_wrapped_configILNS1_25lookback_scan_determinismE0ES3_S7_PKsNS0_17constant_iteratorIjlEEPsPlSF_S6_NS0_8equal_toIsEEEE10hipError_tPvRmT2_T3_mT4_T5_T6_T7_T8_P12ihipStream_tbENKUlT_T0_E_clISt17integral_constantIbLb0EESY_IbLb1EEEEDaSU_SV_EUlSU_E_NS1_11comp_targetILNS1_3genE5ELNS1_11target_archE942ELNS1_3gpuE9ELNS1_3repE0EEENS1_30default_config_static_selectorELNS0_4arch9wavefront6targetE1EEEvT1_
		.amdhsa_group_segment_fixed_size 28672
		.amdhsa_private_segment_fixed_size 0
		.amdhsa_kernarg_size 128
		.amdhsa_user_sgpr_count 2
		.amdhsa_user_sgpr_dispatch_ptr 0
		.amdhsa_user_sgpr_queue_ptr 0
		.amdhsa_user_sgpr_kernarg_segment_ptr 1
		.amdhsa_user_sgpr_dispatch_id 0
		.amdhsa_user_sgpr_kernarg_preload_length 0
		.amdhsa_user_sgpr_kernarg_preload_offset 0
		.amdhsa_user_sgpr_private_segment_size 0
		.amdhsa_uses_dynamic_stack 0
		.amdhsa_enable_private_segment 0
		.amdhsa_system_sgpr_workgroup_id_x 1
		.amdhsa_system_sgpr_workgroup_id_y 0
		.amdhsa_system_sgpr_workgroup_id_z 0
		.amdhsa_system_sgpr_workgroup_info 0
		.amdhsa_system_vgpr_workitem_id 0
		.amdhsa_next_free_vgpr 105
		.amdhsa_next_free_sgpr 64
		.amdhsa_accum_offset 108
		.amdhsa_reserve_vcc 1
		.amdhsa_float_round_mode_32 0
		.amdhsa_float_round_mode_16_64 0
		.amdhsa_float_denorm_mode_32 3
		.amdhsa_float_denorm_mode_16_64 3
		.amdhsa_dx10_clamp 1
		.amdhsa_ieee_mode 1
		.amdhsa_fp16_overflow 0
		.amdhsa_tg_split 0
		.amdhsa_exception_fp_ieee_invalid_op 0
		.amdhsa_exception_fp_denorm_src 0
		.amdhsa_exception_fp_ieee_div_zero 0
		.amdhsa_exception_fp_ieee_overflow 0
		.amdhsa_exception_fp_ieee_underflow 0
		.amdhsa_exception_fp_ieee_inexact 0
		.amdhsa_exception_int_div_zero 0
	.end_amdhsa_kernel
	.section	.text._ZN7rocprim17ROCPRIM_400000_NS6detail17trampoline_kernelINS0_14default_configENS1_33run_length_encode_config_selectorIsjNS0_4plusIjEEEEZZNS1_33reduce_by_key_impl_wrapped_configILNS1_25lookback_scan_determinismE0ES3_S7_PKsNS0_17constant_iteratorIjlEEPsPlSF_S6_NS0_8equal_toIsEEEE10hipError_tPvRmT2_T3_mT4_T5_T6_T7_T8_P12ihipStream_tbENKUlT_T0_E_clISt17integral_constantIbLb0EESY_IbLb1EEEEDaSU_SV_EUlSU_E_NS1_11comp_targetILNS1_3genE5ELNS1_11target_archE942ELNS1_3gpuE9ELNS1_3repE0EEENS1_30default_config_static_selectorELNS0_4arch9wavefront6targetE1EEEvT1_,"axG",@progbits,_ZN7rocprim17ROCPRIM_400000_NS6detail17trampoline_kernelINS0_14default_configENS1_33run_length_encode_config_selectorIsjNS0_4plusIjEEEEZZNS1_33reduce_by_key_impl_wrapped_configILNS1_25lookback_scan_determinismE0ES3_S7_PKsNS0_17constant_iteratorIjlEEPsPlSF_S6_NS0_8equal_toIsEEEE10hipError_tPvRmT2_T3_mT4_T5_T6_T7_T8_P12ihipStream_tbENKUlT_T0_E_clISt17integral_constantIbLb0EESY_IbLb1EEEEDaSU_SV_EUlSU_E_NS1_11comp_targetILNS1_3genE5ELNS1_11target_archE942ELNS1_3gpuE9ELNS1_3repE0EEENS1_30default_config_static_selectorELNS0_4arch9wavefront6targetE1EEEvT1_,comdat
.Lfunc_end608:
	.size	_ZN7rocprim17ROCPRIM_400000_NS6detail17trampoline_kernelINS0_14default_configENS1_33run_length_encode_config_selectorIsjNS0_4plusIjEEEEZZNS1_33reduce_by_key_impl_wrapped_configILNS1_25lookback_scan_determinismE0ES3_S7_PKsNS0_17constant_iteratorIjlEEPsPlSF_S6_NS0_8equal_toIsEEEE10hipError_tPvRmT2_T3_mT4_T5_T6_T7_T8_P12ihipStream_tbENKUlT_T0_E_clISt17integral_constantIbLb0EESY_IbLb1EEEEDaSU_SV_EUlSU_E_NS1_11comp_targetILNS1_3genE5ELNS1_11target_archE942ELNS1_3gpuE9ELNS1_3repE0EEENS1_30default_config_static_selectorELNS0_4arch9wavefront6targetE1EEEvT1_, .Lfunc_end608-_ZN7rocprim17ROCPRIM_400000_NS6detail17trampoline_kernelINS0_14default_configENS1_33run_length_encode_config_selectorIsjNS0_4plusIjEEEEZZNS1_33reduce_by_key_impl_wrapped_configILNS1_25lookback_scan_determinismE0ES3_S7_PKsNS0_17constant_iteratorIjlEEPsPlSF_S6_NS0_8equal_toIsEEEE10hipError_tPvRmT2_T3_mT4_T5_T6_T7_T8_P12ihipStream_tbENKUlT_T0_E_clISt17integral_constantIbLb0EESY_IbLb1EEEEDaSU_SV_EUlSU_E_NS1_11comp_targetILNS1_3genE5ELNS1_11target_archE942ELNS1_3gpuE9ELNS1_3repE0EEENS1_30default_config_static_selectorELNS0_4arch9wavefront6targetE1EEEvT1_
                                        ; -- End function
	.section	.AMDGPU.csdata,"",@progbits
; Kernel info:
; codeLenInByte = 14488
; NumSgprs: 70
; NumVgprs: 105
; NumAgprs: 0
; TotalNumVgprs: 105
; ScratchSize: 0
; MemoryBound: 0
; FloatMode: 240
; IeeeMode: 1
; LDSByteSize: 28672 bytes/workgroup (compile time only)
; SGPRBlocks: 8
; VGPRBlocks: 13
; NumSGPRsForWavesPerEU: 70
; NumVGPRsForWavesPerEU: 105
; AccumOffset: 108
; Occupancy: 4
; WaveLimiterHint : 1
; COMPUTE_PGM_RSRC2:SCRATCH_EN: 0
; COMPUTE_PGM_RSRC2:USER_SGPR: 2
; COMPUTE_PGM_RSRC2:TRAP_HANDLER: 0
; COMPUTE_PGM_RSRC2:TGID_X_EN: 1
; COMPUTE_PGM_RSRC2:TGID_Y_EN: 0
; COMPUTE_PGM_RSRC2:TGID_Z_EN: 0
; COMPUTE_PGM_RSRC2:TIDIG_COMP_CNT: 0
; COMPUTE_PGM_RSRC3_GFX90A:ACCUM_OFFSET: 26
; COMPUTE_PGM_RSRC3_GFX90A:TG_SPLIT: 0
	.section	.text._ZN7rocprim17ROCPRIM_400000_NS6detail17trampoline_kernelINS0_14default_configENS1_33run_length_encode_config_selectorIsjNS0_4plusIjEEEEZZNS1_33reduce_by_key_impl_wrapped_configILNS1_25lookback_scan_determinismE0ES3_S7_PKsNS0_17constant_iteratorIjlEEPsPlSF_S6_NS0_8equal_toIsEEEE10hipError_tPvRmT2_T3_mT4_T5_T6_T7_T8_P12ihipStream_tbENKUlT_T0_E_clISt17integral_constantIbLb0EESY_IbLb1EEEEDaSU_SV_EUlSU_E_NS1_11comp_targetILNS1_3genE4ELNS1_11target_archE910ELNS1_3gpuE8ELNS1_3repE0EEENS1_30default_config_static_selectorELNS0_4arch9wavefront6targetE1EEEvT1_,"axG",@progbits,_ZN7rocprim17ROCPRIM_400000_NS6detail17trampoline_kernelINS0_14default_configENS1_33run_length_encode_config_selectorIsjNS0_4plusIjEEEEZZNS1_33reduce_by_key_impl_wrapped_configILNS1_25lookback_scan_determinismE0ES3_S7_PKsNS0_17constant_iteratorIjlEEPsPlSF_S6_NS0_8equal_toIsEEEE10hipError_tPvRmT2_T3_mT4_T5_T6_T7_T8_P12ihipStream_tbENKUlT_T0_E_clISt17integral_constantIbLb0EESY_IbLb1EEEEDaSU_SV_EUlSU_E_NS1_11comp_targetILNS1_3genE4ELNS1_11target_archE910ELNS1_3gpuE8ELNS1_3repE0EEENS1_30default_config_static_selectorELNS0_4arch9wavefront6targetE1EEEvT1_,comdat
	.protected	_ZN7rocprim17ROCPRIM_400000_NS6detail17trampoline_kernelINS0_14default_configENS1_33run_length_encode_config_selectorIsjNS0_4plusIjEEEEZZNS1_33reduce_by_key_impl_wrapped_configILNS1_25lookback_scan_determinismE0ES3_S7_PKsNS0_17constant_iteratorIjlEEPsPlSF_S6_NS0_8equal_toIsEEEE10hipError_tPvRmT2_T3_mT4_T5_T6_T7_T8_P12ihipStream_tbENKUlT_T0_E_clISt17integral_constantIbLb0EESY_IbLb1EEEEDaSU_SV_EUlSU_E_NS1_11comp_targetILNS1_3genE4ELNS1_11target_archE910ELNS1_3gpuE8ELNS1_3repE0EEENS1_30default_config_static_selectorELNS0_4arch9wavefront6targetE1EEEvT1_ ; -- Begin function _ZN7rocprim17ROCPRIM_400000_NS6detail17trampoline_kernelINS0_14default_configENS1_33run_length_encode_config_selectorIsjNS0_4plusIjEEEEZZNS1_33reduce_by_key_impl_wrapped_configILNS1_25lookback_scan_determinismE0ES3_S7_PKsNS0_17constant_iteratorIjlEEPsPlSF_S6_NS0_8equal_toIsEEEE10hipError_tPvRmT2_T3_mT4_T5_T6_T7_T8_P12ihipStream_tbENKUlT_T0_E_clISt17integral_constantIbLb0EESY_IbLb1EEEEDaSU_SV_EUlSU_E_NS1_11comp_targetILNS1_3genE4ELNS1_11target_archE910ELNS1_3gpuE8ELNS1_3repE0EEENS1_30default_config_static_selectorELNS0_4arch9wavefront6targetE1EEEvT1_
	.globl	_ZN7rocprim17ROCPRIM_400000_NS6detail17trampoline_kernelINS0_14default_configENS1_33run_length_encode_config_selectorIsjNS0_4plusIjEEEEZZNS1_33reduce_by_key_impl_wrapped_configILNS1_25lookback_scan_determinismE0ES3_S7_PKsNS0_17constant_iteratorIjlEEPsPlSF_S6_NS0_8equal_toIsEEEE10hipError_tPvRmT2_T3_mT4_T5_T6_T7_T8_P12ihipStream_tbENKUlT_T0_E_clISt17integral_constantIbLb0EESY_IbLb1EEEEDaSU_SV_EUlSU_E_NS1_11comp_targetILNS1_3genE4ELNS1_11target_archE910ELNS1_3gpuE8ELNS1_3repE0EEENS1_30default_config_static_selectorELNS0_4arch9wavefront6targetE1EEEvT1_
	.p2align	8
	.type	_ZN7rocprim17ROCPRIM_400000_NS6detail17trampoline_kernelINS0_14default_configENS1_33run_length_encode_config_selectorIsjNS0_4plusIjEEEEZZNS1_33reduce_by_key_impl_wrapped_configILNS1_25lookback_scan_determinismE0ES3_S7_PKsNS0_17constant_iteratorIjlEEPsPlSF_S6_NS0_8equal_toIsEEEE10hipError_tPvRmT2_T3_mT4_T5_T6_T7_T8_P12ihipStream_tbENKUlT_T0_E_clISt17integral_constantIbLb0EESY_IbLb1EEEEDaSU_SV_EUlSU_E_NS1_11comp_targetILNS1_3genE4ELNS1_11target_archE910ELNS1_3gpuE8ELNS1_3repE0EEENS1_30default_config_static_selectorELNS0_4arch9wavefront6targetE1EEEvT1_,@function
_ZN7rocprim17ROCPRIM_400000_NS6detail17trampoline_kernelINS0_14default_configENS1_33run_length_encode_config_selectorIsjNS0_4plusIjEEEEZZNS1_33reduce_by_key_impl_wrapped_configILNS1_25lookback_scan_determinismE0ES3_S7_PKsNS0_17constant_iteratorIjlEEPsPlSF_S6_NS0_8equal_toIsEEEE10hipError_tPvRmT2_T3_mT4_T5_T6_T7_T8_P12ihipStream_tbENKUlT_T0_E_clISt17integral_constantIbLb0EESY_IbLb1EEEEDaSU_SV_EUlSU_E_NS1_11comp_targetILNS1_3genE4ELNS1_11target_archE910ELNS1_3gpuE8ELNS1_3repE0EEENS1_30default_config_static_selectorELNS0_4arch9wavefront6targetE1EEEvT1_: ; @_ZN7rocprim17ROCPRIM_400000_NS6detail17trampoline_kernelINS0_14default_configENS1_33run_length_encode_config_selectorIsjNS0_4plusIjEEEEZZNS1_33reduce_by_key_impl_wrapped_configILNS1_25lookback_scan_determinismE0ES3_S7_PKsNS0_17constant_iteratorIjlEEPsPlSF_S6_NS0_8equal_toIsEEEE10hipError_tPvRmT2_T3_mT4_T5_T6_T7_T8_P12ihipStream_tbENKUlT_T0_E_clISt17integral_constantIbLb0EESY_IbLb1EEEEDaSU_SV_EUlSU_E_NS1_11comp_targetILNS1_3genE4ELNS1_11target_archE910ELNS1_3gpuE8ELNS1_3repE0EEENS1_30default_config_static_selectorELNS0_4arch9wavefront6targetE1EEEvT1_
; %bb.0:
	.section	.rodata,"a",@progbits
	.p2align	6, 0x0
	.amdhsa_kernel _ZN7rocprim17ROCPRIM_400000_NS6detail17trampoline_kernelINS0_14default_configENS1_33run_length_encode_config_selectorIsjNS0_4plusIjEEEEZZNS1_33reduce_by_key_impl_wrapped_configILNS1_25lookback_scan_determinismE0ES3_S7_PKsNS0_17constant_iteratorIjlEEPsPlSF_S6_NS0_8equal_toIsEEEE10hipError_tPvRmT2_T3_mT4_T5_T6_T7_T8_P12ihipStream_tbENKUlT_T0_E_clISt17integral_constantIbLb0EESY_IbLb1EEEEDaSU_SV_EUlSU_E_NS1_11comp_targetILNS1_3genE4ELNS1_11target_archE910ELNS1_3gpuE8ELNS1_3repE0EEENS1_30default_config_static_selectorELNS0_4arch9wavefront6targetE1EEEvT1_
		.amdhsa_group_segment_fixed_size 0
		.amdhsa_private_segment_fixed_size 0
		.amdhsa_kernarg_size 128
		.amdhsa_user_sgpr_count 2
		.amdhsa_user_sgpr_dispatch_ptr 0
		.amdhsa_user_sgpr_queue_ptr 0
		.amdhsa_user_sgpr_kernarg_segment_ptr 1
		.amdhsa_user_sgpr_dispatch_id 0
		.amdhsa_user_sgpr_kernarg_preload_length 0
		.amdhsa_user_sgpr_kernarg_preload_offset 0
		.amdhsa_user_sgpr_private_segment_size 0
		.amdhsa_uses_dynamic_stack 0
		.amdhsa_enable_private_segment 0
		.amdhsa_system_sgpr_workgroup_id_x 1
		.amdhsa_system_sgpr_workgroup_id_y 0
		.amdhsa_system_sgpr_workgroup_id_z 0
		.amdhsa_system_sgpr_workgroup_info 0
		.amdhsa_system_vgpr_workitem_id 0
		.amdhsa_next_free_vgpr 1
		.amdhsa_next_free_sgpr 0
		.amdhsa_accum_offset 4
		.amdhsa_reserve_vcc 0
		.amdhsa_float_round_mode_32 0
		.amdhsa_float_round_mode_16_64 0
		.amdhsa_float_denorm_mode_32 3
		.amdhsa_float_denorm_mode_16_64 3
		.amdhsa_dx10_clamp 1
		.amdhsa_ieee_mode 1
		.amdhsa_fp16_overflow 0
		.amdhsa_tg_split 0
		.amdhsa_exception_fp_ieee_invalid_op 0
		.amdhsa_exception_fp_denorm_src 0
		.amdhsa_exception_fp_ieee_div_zero 0
		.amdhsa_exception_fp_ieee_overflow 0
		.amdhsa_exception_fp_ieee_underflow 0
		.amdhsa_exception_fp_ieee_inexact 0
		.amdhsa_exception_int_div_zero 0
	.end_amdhsa_kernel
	.section	.text._ZN7rocprim17ROCPRIM_400000_NS6detail17trampoline_kernelINS0_14default_configENS1_33run_length_encode_config_selectorIsjNS0_4plusIjEEEEZZNS1_33reduce_by_key_impl_wrapped_configILNS1_25lookback_scan_determinismE0ES3_S7_PKsNS0_17constant_iteratorIjlEEPsPlSF_S6_NS0_8equal_toIsEEEE10hipError_tPvRmT2_T3_mT4_T5_T6_T7_T8_P12ihipStream_tbENKUlT_T0_E_clISt17integral_constantIbLb0EESY_IbLb1EEEEDaSU_SV_EUlSU_E_NS1_11comp_targetILNS1_3genE4ELNS1_11target_archE910ELNS1_3gpuE8ELNS1_3repE0EEENS1_30default_config_static_selectorELNS0_4arch9wavefront6targetE1EEEvT1_,"axG",@progbits,_ZN7rocprim17ROCPRIM_400000_NS6detail17trampoline_kernelINS0_14default_configENS1_33run_length_encode_config_selectorIsjNS0_4plusIjEEEEZZNS1_33reduce_by_key_impl_wrapped_configILNS1_25lookback_scan_determinismE0ES3_S7_PKsNS0_17constant_iteratorIjlEEPsPlSF_S6_NS0_8equal_toIsEEEE10hipError_tPvRmT2_T3_mT4_T5_T6_T7_T8_P12ihipStream_tbENKUlT_T0_E_clISt17integral_constantIbLb0EESY_IbLb1EEEEDaSU_SV_EUlSU_E_NS1_11comp_targetILNS1_3genE4ELNS1_11target_archE910ELNS1_3gpuE8ELNS1_3repE0EEENS1_30default_config_static_selectorELNS0_4arch9wavefront6targetE1EEEvT1_,comdat
.Lfunc_end609:
	.size	_ZN7rocprim17ROCPRIM_400000_NS6detail17trampoline_kernelINS0_14default_configENS1_33run_length_encode_config_selectorIsjNS0_4plusIjEEEEZZNS1_33reduce_by_key_impl_wrapped_configILNS1_25lookback_scan_determinismE0ES3_S7_PKsNS0_17constant_iteratorIjlEEPsPlSF_S6_NS0_8equal_toIsEEEE10hipError_tPvRmT2_T3_mT4_T5_T6_T7_T8_P12ihipStream_tbENKUlT_T0_E_clISt17integral_constantIbLb0EESY_IbLb1EEEEDaSU_SV_EUlSU_E_NS1_11comp_targetILNS1_3genE4ELNS1_11target_archE910ELNS1_3gpuE8ELNS1_3repE0EEENS1_30default_config_static_selectorELNS0_4arch9wavefront6targetE1EEEvT1_, .Lfunc_end609-_ZN7rocprim17ROCPRIM_400000_NS6detail17trampoline_kernelINS0_14default_configENS1_33run_length_encode_config_selectorIsjNS0_4plusIjEEEEZZNS1_33reduce_by_key_impl_wrapped_configILNS1_25lookback_scan_determinismE0ES3_S7_PKsNS0_17constant_iteratorIjlEEPsPlSF_S6_NS0_8equal_toIsEEEE10hipError_tPvRmT2_T3_mT4_T5_T6_T7_T8_P12ihipStream_tbENKUlT_T0_E_clISt17integral_constantIbLb0EESY_IbLb1EEEEDaSU_SV_EUlSU_E_NS1_11comp_targetILNS1_3genE4ELNS1_11target_archE910ELNS1_3gpuE8ELNS1_3repE0EEENS1_30default_config_static_selectorELNS0_4arch9wavefront6targetE1EEEvT1_
                                        ; -- End function
	.section	.AMDGPU.csdata,"",@progbits
; Kernel info:
; codeLenInByte = 0
; NumSgprs: 6
; NumVgprs: 0
; NumAgprs: 0
; TotalNumVgprs: 0
; ScratchSize: 0
; MemoryBound: 0
; FloatMode: 240
; IeeeMode: 1
; LDSByteSize: 0 bytes/workgroup (compile time only)
; SGPRBlocks: 0
; VGPRBlocks: 0
; NumSGPRsForWavesPerEU: 6
; NumVGPRsForWavesPerEU: 1
; AccumOffset: 4
; Occupancy: 8
; WaveLimiterHint : 0
; COMPUTE_PGM_RSRC2:SCRATCH_EN: 0
; COMPUTE_PGM_RSRC2:USER_SGPR: 2
; COMPUTE_PGM_RSRC2:TRAP_HANDLER: 0
; COMPUTE_PGM_RSRC2:TGID_X_EN: 1
; COMPUTE_PGM_RSRC2:TGID_Y_EN: 0
; COMPUTE_PGM_RSRC2:TGID_Z_EN: 0
; COMPUTE_PGM_RSRC2:TIDIG_COMP_CNT: 0
; COMPUTE_PGM_RSRC3_GFX90A:ACCUM_OFFSET: 0
; COMPUTE_PGM_RSRC3_GFX90A:TG_SPLIT: 0
	.section	.text._ZN7rocprim17ROCPRIM_400000_NS6detail17trampoline_kernelINS0_14default_configENS1_33run_length_encode_config_selectorIsjNS0_4plusIjEEEEZZNS1_33reduce_by_key_impl_wrapped_configILNS1_25lookback_scan_determinismE0ES3_S7_PKsNS0_17constant_iteratorIjlEEPsPlSF_S6_NS0_8equal_toIsEEEE10hipError_tPvRmT2_T3_mT4_T5_T6_T7_T8_P12ihipStream_tbENKUlT_T0_E_clISt17integral_constantIbLb0EESY_IbLb1EEEEDaSU_SV_EUlSU_E_NS1_11comp_targetILNS1_3genE3ELNS1_11target_archE908ELNS1_3gpuE7ELNS1_3repE0EEENS1_30default_config_static_selectorELNS0_4arch9wavefront6targetE1EEEvT1_,"axG",@progbits,_ZN7rocprim17ROCPRIM_400000_NS6detail17trampoline_kernelINS0_14default_configENS1_33run_length_encode_config_selectorIsjNS0_4plusIjEEEEZZNS1_33reduce_by_key_impl_wrapped_configILNS1_25lookback_scan_determinismE0ES3_S7_PKsNS0_17constant_iteratorIjlEEPsPlSF_S6_NS0_8equal_toIsEEEE10hipError_tPvRmT2_T3_mT4_T5_T6_T7_T8_P12ihipStream_tbENKUlT_T0_E_clISt17integral_constantIbLb0EESY_IbLb1EEEEDaSU_SV_EUlSU_E_NS1_11comp_targetILNS1_3genE3ELNS1_11target_archE908ELNS1_3gpuE7ELNS1_3repE0EEENS1_30default_config_static_selectorELNS0_4arch9wavefront6targetE1EEEvT1_,comdat
	.protected	_ZN7rocprim17ROCPRIM_400000_NS6detail17trampoline_kernelINS0_14default_configENS1_33run_length_encode_config_selectorIsjNS0_4plusIjEEEEZZNS1_33reduce_by_key_impl_wrapped_configILNS1_25lookback_scan_determinismE0ES3_S7_PKsNS0_17constant_iteratorIjlEEPsPlSF_S6_NS0_8equal_toIsEEEE10hipError_tPvRmT2_T3_mT4_T5_T6_T7_T8_P12ihipStream_tbENKUlT_T0_E_clISt17integral_constantIbLb0EESY_IbLb1EEEEDaSU_SV_EUlSU_E_NS1_11comp_targetILNS1_3genE3ELNS1_11target_archE908ELNS1_3gpuE7ELNS1_3repE0EEENS1_30default_config_static_selectorELNS0_4arch9wavefront6targetE1EEEvT1_ ; -- Begin function _ZN7rocprim17ROCPRIM_400000_NS6detail17trampoline_kernelINS0_14default_configENS1_33run_length_encode_config_selectorIsjNS0_4plusIjEEEEZZNS1_33reduce_by_key_impl_wrapped_configILNS1_25lookback_scan_determinismE0ES3_S7_PKsNS0_17constant_iteratorIjlEEPsPlSF_S6_NS0_8equal_toIsEEEE10hipError_tPvRmT2_T3_mT4_T5_T6_T7_T8_P12ihipStream_tbENKUlT_T0_E_clISt17integral_constantIbLb0EESY_IbLb1EEEEDaSU_SV_EUlSU_E_NS1_11comp_targetILNS1_3genE3ELNS1_11target_archE908ELNS1_3gpuE7ELNS1_3repE0EEENS1_30default_config_static_selectorELNS0_4arch9wavefront6targetE1EEEvT1_
	.globl	_ZN7rocprim17ROCPRIM_400000_NS6detail17trampoline_kernelINS0_14default_configENS1_33run_length_encode_config_selectorIsjNS0_4plusIjEEEEZZNS1_33reduce_by_key_impl_wrapped_configILNS1_25lookback_scan_determinismE0ES3_S7_PKsNS0_17constant_iteratorIjlEEPsPlSF_S6_NS0_8equal_toIsEEEE10hipError_tPvRmT2_T3_mT4_T5_T6_T7_T8_P12ihipStream_tbENKUlT_T0_E_clISt17integral_constantIbLb0EESY_IbLb1EEEEDaSU_SV_EUlSU_E_NS1_11comp_targetILNS1_3genE3ELNS1_11target_archE908ELNS1_3gpuE7ELNS1_3repE0EEENS1_30default_config_static_selectorELNS0_4arch9wavefront6targetE1EEEvT1_
	.p2align	8
	.type	_ZN7rocprim17ROCPRIM_400000_NS6detail17trampoline_kernelINS0_14default_configENS1_33run_length_encode_config_selectorIsjNS0_4plusIjEEEEZZNS1_33reduce_by_key_impl_wrapped_configILNS1_25lookback_scan_determinismE0ES3_S7_PKsNS0_17constant_iteratorIjlEEPsPlSF_S6_NS0_8equal_toIsEEEE10hipError_tPvRmT2_T3_mT4_T5_T6_T7_T8_P12ihipStream_tbENKUlT_T0_E_clISt17integral_constantIbLb0EESY_IbLb1EEEEDaSU_SV_EUlSU_E_NS1_11comp_targetILNS1_3genE3ELNS1_11target_archE908ELNS1_3gpuE7ELNS1_3repE0EEENS1_30default_config_static_selectorELNS0_4arch9wavefront6targetE1EEEvT1_,@function
_ZN7rocprim17ROCPRIM_400000_NS6detail17trampoline_kernelINS0_14default_configENS1_33run_length_encode_config_selectorIsjNS0_4plusIjEEEEZZNS1_33reduce_by_key_impl_wrapped_configILNS1_25lookback_scan_determinismE0ES3_S7_PKsNS0_17constant_iteratorIjlEEPsPlSF_S6_NS0_8equal_toIsEEEE10hipError_tPvRmT2_T3_mT4_T5_T6_T7_T8_P12ihipStream_tbENKUlT_T0_E_clISt17integral_constantIbLb0EESY_IbLb1EEEEDaSU_SV_EUlSU_E_NS1_11comp_targetILNS1_3genE3ELNS1_11target_archE908ELNS1_3gpuE7ELNS1_3repE0EEENS1_30default_config_static_selectorELNS0_4arch9wavefront6targetE1EEEvT1_: ; @_ZN7rocprim17ROCPRIM_400000_NS6detail17trampoline_kernelINS0_14default_configENS1_33run_length_encode_config_selectorIsjNS0_4plusIjEEEEZZNS1_33reduce_by_key_impl_wrapped_configILNS1_25lookback_scan_determinismE0ES3_S7_PKsNS0_17constant_iteratorIjlEEPsPlSF_S6_NS0_8equal_toIsEEEE10hipError_tPvRmT2_T3_mT4_T5_T6_T7_T8_P12ihipStream_tbENKUlT_T0_E_clISt17integral_constantIbLb0EESY_IbLb1EEEEDaSU_SV_EUlSU_E_NS1_11comp_targetILNS1_3genE3ELNS1_11target_archE908ELNS1_3gpuE7ELNS1_3repE0EEENS1_30default_config_static_selectorELNS0_4arch9wavefront6targetE1EEEvT1_
; %bb.0:
	.section	.rodata,"a",@progbits
	.p2align	6, 0x0
	.amdhsa_kernel _ZN7rocprim17ROCPRIM_400000_NS6detail17trampoline_kernelINS0_14default_configENS1_33run_length_encode_config_selectorIsjNS0_4plusIjEEEEZZNS1_33reduce_by_key_impl_wrapped_configILNS1_25lookback_scan_determinismE0ES3_S7_PKsNS0_17constant_iteratorIjlEEPsPlSF_S6_NS0_8equal_toIsEEEE10hipError_tPvRmT2_T3_mT4_T5_T6_T7_T8_P12ihipStream_tbENKUlT_T0_E_clISt17integral_constantIbLb0EESY_IbLb1EEEEDaSU_SV_EUlSU_E_NS1_11comp_targetILNS1_3genE3ELNS1_11target_archE908ELNS1_3gpuE7ELNS1_3repE0EEENS1_30default_config_static_selectorELNS0_4arch9wavefront6targetE1EEEvT1_
		.amdhsa_group_segment_fixed_size 0
		.amdhsa_private_segment_fixed_size 0
		.amdhsa_kernarg_size 128
		.amdhsa_user_sgpr_count 2
		.amdhsa_user_sgpr_dispatch_ptr 0
		.amdhsa_user_sgpr_queue_ptr 0
		.amdhsa_user_sgpr_kernarg_segment_ptr 1
		.amdhsa_user_sgpr_dispatch_id 0
		.amdhsa_user_sgpr_kernarg_preload_length 0
		.amdhsa_user_sgpr_kernarg_preload_offset 0
		.amdhsa_user_sgpr_private_segment_size 0
		.amdhsa_uses_dynamic_stack 0
		.amdhsa_enable_private_segment 0
		.amdhsa_system_sgpr_workgroup_id_x 1
		.amdhsa_system_sgpr_workgroup_id_y 0
		.amdhsa_system_sgpr_workgroup_id_z 0
		.amdhsa_system_sgpr_workgroup_info 0
		.amdhsa_system_vgpr_workitem_id 0
		.amdhsa_next_free_vgpr 1
		.amdhsa_next_free_sgpr 0
		.amdhsa_accum_offset 4
		.amdhsa_reserve_vcc 0
		.amdhsa_float_round_mode_32 0
		.amdhsa_float_round_mode_16_64 0
		.amdhsa_float_denorm_mode_32 3
		.amdhsa_float_denorm_mode_16_64 3
		.amdhsa_dx10_clamp 1
		.amdhsa_ieee_mode 1
		.amdhsa_fp16_overflow 0
		.amdhsa_tg_split 0
		.amdhsa_exception_fp_ieee_invalid_op 0
		.amdhsa_exception_fp_denorm_src 0
		.amdhsa_exception_fp_ieee_div_zero 0
		.amdhsa_exception_fp_ieee_overflow 0
		.amdhsa_exception_fp_ieee_underflow 0
		.amdhsa_exception_fp_ieee_inexact 0
		.amdhsa_exception_int_div_zero 0
	.end_amdhsa_kernel
	.section	.text._ZN7rocprim17ROCPRIM_400000_NS6detail17trampoline_kernelINS0_14default_configENS1_33run_length_encode_config_selectorIsjNS0_4plusIjEEEEZZNS1_33reduce_by_key_impl_wrapped_configILNS1_25lookback_scan_determinismE0ES3_S7_PKsNS0_17constant_iteratorIjlEEPsPlSF_S6_NS0_8equal_toIsEEEE10hipError_tPvRmT2_T3_mT4_T5_T6_T7_T8_P12ihipStream_tbENKUlT_T0_E_clISt17integral_constantIbLb0EESY_IbLb1EEEEDaSU_SV_EUlSU_E_NS1_11comp_targetILNS1_3genE3ELNS1_11target_archE908ELNS1_3gpuE7ELNS1_3repE0EEENS1_30default_config_static_selectorELNS0_4arch9wavefront6targetE1EEEvT1_,"axG",@progbits,_ZN7rocprim17ROCPRIM_400000_NS6detail17trampoline_kernelINS0_14default_configENS1_33run_length_encode_config_selectorIsjNS0_4plusIjEEEEZZNS1_33reduce_by_key_impl_wrapped_configILNS1_25lookback_scan_determinismE0ES3_S7_PKsNS0_17constant_iteratorIjlEEPsPlSF_S6_NS0_8equal_toIsEEEE10hipError_tPvRmT2_T3_mT4_T5_T6_T7_T8_P12ihipStream_tbENKUlT_T0_E_clISt17integral_constantIbLb0EESY_IbLb1EEEEDaSU_SV_EUlSU_E_NS1_11comp_targetILNS1_3genE3ELNS1_11target_archE908ELNS1_3gpuE7ELNS1_3repE0EEENS1_30default_config_static_selectorELNS0_4arch9wavefront6targetE1EEEvT1_,comdat
.Lfunc_end610:
	.size	_ZN7rocprim17ROCPRIM_400000_NS6detail17trampoline_kernelINS0_14default_configENS1_33run_length_encode_config_selectorIsjNS0_4plusIjEEEEZZNS1_33reduce_by_key_impl_wrapped_configILNS1_25lookback_scan_determinismE0ES3_S7_PKsNS0_17constant_iteratorIjlEEPsPlSF_S6_NS0_8equal_toIsEEEE10hipError_tPvRmT2_T3_mT4_T5_T6_T7_T8_P12ihipStream_tbENKUlT_T0_E_clISt17integral_constantIbLb0EESY_IbLb1EEEEDaSU_SV_EUlSU_E_NS1_11comp_targetILNS1_3genE3ELNS1_11target_archE908ELNS1_3gpuE7ELNS1_3repE0EEENS1_30default_config_static_selectorELNS0_4arch9wavefront6targetE1EEEvT1_, .Lfunc_end610-_ZN7rocprim17ROCPRIM_400000_NS6detail17trampoline_kernelINS0_14default_configENS1_33run_length_encode_config_selectorIsjNS0_4plusIjEEEEZZNS1_33reduce_by_key_impl_wrapped_configILNS1_25lookback_scan_determinismE0ES3_S7_PKsNS0_17constant_iteratorIjlEEPsPlSF_S6_NS0_8equal_toIsEEEE10hipError_tPvRmT2_T3_mT4_T5_T6_T7_T8_P12ihipStream_tbENKUlT_T0_E_clISt17integral_constantIbLb0EESY_IbLb1EEEEDaSU_SV_EUlSU_E_NS1_11comp_targetILNS1_3genE3ELNS1_11target_archE908ELNS1_3gpuE7ELNS1_3repE0EEENS1_30default_config_static_selectorELNS0_4arch9wavefront6targetE1EEEvT1_
                                        ; -- End function
	.section	.AMDGPU.csdata,"",@progbits
; Kernel info:
; codeLenInByte = 0
; NumSgprs: 6
; NumVgprs: 0
; NumAgprs: 0
; TotalNumVgprs: 0
; ScratchSize: 0
; MemoryBound: 0
; FloatMode: 240
; IeeeMode: 1
; LDSByteSize: 0 bytes/workgroup (compile time only)
; SGPRBlocks: 0
; VGPRBlocks: 0
; NumSGPRsForWavesPerEU: 6
; NumVGPRsForWavesPerEU: 1
; AccumOffset: 4
; Occupancy: 8
; WaveLimiterHint : 0
; COMPUTE_PGM_RSRC2:SCRATCH_EN: 0
; COMPUTE_PGM_RSRC2:USER_SGPR: 2
; COMPUTE_PGM_RSRC2:TRAP_HANDLER: 0
; COMPUTE_PGM_RSRC2:TGID_X_EN: 1
; COMPUTE_PGM_RSRC2:TGID_Y_EN: 0
; COMPUTE_PGM_RSRC2:TGID_Z_EN: 0
; COMPUTE_PGM_RSRC2:TIDIG_COMP_CNT: 0
; COMPUTE_PGM_RSRC3_GFX90A:ACCUM_OFFSET: 0
; COMPUTE_PGM_RSRC3_GFX90A:TG_SPLIT: 0
	.section	.text._ZN7rocprim17ROCPRIM_400000_NS6detail17trampoline_kernelINS0_14default_configENS1_33run_length_encode_config_selectorIsjNS0_4plusIjEEEEZZNS1_33reduce_by_key_impl_wrapped_configILNS1_25lookback_scan_determinismE0ES3_S7_PKsNS0_17constant_iteratorIjlEEPsPlSF_S6_NS0_8equal_toIsEEEE10hipError_tPvRmT2_T3_mT4_T5_T6_T7_T8_P12ihipStream_tbENKUlT_T0_E_clISt17integral_constantIbLb0EESY_IbLb1EEEEDaSU_SV_EUlSU_E_NS1_11comp_targetILNS1_3genE2ELNS1_11target_archE906ELNS1_3gpuE6ELNS1_3repE0EEENS1_30default_config_static_selectorELNS0_4arch9wavefront6targetE1EEEvT1_,"axG",@progbits,_ZN7rocprim17ROCPRIM_400000_NS6detail17trampoline_kernelINS0_14default_configENS1_33run_length_encode_config_selectorIsjNS0_4plusIjEEEEZZNS1_33reduce_by_key_impl_wrapped_configILNS1_25lookback_scan_determinismE0ES3_S7_PKsNS0_17constant_iteratorIjlEEPsPlSF_S6_NS0_8equal_toIsEEEE10hipError_tPvRmT2_T3_mT4_T5_T6_T7_T8_P12ihipStream_tbENKUlT_T0_E_clISt17integral_constantIbLb0EESY_IbLb1EEEEDaSU_SV_EUlSU_E_NS1_11comp_targetILNS1_3genE2ELNS1_11target_archE906ELNS1_3gpuE6ELNS1_3repE0EEENS1_30default_config_static_selectorELNS0_4arch9wavefront6targetE1EEEvT1_,comdat
	.protected	_ZN7rocprim17ROCPRIM_400000_NS6detail17trampoline_kernelINS0_14default_configENS1_33run_length_encode_config_selectorIsjNS0_4plusIjEEEEZZNS1_33reduce_by_key_impl_wrapped_configILNS1_25lookback_scan_determinismE0ES3_S7_PKsNS0_17constant_iteratorIjlEEPsPlSF_S6_NS0_8equal_toIsEEEE10hipError_tPvRmT2_T3_mT4_T5_T6_T7_T8_P12ihipStream_tbENKUlT_T0_E_clISt17integral_constantIbLb0EESY_IbLb1EEEEDaSU_SV_EUlSU_E_NS1_11comp_targetILNS1_3genE2ELNS1_11target_archE906ELNS1_3gpuE6ELNS1_3repE0EEENS1_30default_config_static_selectorELNS0_4arch9wavefront6targetE1EEEvT1_ ; -- Begin function _ZN7rocprim17ROCPRIM_400000_NS6detail17trampoline_kernelINS0_14default_configENS1_33run_length_encode_config_selectorIsjNS0_4plusIjEEEEZZNS1_33reduce_by_key_impl_wrapped_configILNS1_25lookback_scan_determinismE0ES3_S7_PKsNS0_17constant_iteratorIjlEEPsPlSF_S6_NS0_8equal_toIsEEEE10hipError_tPvRmT2_T3_mT4_T5_T6_T7_T8_P12ihipStream_tbENKUlT_T0_E_clISt17integral_constantIbLb0EESY_IbLb1EEEEDaSU_SV_EUlSU_E_NS1_11comp_targetILNS1_3genE2ELNS1_11target_archE906ELNS1_3gpuE6ELNS1_3repE0EEENS1_30default_config_static_selectorELNS0_4arch9wavefront6targetE1EEEvT1_
	.globl	_ZN7rocprim17ROCPRIM_400000_NS6detail17trampoline_kernelINS0_14default_configENS1_33run_length_encode_config_selectorIsjNS0_4plusIjEEEEZZNS1_33reduce_by_key_impl_wrapped_configILNS1_25lookback_scan_determinismE0ES3_S7_PKsNS0_17constant_iteratorIjlEEPsPlSF_S6_NS0_8equal_toIsEEEE10hipError_tPvRmT2_T3_mT4_T5_T6_T7_T8_P12ihipStream_tbENKUlT_T0_E_clISt17integral_constantIbLb0EESY_IbLb1EEEEDaSU_SV_EUlSU_E_NS1_11comp_targetILNS1_3genE2ELNS1_11target_archE906ELNS1_3gpuE6ELNS1_3repE0EEENS1_30default_config_static_selectorELNS0_4arch9wavefront6targetE1EEEvT1_
	.p2align	8
	.type	_ZN7rocprim17ROCPRIM_400000_NS6detail17trampoline_kernelINS0_14default_configENS1_33run_length_encode_config_selectorIsjNS0_4plusIjEEEEZZNS1_33reduce_by_key_impl_wrapped_configILNS1_25lookback_scan_determinismE0ES3_S7_PKsNS0_17constant_iteratorIjlEEPsPlSF_S6_NS0_8equal_toIsEEEE10hipError_tPvRmT2_T3_mT4_T5_T6_T7_T8_P12ihipStream_tbENKUlT_T0_E_clISt17integral_constantIbLb0EESY_IbLb1EEEEDaSU_SV_EUlSU_E_NS1_11comp_targetILNS1_3genE2ELNS1_11target_archE906ELNS1_3gpuE6ELNS1_3repE0EEENS1_30default_config_static_selectorELNS0_4arch9wavefront6targetE1EEEvT1_,@function
_ZN7rocprim17ROCPRIM_400000_NS6detail17trampoline_kernelINS0_14default_configENS1_33run_length_encode_config_selectorIsjNS0_4plusIjEEEEZZNS1_33reduce_by_key_impl_wrapped_configILNS1_25lookback_scan_determinismE0ES3_S7_PKsNS0_17constant_iteratorIjlEEPsPlSF_S6_NS0_8equal_toIsEEEE10hipError_tPvRmT2_T3_mT4_T5_T6_T7_T8_P12ihipStream_tbENKUlT_T0_E_clISt17integral_constantIbLb0EESY_IbLb1EEEEDaSU_SV_EUlSU_E_NS1_11comp_targetILNS1_3genE2ELNS1_11target_archE906ELNS1_3gpuE6ELNS1_3repE0EEENS1_30default_config_static_selectorELNS0_4arch9wavefront6targetE1EEEvT1_: ; @_ZN7rocprim17ROCPRIM_400000_NS6detail17trampoline_kernelINS0_14default_configENS1_33run_length_encode_config_selectorIsjNS0_4plusIjEEEEZZNS1_33reduce_by_key_impl_wrapped_configILNS1_25lookback_scan_determinismE0ES3_S7_PKsNS0_17constant_iteratorIjlEEPsPlSF_S6_NS0_8equal_toIsEEEE10hipError_tPvRmT2_T3_mT4_T5_T6_T7_T8_P12ihipStream_tbENKUlT_T0_E_clISt17integral_constantIbLb0EESY_IbLb1EEEEDaSU_SV_EUlSU_E_NS1_11comp_targetILNS1_3genE2ELNS1_11target_archE906ELNS1_3gpuE6ELNS1_3repE0EEENS1_30default_config_static_selectorELNS0_4arch9wavefront6targetE1EEEvT1_
; %bb.0:
	.section	.rodata,"a",@progbits
	.p2align	6, 0x0
	.amdhsa_kernel _ZN7rocprim17ROCPRIM_400000_NS6detail17trampoline_kernelINS0_14default_configENS1_33run_length_encode_config_selectorIsjNS0_4plusIjEEEEZZNS1_33reduce_by_key_impl_wrapped_configILNS1_25lookback_scan_determinismE0ES3_S7_PKsNS0_17constant_iteratorIjlEEPsPlSF_S6_NS0_8equal_toIsEEEE10hipError_tPvRmT2_T3_mT4_T5_T6_T7_T8_P12ihipStream_tbENKUlT_T0_E_clISt17integral_constantIbLb0EESY_IbLb1EEEEDaSU_SV_EUlSU_E_NS1_11comp_targetILNS1_3genE2ELNS1_11target_archE906ELNS1_3gpuE6ELNS1_3repE0EEENS1_30default_config_static_selectorELNS0_4arch9wavefront6targetE1EEEvT1_
		.amdhsa_group_segment_fixed_size 0
		.amdhsa_private_segment_fixed_size 0
		.amdhsa_kernarg_size 128
		.amdhsa_user_sgpr_count 2
		.amdhsa_user_sgpr_dispatch_ptr 0
		.amdhsa_user_sgpr_queue_ptr 0
		.amdhsa_user_sgpr_kernarg_segment_ptr 1
		.amdhsa_user_sgpr_dispatch_id 0
		.amdhsa_user_sgpr_kernarg_preload_length 0
		.amdhsa_user_sgpr_kernarg_preload_offset 0
		.amdhsa_user_sgpr_private_segment_size 0
		.amdhsa_uses_dynamic_stack 0
		.amdhsa_enable_private_segment 0
		.amdhsa_system_sgpr_workgroup_id_x 1
		.amdhsa_system_sgpr_workgroup_id_y 0
		.amdhsa_system_sgpr_workgroup_id_z 0
		.amdhsa_system_sgpr_workgroup_info 0
		.amdhsa_system_vgpr_workitem_id 0
		.amdhsa_next_free_vgpr 1
		.amdhsa_next_free_sgpr 0
		.amdhsa_accum_offset 4
		.amdhsa_reserve_vcc 0
		.amdhsa_float_round_mode_32 0
		.amdhsa_float_round_mode_16_64 0
		.amdhsa_float_denorm_mode_32 3
		.amdhsa_float_denorm_mode_16_64 3
		.amdhsa_dx10_clamp 1
		.amdhsa_ieee_mode 1
		.amdhsa_fp16_overflow 0
		.amdhsa_tg_split 0
		.amdhsa_exception_fp_ieee_invalid_op 0
		.amdhsa_exception_fp_denorm_src 0
		.amdhsa_exception_fp_ieee_div_zero 0
		.amdhsa_exception_fp_ieee_overflow 0
		.amdhsa_exception_fp_ieee_underflow 0
		.amdhsa_exception_fp_ieee_inexact 0
		.amdhsa_exception_int_div_zero 0
	.end_amdhsa_kernel
	.section	.text._ZN7rocprim17ROCPRIM_400000_NS6detail17trampoline_kernelINS0_14default_configENS1_33run_length_encode_config_selectorIsjNS0_4plusIjEEEEZZNS1_33reduce_by_key_impl_wrapped_configILNS1_25lookback_scan_determinismE0ES3_S7_PKsNS0_17constant_iteratorIjlEEPsPlSF_S6_NS0_8equal_toIsEEEE10hipError_tPvRmT2_T3_mT4_T5_T6_T7_T8_P12ihipStream_tbENKUlT_T0_E_clISt17integral_constantIbLb0EESY_IbLb1EEEEDaSU_SV_EUlSU_E_NS1_11comp_targetILNS1_3genE2ELNS1_11target_archE906ELNS1_3gpuE6ELNS1_3repE0EEENS1_30default_config_static_selectorELNS0_4arch9wavefront6targetE1EEEvT1_,"axG",@progbits,_ZN7rocprim17ROCPRIM_400000_NS6detail17trampoline_kernelINS0_14default_configENS1_33run_length_encode_config_selectorIsjNS0_4plusIjEEEEZZNS1_33reduce_by_key_impl_wrapped_configILNS1_25lookback_scan_determinismE0ES3_S7_PKsNS0_17constant_iteratorIjlEEPsPlSF_S6_NS0_8equal_toIsEEEE10hipError_tPvRmT2_T3_mT4_T5_T6_T7_T8_P12ihipStream_tbENKUlT_T0_E_clISt17integral_constantIbLb0EESY_IbLb1EEEEDaSU_SV_EUlSU_E_NS1_11comp_targetILNS1_3genE2ELNS1_11target_archE906ELNS1_3gpuE6ELNS1_3repE0EEENS1_30default_config_static_selectorELNS0_4arch9wavefront6targetE1EEEvT1_,comdat
.Lfunc_end611:
	.size	_ZN7rocprim17ROCPRIM_400000_NS6detail17trampoline_kernelINS0_14default_configENS1_33run_length_encode_config_selectorIsjNS0_4plusIjEEEEZZNS1_33reduce_by_key_impl_wrapped_configILNS1_25lookback_scan_determinismE0ES3_S7_PKsNS0_17constant_iteratorIjlEEPsPlSF_S6_NS0_8equal_toIsEEEE10hipError_tPvRmT2_T3_mT4_T5_T6_T7_T8_P12ihipStream_tbENKUlT_T0_E_clISt17integral_constantIbLb0EESY_IbLb1EEEEDaSU_SV_EUlSU_E_NS1_11comp_targetILNS1_3genE2ELNS1_11target_archE906ELNS1_3gpuE6ELNS1_3repE0EEENS1_30default_config_static_selectorELNS0_4arch9wavefront6targetE1EEEvT1_, .Lfunc_end611-_ZN7rocprim17ROCPRIM_400000_NS6detail17trampoline_kernelINS0_14default_configENS1_33run_length_encode_config_selectorIsjNS0_4plusIjEEEEZZNS1_33reduce_by_key_impl_wrapped_configILNS1_25lookback_scan_determinismE0ES3_S7_PKsNS0_17constant_iteratorIjlEEPsPlSF_S6_NS0_8equal_toIsEEEE10hipError_tPvRmT2_T3_mT4_T5_T6_T7_T8_P12ihipStream_tbENKUlT_T0_E_clISt17integral_constantIbLb0EESY_IbLb1EEEEDaSU_SV_EUlSU_E_NS1_11comp_targetILNS1_3genE2ELNS1_11target_archE906ELNS1_3gpuE6ELNS1_3repE0EEENS1_30default_config_static_selectorELNS0_4arch9wavefront6targetE1EEEvT1_
                                        ; -- End function
	.section	.AMDGPU.csdata,"",@progbits
; Kernel info:
; codeLenInByte = 0
; NumSgprs: 6
; NumVgprs: 0
; NumAgprs: 0
; TotalNumVgprs: 0
; ScratchSize: 0
; MemoryBound: 0
; FloatMode: 240
; IeeeMode: 1
; LDSByteSize: 0 bytes/workgroup (compile time only)
; SGPRBlocks: 0
; VGPRBlocks: 0
; NumSGPRsForWavesPerEU: 6
; NumVGPRsForWavesPerEU: 1
; AccumOffset: 4
; Occupancy: 8
; WaveLimiterHint : 0
; COMPUTE_PGM_RSRC2:SCRATCH_EN: 0
; COMPUTE_PGM_RSRC2:USER_SGPR: 2
; COMPUTE_PGM_RSRC2:TRAP_HANDLER: 0
; COMPUTE_PGM_RSRC2:TGID_X_EN: 1
; COMPUTE_PGM_RSRC2:TGID_Y_EN: 0
; COMPUTE_PGM_RSRC2:TGID_Z_EN: 0
; COMPUTE_PGM_RSRC2:TIDIG_COMP_CNT: 0
; COMPUTE_PGM_RSRC3_GFX90A:ACCUM_OFFSET: 0
; COMPUTE_PGM_RSRC3_GFX90A:TG_SPLIT: 0
	.section	.text._ZN7rocprim17ROCPRIM_400000_NS6detail17trampoline_kernelINS0_14default_configENS1_33run_length_encode_config_selectorIsjNS0_4plusIjEEEEZZNS1_33reduce_by_key_impl_wrapped_configILNS1_25lookback_scan_determinismE0ES3_S7_PKsNS0_17constant_iteratorIjlEEPsPlSF_S6_NS0_8equal_toIsEEEE10hipError_tPvRmT2_T3_mT4_T5_T6_T7_T8_P12ihipStream_tbENKUlT_T0_E_clISt17integral_constantIbLb0EESY_IbLb1EEEEDaSU_SV_EUlSU_E_NS1_11comp_targetILNS1_3genE10ELNS1_11target_archE1201ELNS1_3gpuE5ELNS1_3repE0EEENS1_30default_config_static_selectorELNS0_4arch9wavefront6targetE1EEEvT1_,"axG",@progbits,_ZN7rocprim17ROCPRIM_400000_NS6detail17trampoline_kernelINS0_14default_configENS1_33run_length_encode_config_selectorIsjNS0_4plusIjEEEEZZNS1_33reduce_by_key_impl_wrapped_configILNS1_25lookback_scan_determinismE0ES3_S7_PKsNS0_17constant_iteratorIjlEEPsPlSF_S6_NS0_8equal_toIsEEEE10hipError_tPvRmT2_T3_mT4_T5_T6_T7_T8_P12ihipStream_tbENKUlT_T0_E_clISt17integral_constantIbLb0EESY_IbLb1EEEEDaSU_SV_EUlSU_E_NS1_11comp_targetILNS1_3genE10ELNS1_11target_archE1201ELNS1_3gpuE5ELNS1_3repE0EEENS1_30default_config_static_selectorELNS0_4arch9wavefront6targetE1EEEvT1_,comdat
	.protected	_ZN7rocprim17ROCPRIM_400000_NS6detail17trampoline_kernelINS0_14default_configENS1_33run_length_encode_config_selectorIsjNS0_4plusIjEEEEZZNS1_33reduce_by_key_impl_wrapped_configILNS1_25lookback_scan_determinismE0ES3_S7_PKsNS0_17constant_iteratorIjlEEPsPlSF_S6_NS0_8equal_toIsEEEE10hipError_tPvRmT2_T3_mT4_T5_T6_T7_T8_P12ihipStream_tbENKUlT_T0_E_clISt17integral_constantIbLb0EESY_IbLb1EEEEDaSU_SV_EUlSU_E_NS1_11comp_targetILNS1_3genE10ELNS1_11target_archE1201ELNS1_3gpuE5ELNS1_3repE0EEENS1_30default_config_static_selectorELNS0_4arch9wavefront6targetE1EEEvT1_ ; -- Begin function _ZN7rocprim17ROCPRIM_400000_NS6detail17trampoline_kernelINS0_14default_configENS1_33run_length_encode_config_selectorIsjNS0_4plusIjEEEEZZNS1_33reduce_by_key_impl_wrapped_configILNS1_25lookback_scan_determinismE0ES3_S7_PKsNS0_17constant_iteratorIjlEEPsPlSF_S6_NS0_8equal_toIsEEEE10hipError_tPvRmT2_T3_mT4_T5_T6_T7_T8_P12ihipStream_tbENKUlT_T0_E_clISt17integral_constantIbLb0EESY_IbLb1EEEEDaSU_SV_EUlSU_E_NS1_11comp_targetILNS1_3genE10ELNS1_11target_archE1201ELNS1_3gpuE5ELNS1_3repE0EEENS1_30default_config_static_selectorELNS0_4arch9wavefront6targetE1EEEvT1_
	.globl	_ZN7rocprim17ROCPRIM_400000_NS6detail17trampoline_kernelINS0_14default_configENS1_33run_length_encode_config_selectorIsjNS0_4plusIjEEEEZZNS1_33reduce_by_key_impl_wrapped_configILNS1_25lookback_scan_determinismE0ES3_S7_PKsNS0_17constant_iteratorIjlEEPsPlSF_S6_NS0_8equal_toIsEEEE10hipError_tPvRmT2_T3_mT4_T5_T6_T7_T8_P12ihipStream_tbENKUlT_T0_E_clISt17integral_constantIbLb0EESY_IbLb1EEEEDaSU_SV_EUlSU_E_NS1_11comp_targetILNS1_3genE10ELNS1_11target_archE1201ELNS1_3gpuE5ELNS1_3repE0EEENS1_30default_config_static_selectorELNS0_4arch9wavefront6targetE1EEEvT1_
	.p2align	8
	.type	_ZN7rocprim17ROCPRIM_400000_NS6detail17trampoline_kernelINS0_14default_configENS1_33run_length_encode_config_selectorIsjNS0_4plusIjEEEEZZNS1_33reduce_by_key_impl_wrapped_configILNS1_25lookback_scan_determinismE0ES3_S7_PKsNS0_17constant_iteratorIjlEEPsPlSF_S6_NS0_8equal_toIsEEEE10hipError_tPvRmT2_T3_mT4_T5_T6_T7_T8_P12ihipStream_tbENKUlT_T0_E_clISt17integral_constantIbLb0EESY_IbLb1EEEEDaSU_SV_EUlSU_E_NS1_11comp_targetILNS1_3genE10ELNS1_11target_archE1201ELNS1_3gpuE5ELNS1_3repE0EEENS1_30default_config_static_selectorELNS0_4arch9wavefront6targetE1EEEvT1_,@function
_ZN7rocprim17ROCPRIM_400000_NS6detail17trampoline_kernelINS0_14default_configENS1_33run_length_encode_config_selectorIsjNS0_4plusIjEEEEZZNS1_33reduce_by_key_impl_wrapped_configILNS1_25lookback_scan_determinismE0ES3_S7_PKsNS0_17constant_iteratorIjlEEPsPlSF_S6_NS0_8equal_toIsEEEE10hipError_tPvRmT2_T3_mT4_T5_T6_T7_T8_P12ihipStream_tbENKUlT_T0_E_clISt17integral_constantIbLb0EESY_IbLb1EEEEDaSU_SV_EUlSU_E_NS1_11comp_targetILNS1_3genE10ELNS1_11target_archE1201ELNS1_3gpuE5ELNS1_3repE0EEENS1_30default_config_static_selectorELNS0_4arch9wavefront6targetE1EEEvT1_: ; @_ZN7rocprim17ROCPRIM_400000_NS6detail17trampoline_kernelINS0_14default_configENS1_33run_length_encode_config_selectorIsjNS0_4plusIjEEEEZZNS1_33reduce_by_key_impl_wrapped_configILNS1_25lookback_scan_determinismE0ES3_S7_PKsNS0_17constant_iteratorIjlEEPsPlSF_S6_NS0_8equal_toIsEEEE10hipError_tPvRmT2_T3_mT4_T5_T6_T7_T8_P12ihipStream_tbENKUlT_T0_E_clISt17integral_constantIbLb0EESY_IbLb1EEEEDaSU_SV_EUlSU_E_NS1_11comp_targetILNS1_3genE10ELNS1_11target_archE1201ELNS1_3gpuE5ELNS1_3repE0EEENS1_30default_config_static_selectorELNS0_4arch9wavefront6targetE1EEEvT1_
; %bb.0:
	.section	.rodata,"a",@progbits
	.p2align	6, 0x0
	.amdhsa_kernel _ZN7rocprim17ROCPRIM_400000_NS6detail17trampoline_kernelINS0_14default_configENS1_33run_length_encode_config_selectorIsjNS0_4plusIjEEEEZZNS1_33reduce_by_key_impl_wrapped_configILNS1_25lookback_scan_determinismE0ES3_S7_PKsNS0_17constant_iteratorIjlEEPsPlSF_S6_NS0_8equal_toIsEEEE10hipError_tPvRmT2_T3_mT4_T5_T6_T7_T8_P12ihipStream_tbENKUlT_T0_E_clISt17integral_constantIbLb0EESY_IbLb1EEEEDaSU_SV_EUlSU_E_NS1_11comp_targetILNS1_3genE10ELNS1_11target_archE1201ELNS1_3gpuE5ELNS1_3repE0EEENS1_30default_config_static_selectorELNS0_4arch9wavefront6targetE1EEEvT1_
		.amdhsa_group_segment_fixed_size 0
		.amdhsa_private_segment_fixed_size 0
		.amdhsa_kernarg_size 128
		.amdhsa_user_sgpr_count 2
		.amdhsa_user_sgpr_dispatch_ptr 0
		.amdhsa_user_sgpr_queue_ptr 0
		.amdhsa_user_sgpr_kernarg_segment_ptr 1
		.amdhsa_user_sgpr_dispatch_id 0
		.amdhsa_user_sgpr_kernarg_preload_length 0
		.amdhsa_user_sgpr_kernarg_preload_offset 0
		.amdhsa_user_sgpr_private_segment_size 0
		.amdhsa_uses_dynamic_stack 0
		.amdhsa_enable_private_segment 0
		.amdhsa_system_sgpr_workgroup_id_x 1
		.amdhsa_system_sgpr_workgroup_id_y 0
		.amdhsa_system_sgpr_workgroup_id_z 0
		.amdhsa_system_sgpr_workgroup_info 0
		.amdhsa_system_vgpr_workitem_id 0
		.amdhsa_next_free_vgpr 1
		.amdhsa_next_free_sgpr 0
		.amdhsa_accum_offset 4
		.amdhsa_reserve_vcc 0
		.amdhsa_float_round_mode_32 0
		.amdhsa_float_round_mode_16_64 0
		.amdhsa_float_denorm_mode_32 3
		.amdhsa_float_denorm_mode_16_64 3
		.amdhsa_dx10_clamp 1
		.amdhsa_ieee_mode 1
		.amdhsa_fp16_overflow 0
		.amdhsa_tg_split 0
		.amdhsa_exception_fp_ieee_invalid_op 0
		.amdhsa_exception_fp_denorm_src 0
		.amdhsa_exception_fp_ieee_div_zero 0
		.amdhsa_exception_fp_ieee_overflow 0
		.amdhsa_exception_fp_ieee_underflow 0
		.amdhsa_exception_fp_ieee_inexact 0
		.amdhsa_exception_int_div_zero 0
	.end_amdhsa_kernel
	.section	.text._ZN7rocprim17ROCPRIM_400000_NS6detail17trampoline_kernelINS0_14default_configENS1_33run_length_encode_config_selectorIsjNS0_4plusIjEEEEZZNS1_33reduce_by_key_impl_wrapped_configILNS1_25lookback_scan_determinismE0ES3_S7_PKsNS0_17constant_iteratorIjlEEPsPlSF_S6_NS0_8equal_toIsEEEE10hipError_tPvRmT2_T3_mT4_T5_T6_T7_T8_P12ihipStream_tbENKUlT_T0_E_clISt17integral_constantIbLb0EESY_IbLb1EEEEDaSU_SV_EUlSU_E_NS1_11comp_targetILNS1_3genE10ELNS1_11target_archE1201ELNS1_3gpuE5ELNS1_3repE0EEENS1_30default_config_static_selectorELNS0_4arch9wavefront6targetE1EEEvT1_,"axG",@progbits,_ZN7rocprim17ROCPRIM_400000_NS6detail17trampoline_kernelINS0_14default_configENS1_33run_length_encode_config_selectorIsjNS0_4plusIjEEEEZZNS1_33reduce_by_key_impl_wrapped_configILNS1_25lookback_scan_determinismE0ES3_S7_PKsNS0_17constant_iteratorIjlEEPsPlSF_S6_NS0_8equal_toIsEEEE10hipError_tPvRmT2_T3_mT4_T5_T6_T7_T8_P12ihipStream_tbENKUlT_T0_E_clISt17integral_constantIbLb0EESY_IbLb1EEEEDaSU_SV_EUlSU_E_NS1_11comp_targetILNS1_3genE10ELNS1_11target_archE1201ELNS1_3gpuE5ELNS1_3repE0EEENS1_30default_config_static_selectorELNS0_4arch9wavefront6targetE1EEEvT1_,comdat
.Lfunc_end612:
	.size	_ZN7rocprim17ROCPRIM_400000_NS6detail17trampoline_kernelINS0_14default_configENS1_33run_length_encode_config_selectorIsjNS0_4plusIjEEEEZZNS1_33reduce_by_key_impl_wrapped_configILNS1_25lookback_scan_determinismE0ES3_S7_PKsNS0_17constant_iteratorIjlEEPsPlSF_S6_NS0_8equal_toIsEEEE10hipError_tPvRmT2_T3_mT4_T5_T6_T7_T8_P12ihipStream_tbENKUlT_T0_E_clISt17integral_constantIbLb0EESY_IbLb1EEEEDaSU_SV_EUlSU_E_NS1_11comp_targetILNS1_3genE10ELNS1_11target_archE1201ELNS1_3gpuE5ELNS1_3repE0EEENS1_30default_config_static_selectorELNS0_4arch9wavefront6targetE1EEEvT1_, .Lfunc_end612-_ZN7rocprim17ROCPRIM_400000_NS6detail17trampoline_kernelINS0_14default_configENS1_33run_length_encode_config_selectorIsjNS0_4plusIjEEEEZZNS1_33reduce_by_key_impl_wrapped_configILNS1_25lookback_scan_determinismE0ES3_S7_PKsNS0_17constant_iteratorIjlEEPsPlSF_S6_NS0_8equal_toIsEEEE10hipError_tPvRmT2_T3_mT4_T5_T6_T7_T8_P12ihipStream_tbENKUlT_T0_E_clISt17integral_constantIbLb0EESY_IbLb1EEEEDaSU_SV_EUlSU_E_NS1_11comp_targetILNS1_3genE10ELNS1_11target_archE1201ELNS1_3gpuE5ELNS1_3repE0EEENS1_30default_config_static_selectorELNS0_4arch9wavefront6targetE1EEEvT1_
                                        ; -- End function
	.section	.AMDGPU.csdata,"",@progbits
; Kernel info:
; codeLenInByte = 0
; NumSgprs: 6
; NumVgprs: 0
; NumAgprs: 0
; TotalNumVgprs: 0
; ScratchSize: 0
; MemoryBound: 0
; FloatMode: 240
; IeeeMode: 1
; LDSByteSize: 0 bytes/workgroup (compile time only)
; SGPRBlocks: 0
; VGPRBlocks: 0
; NumSGPRsForWavesPerEU: 6
; NumVGPRsForWavesPerEU: 1
; AccumOffset: 4
; Occupancy: 8
; WaveLimiterHint : 0
; COMPUTE_PGM_RSRC2:SCRATCH_EN: 0
; COMPUTE_PGM_RSRC2:USER_SGPR: 2
; COMPUTE_PGM_RSRC2:TRAP_HANDLER: 0
; COMPUTE_PGM_RSRC2:TGID_X_EN: 1
; COMPUTE_PGM_RSRC2:TGID_Y_EN: 0
; COMPUTE_PGM_RSRC2:TGID_Z_EN: 0
; COMPUTE_PGM_RSRC2:TIDIG_COMP_CNT: 0
; COMPUTE_PGM_RSRC3_GFX90A:ACCUM_OFFSET: 0
; COMPUTE_PGM_RSRC3_GFX90A:TG_SPLIT: 0
	.section	.text._ZN7rocprim17ROCPRIM_400000_NS6detail17trampoline_kernelINS0_14default_configENS1_33run_length_encode_config_selectorIsjNS0_4plusIjEEEEZZNS1_33reduce_by_key_impl_wrapped_configILNS1_25lookback_scan_determinismE0ES3_S7_PKsNS0_17constant_iteratorIjlEEPsPlSF_S6_NS0_8equal_toIsEEEE10hipError_tPvRmT2_T3_mT4_T5_T6_T7_T8_P12ihipStream_tbENKUlT_T0_E_clISt17integral_constantIbLb0EESY_IbLb1EEEEDaSU_SV_EUlSU_E_NS1_11comp_targetILNS1_3genE10ELNS1_11target_archE1200ELNS1_3gpuE4ELNS1_3repE0EEENS1_30default_config_static_selectorELNS0_4arch9wavefront6targetE1EEEvT1_,"axG",@progbits,_ZN7rocprim17ROCPRIM_400000_NS6detail17trampoline_kernelINS0_14default_configENS1_33run_length_encode_config_selectorIsjNS0_4plusIjEEEEZZNS1_33reduce_by_key_impl_wrapped_configILNS1_25lookback_scan_determinismE0ES3_S7_PKsNS0_17constant_iteratorIjlEEPsPlSF_S6_NS0_8equal_toIsEEEE10hipError_tPvRmT2_T3_mT4_T5_T6_T7_T8_P12ihipStream_tbENKUlT_T0_E_clISt17integral_constantIbLb0EESY_IbLb1EEEEDaSU_SV_EUlSU_E_NS1_11comp_targetILNS1_3genE10ELNS1_11target_archE1200ELNS1_3gpuE4ELNS1_3repE0EEENS1_30default_config_static_selectorELNS0_4arch9wavefront6targetE1EEEvT1_,comdat
	.protected	_ZN7rocprim17ROCPRIM_400000_NS6detail17trampoline_kernelINS0_14default_configENS1_33run_length_encode_config_selectorIsjNS0_4plusIjEEEEZZNS1_33reduce_by_key_impl_wrapped_configILNS1_25lookback_scan_determinismE0ES3_S7_PKsNS0_17constant_iteratorIjlEEPsPlSF_S6_NS0_8equal_toIsEEEE10hipError_tPvRmT2_T3_mT4_T5_T6_T7_T8_P12ihipStream_tbENKUlT_T0_E_clISt17integral_constantIbLb0EESY_IbLb1EEEEDaSU_SV_EUlSU_E_NS1_11comp_targetILNS1_3genE10ELNS1_11target_archE1200ELNS1_3gpuE4ELNS1_3repE0EEENS1_30default_config_static_selectorELNS0_4arch9wavefront6targetE1EEEvT1_ ; -- Begin function _ZN7rocprim17ROCPRIM_400000_NS6detail17trampoline_kernelINS0_14default_configENS1_33run_length_encode_config_selectorIsjNS0_4plusIjEEEEZZNS1_33reduce_by_key_impl_wrapped_configILNS1_25lookback_scan_determinismE0ES3_S7_PKsNS0_17constant_iteratorIjlEEPsPlSF_S6_NS0_8equal_toIsEEEE10hipError_tPvRmT2_T3_mT4_T5_T6_T7_T8_P12ihipStream_tbENKUlT_T0_E_clISt17integral_constantIbLb0EESY_IbLb1EEEEDaSU_SV_EUlSU_E_NS1_11comp_targetILNS1_3genE10ELNS1_11target_archE1200ELNS1_3gpuE4ELNS1_3repE0EEENS1_30default_config_static_selectorELNS0_4arch9wavefront6targetE1EEEvT1_
	.globl	_ZN7rocprim17ROCPRIM_400000_NS6detail17trampoline_kernelINS0_14default_configENS1_33run_length_encode_config_selectorIsjNS0_4plusIjEEEEZZNS1_33reduce_by_key_impl_wrapped_configILNS1_25lookback_scan_determinismE0ES3_S7_PKsNS0_17constant_iteratorIjlEEPsPlSF_S6_NS0_8equal_toIsEEEE10hipError_tPvRmT2_T3_mT4_T5_T6_T7_T8_P12ihipStream_tbENKUlT_T0_E_clISt17integral_constantIbLb0EESY_IbLb1EEEEDaSU_SV_EUlSU_E_NS1_11comp_targetILNS1_3genE10ELNS1_11target_archE1200ELNS1_3gpuE4ELNS1_3repE0EEENS1_30default_config_static_selectorELNS0_4arch9wavefront6targetE1EEEvT1_
	.p2align	8
	.type	_ZN7rocprim17ROCPRIM_400000_NS6detail17trampoline_kernelINS0_14default_configENS1_33run_length_encode_config_selectorIsjNS0_4plusIjEEEEZZNS1_33reduce_by_key_impl_wrapped_configILNS1_25lookback_scan_determinismE0ES3_S7_PKsNS0_17constant_iteratorIjlEEPsPlSF_S6_NS0_8equal_toIsEEEE10hipError_tPvRmT2_T3_mT4_T5_T6_T7_T8_P12ihipStream_tbENKUlT_T0_E_clISt17integral_constantIbLb0EESY_IbLb1EEEEDaSU_SV_EUlSU_E_NS1_11comp_targetILNS1_3genE10ELNS1_11target_archE1200ELNS1_3gpuE4ELNS1_3repE0EEENS1_30default_config_static_selectorELNS0_4arch9wavefront6targetE1EEEvT1_,@function
_ZN7rocprim17ROCPRIM_400000_NS6detail17trampoline_kernelINS0_14default_configENS1_33run_length_encode_config_selectorIsjNS0_4plusIjEEEEZZNS1_33reduce_by_key_impl_wrapped_configILNS1_25lookback_scan_determinismE0ES3_S7_PKsNS0_17constant_iteratorIjlEEPsPlSF_S6_NS0_8equal_toIsEEEE10hipError_tPvRmT2_T3_mT4_T5_T6_T7_T8_P12ihipStream_tbENKUlT_T0_E_clISt17integral_constantIbLb0EESY_IbLb1EEEEDaSU_SV_EUlSU_E_NS1_11comp_targetILNS1_3genE10ELNS1_11target_archE1200ELNS1_3gpuE4ELNS1_3repE0EEENS1_30default_config_static_selectorELNS0_4arch9wavefront6targetE1EEEvT1_: ; @_ZN7rocprim17ROCPRIM_400000_NS6detail17trampoline_kernelINS0_14default_configENS1_33run_length_encode_config_selectorIsjNS0_4plusIjEEEEZZNS1_33reduce_by_key_impl_wrapped_configILNS1_25lookback_scan_determinismE0ES3_S7_PKsNS0_17constant_iteratorIjlEEPsPlSF_S6_NS0_8equal_toIsEEEE10hipError_tPvRmT2_T3_mT4_T5_T6_T7_T8_P12ihipStream_tbENKUlT_T0_E_clISt17integral_constantIbLb0EESY_IbLb1EEEEDaSU_SV_EUlSU_E_NS1_11comp_targetILNS1_3genE10ELNS1_11target_archE1200ELNS1_3gpuE4ELNS1_3repE0EEENS1_30default_config_static_selectorELNS0_4arch9wavefront6targetE1EEEvT1_
; %bb.0:
	.section	.rodata,"a",@progbits
	.p2align	6, 0x0
	.amdhsa_kernel _ZN7rocprim17ROCPRIM_400000_NS6detail17trampoline_kernelINS0_14default_configENS1_33run_length_encode_config_selectorIsjNS0_4plusIjEEEEZZNS1_33reduce_by_key_impl_wrapped_configILNS1_25lookback_scan_determinismE0ES3_S7_PKsNS0_17constant_iteratorIjlEEPsPlSF_S6_NS0_8equal_toIsEEEE10hipError_tPvRmT2_T3_mT4_T5_T6_T7_T8_P12ihipStream_tbENKUlT_T0_E_clISt17integral_constantIbLb0EESY_IbLb1EEEEDaSU_SV_EUlSU_E_NS1_11comp_targetILNS1_3genE10ELNS1_11target_archE1200ELNS1_3gpuE4ELNS1_3repE0EEENS1_30default_config_static_selectorELNS0_4arch9wavefront6targetE1EEEvT1_
		.amdhsa_group_segment_fixed_size 0
		.amdhsa_private_segment_fixed_size 0
		.amdhsa_kernarg_size 128
		.amdhsa_user_sgpr_count 2
		.amdhsa_user_sgpr_dispatch_ptr 0
		.amdhsa_user_sgpr_queue_ptr 0
		.amdhsa_user_sgpr_kernarg_segment_ptr 1
		.amdhsa_user_sgpr_dispatch_id 0
		.amdhsa_user_sgpr_kernarg_preload_length 0
		.amdhsa_user_sgpr_kernarg_preload_offset 0
		.amdhsa_user_sgpr_private_segment_size 0
		.amdhsa_uses_dynamic_stack 0
		.amdhsa_enable_private_segment 0
		.amdhsa_system_sgpr_workgroup_id_x 1
		.amdhsa_system_sgpr_workgroup_id_y 0
		.amdhsa_system_sgpr_workgroup_id_z 0
		.amdhsa_system_sgpr_workgroup_info 0
		.amdhsa_system_vgpr_workitem_id 0
		.amdhsa_next_free_vgpr 1
		.amdhsa_next_free_sgpr 0
		.amdhsa_accum_offset 4
		.amdhsa_reserve_vcc 0
		.amdhsa_float_round_mode_32 0
		.amdhsa_float_round_mode_16_64 0
		.amdhsa_float_denorm_mode_32 3
		.amdhsa_float_denorm_mode_16_64 3
		.amdhsa_dx10_clamp 1
		.amdhsa_ieee_mode 1
		.amdhsa_fp16_overflow 0
		.amdhsa_tg_split 0
		.amdhsa_exception_fp_ieee_invalid_op 0
		.amdhsa_exception_fp_denorm_src 0
		.amdhsa_exception_fp_ieee_div_zero 0
		.amdhsa_exception_fp_ieee_overflow 0
		.amdhsa_exception_fp_ieee_underflow 0
		.amdhsa_exception_fp_ieee_inexact 0
		.amdhsa_exception_int_div_zero 0
	.end_amdhsa_kernel
	.section	.text._ZN7rocprim17ROCPRIM_400000_NS6detail17trampoline_kernelINS0_14default_configENS1_33run_length_encode_config_selectorIsjNS0_4plusIjEEEEZZNS1_33reduce_by_key_impl_wrapped_configILNS1_25lookback_scan_determinismE0ES3_S7_PKsNS0_17constant_iteratorIjlEEPsPlSF_S6_NS0_8equal_toIsEEEE10hipError_tPvRmT2_T3_mT4_T5_T6_T7_T8_P12ihipStream_tbENKUlT_T0_E_clISt17integral_constantIbLb0EESY_IbLb1EEEEDaSU_SV_EUlSU_E_NS1_11comp_targetILNS1_3genE10ELNS1_11target_archE1200ELNS1_3gpuE4ELNS1_3repE0EEENS1_30default_config_static_selectorELNS0_4arch9wavefront6targetE1EEEvT1_,"axG",@progbits,_ZN7rocprim17ROCPRIM_400000_NS6detail17trampoline_kernelINS0_14default_configENS1_33run_length_encode_config_selectorIsjNS0_4plusIjEEEEZZNS1_33reduce_by_key_impl_wrapped_configILNS1_25lookback_scan_determinismE0ES3_S7_PKsNS0_17constant_iteratorIjlEEPsPlSF_S6_NS0_8equal_toIsEEEE10hipError_tPvRmT2_T3_mT4_T5_T6_T7_T8_P12ihipStream_tbENKUlT_T0_E_clISt17integral_constantIbLb0EESY_IbLb1EEEEDaSU_SV_EUlSU_E_NS1_11comp_targetILNS1_3genE10ELNS1_11target_archE1200ELNS1_3gpuE4ELNS1_3repE0EEENS1_30default_config_static_selectorELNS0_4arch9wavefront6targetE1EEEvT1_,comdat
.Lfunc_end613:
	.size	_ZN7rocprim17ROCPRIM_400000_NS6detail17trampoline_kernelINS0_14default_configENS1_33run_length_encode_config_selectorIsjNS0_4plusIjEEEEZZNS1_33reduce_by_key_impl_wrapped_configILNS1_25lookback_scan_determinismE0ES3_S7_PKsNS0_17constant_iteratorIjlEEPsPlSF_S6_NS0_8equal_toIsEEEE10hipError_tPvRmT2_T3_mT4_T5_T6_T7_T8_P12ihipStream_tbENKUlT_T0_E_clISt17integral_constantIbLb0EESY_IbLb1EEEEDaSU_SV_EUlSU_E_NS1_11comp_targetILNS1_3genE10ELNS1_11target_archE1200ELNS1_3gpuE4ELNS1_3repE0EEENS1_30default_config_static_selectorELNS0_4arch9wavefront6targetE1EEEvT1_, .Lfunc_end613-_ZN7rocprim17ROCPRIM_400000_NS6detail17trampoline_kernelINS0_14default_configENS1_33run_length_encode_config_selectorIsjNS0_4plusIjEEEEZZNS1_33reduce_by_key_impl_wrapped_configILNS1_25lookback_scan_determinismE0ES3_S7_PKsNS0_17constant_iteratorIjlEEPsPlSF_S6_NS0_8equal_toIsEEEE10hipError_tPvRmT2_T3_mT4_T5_T6_T7_T8_P12ihipStream_tbENKUlT_T0_E_clISt17integral_constantIbLb0EESY_IbLb1EEEEDaSU_SV_EUlSU_E_NS1_11comp_targetILNS1_3genE10ELNS1_11target_archE1200ELNS1_3gpuE4ELNS1_3repE0EEENS1_30default_config_static_selectorELNS0_4arch9wavefront6targetE1EEEvT1_
                                        ; -- End function
	.section	.AMDGPU.csdata,"",@progbits
; Kernel info:
; codeLenInByte = 0
; NumSgprs: 6
; NumVgprs: 0
; NumAgprs: 0
; TotalNumVgprs: 0
; ScratchSize: 0
; MemoryBound: 0
; FloatMode: 240
; IeeeMode: 1
; LDSByteSize: 0 bytes/workgroup (compile time only)
; SGPRBlocks: 0
; VGPRBlocks: 0
; NumSGPRsForWavesPerEU: 6
; NumVGPRsForWavesPerEU: 1
; AccumOffset: 4
; Occupancy: 8
; WaveLimiterHint : 0
; COMPUTE_PGM_RSRC2:SCRATCH_EN: 0
; COMPUTE_PGM_RSRC2:USER_SGPR: 2
; COMPUTE_PGM_RSRC2:TRAP_HANDLER: 0
; COMPUTE_PGM_RSRC2:TGID_X_EN: 1
; COMPUTE_PGM_RSRC2:TGID_Y_EN: 0
; COMPUTE_PGM_RSRC2:TGID_Z_EN: 0
; COMPUTE_PGM_RSRC2:TIDIG_COMP_CNT: 0
; COMPUTE_PGM_RSRC3_GFX90A:ACCUM_OFFSET: 0
; COMPUTE_PGM_RSRC3_GFX90A:TG_SPLIT: 0
	.section	.text._ZN7rocprim17ROCPRIM_400000_NS6detail17trampoline_kernelINS0_14default_configENS1_33run_length_encode_config_selectorIsjNS0_4plusIjEEEEZZNS1_33reduce_by_key_impl_wrapped_configILNS1_25lookback_scan_determinismE0ES3_S7_PKsNS0_17constant_iteratorIjlEEPsPlSF_S6_NS0_8equal_toIsEEEE10hipError_tPvRmT2_T3_mT4_T5_T6_T7_T8_P12ihipStream_tbENKUlT_T0_E_clISt17integral_constantIbLb0EESY_IbLb1EEEEDaSU_SV_EUlSU_E_NS1_11comp_targetILNS1_3genE9ELNS1_11target_archE1100ELNS1_3gpuE3ELNS1_3repE0EEENS1_30default_config_static_selectorELNS0_4arch9wavefront6targetE1EEEvT1_,"axG",@progbits,_ZN7rocprim17ROCPRIM_400000_NS6detail17trampoline_kernelINS0_14default_configENS1_33run_length_encode_config_selectorIsjNS0_4plusIjEEEEZZNS1_33reduce_by_key_impl_wrapped_configILNS1_25lookback_scan_determinismE0ES3_S7_PKsNS0_17constant_iteratorIjlEEPsPlSF_S6_NS0_8equal_toIsEEEE10hipError_tPvRmT2_T3_mT4_T5_T6_T7_T8_P12ihipStream_tbENKUlT_T0_E_clISt17integral_constantIbLb0EESY_IbLb1EEEEDaSU_SV_EUlSU_E_NS1_11comp_targetILNS1_3genE9ELNS1_11target_archE1100ELNS1_3gpuE3ELNS1_3repE0EEENS1_30default_config_static_selectorELNS0_4arch9wavefront6targetE1EEEvT1_,comdat
	.protected	_ZN7rocprim17ROCPRIM_400000_NS6detail17trampoline_kernelINS0_14default_configENS1_33run_length_encode_config_selectorIsjNS0_4plusIjEEEEZZNS1_33reduce_by_key_impl_wrapped_configILNS1_25lookback_scan_determinismE0ES3_S7_PKsNS0_17constant_iteratorIjlEEPsPlSF_S6_NS0_8equal_toIsEEEE10hipError_tPvRmT2_T3_mT4_T5_T6_T7_T8_P12ihipStream_tbENKUlT_T0_E_clISt17integral_constantIbLb0EESY_IbLb1EEEEDaSU_SV_EUlSU_E_NS1_11comp_targetILNS1_3genE9ELNS1_11target_archE1100ELNS1_3gpuE3ELNS1_3repE0EEENS1_30default_config_static_selectorELNS0_4arch9wavefront6targetE1EEEvT1_ ; -- Begin function _ZN7rocprim17ROCPRIM_400000_NS6detail17trampoline_kernelINS0_14default_configENS1_33run_length_encode_config_selectorIsjNS0_4plusIjEEEEZZNS1_33reduce_by_key_impl_wrapped_configILNS1_25lookback_scan_determinismE0ES3_S7_PKsNS0_17constant_iteratorIjlEEPsPlSF_S6_NS0_8equal_toIsEEEE10hipError_tPvRmT2_T3_mT4_T5_T6_T7_T8_P12ihipStream_tbENKUlT_T0_E_clISt17integral_constantIbLb0EESY_IbLb1EEEEDaSU_SV_EUlSU_E_NS1_11comp_targetILNS1_3genE9ELNS1_11target_archE1100ELNS1_3gpuE3ELNS1_3repE0EEENS1_30default_config_static_selectorELNS0_4arch9wavefront6targetE1EEEvT1_
	.globl	_ZN7rocprim17ROCPRIM_400000_NS6detail17trampoline_kernelINS0_14default_configENS1_33run_length_encode_config_selectorIsjNS0_4plusIjEEEEZZNS1_33reduce_by_key_impl_wrapped_configILNS1_25lookback_scan_determinismE0ES3_S7_PKsNS0_17constant_iteratorIjlEEPsPlSF_S6_NS0_8equal_toIsEEEE10hipError_tPvRmT2_T3_mT4_T5_T6_T7_T8_P12ihipStream_tbENKUlT_T0_E_clISt17integral_constantIbLb0EESY_IbLb1EEEEDaSU_SV_EUlSU_E_NS1_11comp_targetILNS1_3genE9ELNS1_11target_archE1100ELNS1_3gpuE3ELNS1_3repE0EEENS1_30default_config_static_selectorELNS0_4arch9wavefront6targetE1EEEvT1_
	.p2align	8
	.type	_ZN7rocprim17ROCPRIM_400000_NS6detail17trampoline_kernelINS0_14default_configENS1_33run_length_encode_config_selectorIsjNS0_4plusIjEEEEZZNS1_33reduce_by_key_impl_wrapped_configILNS1_25lookback_scan_determinismE0ES3_S7_PKsNS0_17constant_iteratorIjlEEPsPlSF_S6_NS0_8equal_toIsEEEE10hipError_tPvRmT2_T3_mT4_T5_T6_T7_T8_P12ihipStream_tbENKUlT_T0_E_clISt17integral_constantIbLb0EESY_IbLb1EEEEDaSU_SV_EUlSU_E_NS1_11comp_targetILNS1_3genE9ELNS1_11target_archE1100ELNS1_3gpuE3ELNS1_3repE0EEENS1_30default_config_static_selectorELNS0_4arch9wavefront6targetE1EEEvT1_,@function
_ZN7rocprim17ROCPRIM_400000_NS6detail17trampoline_kernelINS0_14default_configENS1_33run_length_encode_config_selectorIsjNS0_4plusIjEEEEZZNS1_33reduce_by_key_impl_wrapped_configILNS1_25lookback_scan_determinismE0ES3_S7_PKsNS0_17constant_iteratorIjlEEPsPlSF_S6_NS0_8equal_toIsEEEE10hipError_tPvRmT2_T3_mT4_T5_T6_T7_T8_P12ihipStream_tbENKUlT_T0_E_clISt17integral_constantIbLb0EESY_IbLb1EEEEDaSU_SV_EUlSU_E_NS1_11comp_targetILNS1_3genE9ELNS1_11target_archE1100ELNS1_3gpuE3ELNS1_3repE0EEENS1_30default_config_static_selectorELNS0_4arch9wavefront6targetE1EEEvT1_: ; @_ZN7rocprim17ROCPRIM_400000_NS6detail17trampoline_kernelINS0_14default_configENS1_33run_length_encode_config_selectorIsjNS0_4plusIjEEEEZZNS1_33reduce_by_key_impl_wrapped_configILNS1_25lookback_scan_determinismE0ES3_S7_PKsNS0_17constant_iteratorIjlEEPsPlSF_S6_NS0_8equal_toIsEEEE10hipError_tPvRmT2_T3_mT4_T5_T6_T7_T8_P12ihipStream_tbENKUlT_T0_E_clISt17integral_constantIbLb0EESY_IbLb1EEEEDaSU_SV_EUlSU_E_NS1_11comp_targetILNS1_3genE9ELNS1_11target_archE1100ELNS1_3gpuE3ELNS1_3repE0EEENS1_30default_config_static_selectorELNS0_4arch9wavefront6targetE1EEEvT1_
; %bb.0:
	.section	.rodata,"a",@progbits
	.p2align	6, 0x0
	.amdhsa_kernel _ZN7rocprim17ROCPRIM_400000_NS6detail17trampoline_kernelINS0_14default_configENS1_33run_length_encode_config_selectorIsjNS0_4plusIjEEEEZZNS1_33reduce_by_key_impl_wrapped_configILNS1_25lookback_scan_determinismE0ES3_S7_PKsNS0_17constant_iteratorIjlEEPsPlSF_S6_NS0_8equal_toIsEEEE10hipError_tPvRmT2_T3_mT4_T5_T6_T7_T8_P12ihipStream_tbENKUlT_T0_E_clISt17integral_constantIbLb0EESY_IbLb1EEEEDaSU_SV_EUlSU_E_NS1_11comp_targetILNS1_3genE9ELNS1_11target_archE1100ELNS1_3gpuE3ELNS1_3repE0EEENS1_30default_config_static_selectorELNS0_4arch9wavefront6targetE1EEEvT1_
		.amdhsa_group_segment_fixed_size 0
		.amdhsa_private_segment_fixed_size 0
		.amdhsa_kernarg_size 128
		.amdhsa_user_sgpr_count 2
		.amdhsa_user_sgpr_dispatch_ptr 0
		.amdhsa_user_sgpr_queue_ptr 0
		.amdhsa_user_sgpr_kernarg_segment_ptr 1
		.amdhsa_user_sgpr_dispatch_id 0
		.amdhsa_user_sgpr_kernarg_preload_length 0
		.amdhsa_user_sgpr_kernarg_preload_offset 0
		.amdhsa_user_sgpr_private_segment_size 0
		.amdhsa_uses_dynamic_stack 0
		.amdhsa_enable_private_segment 0
		.amdhsa_system_sgpr_workgroup_id_x 1
		.amdhsa_system_sgpr_workgroup_id_y 0
		.amdhsa_system_sgpr_workgroup_id_z 0
		.amdhsa_system_sgpr_workgroup_info 0
		.amdhsa_system_vgpr_workitem_id 0
		.amdhsa_next_free_vgpr 1
		.amdhsa_next_free_sgpr 0
		.amdhsa_accum_offset 4
		.amdhsa_reserve_vcc 0
		.amdhsa_float_round_mode_32 0
		.amdhsa_float_round_mode_16_64 0
		.amdhsa_float_denorm_mode_32 3
		.amdhsa_float_denorm_mode_16_64 3
		.amdhsa_dx10_clamp 1
		.amdhsa_ieee_mode 1
		.amdhsa_fp16_overflow 0
		.amdhsa_tg_split 0
		.amdhsa_exception_fp_ieee_invalid_op 0
		.amdhsa_exception_fp_denorm_src 0
		.amdhsa_exception_fp_ieee_div_zero 0
		.amdhsa_exception_fp_ieee_overflow 0
		.amdhsa_exception_fp_ieee_underflow 0
		.amdhsa_exception_fp_ieee_inexact 0
		.amdhsa_exception_int_div_zero 0
	.end_amdhsa_kernel
	.section	.text._ZN7rocprim17ROCPRIM_400000_NS6detail17trampoline_kernelINS0_14default_configENS1_33run_length_encode_config_selectorIsjNS0_4plusIjEEEEZZNS1_33reduce_by_key_impl_wrapped_configILNS1_25lookback_scan_determinismE0ES3_S7_PKsNS0_17constant_iteratorIjlEEPsPlSF_S6_NS0_8equal_toIsEEEE10hipError_tPvRmT2_T3_mT4_T5_T6_T7_T8_P12ihipStream_tbENKUlT_T0_E_clISt17integral_constantIbLb0EESY_IbLb1EEEEDaSU_SV_EUlSU_E_NS1_11comp_targetILNS1_3genE9ELNS1_11target_archE1100ELNS1_3gpuE3ELNS1_3repE0EEENS1_30default_config_static_selectorELNS0_4arch9wavefront6targetE1EEEvT1_,"axG",@progbits,_ZN7rocprim17ROCPRIM_400000_NS6detail17trampoline_kernelINS0_14default_configENS1_33run_length_encode_config_selectorIsjNS0_4plusIjEEEEZZNS1_33reduce_by_key_impl_wrapped_configILNS1_25lookback_scan_determinismE0ES3_S7_PKsNS0_17constant_iteratorIjlEEPsPlSF_S6_NS0_8equal_toIsEEEE10hipError_tPvRmT2_T3_mT4_T5_T6_T7_T8_P12ihipStream_tbENKUlT_T0_E_clISt17integral_constantIbLb0EESY_IbLb1EEEEDaSU_SV_EUlSU_E_NS1_11comp_targetILNS1_3genE9ELNS1_11target_archE1100ELNS1_3gpuE3ELNS1_3repE0EEENS1_30default_config_static_selectorELNS0_4arch9wavefront6targetE1EEEvT1_,comdat
.Lfunc_end614:
	.size	_ZN7rocprim17ROCPRIM_400000_NS6detail17trampoline_kernelINS0_14default_configENS1_33run_length_encode_config_selectorIsjNS0_4plusIjEEEEZZNS1_33reduce_by_key_impl_wrapped_configILNS1_25lookback_scan_determinismE0ES3_S7_PKsNS0_17constant_iteratorIjlEEPsPlSF_S6_NS0_8equal_toIsEEEE10hipError_tPvRmT2_T3_mT4_T5_T6_T7_T8_P12ihipStream_tbENKUlT_T0_E_clISt17integral_constantIbLb0EESY_IbLb1EEEEDaSU_SV_EUlSU_E_NS1_11comp_targetILNS1_3genE9ELNS1_11target_archE1100ELNS1_3gpuE3ELNS1_3repE0EEENS1_30default_config_static_selectorELNS0_4arch9wavefront6targetE1EEEvT1_, .Lfunc_end614-_ZN7rocprim17ROCPRIM_400000_NS6detail17trampoline_kernelINS0_14default_configENS1_33run_length_encode_config_selectorIsjNS0_4plusIjEEEEZZNS1_33reduce_by_key_impl_wrapped_configILNS1_25lookback_scan_determinismE0ES3_S7_PKsNS0_17constant_iteratorIjlEEPsPlSF_S6_NS0_8equal_toIsEEEE10hipError_tPvRmT2_T3_mT4_T5_T6_T7_T8_P12ihipStream_tbENKUlT_T0_E_clISt17integral_constantIbLb0EESY_IbLb1EEEEDaSU_SV_EUlSU_E_NS1_11comp_targetILNS1_3genE9ELNS1_11target_archE1100ELNS1_3gpuE3ELNS1_3repE0EEENS1_30default_config_static_selectorELNS0_4arch9wavefront6targetE1EEEvT1_
                                        ; -- End function
	.section	.AMDGPU.csdata,"",@progbits
; Kernel info:
; codeLenInByte = 0
; NumSgprs: 6
; NumVgprs: 0
; NumAgprs: 0
; TotalNumVgprs: 0
; ScratchSize: 0
; MemoryBound: 0
; FloatMode: 240
; IeeeMode: 1
; LDSByteSize: 0 bytes/workgroup (compile time only)
; SGPRBlocks: 0
; VGPRBlocks: 0
; NumSGPRsForWavesPerEU: 6
; NumVGPRsForWavesPerEU: 1
; AccumOffset: 4
; Occupancy: 8
; WaveLimiterHint : 0
; COMPUTE_PGM_RSRC2:SCRATCH_EN: 0
; COMPUTE_PGM_RSRC2:USER_SGPR: 2
; COMPUTE_PGM_RSRC2:TRAP_HANDLER: 0
; COMPUTE_PGM_RSRC2:TGID_X_EN: 1
; COMPUTE_PGM_RSRC2:TGID_Y_EN: 0
; COMPUTE_PGM_RSRC2:TGID_Z_EN: 0
; COMPUTE_PGM_RSRC2:TIDIG_COMP_CNT: 0
; COMPUTE_PGM_RSRC3_GFX90A:ACCUM_OFFSET: 0
; COMPUTE_PGM_RSRC3_GFX90A:TG_SPLIT: 0
	.section	.text._ZN7rocprim17ROCPRIM_400000_NS6detail17trampoline_kernelINS0_14default_configENS1_33run_length_encode_config_selectorIsjNS0_4plusIjEEEEZZNS1_33reduce_by_key_impl_wrapped_configILNS1_25lookback_scan_determinismE0ES3_S7_PKsNS0_17constant_iteratorIjlEEPsPlSF_S6_NS0_8equal_toIsEEEE10hipError_tPvRmT2_T3_mT4_T5_T6_T7_T8_P12ihipStream_tbENKUlT_T0_E_clISt17integral_constantIbLb0EESY_IbLb1EEEEDaSU_SV_EUlSU_E_NS1_11comp_targetILNS1_3genE8ELNS1_11target_archE1030ELNS1_3gpuE2ELNS1_3repE0EEENS1_30default_config_static_selectorELNS0_4arch9wavefront6targetE1EEEvT1_,"axG",@progbits,_ZN7rocprim17ROCPRIM_400000_NS6detail17trampoline_kernelINS0_14default_configENS1_33run_length_encode_config_selectorIsjNS0_4plusIjEEEEZZNS1_33reduce_by_key_impl_wrapped_configILNS1_25lookback_scan_determinismE0ES3_S7_PKsNS0_17constant_iteratorIjlEEPsPlSF_S6_NS0_8equal_toIsEEEE10hipError_tPvRmT2_T3_mT4_T5_T6_T7_T8_P12ihipStream_tbENKUlT_T0_E_clISt17integral_constantIbLb0EESY_IbLb1EEEEDaSU_SV_EUlSU_E_NS1_11comp_targetILNS1_3genE8ELNS1_11target_archE1030ELNS1_3gpuE2ELNS1_3repE0EEENS1_30default_config_static_selectorELNS0_4arch9wavefront6targetE1EEEvT1_,comdat
	.protected	_ZN7rocprim17ROCPRIM_400000_NS6detail17trampoline_kernelINS0_14default_configENS1_33run_length_encode_config_selectorIsjNS0_4plusIjEEEEZZNS1_33reduce_by_key_impl_wrapped_configILNS1_25lookback_scan_determinismE0ES3_S7_PKsNS0_17constant_iteratorIjlEEPsPlSF_S6_NS0_8equal_toIsEEEE10hipError_tPvRmT2_T3_mT4_T5_T6_T7_T8_P12ihipStream_tbENKUlT_T0_E_clISt17integral_constantIbLb0EESY_IbLb1EEEEDaSU_SV_EUlSU_E_NS1_11comp_targetILNS1_3genE8ELNS1_11target_archE1030ELNS1_3gpuE2ELNS1_3repE0EEENS1_30default_config_static_selectorELNS0_4arch9wavefront6targetE1EEEvT1_ ; -- Begin function _ZN7rocprim17ROCPRIM_400000_NS6detail17trampoline_kernelINS0_14default_configENS1_33run_length_encode_config_selectorIsjNS0_4plusIjEEEEZZNS1_33reduce_by_key_impl_wrapped_configILNS1_25lookback_scan_determinismE0ES3_S7_PKsNS0_17constant_iteratorIjlEEPsPlSF_S6_NS0_8equal_toIsEEEE10hipError_tPvRmT2_T3_mT4_T5_T6_T7_T8_P12ihipStream_tbENKUlT_T0_E_clISt17integral_constantIbLb0EESY_IbLb1EEEEDaSU_SV_EUlSU_E_NS1_11comp_targetILNS1_3genE8ELNS1_11target_archE1030ELNS1_3gpuE2ELNS1_3repE0EEENS1_30default_config_static_selectorELNS0_4arch9wavefront6targetE1EEEvT1_
	.globl	_ZN7rocprim17ROCPRIM_400000_NS6detail17trampoline_kernelINS0_14default_configENS1_33run_length_encode_config_selectorIsjNS0_4plusIjEEEEZZNS1_33reduce_by_key_impl_wrapped_configILNS1_25lookback_scan_determinismE0ES3_S7_PKsNS0_17constant_iteratorIjlEEPsPlSF_S6_NS0_8equal_toIsEEEE10hipError_tPvRmT2_T3_mT4_T5_T6_T7_T8_P12ihipStream_tbENKUlT_T0_E_clISt17integral_constantIbLb0EESY_IbLb1EEEEDaSU_SV_EUlSU_E_NS1_11comp_targetILNS1_3genE8ELNS1_11target_archE1030ELNS1_3gpuE2ELNS1_3repE0EEENS1_30default_config_static_selectorELNS0_4arch9wavefront6targetE1EEEvT1_
	.p2align	8
	.type	_ZN7rocprim17ROCPRIM_400000_NS6detail17trampoline_kernelINS0_14default_configENS1_33run_length_encode_config_selectorIsjNS0_4plusIjEEEEZZNS1_33reduce_by_key_impl_wrapped_configILNS1_25lookback_scan_determinismE0ES3_S7_PKsNS0_17constant_iteratorIjlEEPsPlSF_S6_NS0_8equal_toIsEEEE10hipError_tPvRmT2_T3_mT4_T5_T6_T7_T8_P12ihipStream_tbENKUlT_T0_E_clISt17integral_constantIbLb0EESY_IbLb1EEEEDaSU_SV_EUlSU_E_NS1_11comp_targetILNS1_3genE8ELNS1_11target_archE1030ELNS1_3gpuE2ELNS1_3repE0EEENS1_30default_config_static_selectorELNS0_4arch9wavefront6targetE1EEEvT1_,@function
_ZN7rocprim17ROCPRIM_400000_NS6detail17trampoline_kernelINS0_14default_configENS1_33run_length_encode_config_selectorIsjNS0_4plusIjEEEEZZNS1_33reduce_by_key_impl_wrapped_configILNS1_25lookback_scan_determinismE0ES3_S7_PKsNS0_17constant_iteratorIjlEEPsPlSF_S6_NS0_8equal_toIsEEEE10hipError_tPvRmT2_T3_mT4_T5_T6_T7_T8_P12ihipStream_tbENKUlT_T0_E_clISt17integral_constantIbLb0EESY_IbLb1EEEEDaSU_SV_EUlSU_E_NS1_11comp_targetILNS1_3genE8ELNS1_11target_archE1030ELNS1_3gpuE2ELNS1_3repE0EEENS1_30default_config_static_selectorELNS0_4arch9wavefront6targetE1EEEvT1_: ; @_ZN7rocprim17ROCPRIM_400000_NS6detail17trampoline_kernelINS0_14default_configENS1_33run_length_encode_config_selectorIsjNS0_4plusIjEEEEZZNS1_33reduce_by_key_impl_wrapped_configILNS1_25lookback_scan_determinismE0ES3_S7_PKsNS0_17constant_iteratorIjlEEPsPlSF_S6_NS0_8equal_toIsEEEE10hipError_tPvRmT2_T3_mT4_T5_T6_T7_T8_P12ihipStream_tbENKUlT_T0_E_clISt17integral_constantIbLb0EESY_IbLb1EEEEDaSU_SV_EUlSU_E_NS1_11comp_targetILNS1_3genE8ELNS1_11target_archE1030ELNS1_3gpuE2ELNS1_3repE0EEENS1_30default_config_static_selectorELNS0_4arch9wavefront6targetE1EEEvT1_
; %bb.0:
	.section	.rodata,"a",@progbits
	.p2align	6, 0x0
	.amdhsa_kernel _ZN7rocprim17ROCPRIM_400000_NS6detail17trampoline_kernelINS0_14default_configENS1_33run_length_encode_config_selectorIsjNS0_4plusIjEEEEZZNS1_33reduce_by_key_impl_wrapped_configILNS1_25lookback_scan_determinismE0ES3_S7_PKsNS0_17constant_iteratorIjlEEPsPlSF_S6_NS0_8equal_toIsEEEE10hipError_tPvRmT2_T3_mT4_T5_T6_T7_T8_P12ihipStream_tbENKUlT_T0_E_clISt17integral_constantIbLb0EESY_IbLb1EEEEDaSU_SV_EUlSU_E_NS1_11comp_targetILNS1_3genE8ELNS1_11target_archE1030ELNS1_3gpuE2ELNS1_3repE0EEENS1_30default_config_static_selectorELNS0_4arch9wavefront6targetE1EEEvT1_
		.amdhsa_group_segment_fixed_size 0
		.amdhsa_private_segment_fixed_size 0
		.amdhsa_kernarg_size 128
		.amdhsa_user_sgpr_count 2
		.amdhsa_user_sgpr_dispatch_ptr 0
		.amdhsa_user_sgpr_queue_ptr 0
		.amdhsa_user_sgpr_kernarg_segment_ptr 1
		.amdhsa_user_sgpr_dispatch_id 0
		.amdhsa_user_sgpr_kernarg_preload_length 0
		.amdhsa_user_sgpr_kernarg_preload_offset 0
		.amdhsa_user_sgpr_private_segment_size 0
		.amdhsa_uses_dynamic_stack 0
		.amdhsa_enable_private_segment 0
		.amdhsa_system_sgpr_workgroup_id_x 1
		.amdhsa_system_sgpr_workgroup_id_y 0
		.amdhsa_system_sgpr_workgroup_id_z 0
		.amdhsa_system_sgpr_workgroup_info 0
		.amdhsa_system_vgpr_workitem_id 0
		.amdhsa_next_free_vgpr 1
		.amdhsa_next_free_sgpr 0
		.amdhsa_accum_offset 4
		.amdhsa_reserve_vcc 0
		.amdhsa_float_round_mode_32 0
		.amdhsa_float_round_mode_16_64 0
		.amdhsa_float_denorm_mode_32 3
		.amdhsa_float_denorm_mode_16_64 3
		.amdhsa_dx10_clamp 1
		.amdhsa_ieee_mode 1
		.amdhsa_fp16_overflow 0
		.amdhsa_tg_split 0
		.amdhsa_exception_fp_ieee_invalid_op 0
		.amdhsa_exception_fp_denorm_src 0
		.amdhsa_exception_fp_ieee_div_zero 0
		.amdhsa_exception_fp_ieee_overflow 0
		.amdhsa_exception_fp_ieee_underflow 0
		.amdhsa_exception_fp_ieee_inexact 0
		.amdhsa_exception_int_div_zero 0
	.end_amdhsa_kernel
	.section	.text._ZN7rocprim17ROCPRIM_400000_NS6detail17trampoline_kernelINS0_14default_configENS1_33run_length_encode_config_selectorIsjNS0_4plusIjEEEEZZNS1_33reduce_by_key_impl_wrapped_configILNS1_25lookback_scan_determinismE0ES3_S7_PKsNS0_17constant_iteratorIjlEEPsPlSF_S6_NS0_8equal_toIsEEEE10hipError_tPvRmT2_T3_mT4_T5_T6_T7_T8_P12ihipStream_tbENKUlT_T0_E_clISt17integral_constantIbLb0EESY_IbLb1EEEEDaSU_SV_EUlSU_E_NS1_11comp_targetILNS1_3genE8ELNS1_11target_archE1030ELNS1_3gpuE2ELNS1_3repE0EEENS1_30default_config_static_selectorELNS0_4arch9wavefront6targetE1EEEvT1_,"axG",@progbits,_ZN7rocprim17ROCPRIM_400000_NS6detail17trampoline_kernelINS0_14default_configENS1_33run_length_encode_config_selectorIsjNS0_4plusIjEEEEZZNS1_33reduce_by_key_impl_wrapped_configILNS1_25lookback_scan_determinismE0ES3_S7_PKsNS0_17constant_iteratorIjlEEPsPlSF_S6_NS0_8equal_toIsEEEE10hipError_tPvRmT2_T3_mT4_T5_T6_T7_T8_P12ihipStream_tbENKUlT_T0_E_clISt17integral_constantIbLb0EESY_IbLb1EEEEDaSU_SV_EUlSU_E_NS1_11comp_targetILNS1_3genE8ELNS1_11target_archE1030ELNS1_3gpuE2ELNS1_3repE0EEENS1_30default_config_static_selectorELNS0_4arch9wavefront6targetE1EEEvT1_,comdat
.Lfunc_end615:
	.size	_ZN7rocprim17ROCPRIM_400000_NS6detail17trampoline_kernelINS0_14default_configENS1_33run_length_encode_config_selectorIsjNS0_4plusIjEEEEZZNS1_33reduce_by_key_impl_wrapped_configILNS1_25lookback_scan_determinismE0ES3_S7_PKsNS0_17constant_iteratorIjlEEPsPlSF_S6_NS0_8equal_toIsEEEE10hipError_tPvRmT2_T3_mT4_T5_T6_T7_T8_P12ihipStream_tbENKUlT_T0_E_clISt17integral_constantIbLb0EESY_IbLb1EEEEDaSU_SV_EUlSU_E_NS1_11comp_targetILNS1_3genE8ELNS1_11target_archE1030ELNS1_3gpuE2ELNS1_3repE0EEENS1_30default_config_static_selectorELNS0_4arch9wavefront6targetE1EEEvT1_, .Lfunc_end615-_ZN7rocprim17ROCPRIM_400000_NS6detail17trampoline_kernelINS0_14default_configENS1_33run_length_encode_config_selectorIsjNS0_4plusIjEEEEZZNS1_33reduce_by_key_impl_wrapped_configILNS1_25lookback_scan_determinismE0ES3_S7_PKsNS0_17constant_iteratorIjlEEPsPlSF_S6_NS0_8equal_toIsEEEE10hipError_tPvRmT2_T3_mT4_T5_T6_T7_T8_P12ihipStream_tbENKUlT_T0_E_clISt17integral_constantIbLb0EESY_IbLb1EEEEDaSU_SV_EUlSU_E_NS1_11comp_targetILNS1_3genE8ELNS1_11target_archE1030ELNS1_3gpuE2ELNS1_3repE0EEENS1_30default_config_static_selectorELNS0_4arch9wavefront6targetE1EEEvT1_
                                        ; -- End function
	.section	.AMDGPU.csdata,"",@progbits
; Kernel info:
; codeLenInByte = 0
; NumSgprs: 6
; NumVgprs: 0
; NumAgprs: 0
; TotalNumVgprs: 0
; ScratchSize: 0
; MemoryBound: 0
; FloatMode: 240
; IeeeMode: 1
; LDSByteSize: 0 bytes/workgroup (compile time only)
; SGPRBlocks: 0
; VGPRBlocks: 0
; NumSGPRsForWavesPerEU: 6
; NumVGPRsForWavesPerEU: 1
; AccumOffset: 4
; Occupancy: 8
; WaveLimiterHint : 0
; COMPUTE_PGM_RSRC2:SCRATCH_EN: 0
; COMPUTE_PGM_RSRC2:USER_SGPR: 2
; COMPUTE_PGM_RSRC2:TRAP_HANDLER: 0
; COMPUTE_PGM_RSRC2:TGID_X_EN: 1
; COMPUTE_PGM_RSRC2:TGID_Y_EN: 0
; COMPUTE_PGM_RSRC2:TGID_Z_EN: 0
; COMPUTE_PGM_RSRC2:TIDIG_COMP_CNT: 0
; COMPUTE_PGM_RSRC3_GFX90A:ACCUM_OFFSET: 0
; COMPUTE_PGM_RSRC3_GFX90A:TG_SPLIT: 0
	.section	.text._ZN2at6native8internal12_GLOBAL__N_126adjacent_difference_kernelIPKjEEvlT_Pi,"axG",@progbits,_ZN2at6native8internal12_GLOBAL__N_126adjacent_difference_kernelIPKjEEvlT_Pi,comdat
	.globl	_ZN2at6native8internal12_GLOBAL__N_126adjacent_difference_kernelIPKjEEvlT_Pi ; -- Begin function _ZN2at6native8internal12_GLOBAL__N_126adjacent_difference_kernelIPKjEEvlT_Pi
	.p2align	8
	.type	_ZN2at6native8internal12_GLOBAL__N_126adjacent_difference_kernelIPKjEEvlT_Pi,@function
_ZN2at6native8internal12_GLOBAL__N_126adjacent_difference_kernelIPKjEEvlT_Pi: ; @_ZN2at6native8internal12_GLOBAL__N_126adjacent_difference_kernelIPKjEEvlT_Pi
; %bb.0:
	s_load_dword s3, s[0:1], 0x24
	s_load_dwordx4 s[4:7], s[0:1], 0x0
	s_add_u32 s10, s0, 24
	s_addc_u32 s11, s1, 0
	v_mov_b32_e32 v1, 0
	s_waitcnt lgkmcnt(0)
	s_and_b32 s12, s3, 0xffff
	v_mov_b32_e32 v2, s2
	v_mad_u64_u32 v[4:5], s[8:9], s12, v2, v[0:1]
	v_cmp_gt_i64_e32 vcc, s[4:5], v[4:5]
	s_and_saveexec_b64 s[8:9], vcc
	s_cbranch_execz .LBB616_5
; %bb.1:
	s_load_dword s13, s[10:11], 0x0
	s_load_dwordx2 s[8:9], s[0:1], 0x10
	s_mul_hi_u32 s1, s12, s2
	s_mul_i32 s0, s12, s2
	s_mov_b32 s3, 0
	s_waitcnt lgkmcnt(0)
	s_mul_i32 s2, s13, s12
	v_mov_b32_e32 v2, v1
	v_mov_b32_e32 v3, v4
	s_mov_b32 s10, s3
	s_mov_b32 s11, s2
	s_mov_b64 s[12:13], 0
	v_mov_b64_e32 v[4:5], v[0:1]
	s_branch .LBB616_3
.LBB616_2:                              ;   in Loop: Header=BB616_3 Depth=1
	s_or_b64 exec, exec, s[14:15]
	v_ashrrev_i64 v[6:7], 30, v[2:3]
	v_lshl_add_u64 v[6:7], s[8:9], 0, v[6:7]
	v_lshl_add_u64 v[4:5], v[4:5], 0, s[2:3]
	global_store_dword v[6:7], v0, off
	v_lshl_add_u64 v[6:7], s[0:1], 0, v[4:5]
	v_cmp_le_i64_e32 vcc, s[4:5], v[6:7]
	s_or_b64 s[12:13], vcc, s[12:13]
	v_lshl_add_u64 v[2:3], v[2:3], 0, s[10:11]
	s_andn2_b64 exec, exec, s[12:13]
	s_cbranch_execz .LBB616_5
.LBB616_3:                              ; =>This Inner Loop Header: Depth=1
	v_add_u32_e32 v0, s0, v4
	v_cmp_lt_i32_e32 vcc, 0, v0
	v_mov_b32_e32 v0, 0
	s_and_saveexec_b64 s[14:15], vcc
	s_cbranch_execz .LBB616_2
; %bb.4:                                ;   in Loop: Header=BB616_3 Depth=1
	v_add_u32_e32 v8, s0, v4
	v_and_b32_e32 v0, 0x7fffffff, v8
	v_lshl_add_u64 v[6:7], v[0:1], 2, s[6:7]
	v_add_u32_e32 v0, -1, v8
	v_lshl_add_u64 v[8:9], v[0:1], 2, s[6:7]
	global_load_dword v0, v[6:7], off
	global_load_dword v10, v[8:9], off
	s_waitcnt vmcnt(0)
	v_cmp_ne_u32_e32 vcc, v0, v10
	s_nop 1
	v_cndmask_b32_e64 v0, 0, 1, vcc
	s_branch .LBB616_2
.LBB616_5:
	s_endpgm
	.section	.rodata,"a",@progbits
	.p2align	6, 0x0
	.amdhsa_kernel _ZN2at6native8internal12_GLOBAL__N_126adjacent_difference_kernelIPKjEEvlT_Pi
		.amdhsa_group_segment_fixed_size 0
		.amdhsa_private_segment_fixed_size 0
		.amdhsa_kernarg_size 280
		.amdhsa_user_sgpr_count 2
		.amdhsa_user_sgpr_dispatch_ptr 0
		.amdhsa_user_sgpr_queue_ptr 0
		.amdhsa_user_sgpr_kernarg_segment_ptr 1
		.amdhsa_user_sgpr_dispatch_id 0
		.amdhsa_user_sgpr_kernarg_preload_length 0
		.amdhsa_user_sgpr_kernarg_preload_offset 0
		.amdhsa_user_sgpr_private_segment_size 0
		.amdhsa_uses_dynamic_stack 0
		.amdhsa_enable_private_segment 0
		.amdhsa_system_sgpr_workgroup_id_x 1
		.amdhsa_system_sgpr_workgroup_id_y 0
		.amdhsa_system_sgpr_workgroup_id_z 0
		.amdhsa_system_sgpr_workgroup_info 0
		.amdhsa_system_vgpr_workitem_id 0
		.amdhsa_next_free_vgpr 11
		.amdhsa_next_free_sgpr 16
		.amdhsa_accum_offset 12
		.amdhsa_reserve_vcc 1
		.amdhsa_float_round_mode_32 0
		.amdhsa_float_round_mode_16_64 0
		.amdhsa_float_denorm_mode_32 3
		.amdhsa_float_denorm_mode_16_64 3
		.amdhsa_dx10_clamp 1
		.amdhsa_ieee_mode 1
		.amdhsa_fp16_overflow 0
		.amdhsa_tg_split 0
		.amdhsa_exception_fp_ieee_invalid_op 0
		.amdhsa_exception_fp_denorm_src 0
		.amdhsa_exception_fp_ieee_div_zero 0
		.amdhsa_exception_fp_ieee_overflow 0
		.amdhsa_exception_fp_ieee_underflow 0
		.amdhsa_exception_fp_ieee_inexact 0
		.amdhsa_exception_int_div_zero 0
	.end_amdhsa_kernel
	.section	.text._ZN2at6native8internal12_GLOBAL__N_126adjacent_difference_kernelIPKjEEvlT_Pi,"axG",@progbits,_ZN2at6native8internal12_GLOBAL__N_126adjacent_difference_kernelIPKjEEvlT_Pi,comdat
.Lfunc_end616:
	.size	_ZN2at6native8internal12_GLOBAL__N_126adjacent_difference_kernelIPKjEEvlT_Pi, .Lfunc_end616-_ZN2at6native8internal12_GLOBAL__N_126adjacent_difference_kernelIPKjEEvlT_Pi
                                        ; -- End function
	.section	.AMDGPU.csdata,"",@progbits
; Kernel info:
; codeLenInByte = 292
; NumSgprs: 22
; NumVgprs: 11
; NumAgprs: 0
; TotalNumVgprs: 11
; ScratchSize: 0
; MemoryBound: 0
; FloatMode: 240
; IeeeMode: 1
; LDSByteSize: 0 bytes/workgroup (compile time only)
; SGPRBlocks: 2
; VGPRBlocks: 1
; NumSGPRsForWavesPerEU: 22
; NumVGPRsForWavesPerEU: 11
; AccumOffset: 12
; Occupancy: 8
; WaveLimiterHint : 0
; COMPUTE_PGM_RSRC2:SCRATCH_EN: 0
; COMPUTE_PGM_RSRC2:USER_SGPR: 2
; COMPUTE_PGM_RSRC2:TRAP_HANDLER: 0
; COMPUTE_PGM_RSRC2:TGID_X_EN: 1
; COMPUTE_PGM_RSRC2:TGID_Y_EN: 0
; COMPUTE_PGM_RSRC2:TGID_Z_EN: 0
; COMPUTE_PGM_RSRC2:TIDIG_COMP_CNT: 0
; COMPUTE_PGM_RSRC3_GFX90A:ACCUM_OFFSET: 2
; COMPUTE_PGM_RSRC3_GFX90A:TG_SPLIT: 0
	.section	.text._ZN7rocprim17ROCPRIM_400000_NS6detail17trampoline_kernelINS0_14default_configENS1_25partition_config_selectorILNS1_17partition_subalgoE8EjNS0_10empty_typeEbEEZZNS1_14partition_implILS5_8ELb0ES3_jPKjPS6_PKS6_NS0_5tupleIJPjS6_EEENSE_IJSB_SB_EEENS0_18inequality_wrapperIN6hipcub16HIPCUB_304000_NS8EqualityEEEPlJS6_EEE10hipError_tPvRmT3_T4_T5_T6_T7_T9_mT8_P12ihipStream_tbDpT10_ENKUlT_T0_E_clISt17integral_constantIbLb0EES17_EEDaS12_S13_EUlS12_E_NS1_11comp_targetILNS1_3genE0ELNS1_11target_archE4294967295ELNS1_3gpuE0ELNS1_3repE0EEENS1_30default_config_static_selectorELNS0_4arch9wavefront6targetE1EEEvT1_,"axG",@progbits,_ZN7rocprim17ROCPRIM_400000_NS6detail17trampoline_kernelINS0_14default_configENS1_25partition_config_selectorILNS1_17partition_subalgoE8EjNS0_10empty_typeEbEEZZNS1_14partition_implILS5_8ELb0ES3_jPKjPS6_PKS6_NS0_5tupleIJPjS6_EEENSE_IJSB_SB_EEENS0_18inequality_wrapperIN6hipcub16HIPCUB_304000_NS8EqualityEEEPlJS6_EEE10hipError_tPvRmT3_T4_T5_T6_T7_T9_mT8_P12ihipStream_tbDpT10_ENKUlT_T0_E_clISt17integral_constantIbLb0EES17_EEDaS12_S13_EUlS12_E_NS1_11comp_targetILNS1_3genE0ELNS1_11target_archE4294967295ELNS1_3gpuE0ELNS1_3repE0EEENS1_30default_config_static_selectorELNS0_4arch9wavefront6targetE1EEEvT1_,comdat
	.protected	_ZN7rocprim17ROCPRIM_400000_NS6detail17trampoline_kernelINS0_14default_configENS1_25partition_config_selectorILNS1_17partition_subalgoE8EjNS0_10empty_typeEbEEZZNS1_14partition_implILS5_8ELb0ES3_jPKjPS6_PKS6_NS0_5tupleIJPjS6_EEENSE_IJSB_SB_EEENS0_18inequality_wrapperIN6hipcub16HIPCUB_304000_NS8EqualityEEEPlJS6_EEE10hipError_tPvRmT3_T4_T5_T6_T7_T9_mT8_P12ihipStream_tbDpT10_ENKUlT_T0_E_clISt17integral_constantIbLb0EES17_EEDaS12_S13_EUlS12_E_NS1_11comp_targetILNS1_3genE0ELNS1_11target_archE4294967295ELNS1_3gpuE0ELNS1_3repE0EEENS1_30default_config_static_selectorELNS0_4arch9wavefront6targetE1EEEvT1_ ; -- Begin function _ZN7rocprim17ROCPRIM_400000_NS6detail17trampoline_kernelINS0_14default_configENS1_25partition_config_selectorILNS1_17partition_subalgoE8EjNS0_10empty_typeEbEEZZNS1_14partition_implILS5_8ELb0ES3_jPKjPS6_PKS6_NS0_5tupleIJPjS6_EEENSE_IJSB_SB_EEENS0_18inequality_wrapperIN6hipcub16HIPCUB_304000_NS8EqualityEEEPlJS6_EEE10hipError_tPvRmT3_T4_T5_T6_T7_T9_mT8_P12ihipStream_tbDpT10_ENKUlT_T0_E_clISt17integral_constantIbLb0EES17_EEDaS12_S13_EUlS12_E_NS1_11comp_targetILNS1_3genE0ELNS1_11target_archE4294967295ELNS1_3gpuE0ELNS1_3repE0EEENS1_30default_config_static_selectorELNS0_4arch9wavefront6targetE1EEEvT1_
	.globl	_ZN7rocprim17ROCPRIM_400000_NS6detail17trampoline_kernelINS0_14default_configENS1_25partition_config_selectorILNS1_17partition_subalgoE8EjNS0_10empty_typeEbEEZZNS1_14partition_implILS5_8ELb0ES3_jPKjPS6_PKS6_NS0_5tupleIJPjS6_EEENSE_IJSB_SB_EEENS0_18inequality_wrapperIN6hipcub16HIPCUB_304000_NS8EqualityEEEPlJS6_EEE10hipError_tPvRmT3_T4_T5_T6_T7_T9_mT8_P12ihipStream_tbDpT10_ENKUlT_T0_E_clISt17integral_constantIbLb0EES17_EEDaS12_S13_EUlS12_E_NS1_11comp_targetILNS1_3genE0ELNS1_11target_archE4294967295ELNS1_3gpuE0ELNS1_3repE0EEENS1_30default_config_static_selectorELNS0_4arch9wavefront6targetE1EEEvT1_
	.p2align	8
	.type	_ZN7rocprim17ROCPRIM_400000_NS6detail17trampoline_kernelINS0_14default_configENS1_25partition_config_selectorILNS1_17partition_subalgoE8EjNS0_10empty_typeEbEEZZNS1_14partition_implILS5_8ELb0ES3_jPKjPS6_PKS6_NS0_5tupleIJPjS6_EEENSE_IJSB_SB_EEENS0_18inequality_wrapperIN6hipcub16HIPCUB_304000_NS8EqualityEEEPlJS6_EEE10hipError_tPvRmT3_T4_T5_T6_T7_T9_mT8_P12ihipStream_tbDpT10_ENKUlT_T0_E_clISt17integral_constantIbLb0EES17_EEDaS12_S13_EUlS12_E_NS1_11comp_targetILNS1_3genE0ELNS1_11target_archE4294967295ELNS1_3gpuE0ELNS1_3repE0EEENS1_30default_config_static_selectorELNS0_4arch9wavefront6targetE1EEEvT1_,@function
_ZN7rocprim17ROCPRIM_400000_NS6detail17trampoline_kernelINS0_14default_configENS1_25partition_config_selectorILNS1_17partition_subalgoE8EjNS0_10empty_typeEbEEZZNS1_14partition_implILS5_8ELb0ES3_jPKjPS6_PKS6_NS0_5tupleIJPjS6_EEENSE_IJSB_SB_EEENS0_18inequality_wrapperIN6hipcub16HIPCUB_304000_NS8EqualityEEEPlJS6_EEE10hipError_tPvRmT3_T4_T5_T6_T7_T9_mT8_P12ihipStream_tbDpT10_ENKUlT_T0_E_clISt17integral_constantIbLb0EES17_EEDaS12_S13_EUlS12_E_NS1_11comp_targetILNS1_3genE0ELNS1_11target_archE4294967295ELNS1_3gpuE0ELNS1_3repE0EEENS1_30default_config_static_selectorELNS0_4arch9wavefront6targetE1EEEvT1_: ; @_ZN7rocprim17ROCPRIM_400000_NS6detail17trampoline_kernelINS0_14default_configENS1_25partition_config_selectorILNS1_17partition_subalgoE8EjNS0_10empty_typeEbEEZZNS1_14partition_implILS5_8ELb0ES3_jPKjPS6_PKS6_NS0_5tupleIJPjS6_EEENSE_IJSB_SB_EEENS0_18inequality_wrapperIN6hipcub16HIPCUB_304000_NS8EqualityEEEPlJS6_EEE10hipError_tPvRmT3_T4_T5_T6_T7_T9_mT8_P12ihipStream_tbDpT10_ENKUlT_T0_E_clISt17integral_constantIbLb0EES17_EEDaS12_S13_EUlS12_E_NS1_11comp_targetILNS1_3genE0ELNS1_11target_archE4294967295ELNS1_3gpuE0ELNS1_3repE0EEENS1_30default_config_static_selectorELNS0_4arch9wavefront6targetE1EEEvT1_
; %bb.0:
	.section	.rodata,"a",@progbits
	.p2align	6, 0x0
	.amdhsa_kernel _ZN7rocprim17ROCPRIM_400000_NS6detail17trampoline_kernelINS0_14default_configENS1_25partition_config_selectorILNS1_17partition_subalgoE8EjNS0_10empty_typeEbEEZZNS1_14partition_implILS5_8ELb0ES3_jPKjPS6_PKS6_NS0_5tupleIJPjS6_EEENSE_IJSB_SB_EEENS0_18inequality_wrapperIN6hipcub16HIPCUB_304000_NS8EqualityEEEPlJS6_EEE10hipError_tPvRmT3_T4_T5_T6_T7_T9_mT8_P12ihipStream_tbDpT10_ENKUlT_T0_E_clISt17integral_constantIbLb0EES17_EEDaS12_S13_EUlS12_E_NS1_11comp_targetILNS1_3genE0ELNS1_11target_archE4294967295ELNS1_3gpuE0ELNS1_3repE0EEENS1_30default_config_static_selectorELNS0_4arch9wavefront6targetE1EEEvT1_
		.amdhsa_group_segment_fixed_size 0
		.amdhsa_private_segment_fixed_size 0
		.amdhsa_kernarg_size 112
		.amdhsa_user_sgpr_count 2
		.amdhsa_user_sgpr_dispatch_ptr 0
		.amdhsa_user_sgpr_queue_ptr 0
		.amdhsa_user_sgpr_kernarg_segment_ptr 1
		.amdhsa_user_sgpr_dispatch_id 0
		.amdhsa_user_sgpr_kernarg_preload_length 0
		.amdhsa_user_sgpr_kernarg_preload_offset 0
		.amdhsa_user_sgpr_private_segment_size 0
		.amdhsa_uses_dynamic_stack 0
		.amdhsa_enable_private_segment 0
		.amdhsa_system_sgpr_workgroup_id_x 1
		.amdhsa_system_sgpr_workgroup_id_y 0
		.amdhsa_system_sgpr_workgroup_id_z 0
		.amdhsa_system_sgpr_workgroup_info 0
		.amdhsa_system_vgpr_workitem_id 0
		.amdhsa_next_free_vgpr 1
		.amdhsa_next_free_sgpr 0
		.amdhsa_accum_offset 4
		.amdhsa_reserve_vcc 0
		.amdhsa_float_round_mode_32 0
		.amdhsa_float_round_mode_16_64 0
		.amdhsa_float_denorm_mode_32 3
		.amdhsa_float_denorm_mode_16_64 3
		.amdhsa_dx10_clamp 1
		.amdhsa_ieee_mode 1
		.amdhsa_fp16_overflow 0
		.amdhsa_tg_split 0
		.amdhsa_exception_fp_ieee_invalid_op 0
		.amdhsa_exception_fp_denorm_src 0
		.amdhsa_exception_fp_ieee_div_zero 0
		.amdhsa_exception_fp_ieee_overflow 0
		.amdhsa_exception_fp_ieee_underflow 0
		.amdhsa_exception_fp_ieee_inexact 0
		.amdhsa_exception_int_div_zero 0
	.end_amdhsa_kernel
	.section	.text._ZN7rocprim17ROCPRIM_400000_NS6detail17trampoline_kernelINS0_14default_configENS1_25partition_config_selectorILNS1_17partition_subalgoE8EjNS0_10empty_typeEbEEZZNS1_14partition_implILS5_8ELb0ES3_jPKjPS6_PKS6_NS0_5tupleIJPjS6_EEENSE_IJSB_SB_EEENS0_18inequality_wrapperIN6hipcub16HIPCUB_304000_NS8EqualityEEEPlJS6_EEE10hipError_tPvRmT3_T4_T5_T6_T7_T9_mT8_P12ihipStream_tbDpT10_ENKUlT_T0_E_clISt17integral_constantIbLb0EES17_EEDaS12_S13_EUlS12_E_NS1_11comp_targetILNS1_3genE0ELNS1_11target_archE4294967295ELNS1_3gpuE0ELNS1_3repE0EEENS1_30default_config_static_selectorELNS0_4arch9wavefront6targetE1EEEvT1_,"axG",@progbits,_ZN7rocprim17ROCPRIM_400000_NS6detail17trampoline_kernelINS0_14default_configENS1_25partition_config_selectorILNS1_17partition_subalgoE8EjNS0_10empty_typeEbEEZZNS1_14partition_implILS5_8ELb0ES3_jPKjPS6_PKS6_NS0_5tupleIJPjS6_EEENSE_IJSB_SB_EEENS0_18inequality_wrapperIN6hipcub16HIPCUB_304000_NS8EqualityEEEPlJS6_EEE10hipError_tPvRmT3_T4_T5_T6_T7_T9_mT8_P12ihipStream_tbDpT10_ENKUlT_T0_E_clISt17integral_constantIbLb0EES17_EEDaS12_S13_EUlS12_E_NS1_11comp_targetILNS1_3genE0ELNS1_11target_archE4294967295ELNS1_3gpuE0ELNS1_3repE0EEENS1_30default_config_static_selectorELNS0_4arch9wavefront6targetE1EEEvT1_,comdat
.Lfunc_end617:
	.size	_ZN7rocprim17ROCPRIM_400000_NS6detail17trampoline_kernelINS0_14default_configENS1_25partition_config_selectorILNS1_17partition_subalgoE8EjNS0_10empty_typeEbEEZZNS1_14partition_implILS5_8ELb0ES3_jPKjPS6_PKS6_NS0_5tupleIJPjS6_EEENSE_IJSB_SB_EEENS0_18inequality_wrapperIN6hipcub16HIPCUB_304000_NS8EqualityEEEPlJS6_EEE10hipError_tPvRmT3_T4_T5_T6_T7_T9_mT8_P12ihipStream_tbDpT10_ENKUlT_T0_E_clISt17integral_constantIbLb0EES17_EEDaS12_S13_EUlS12_E_NS1_11comp_targetILNS1_3genE0ELNS1_11target_archE4294967295ELNS1_3gpuE0ELNS1_3repE0EEENS1_30default_config_static_selectorELNS0_4arch9wavefront6targetE1EEEvT1_, .Lfunc_end617-_ZN7rocprim17ROCPRIM_400000_NS6detail17trampoline_kernelINS0_14default_configENS1_25partition_config_selectorILNS1_17partition_subalgoE8EjNS0_10empty_typeEbEEZZNS1_14partition_implILS5_8ELb0ES3_jPKjPS6_PKS6_NS0_5tupleIJPjS6_EEENSE_IJSB_SB_EEENS0_18inequality_wrapperIN6hipcub16HIPCUB_304000_NS8EqualityEEEPlJS6_EEE10hipError_tPvRmT3_T4_T5_T6_T7_T9_mT8_P12ihipStream_tbDpT10_ENKUlT_T0_E_clISt17integral_constantIbLb0EES17_EEDaS12_S13_EUlS12_E_NS1_11comp_targetILNS1_3genE0ELNS1_11target_archE4294967295ELNS1_3gpuE0ELNS1_3repE0EEENS1_30default_config_static_selectorELNS0_4arch9wavefront6targetE1EEEvT1_
                                        ; -- End function
	.section	.AMDGPU.csdata,"",@progbits
; Kernel info:
; codeLenInByte = 0
; NumSgprs: 6
; NumVgprs: 0
; NumAgprs: 0
; TotalNumVgprs: 0
; ScratchSize: 0
; MemoryBound: 0
; FloatMode: 240
; IeeeMode: 1
; LDSByteSize: 0 bytes/workgroup (compile time only)
; SGPRBlocks: 0
; VGPRBlocks: 0
; NumSGPRsForWavesPerEU: 6
; NumVGPRsForWavesPerEU: 1
; AccumOffset: 4
; Occupancy: 8
; WaveLimiterHint : 0
; COMPUTE_PGM_RSRC2:SCRATCH_EN: 0
; COMPUTE_PGM_RSRC2:USER_SGPR: 2
; COMPUTE_PGM_RSRC2:TRAP_HANDLER: 0
; COMPUTE_PGM_RSRC2:TGID_X_EN: 1
; COMPUTE_PGM_RSRC2:TGID_Y_EN: 0
; COMPUTE_PGM_RSRC2:TGID_Z_EN: 0
; COMPUTE_PGM_RSRC2:TIDIG_COMP_CNT: 0
; COMPUTE_PGM_RSRC3_GFX90A:ACCUM_OFFSET: 0
; COMPUTE_PGM_RSRC3_GFX90A:TG_SPLIT: 0
	.section	.text._ZN7rocprim17ROCPRIM_400000_NS6detail17trampoline_kernelINS0_14default_configENS1_25partition_config_selectorILNS1_17partition_subalgoE8EjNS0_10empty_typeEbEEZZNS1_14partition_implILS5_8ELb0ES3_jPKjPS6_PKS6_NS0_5tupleIJPjS6_EEENSE_IJSB_SB_EEENS0_18inequality_wrapperIN6hipcub16HIPCUB_304000_NS8EqualityEEEPlJS6_EEE10hipError_tPvRmT3_T4_T5_T6_T7_T9_mT8_P12ihipStream_tbDpT10_ENKUlT_T0_E_clISt17integral_constantIbLb0EES17_EEDaS12_S13_EUlS12_E_NS1_11comp_targetILNS1_3genE5ELNS1_11target_archE942ELNS1_3gpuE9ELNS1_3repE0EEENS1_30default_config_static_selectorELNS0_4arch9wavefront6targetE1EEEvT1_,"axG",@progbits,_ZN7rocprim17ROCPRIM_400000_NS6detail17trampoline_kernelINS0_14default_configENS1_25partition_config_selectorILNS1_17partition_subalgoE8EjNS0_10empty_typeEbEEZZNS1_14partition_implILS5_8ELb0ES3_jPKjPS6_PKS6_NS0_5tupleIJPjS6_EEENSE_IJSB_SB_EEENS0_18inequality_wrapperIN6hipcub16HIPCUB_304000_NS8EqualityEEEPlJS6_EEE10hipError_tPvRmT3_T4_T5_T6_T7_T9_mT8_P12ihipStream_tbDpT10_ENKUlT_T0_E_clISt17integral_constantIbLb0EES17_EEDaS12_S13_EUlS12_E_NS1_11comp_targetILNS1_3genE5ELNS1_11target_archE942ELNS1_3gpuE9ELNS1_3repE0EEENS1_30default_config_static_selectorELNS0_4arch9wavefront6targetE1EEEvT1_,comdat
	.protected	_ZN7rocprim17ROCPRIM_400000_NS6detail17trampoline_kernelINS0_14default_configENS1_25partition_config_selectorILNS1_17partition_subalgoE8EjNS0_10empty_typeEbEEZZNS1_14partition_implILS5_8ELb0ES3_jPKjPS6_PKS6_NS0_5tupleIJPjS6_EEENSE_IJSB_SB_EEENS0_18inequality_wrapperIN6hipcub16HIPCUB_304000_NS8EqualityEEEPlJS6_EEE10hipError_tPvRmT3_T4_T5_T6_T7_T9_mT8_P12ihipStream_tbDpT10_ENKUlT_T0_E_clISt17integral_constantIbLb0EES17_EEDaS12_S13_EUlS12_E_NS1_11comp_targetILNS1_3genE5ELNS1_11target_archE942ELNS1_3gpuE9ELNS1_3repE0EEENS1_30default_config_static_selectorELNS0_4arch9wavefront6targetE1EEEvT1_ ; -- Begin function _ZN7rocprim17ROCPRIM_400000_NS6detail17trampoline_kernelINS0_14default_configENS1_25partition_config_selectorILNS1_17partition_subalgoE8EjNS0_10empty_typeEbEEZZNS1_14partition_implILS5_8ELb0ES3_jPKjPS6_PKS6_NS0_5tupleIJPjS6_EEENSE_IJSB_SB_EEENS0_18inequality_wrapperIN6hipcub16HIPCUB_304000_NS8EqualityEEEPlJS6_EEE10hipError_tPvRmT3_T4_T5_T6_T7_T9_mT8_P12ihipStream_tbDpT10_ENKUlT_T0_E_clISt17integral_constantIbLb0EES17_EEDaS12_S13_EUlS12_E_NS1_11comp_targetILNS1_3genE5ELNS1_11target_archE942ELNS1_3gpuE9ELNS1_3repE0EEENS1_30default_config_static_selectorELNS0_4arch9wavefront6targetE1EEEvT1_
	.globl	_ZN7rocprim17ROCPRIM_400000_NS6detail17trampoline_kernelINS0_14default_configENS1_25partition_config_selectorILNS1_17partition_subalgoE8EjNS0_10empty_typeEbEEZZNS1_14partition_implILS5_8ELb0ES3_jPKjPS6_PKS6_NS0_5tupleIJPjS6_EEENSE_IJSB_SB_EEENS0_18inequality_wrapperIN6hipcub16HIPCUB_304000_NS8EqualityEEEPlJS6_EEE10hipError_tPvRmT3_T4_T5_T6_T7_T9_mT8_P12ihipStream_tbDpT10_ENKUlT_T0_E_clISt17integral_constantIbLb0EES17_EEDaS12_S13_EUlS12_E_NS1_11comp_targetILNS1_3genE5ELNS1_11target_archE942ELNS1_3gpuE9ELNS1_3repE0EEENS1_30default_config_static_selectorELNS0_4arch9wavefront6targetE1EEEvT1_
	.p2align	8
	.type	_ZN7rocprim17ROCPRIM_400000_NS6detail17trampoline_kernelINS0_14default_configENS1_25partition_config_selectorILNS1_17partition_subalgoE8EjNS0_10empty_typeEbEEZZNS1_14partition_implILS5_8ELb0ES3_jPKjPS6_PKS6_NS0_5tupleIJPjS6_EEENSE_IJSB_SB_EEENS0_18inequality_wrapperIN6hipcub16HIPCUB_304000_NS8EqualityEEEPlJS6_EEE10hipError_tPvRmT3_T4_T5_T6_T7_T9_mT8_P12ihipStream_tbDpT10_ENKUlT_T0_E_clISt17integral_constantIbLb0EES17_EEDaS12_S13_EUlS12_E_NS1_11comp_targetILNS1_3genE5ELNS1_11target_archE942ELNS1_3gpuE9ELNS1_3repE0EEENS1_30default_config_static_selectorELNS0_4arch9wavefront6targetE1EEEvT1_,@function
_ZN7rocprim17ROCPRIM_400000_NS6detail17trampoline_kernelINS0_14default_configENS1_25partition_config_selectorILNS1_17partition_subalgoE8EjNS0_10empty_typeEbEEZZNS1_14partition_implILS5_8ELb0ES3_jPKjPS6_PKS6_NS0_5tupleIJPjS6_EEENSE_IJSB_SB_EEENS0_18inequality_wrapperIN6hipcub16HIPCUB_304000_NS8EqualityEEEPlJS6_EEE10hipError_tPvRmT3_T4_T5_T6_T7_T9_mT8_P12ihipStream_tbDpT10_ENKUlT_T0_E_clISt17integral_constantIbLb0EES17_EEDaS12_S13_EUlS12_E_NS1_11comp_targetILNS1_3genE5ELNS1_11target_archE942ELNS1_3gpuE9ELNS1_3repE0EEENS1_30default_config_static_selectorELNS0_4arch9wavefront6targetE1EEEvT1_: ; @_ZN7rocprim17ROCPRIM_400000_NS6detail17trampoline_kernelINS0_14default_configENS1_25partition_config_selectorILNS1_17partition_subalgoE8EjNS0_10empty_typeEbEEZZNS1_14partition_implILS5_8ELb0ES3_jPKjPS6_PKS6_NS0_5tupleIJPjS6_EEENSE_IJSB_SB_EEENS0_18inequality_wrapperIN6hipcub16HIPCUB_304000_NS8EqualityEEEPlJS6_EEE10hipError_tPvRmT3_T4_T5_T6_T7_T9_mT8_P12ihipStream_tbDpT10_ENKUlT_T0_E_clISt17integral_constantIbLb0EES17_EEDaS12_S13_EUlS12_E_NS1_11comp_targetILNS1_3genE5ELNS1_11target_archE942ELNS1_3gpuE9ELNS1_3repE0EEENS1_30default_config_static_selectorELNS0_4arch9wavefront6targetE1EEEvT1_
; %bb.0:
	s_load_dwordx2 s[8:9], s[0:1], 0x50
	s_load_dwordx4 s[4:7], s[0:1], 0x8
	s_load_dwordx4 s[36:39], s[0:1], 0x40
	s_load_dword s3, s[0:1], 0x68
	s_waitcnt lgkmcnt(0)
	v_mov_b32_e32 v3, s9
	s_lshl_b64 s[10:11], s[6:7], 2
	s_add_u32 s10, s4, s10
	s_mul_i32 s9, s3, 0x1e00
	s_addc_u32 s11, s5, s11
	s_add_i32 s12, s3, -1
	s_add_i32 s3, s9, s6
	s_sub_i32 s3, s8, s3
	v_mov_b32_e32 v2, s8
	s_add_u32 s8, s6, s9
	s_addc_u32 s9, s7, 0
	s_cmp_eq_u32 s2, s12
	s_load_dwordx2 s[34:35], s[38:39], 0x0
	v_cmp_ge_u64_e32 vcc, s[8:9], v[2:3]
	s_cselect_b64 s[38:39], -1, 0
	s_mul_i32 s4, s2, 0x1e00
	s_mov_b32 s5, 0
	s_and_b64 s[42:43], s[38:39], vcc
	s_xor_b64 s[40:41], s[42:43], -1
	s_lshl_b64 s[4:5], s[4:5], 2
	s_add_u32 s4, s10, s4
	s_mov_b64 s[8:9], -1
	s_addc_u32 s5, s11, s5
	s_and_b64 vcc, exec, s[40:41]
	s_cbranch_vccz .LBB618_2
; %bb.1:
	v_lshlrev_b32_e32 v2, 2, v0
	v_mov_b32_e32 v3, 0
	v_lshl_add_u64 v[4:5], s[4:5], 0, v[2:3]
	v_add_co_u32_e32 v6, vcc, 0x1000, v4
	global_load_dword v1, v2, s[4:5]
	global_load_dword v3, v2, s[4:5] offset:2048
	v_addc_co_u32_e32 v7, vcc, 0, v5, vcc
	v_add_co_u32_e32 v8, vcc, 0x2000, v4
	s_mov_b64 s[8:9], 0
	s_nop 0
	v_addc_co_u32_e32 v9, vcc, 0, v5, vcc
	v_add_co_u32_e32 v10, vcc, 0x3000, v4
	s_nop 1
	v_addc_co_u32_e32 v11, vcc, 0, v5, vcc
	v_add_co_u32_e32 v12, vcc, 0x4000, v4
	s_nop 1
	v_addc_co_u32_e32 v13, vcc, 0, v5, vcc
	global_load_dword v14, v[6:7], off
	global_load_dword v15, v[6:7], off offset:2048
	global_load_dword v16, v[8:9], off
	global_load_dword v17, v[8:9], off offset:2048
	;; [unrolled: 2-line block ×4, first 2 shown]
	v_add_co_u32_e32 v6, vcc, 0x5000, v4
	s_nop 1
	v_addc_co_u32_e32 v7, vcc, 0, v5, vcc
	v_add_co_u32_e32 v8, vcc, 0x6000, v4
	s_nop 1
	v_addc_co_u32_e32 v9, vcc, 0, v5, vcc
	global_load_dword v10, v[6:7], off
	global_load_dword v11, v[6:7], off offset:2048
	global_load_dword v12, v[8:9], off
	global_load_dword v13, v[8:9], off offset:2048
	v_add_co_u32_e32 v4, vcc, 0x7000, v4
	s_nop 1
	v_addc_co_u32_e32 v5, vcc, 0, v5, vcc
	global_load_dword v4, v[4:5], off
	s_waitcnt vmcnt(13)
	ds_write2st64_b32 v2, v1, v3 offset1:8
	s_waitcnt vmcnt(11)
	ds_write2st64_b32 v2, v14, v15 offset0:16 offset1:24
	s_waitcnt vmcnt(9)
	ds_write2st64_b32 v2, v16, v17 offset0:32 offset1:40
	;; [unrolled: 2-line block ×6, first 2 shown]
	s_waitcnt vmcnt(0)
	ds_write_b32 v2, v4 offset:28672
	s_waitcnt lgkmcnt(0)
	s_barrier
.LBB618_2:
	s_andn2_b64 vcc, exec, s[8:9]
	s_addk_i32 s3, 0x1e00
	s_cbranch_vccnz .LBB618_34
; %bb.3:
	v_cmp_gt_u32_e32 vcc, s3, v0
                                        ; implicit-def: $vgpr2_vgpr3_vgpr4_vgpr5_vgpr6_vgpr7_vgpr8_vgpr9_vgpr10_vgpr11_vgpr12_vgpr13_vgpr14_vgpr15_vgpr16_vgpr17
	s_and_saveexec_b64 s[8:9], vcc
	s_cbranch_execz .LBB618_5
; %bb.4:
	v_lshlrev_b32_e32 v1, 2, v0
	global_load_dword v2, v1, s[4:5]
.LBB618_5:
	s_or_b64 exec, exec, s[8:9]
	v_or_b32_e32 v1, 0x200, v0
	v_cmp_gt_u32_e32 vcc, s3, v1
	s_and_saveexec_b64 s[8:9], vcc
	s_cbranch_execz .LBB618_7
; %bb.6:
	v_lshlrev_b32_e32 v1, 2, v0
	global_load_dword v3, v1, s[4:5] offset:2048
.LBB618_7:
	s_or_b64 exec, exec, s[8:9]
	v_or_b32_e32 v1, 0x400, v0
	v_cmp_gt_u32_e32 vcc, s3, v1
	s_and_saveexec_b64 s[8:9], vcc
	s_cbranch_execz .LBB618_9
; %bb.8:
	v_lshlrev_b32_e32 v1, 2, v1
	global_load_dword v4, v1, s[4:5]
.LBB618_9:
	s_or_b64 exec, exec, s[8:9]
	v_or_b32_e32 v1, 0x600, v0
	v_cmp_gt_u32_e32 vcc, s3, v1
	s_and_saveexec_b64 s[8:9], vcc
	s_cbranch_execz .LBB618_11
; %bb.10:
	v_lshlrev_b32_e32 v1, 2, v1
	global_load_dword v5, v1, s[4:5]
.LBB618_11:
	;; [unrolled: 9-line block ×13, first 2 shown]
	s_or_b64 exec, exec, s[8:9]
	v_lshlrev_b32_e32 v1, 2, v0
	s_waitcnt vmcnt(0)
	ds_write2st64_b32 v1, v2, v3 offset1:8
	ds_write2st64_b32 v1, v4, v5 offset0:16 offset1:24
	ds_write2st64_b32 v1, v6, v7 offset0:32 offset1:40
	;; [unrolled: 1-line block ×6, first 2 shown]
	ds_write_b32 v1, v16 offset:28672
	s_waitcnt lgkmcnt(0)
	s_barrier
.LBB618_34:
	v_mul_u32_u24_e32 v10, 15, v0
	v_lshlrev_b32_e32 v17, 2, v10
	s_waitcnt lgkmcnt(0)
	ds_read2_b32 v[30:31], v17 offset1:1
	ds_read2_b32 v[28:29], v17 offset0:2 offset1:3
	ds_read2_b32 v[26:27], v17 offset0:4 offset1:5
	;; [unrolled: 1-line block ×6, first 2 shown]
	ds_read_b32 v1, v17 offset:56
	s_cmp_lg_u32 s2, 0
	s_cselect_b64 s[44:45], -1, 0
	s_cmp_lg_u64 s[6:7], 0
	s_cselect_b64 s[6:7], -1, 0
	s_or_b64 s[6:7], s[44:45], s[6:7]
	v_mad_u32_u24 v15, v0, 15, 1
	v_mad_u32_u24 v11, v0, 15, 2
	;; [unrolled: 1-line block ×14, first 2 shown]
	s_mov_b64 s[46:47], 0
	s_and_b64 vcc, exec, s[6:7]
	s_waitcnt lgkmcnt(0)
	s_barrier
	s_cbranch_vccz .LBB618_39
; %bb.35:
	s_add_u32 s4, s4, -4
	s_addc_u32 s5, s5, -1
	s_load_dword s8, s[4:5], 0x0
	v_lshlrev_b32_e32 v32, 2, v0
	s_and_b64 vcc, exec, s[40:41]
	ds_write_b32 v32, v1
	s_cbranch_vccz .LBB618_41
; %bb.36:
	v_cmp_ne_u32_e32 vcc, 0, v0
	s_waitcnt lgkmcnt(0)
	v_mov_b32_e32 v33, s8
	s_barrier
	s_and_saveexec_b64 s[4:5], vcc
	s_cbranch_execz .LBB618_38
; %bb.37:
	v_add_u32_e32 v33, -4, v32
	ds_read_b32 v33, v33
.LBB618_38:
	s_or_b64 exec, exec, s[4:5]
	v_cmp_ne_u32_e32 vcc, v19, v1
	s_waitcnt lgkmcnt(0)
	v_cmp_ne_u32_e64 s[4:5], v33, v30
	v_cndmask_b32_e64 v35, 0, 1, vcc
	v_cmp_ne_u32_e32 vcc, v18, v19
	s_nop 1
	v_cndmask_b32_e64 v36, 0, 1, vcc
	v_cmp_ne_u32_e32 vcc, v21, v18
	s_nop 1
	;; [unrolled: 3-line block ×13, first 2 shown]
	v_cndmask_b32_e64 v48, 0, 1, vcc
	s_branch .LBB618_45
.LBB618_39:
                                        ; implicit-def: $sgpr4_sgpr5
                                        ; implicit-def: $vgpr35
                                        ; implicit-def: $vgpr36
                                        ; implicit-def: $vgpr37
                                        ; implicit-def: $vgpr38
                                        ; implicit-def: $vgpr39
                                        ; implicit-def: $vgpr40
                                        ; implicit-def: $vgpr41
                                        ; implicit-def: $vgpr42
                                        ; implicit-def: $vgpr48
                                        ; implicit-def: $vgpr47
                                        ; implicit-def: $vgpr46
                                        ; implicit-def: $vgpr45
                                        ; implicit-def: $vgpr44
                                        ; implicit-def: $vgpr43
	s_branch .LBB618_46
.LBB618_40:
                                        ; implicit-def: $sgpr8
	s_branch .LBB618_54
.LBB618_41:
                                        ; implicit-def: $sgpr4_sgpr5
                                        ; implicit-def: $vgpr35
                                        ; implicit-def: $vgpr36
                                        ; implicit-def: $vgpr37
                                        ; implicit-def: $vgpr38
                                        ; implicit-def: $vgpr39
                                        ; implicit-def: $vgpr40
                                        ; implicit-def: $vgpr41
                                        ; implicit-def: $vgpr42
                                        ; implicit-def: $vgpr48
                                        ; implicit-def: $vgpr47
                                        ; implicit-def: $vgpr46
                                        ; implicit-def: $vgpr45
                                        ; implicit-def: $vgpr44
                                        ; implicit-def: $vgpr43
	s_cbranch_execz .LBB618_45
; %bb.42:
	v_cmp_ne_u32_e32 vcc, 0, v0
	s_waitcnt lgkmcnt(0)
	v_mov_b32_e32 v33, s8
	s_barrier
	s_and_saveexec_b64 s[4:5], vcc
	s_cbranch_execz .LBB618_44
; %bb.43:
	v_add_u32_e32 v32, -4, v32
	ds_read_b32 v33, v32
.LBB618_44:
	s_or_b64 exec, exec, s[4:5]
	v_cmp_gt_u32_e32 vcc, s3, v2
	v_cmp_ne_u32_e64 s[4:5], v19, v1
	s_and_b64 s[4:5], vcc, s[4:5]
	v_cmp_gt_u32_e32 vcc, s3, v5
	v_cndmask_b32_e64 v35, 0, 1, s[4:5]
	v_cmp_ne_u32_e64 s[4:5], v18, v19
	s_and_b64 s[4:5], vcc, s[4:5]
	v_cmp_gt_u32_e32 vcc, s3, v4
	v_cndmask_b32_e64 v36, 0, 1, s[4:5]
	;; [unrolled: 4-line block ×14, first 2 shown]
	s_waitcnt lgkmcnt(0)
	v_cmp_ne_u32_e64 s[4:5], v33, v30
	s_and_b64 s[4:5], vcc, s[4:5]
.LBB618_45:
	s_mov_b64 s[46:47], -1
	s_cbranch_execnz .LBB618_40
.LBB618_46:
	s_movk_i32 s4, 0xffc8
	v_mad_i32_i24 v17, v0, s4, v17
	s_and_b64 vcc, exec, s[40:41]
	v_cmp_ne_u32_e64 s[30:31], v19, v1
	v_cmp_ne_u32_e64 s[4:5], v18, v19
	;; [unrolled: 1-line block ×3, first 2 shown]
	s_waitcnt lgkmcnt(0)
	v_cmp_ne_u32_e64 s[8:9], v20, v21
	v_cmp_ne_u32_e64 s[10:11], v23, v20
	;; [unrolled: 1-line block ×11, first 2 shown]
	ds_write_b32 v17, v1
	s_cbranch_vccz .LBB618_50
; %bb.47:
	v_cndmask_b32_e64 v35, 0, 1, s[30:31]
	v_cndmask_b32_e64 v36, 0, 1, s[4:5]
	;; [unrolled: 1-line block ×14, first 2 shown]
	v_cmp_ne_u32_e32 vcc, 0, v0
	s_waitcnt lgkmcnt(0)
	s_barrier
	s_waitcnt lgkmcnt(0)
                                        ; implicit-def: $sgpr4_sgpr5
	s_and_saveexec_b64 s[6:7], vcc
	s_xor_b64 s[6:7], exec, s[6:7]
	s_cbranch_execz .LBB618_49
; %bb.48:
	v_add_u32_e32 v32, -4, v17
	ds_read_b32 v32, v32
	s_or_b64 s[46:47], s[46:47], exec
	s_waitcnt lgkmcnt(0)
	v_cmp_ne_u32_e32 vcc, v32, v30
	s_and_b64 s[4:5], vcc, exec
.LBB618_49:
	s_or_b64 exec, exec, s[6:7]
	s_mov_b32 s8, 1
	s_branch .LBB618_54
.LBB618_50:
                                        ; implicit-def: $sgpr4_sgpr5
                                        ; implicit-def: $vgpr35
                                        ; implicit-def: $vgpr36
                                        ; implicit-def: $vgpr37
                                        ; implicit-def: $vgpr38
                                        ; implicit-def: $vgpr39
                                        ; implicit-def: $vgpr40
                                        ; implicit-def: $vgpr41
                                        ; implicit-def: $vgpr42
                                        ; implicit-def: $vgpr48
                                        ; implicit-def: $vgpr47
                                        ; implicit-def: $vgpr46
                                        ; implicit-def: $vgpr45
                                        ; implicit-def: $vgpr44
                                        ; implicit-def: $vgpr43
                                        ; implicit-def: $sgpr8
	s_cbranch_execz .LBB618_54
; %bb.51:
	v_cmp_gt_u32_e32 vcc, s3, v2
	v_cmp_ne_u32_e64 s[4:5], v19, v1
	s_and_b64 s[4:5], vcc, s[4:5]
	v_cmp_gt_u32_e32 vcc, s3, v5
	v_cndmask_b32_e64 v35, 0, 1, s[4:5]
	v_cmp_ne_u32_e64 s[4:5], v18, v19
	s_and_b64 s[4:5], vcc, s[4:5]
	v_cmp_gt_u32_e32 vcc, s3, v4
	v_cndmask_b32_e64 v36, 0, 1, s[4:5]
	;; [unrolled: 4-line block ×13, first 2 shown]
	v_cmp_ne_u32_e64 s[4:5], v30, v31
	s_and_b64 s[4:5], vcc, s[4:5]
	v_cmp_ne_u32_e32 vcc, 0, v0
	v_cndmask_b32_e64 v48, 0, 1, s[4:5]
	s_waitcnt lgkmcnt(0)
	s_barrier
	s_waitcnt lgkmcnt(0)
                                        ; implicit-def: $sgpr4_sgpr5
	s_and_saveexec_b64 s[6:7], vcc
	s_cbranch_execz .LBB618_53
; %bb.52:
	v_add_u32_e32 v17, -4, v17
	ds_read_b32 v17, v17
	v_cmp_gt_u32_e32 vcc, s3, v10
	s_or_b64 s[46:47], s[46:47], exec
	s_waitcnt lgkmcnt(0)
	v_cmp_ne_u32_e64 s[4:5], v17, v30
	s_and_b64 s[4:5], vcc, s[4:5]
	s_and_b64 s[4:5], s[4:5], exec
.LBB618_53:
	s_or_b64 exec, exec, s[6:7]
	s_mov_b32 s8, 1
.LBB618_54:
	s_waitcnt lgkmcnt(0)
	v_mov_b32_e32 v49, s8
	s_and_saveexec_b64 s[6:7], s[46:47]
; %bb.55:
	v_cndmask_b32_e64 v49, 0, 1, s[4:5]
; %bb.56:
	s_or_b64 exec, exec, s[6:7]
	s_load_dwordx2 s[20:21], s[0:1], 0x60
	s_andn2_b64 vcc, exec, s[42:43]
	s_cbranch_vccnz .LBB618_58
; %bb.57:
	v_cmp_gt_u32_e32 vcc, s3, v10
	s_nop 1
	v_cndmask_b32_e32 v49, 0, v49, vcc
	v_cmp_gt_u32_e32 vcc, s3, v15
	s_nop 1
	v_cndmask_b32_e32 v48, 0, v48, vcc
	;; [unrolled: 3-line block ×15, first 2 shown]
.LBB618_58:
	v_and_b32_e32 v54, 0xff, v45
	v_and_b32_e32 v55, 0xff, v44
	;; [unrolled: 1-line block ×5, first 2 shown]
	v_add3_u32 v3, v55, v56, v54
	v_and_b32_e32 v50, 0xff, v49
	v_and_b32_e32 v51, 0xff, v48
	v_add3_u32 v3, v3, v53, v52
	v_and_b32_e32 v57, 0xff, v42
	v_and_b32_e32 v58, 0xff, v41
	;; [unrolled: 3-line block ×5, first 2 shown]
	v_add3_u32 v3, v3, v61, v62
	v_add3_u32 v66, v3, v63, v2
	v_mbcnt_lo_u32_b32 v2, -1, 0
	v_mbcnt_hi_u32_b32 v64, -1, v2
	v_and_b32_e32 v2, 15, v64
	v_cmp_eq_u32_e64 s[14:15], 0, v2
	v_cmp_lt_u32_e64 s[12:13], 1, v2
	v_cmp_lt_u32_e64 s[10:11], 3, v2
	;; [unrolled: 1-line block ×3, first 2 shown]
	v_and_b32_e32 v2, 16, v64
	v_cmp_eq_u32_e64 s[6:7], 0, v2
	v_or_b32_e32 v2, 63, v0
	v_cmp_lt_u32_e64 s[18:19], 31, v64
	v_lshrrev_b32_e32 v65, 6, v0
	v_cmp_eq_u32_e64 s[4:5], v2, v0
	s_and_b64 vcc, exec, s[44:45]
	s_waitcnt lgkmcnt(0)
	s_barrier
	s_cbranch_vccz .LBB618_85
; %bb.59:
	v_mov_b32_dpp v2, v66 row_shr:1 row_mask:0xf bank_mask:0xf
	v_cndmask_b32_e64 v2, v2, 0, s[14:15]
	v_add_u32_e32 v2, v2, v66
	s_nop 1
	v_mov_b32_dpp v3, v2 row_shr:2 row_mask:0xf bank_mask:0xf
	v_cndmask_b32_e64 v3, 0, v3, s[12:13]
	v_add_u32_e32 v2, v2, v3
	s_nop 1
	;; [unrolled: 4-line block ×4, first 2 shown]
	v_mov_b32_dpp v3, v2 row_bcast:15 row_mask:0xf bank_mask:0xf
	v_cndmask_b32_e64 v3, v3, 0, s[6:7]
	v_add_u32_e32 v2, v2, v3
	s_nop 1
	v_mov_b32_dpp v3, v2 row_bcast:31 row_mask:0xf bank_mask:0xf
	v_cndmask_b32_e64 v3, 0, v3, s[18:19]
	v_add_u32_e32 v2, v2, v3
	s_and_saveexec_b64 s[16:17], s[4:5]
	s_cbranch_execz .LBB618_61
; %bb.60:
	v_lshlrev_b32_e32 v3, 2, v65
	ds_write_b32 v3, v2
.LBB618_61:
	s_or_b64 exec, exec, s[16:17]
	v_cmp_gt_u32_e32 vcc, 8, v0
	s_waitcnt lgkmcnt(0)
	s_barrier
	s_and_saveexec_b64 s[16:17], vcc
	s_cbranch_execz .LBB618_63
; %bb.62:
	v_lshlrev_b32_e32 v3, 2, v0
	ds_read_b32 v4, v3
	v_and_b32_e32 v5, 7, v64
	v_cmp_ne_u32_e32 vcc, 0, v5
	s_waitcnt lgkmcnt(0)
	v_mov_b32_dpp v6, v4 row_shr:1 row_mask:0xf bank_mask:0xf
	v_cndmask_b32_e32 v6, 0, v6, vcc
	v_add_u32_e32 v4, v6, v4
	v_cmp_lt_u32_e32 vcc, 1, v5
	s_nop 0
	v_mov_b32_dpp v6, v4 row_shr:2 row_mask:0xf bank_mask:0xf
	v_cndmask_b32_e32 v6, 0, v6, vcc
	v_add_u32_e32 v4, v4, v6
	v_cmp_lt_u32_e32 vcc, 3, v5
	s_nop 0
	v_mov_b32_dpp v6, v4 row_shr:4 row_mask:0xf bank_mask:0xf
	v_cndmask_b32_e32 v5, 0, v6, vcc
	v_add_u32_e32 v4, v4, v5
	ds_write_b32 v3, v4
.LBB618_63:
	s_or_b64 exec, exec, s[16:17]
	v_cmp_gt_u32_e32 vcc, 64, v0
	v_cmp_lt_u32_e64 s[16:17], 63, v0
	s_waitcnt lgkmcnt(0)
	s_barrier
	s_waitcnt lgkmcnt(0)
                                        ; implicit-def: $vgpr12
	s_and_saveexec_b64 s[22:23], s[16:17]
	s_cbranch_execz .LBB618_65
; %bb.64:
	v_lshl_add_u32 v3, v65, 2, -4
	ds_read_b32 v12, v3
	s_waitcnt lgkmcnt(0)
	v_add_u32_e32 v2, v12, v2
.LBB618_65:
	s_or_b64 exec, exec, s[22:23]
	v_add_u32_e32 v3, -1, v64
	v_and_b32_e32 v4, 64, v64
	v_cmp_lt_i32_e64 s[16:17], v3, v4
	s_nop 1
	v_cndmask_b32_e64 v3, v3, v64, s[16:17]
	v_lshlrev_b32_e32 v3, 2, v3
	ds_bpermute_b32 v13, v3, v2
	v_cmp_eq_u32_e64 s[16:17], 0, v64
	s_and_saveexec_b64 s[22:23], vcc
	s_cbranch_execz .LBB618_84
; %bb.66:
	v_mov_b32_e32 v9, 0
	ds_read_b32 v2, v9 offset:28
	s_and_saveexec_b64 s[24:25], s[16:17]
	s_cbranch_execz .LBB618_68
; %bb.67:
	s_add_i32 s26, s2, 64
	s_mov_b32 s27, 0
	s_lshl_b64 s[26:27], s[26:27], 3
	s_add_u32 s26, s20, s26
	v_mov_b32_e32 v3, 1
	s_addc_u32 s27, s21, s27
	s_waitcnt lgkmcnt(0)
	global_store_dwordx2 v9, v[2:3], s[26:27] sc1
.LBB618_68:
	s_or_b64 exec, exec, s[24:25]
	v_xad_u32 v4, v64, -1, s2
	v_add_u32_e32 v8, 64, v4
	v_lshl_add_u64 v[10:11], v[8:9], 3, s[20:21]
	global_load_dwordx2 v[6:7], v[10:11], off sc1
	s_waitcnt vmcnt(0)
	v_cmp_eq_u16_sdwa s[26:27], v7, v9 src0_sel:BYTE_0 src1_sel:DWORD
	s_and_saveexec_b64 s[24:25], s[26:27]
	s_cbranch_execz .LBB618_72
; %bb.69:
	s_mov_b64 s[26:27], 0
	v_mov_b32_e32 v3, 0
.LBB618_70:                             ; =>This Inner Loop Header: Depth=1
	global_load_dwordx2 v[6:7], v[10:11], off sc1
	s_waitcnt vmcnt(0)
	v_cmp_ne_u16_sdwa s[28:29], v7, v3 src0_sel:BYTE_0 src1_sel:DWORD
	s_or_b64 s[26:27], s[28:29], s[26:27]
	s_andn2_b64 exec, exec, s[26:27]
	s_cbranch_execnz .LBB618_70
; %bb.71:
	s_or_b64 exec, exec, s[26:27]
.LBB618_72:
	s_or_b64 exec, exec, s[24:25]
	v_and_b32_e32 v15, 63, v64
	v_mov_b32_e32 v14, 2
	v_cmp_ne_u32_e32 vcc, 63, v15
	v_cmp_eq_u16_sdwa s[24:25], v7, v14 src0_sel:BYTE_0 src1_sel:DWORD
	v_lshlrev_b64 v[8:9], v64, -1
	v_addc_co_u32_e32 v10, vcc, 0, v64, vcc
	v_and_b32_e32 v3, s25, v9
	v_lshlrev_b32_e32 v16, 2, v10
	v_or_b32_e32 v3, 0x80000000, v3
	ds_bpermute_b32 v10, v16, v6
	v_and_b32_e32 v5, s24, v8
	v_ffbl_b32_e32 v3, v3
	v_add_u32_e32 v3, 32, v3
	v_ffbl_b32_e32 v5, v5
	v_min_u32_e32 v3, v5, v3
	v_cmp_lt_u32_e32 vcc, v15, v3
	v_add_u32_e32 v32, 2, v15
	v_add_u32_e32 v34, 4, v15
	s_waitcnt lgkmcnt(0)
	v_cndmask_b32_e32 v5, 0, v10, vcc
	v_cmp_gt_u32_e32 vcc, 62, v15
	v_add_u32_e32 v5, v5, v6
	v_add_u32_e32 v68, 8, v15
	v_cndmask_b32_e64 v6, 0, 1, vcc
	v_lshlrev_b32_e32 v6, 1, v6
	v_add_lshl_u32 v17, v6, v64, 2
	ds_bpermute_b32 v6, v17, v5
	v_cmp_le_u32_e32 vcc, v32, v3
	v_add_u32_e32 v70, 16, v15
	v_add_u32_e32 v72, 32, v15
	s_waitcnt lgkmcnt(0)
	v_cndmask_b32_e32 v6, 0, v6, vcc
	v_cmp_gt_u32_e32 vcc, 60, v15
	v_add_u32_e32 v5, v5, v6
	s_nop 0
	v_cndmask_b32_e64 v6, 0, 1, vcc
	v_lshlrev_b32_e32 v6, 2, v6
	v_add_lshl_u32 v33, v6, v64, 2
	ds_bpermute_b32 v6, v33, v5
	v_cmp_le_u32_e32 vcc, v34, v3
	s_waitcnt lgkmcnt(0)
	s_nop 0
	v_cndmask_b32_e32 v6, 0, v6, vcc
	v_cmp_gt_u32_e32 vcc, 56, v15
	v_add_u32_e32 v5, v5, v6
	s_nop 0
	v_cndmask_b32_e64 v6, 0, 1, vcc
	v_lshlrev_b32_e32 v6, 3, v6
	v_add_lshl_u32 v67, v6, v64, 2
	ds_bpermute_b32 v6, v67, v5
	v_cmp_le_u32_e32 vcc, v68, v3
	s_waitcnt lgkmcnt(0)
	s_nop 0
	;; [unrolled: 11-line block ×4, first 2 shown]
	v_cndmask_b32_e32 v3, 0, v6, vcc
	v_add_u32_e32 v6, v5, v3
	v_mov_b32_e32 v5, 0
	s_branch .LBB618_74
.LBB618_73:                             ;   in Loop: Header=BB618_74 Depth=1
	s_or_b64 exec, exec, s[24:25]
	v_cmp_eq_u16_sdwa s[24:25], v7, v14 src0_sel:BYTE_0 src1_sel:DWORD
	ds_bpermute_b32 v73, v16, v6
	v_subrev_u32_e32 v4, 64, v4
	v_and_b32_e32 v10, s25, v9
	v_or_b32_e32 v10, 0x80000000, v10
	v_and_b32_e32 v11, s24, v8
	v_ffbl_b32_e32 v10, v10
	v_add_u32_e32 v10, 32, v10
	v_ffbl_b32_e32 v11, v11
	v_min_u32_e32 v10, v11, v10
	v_cmp_lt_u32_e32 vcc, v15, v10
	s_waitcnt lgkmcnt(0)
	s_nop 0
	v_cndmask_b32_e32 v11, 0, v73, vcc
	v_add_u32_e32 v6, v11, v6
	ds_bpermute_b32 v11, v17, v6
	v_cmp_le_u32_e32 vcc, v32, v10
	s_waitcnt lgkmcnt(0)
	s_nop 0
	v_cndmask_b32_e32 v11, 0, v11, vcc
	v_add_u32_e32 v6, v6, v11
	ds_bpermute_b32 v11, v33, v6
	v_cmp_le_u32_e32 vcc, v34, v10
	;; [unrolled: 6-line block ×5, first 2 shown]
	s_waitcnt lgkmcnt(0)
	s_nop 0
	v_cndmask_b32_e32 v10, 0, v11, vcc
	v_add3_u32 v6, v10, v3, v6
.LBB618_74:                             ; =>This Loop Header: Depth=1
                                        ;     Child Loop BB618_77 Depth 2
	v_cmp_ne_u16_sdwa s[24:25], v7, v14 src0_sel:BYTE_0 src1_sel:DWORD
	s_nop 1
	v_cndmask_b32_e64 v3, 0, 1, s[24:25]
	;;#ASMSTART
	;;#ASMEND
	s_nop 0
	v_cmp_ne_u32_e32 vcc, 0, v3
	s_cmp_lg_u64 vcc, exec
	v_mov_b32_e32 v3, v6
	s_cbranch_scc1 .LBB618_79
; %bb.75:                               ;   in Loop: Header=BB618_74 Depth=1
	v_lshl_add_u64 v[10:11], v[4:5], 3, s[20:21]
	global_load_dwordx2 v[6:7], v[10:11], off sc1
	s_waitcnt vmcnt(0)
	v_cmp_eq_u16_sdwa s[26:27], v7, v5 src0_sel:BYTE_0 src1_sel:DWORD
	s_and_saveexec_b64 s[24:25], s[26:27]
	s_cbranch_execz .LBB618_73
; %bb.76:                               ;   in Loop: Header=BB618_74 Depth=1
	s_mov_b64 s[26:27], 0
.LBB618_77:                             ;   Parent Loop BB618_74 Depth=1
                                        ; =>  This Inner Loop Header: Depth=2
	global_load_dwordx2 v[6:7], v[10:11], off sc1
	s_waitcnt vmcnt(0)
	v_cmp_ne_u16_sdwa s[28:29], v7, v5 src0_sel:BYTE_0 src1_sel:DWORD
	s_or_b64 s[26:27], s[28:29], s[26:27]
	s_andn2_b64 exec, exec, s[26:27]
	s_cbranch_execnz .LBB618_77
; %bb.78:                               ;   in Loop: Header=BB618_74 Depth=1
	s_or_b64 exec, exec, s[26:27]
	s_branch .LBB618_73
.LBB618_79:                             ;   in Loop: Header=BB618_74 Depth=1
                                        ; implicit-def: $vgpr6
                                        ; implicit-def: $vgpr7
	s_cbranch_execz .LBB618_74
; %bb.80:
	s_and_saveexec_b64 s[24:25], s[16:17]
	s_cbranch_execz .LBB618_82
; %bb.81:
	s_add_i32 s2, s2, 64
	s_mov_b32 s3, 0
	s_lshl_b64 s[2:3], s[2:3], 3
	s_add_u32 s2, s20, s2
	v_add_u32_e32 v4, v3, v2
	v_mov_b32_e32 v5, 2
	s_addc_u32 s3, s21, s3
	v_mov_b32_e32 v6, 0
	global_store_dwordx2 v6, v[4:5], s[2:3] sc1
	ds_write_b64 v6, v[2:3] offset:30720
.LBB618_82:
	s_or_b64 exec, exec, s[24:25]
	v_cmp_eq_u32_e32 vcc, 0, v0
	s_and_b64 exec, exec, vcc
	s_cbranch_execz .LBB618_84
; %bb.83:
	v_mov_b32_e32 v2, 0
	ds_write_b32 v2, v3 offset:28
.LBB618_84:
	s_or_b64 exec, exec, s[22:23]
	v_mov_b32_e32 v14, 0
	s_waitcnt lgkmcnt(0)
	s_barrier
	ds_read_b32 v2, v14 offset:28
	v_cndmask_b32_e64 v3, v13, v12, s[16:17]
	v_cmp_ne_u32_e32 vcc, 0, v0
	s_waitcnt lgkmcnt(0)
	s_barrier
	v_cndmask_b32_e32 v3, 0, v3, vcc
	v_add_u32_e32 v2, v2, v3
	v_add_u32_e32 v3, v2, v50
	;; [unrolled: 1-line block ×10, first 2 shown]
	ds_read_b64 v[32:33], v14 offset:30720
	v_add_u32_e32 v12, v11, v59
	v_add_u32_e32 v13, v12, v60
	v_add_u32_e32 v14, v13, v61
	v_add_u32_e32 v15, v14, v62
	v_add_u32_e32 v16, v15, v63
	s_waitcnt lgkmcnt(0)
	v_mov_b32_e32 v34, v33
	s_load_dwordx2 s[2:3], s[0:1], 0x28
	s_branch .LBB618_95
.LBB618_85:
                                        ; implicit-def: $vgpr34
                                        ; implicit-def: $vgpr32
                                        ; implicit-def: $vgpr2_vgpr3_vgpr4_vgpr5_vgpr6_vgpr7_vgpr8_vgpr9_vgpr10_vgpr11_vgpr12_vgpr13_vgpr14_vgpr15_vgpr16_vgpr17
	s_load_dwordx2 s[2:3], s[0:1], 0x28
	s_cbranch_execz .LBB618_95
; %bb.86:
	v_mov_b32_dpp v2, v66 row_shr:1 row_mask:0xf bank_mask:0xf
	v_cndmask_b32_e64 v2, v2, 0, s[14:15]
	v_add_u32_e32 v2, v2, v66
	s_nop 1
	v_mov_b32_dpp v3, v2 row_shr:2 row_mask:0xf bank_mask:0xf
	v_cndmask_b32_e64 v3, 0, v3, s[12:13]
	v_add_u32_e32 v2, v2, v3
	s_nop 1
	;; [unrolled: 4-line block ×4, first 2 shown]
	v_mov_b32_dpp v3, v2 row_bcast:15 row_mask:0xf bank_mask:0xf
	v_cndmask_b32_e64 v3, v3, 0, s[6:7]
	v_add_u32_e32 v2, v2, v3
	s_nop 1
	v_mov_b32_dpp v3, v2 row_bcast:31 row_mask:0xf bank_mask:0xf
	v_cndmask_b32_e64 v3, 0, v3, s[18:19]
	v_add_u32_e32 v2, v2, v3
	s_and_saveexec_b64 s[0:1], s[4:5]
	s_cbranch_execz .LBB618_88
; %bb.87:
	v_lshlrev_b32_e32 v3, 2, v65
	ds_write_b32 v3, v2
.LBB618_88:
	s_or_b64 exec, exec, s[0:1]
	v_cmp_gt_u32_e32 vcc, 8, v0
	s_waitcnt lgkmcnt(0)
	s_barrier
	s_and_saveexec_b64 s[0:1], vcc
	s_cbranch_execz .LBB618_90
; %bb.89:
	v_lshlrev_b32_e32 v3, 2, v0
	ds_read_b32 v4, v3
	v_and_b32_e32 v5, 7, v64
	v_cmp_ne_u32_e32 vcc, 0, v5
	s_waitcnt lgkmcnt(0)
	v_mov_b32_dpp v6, v4 row_shr:1 row_mask:0xf bank_mask:0xf
	v_cndmask_b32_e32 v6, 0, v6, vcc
	v_add_u32_e32 v4, v6, v4
	v_cmp_lt_u32_e32 vcc, 1, v5
	s_nop 0
	v_mov_b32_dpp v6, v4 row_shr:2 row_mask:0xf bank_mask:0xf
	v_cndmask_b32_e32 v6, 0, v6, vcc
	v_add_u32_e32 v4, v4, v6
	v_cmp_lt_u32_e32 vcc, 3, v5
	s_nop 0
	v_mov_b32_dpp v6, v4 row_shr:4 row_mask:0xf bank_mask:0xf
	v_cndmask_b32_e32 v5, 0, v6, vcc
	v_add_u32_e32 v4, v4, v5
	ds_write_b32 v3, v4
.LBB618_90:
	s_or_b64 exec, exec, s[0:1]
	v_cmp_lt_u32_e32 vcc, 63, v0
	v_mov_b32_e32 v4, 0
	v_mov_b32_e32 v3, 0
	s_waitcnt lgkmcnt(0)
	s_barrier
	s_and_saveexec_b64 s[0:1], vcc
	s_cbranch_execz .LBB618_92
; %bb.91:
	v_lshl_add_u32 v3, v65, 2, -4
	ds_read_b32 v3, v3
.LBB618_92:
	s_or_b64 exec, exec, s[0:1]
	v_add_u32_e32 v5, -1, v64
	v_and_b32_e32 v6, 64, v64
	v_cmp_lt_i32_e32 vcc, v5, v6
	s_waitcnt lgkmcnt(0)
	v_add_u32_e32 v2, v3, v2
	ds_read_b32 v32, v4 offset:28
	v_cndmask_b32_e32 v5, v5, v64, vcc
	v_lshlrev_b32_e32 v5, 2, v5
	ds_bpermute_b32 v2, v5, v2
	v_cmp_eq_u32_e32 vcc, 0, v0
	s_and_saveexec_b64 s[0:1], vcc
	s_cbranch_execz .LBB618_94
; %bb.93:
	v_mov_b32_e32 v4, 0
	v_mov_b32_e32 v33, 2
	s_waitcnt lgkmcnt(1)
	global_store_dwordx2 v4, v[32:33], s[20:21] offset:512 sc1
.LBB618_94:
	s_or_b64 exec, exec, s[0:1]
	v_cmp_eq_u32_e64 s[0:1], 0, v64
	v_mov_b32_e32 v34, 0
	s_waitcnt lgkmcnt(0)
	v_cndmask_b32_e64 v2, v2, v3, s[0:1]
	v_cndmask_b32_e64 v2, v2, 0, vcc
	v_add_u32_e32 v3, v2, v50
	v_add_u32_e32 v4, v3, v51
	;; [unrolled: 1-line block ×14, first 2 shown]
	s_barrier
.LBB618_95:
	s_movk_i32 s0, 0x201
	v_cmp_gt_u32_e32 vcc, s0, v32
	s_mov_b64 s[0:1], -1
	s_cbranch_vccnz .LBB618_99
; %bb.96:
	s_and_b64 vcc, exec, s[0:1]
	s_cbranch_vccnz .LBB618_145
.LBB618_97:
	v_cmp_eq_u32_e32 vcc, 0, v0
	s_and_b64 s[0:1], vcc, s[38:39]
	s_waitcnt lgkmcnt(0)
	s_and_saveexec_b64 s[2:3], s[0:1]
	s_cbranch_execnz .LBB618_189
.LBB618_98:
	s_endpgm
.LBB618_99:
	v_add_u32_e32 v17, v34, v32
	s_lshl_b64 s[0:1], s[34:35], 2
	s_waitcnt lgkmcnt(0)
	s_add_u32 s0, s2, s0
	v_cmp_lt_u32_e32 vcc, v2, v17
	s_addc_u32 s1, s3, s1
	s_or_b64 s[6:7], s[40:41], vcc
	s_and_saveexec_b64 s[4:5], s[6:7]
	s_cbranch_execz .LBB618_102
; %bb.100:
	v_and_b32_e32 v33, 1, v49
	v_cmp_eq_u32_e32 vcc, 1, v33
	s_and_b64 exec, exec, vcc
	s_cbranch_execz .LBB618_102
; %bb.101:
	v_mov_b32_e32 v51, 0
	v_mov_b32_e32 v50, v2
	v_lshl_add_u64 v[50:51], v[50:51], 2, s[0:1]
	global_store_dword v[50:51], v30, off
.LBB618_102:
	s_or_b64 exec, exec, s[4:5]
	v_cmp_lt_u32_e32 vcc, v3, v17
	s_or_b64 s[6:7], s[40:41], vcc
	s_and_saveexec_b64 s[4:5], s[6:7]
	s_cbranch_execz .LBB618_105
; %bb.103:
	v_and_b32_e32 v33, 1, v48
	v_cmp_eq_u32_e32 vcc, 1, v33
	s_and_b64 exec, exec, vcc
	s_cbranch_execz .LBB618_105
; %bb.104:
	v_mov_b32_e32 v51, 0
	v_mov_b32_e32 v50, v3
	v_lshl_add_u64 v[50:51], v[50:51], 2, s[0:1]
	global_store_dword v[50:51], v31, off
.LBB618_105:
	s_or_b64 exec, exec, s[4:5]
	v_cmp_lt_u32_e32 vcc, v4, v17
	;; [unrolled: 16-line block ×14, first 2 shown]
	s_or_b64 s[6:7], s[40:41], vcc
	s_and_saveexec_b64 s[4:5], s[6:7]
	s_cbranch_execz .LBB618_144
; %bb.142:
	v_and_b32_e32 v17, 1, v35
	v_cmp_eq_u32_e32 vcc, 1, v17
	s_and_b64 exec, exec, vcc
	s_cbranch_execz .LBB618_144
; %bb.143:
	v_mov_b32_e32 v17, 0
	v_lshl_add_u64 v[50:51], v[16:17], 2, s[0:1]
	global_store_dword v[50:51], v1, off
.LBB618_144:
	s_or_b64 exec, exec, s[4:5]
	s_branch .LBB618_97
.LBB618_145:
	v_and_b32_e32 v17, 1, v49
	v_cmp_eq_u32_e32 vcc, 1, v17
	s_and_saveexec_b64 s[0:1], vcc
	s_cbranch_execz .LBB618_147
; %bb.146:
	v_sub_u32_e32 v2, v2, v34
	v_lshlrev_b32_e32 v2, 2, v2
	ds_write_b32 v2, v30
.LBB618_147:
	s_or_b64 exec, exec, s[0:1]
	v_and_b32_e32 v2, 1, v48
	v_cmp_eq_u32_e32 vcc, 1, v2
	s_and_saveexec_b64 s[0:1], vcc
	s_cbranch_execz .LBB618_149
; %bb.148:
	v_sub_u32_e32 v2, v3, v34
	v_lshlrev_b32_e32 v2, 2, v2
	ds_write_b32 v2, v31
.LBB618_149:
	s_or_b64 exec, exec, s[0:1]
	;; [unrolled: 10-line block ×15, first 2 shown]
	v_cmp_lt_u32_e32 vcc, v0, v32
	s_waitcnt lgkmcnt(0)
	s_barrier
	s_and_saveexec_b64 s[0:1], vcc
	s_cbranch_execz .LBB618_188
; %bb.176:
	s_lshl_b64 s[4:5], s[34:35], 2
	v_mov_b32_e32 v35, 0
	s_add_u32 s2, s2, s4
	s_addc_u32 s3, s3, s5
	v_lshlrev_b64 v[2:3], 2, v[34:35]
	v_lshl_add_u64 v[2:3], s[2:3], 0, v[2:3]
	v_xad_u32 v1, v0, -1, v32
	s_movk_i32 s2, 0x1ff
	v_cmp_lt_u32_e32 vcc, s2, v1
	s_mov_b64 s[4:5], -1
	v_mov_b32_e32 v4, v0
	s_and_saveexec_b64 s[2:3], vcc
	s_cbranch_execz .LBB618_185
; %bb.177:
	v_lshrrev_b32_e32 v8, 9, v1
	v_add_u32_e32 v4, -1, v8
	v_or_b32_e32 v1, 0x200, v0
	v_lshrrev_b32_e32 v5, 1, v4
	v_add_u32_e32 v10, 1, v5
	v_cmp_lt_u32_e32 vcc, 13, v4
	v_lshlrev_b32_e32 v9, 2, v0
	v_mov_b64_e32 v[4:5], v[0:1]
	s_and_saveexec_b64 s[4:5], vcc
	s_cbranch_execz .LBB618_181
; %bb.178:
	v_and_b32_e32 v11, -8, v10
	s_mov_b32 s8, 0
	s_mov_b64 s[6:7], 0
	v_mov_b32_e32 v7, 0
	v_mov_b32_e32 v12, v9
	v_mov_b64_e32 v[4:5], v[0:1]
.LBB618_179:                            ; =>This Inner Loop Header: Depth=1
	ds_read2st64_b32 v[14:15], v12 offset1:8
	v_mov_b32_e32 v6, v4
	ds_read2st64_b32 v[26:27], v12 offset0:48 offset1:56
	v_lshl_add_u64 v[48:49], v[6:7], 2, v[2:3]
	v_mov_b32_e32 v6, v5
	ds_read2st64_b32 v[18:19], v12 offset0:16 offset1:24
	ds_read2st64_b32 v[30:31], v12 offset0:64 offset1:72
	v_lshl_add_u64 v[50:51], v[6:7], 2, v[2:3]
	v_add_u32_e32 v6, 0x400, v4
	ds_read2st64_b32 v[38:39], v12 offset0:80 offset1:88
	v_lshl_add_u64 v[52:53], v[6:7], 2, v[2:3]
	v_add_u32_e32 v6, 0x800, v4
	v_add_u32_e32 v16, 0x400, v5
	v_mov_b32_e32 v17, v7
	v_add_u32_e32 v20, 0x800, v5
	ds_read2st64_b32 v[22:23], v12 offset0:32 offset1:40
	v_mov_b32_e32 v21, v7
	ds_read2st64_b32 v[42:43], v12 offset0:96 offset1:104
	v_lshl_add_u64 v[54:55], v[6:7], 2, v[2:3]
	v_add_u32_e32 v6, 0xc00, v4
	v_add_u32_e32 v24, 0xc00, v5
	v_mov_b32_e32 v25, v7
	ds_read2st64_b32 v[46:47], v12 offset0:112 offset1:120
	v_lshl_add_u64 v[16:17], v[16:17], 2, v[2:3]
	v_lshl_add_u64 v[20:21], v[20:21], 2, v[2:3]
	s_waitcnt lgkmcnt(7)
	global_store_dword v[48:49], v14, off
	global_store_dword v[50:51], v15, off
	s_waitcnt lgkmcnt(5)
	global_store_dword v[52:53], v18, off
	global_store_dword v[16:17], v19, off
	;; [unrolled: 3-line block ×3, first 2 shown]
	v_lshl_add_u64 v[14:15], v[6:7], 2, v[2:3]
	v_add_u32_e32 v6, 0x1000, v4
	v_add_u32_e32 v28, 0x1000, v5
	v_mov_b32_e32 v29, v7
	v_lshl_add_u64 v[24:25], v[24:25], 2, v[2:3]
	global_store_dword v[14:15], v26, off
	global_store_dword v[24:25], v27, off
	v_lshl_add_u64 v[14:15], v[6:7], 2, v[2:3]
	v_add_u32_e32 v6, 0x1400, v4
	v_add_u32_e32 v36, 0x1400, v5
	v_mov_b32_e32 v37, v7
	v_add_u32_e32 v11, -8, v11
	v_lshl_add_u64 v[28:29], v[28:29], 2, v[2:3]
	global_store_dword v[14:15], v30, off
	global_store_dword v[28:29], v31, off
	v_lshl_add_u64 v[14:15], v[6:7], 2, v[2:3]
	v_add_u32_e32 v6, 0x1800, v4
	v_add_u32_e32 v40, 0x1800, v5
	v_mov_b32_e32 v41, v7
	s_add_i32 s8, s8, 16
	v_lshl_add_u64 v[36:37], v[36:37], 2, v[2:3]
	v_cmp_eq_u32_e32 vcc, 0, v11
	global_store_dword v[14:15], v38, off
	global_store_dword v[36:37], v39, off
	v_lshl_add_u64 v[14:15], v[6:7], 2, v[2:3]
	v_add_u32_e32 v6, 0x1c00, v4
	v_add_u32_e32 v44, 0x1c00, v5
	v_mov_b32_e32 v45, v7
	v_add_u32_e32 v12, 0x8000, v12
	v_lshl_add_u64 v[40:41], v[40:41], 2, v[2:3]
	v_add_u32_e32 v5, 0x2000, v5
	v_mov_b32_e32 v35, s8
	s_or_b64 s[6:7], vcc, s[6:7]
	v_add_u32_e32 v4, 0x2000, v4
	s_waitcnt lgkmcnt(1)
	global_store_dword v[14:15], v42, off
	global_store_dword v[40:41], v43, off
	v_lshl_add_u64 v[14:15], v[6:7], 2, v[2:3]
	v_lshl_add_u64 v[44:45], v[44:45], 2, v[2:3]
	s_waitcnt lgkmcnt(0)
	global_store_dword v[14:15], v46, off
	global_store_dword v[44:45], v47, off
	s_andn2_b64 exec, exec, s[6:7]
	s_cbranch_execnz .LBB618_179
; %bb.180:
	s_or_b64 exec, exec, s[6:7]
.LBB618_181:
	s_or_b64 exec, exec, s[4:5]
	v_and_b32_e32 v1, 7, v10
	v_cmp_ne_u32_e32 vcc, 0, v1
	s_and_saveexec_b64 s[4:5], vcc
	s_cbranch_execz .LBB618_184
; %bb.182:
	v_lshl_or_b32 v9, v35, 11, v9
	s_mov_b64 s[6:7], 0
	v_mov_b32_e32 v7, 0
.LBB618_183:                            ; =>This Inner Loop Header: Depth=1
	ds_read2st64_b32 v[10:11], v9 offset1:8
	v_add_u32_e32 v1, -1, v1
	v_mov_b32_e32 v6, v4
	v_cmp_eq_u32_e32 vcc, 0, v1
	v_add_u32_e32 v4, 0x400, v4
	v_add_u32_e32 v9, 0x1000, v9
	v_lshl_add_u64 v[12:13], v[6:7], 2, v[2:3]
	v_mov_b32_e32 v6, v5
	v_add_u32_e32 v5, 0x400, v5
	s_or_b64 s[6:7], vcc, s[6:7]
	v_lshl_add_u64 v[14:15], v[6:7], 2, v[2:3]
	s_waitcnt lgkmcnt(0)
	global_store_dword v[12:13], v10, off
	global_store_dword v[14:15], v11, off
	s_andn2_b64 exec, exec, s[6:7]
	s_cbranch_execnz .LBB618_183
.LBB618_184:
	s_or_b64 exec, exec, s[4:5]
	v_add_u32_e32 v1, 1, v8
	v_and_b32_e32 v5, 0xfffffe, v1
	v_cmp_ne_u32_e32 vcc, v1, v5
	v_lshl_or_b32 v4, v5, 9, v0
	s_orn2_b64 s[4:5], vcc, exec
.LBB618_185:
	s_or_b64 exec, exec, s[2:3]
	s_and_b64 exec, exec, s[4:5]
	s_cbranch_execz .LBB618_188
; %bb.186:
	v_lshlrev_b32_e32 v1, 2, v4
	s_mov_b64 s[2:3], 0
	v_mov_b32_e32 v5, 0
.LBB618_187:                            ; =>This Inner Loop Header: Depth=1
	ds_read_b32 v8, v1
	v_lshl_add_u64 v[6:7], v[4:5], 2, v[2:3]
	v_add_u32_e32 v4, 0x200, v4
	v_cmp_ge_u32_e32 vcc, v4, v32
	v_add_u32_e32 v1, 0x800, v1
	s_or_b64 s[2:3], vcc, s[2:3]
	s_waitcnt lgkmcnt(0)
	global_store_dword v[6:7], v8, off
	s_andn2_b64 exec, exec, s[2:3]
	s_cbranch_execnz .LBB618_187
.LBB618_188:
	s_or_b64 exec, exec, s[0:1]
	v_cmp_eq_u32_e32 vcc, 0, v0
	s_and_b64 s[0:1], vcc, s[38:39]
	s_and_saveexec_b64 s[2:3], s[0:1]
	s_cbranch_execz .LBB618_98
.LBB618_189:
	v_mov_b32_e32 v33, 0
	v_lshl_add_u64 v[0:1], s[34:35], 0, v[32:33]
	v_mov_b32_e32 v35, v33
	v_lshl_add_u64 v[0:1], v[0:1], 0, v[34:35]
	global_store_dwordx2 v33, v[0:1], s[36:37]
	s_endpgm
	.section	.rodata,"a",@progbits
	.p2align	6, 0x0
	.amdhsa_kernel _ZN7rocprim17ROCPRIM_400000_NS6detail17trampoline_kernelINS0_14default_configENS1_25partition_config_selectorILNS1_17partition_subalgoE8EjNS0_10empty_typeEbEEZZNS1_14partition_implILS5_8ELb0ES3_jPKjPS6_PKS6_NS0_5tupleIJPjS6_EEENSE_IJSB_SB_EEENS0_18inequality_wrapperIN6hipcub16HIPCUB_304000_NS8EqualityEEEPlJS6_EEE10hipError_tPvRmT3_T4_T5_T6_T7_T9_mT8_P12ihipStream_tbDpT10_ENKUlT_T0_E_clISt17integral_constantIbLb0EES17_EEDaS12_S13_EUlS12_E_NS1_11comp_targetILNS1_3genE5ELNS1_11target_archE942ELNS1_3gpuE9ELNS1_3repE0EEENS1_30default_config_static_selectorELNS0_4arch9wavefront6targetE1EEEvT1_
		.amdhsa_group_segment_fixed_size 30728
		.amdhsa_private_segment_fixed_size 0
		.amdhsa_kernarg_size 112
		.amdhsa_user_sgpr_count 2
		.amdhsa_user_sgpr_dispatch_ptr 0
		.amdhsa_user_sgpr_queue_ptr 0
		.amdhsa_user_sgpr_kernarg_segment_ptr 1
		.amdhsa_user_sgpr_dispatch_id 0
		.amdhsa_user_sgpr_kernarg_preload_length 0
		.amdhsa_user_sgpr_kernarg_preload_offset 0
		.amdhsa_user_sgpr_private_segment_size 0
		.amdhsa_uses_dynamic_stack 0
		.amdhsa_enable_private_segment 0
		.amdhsa_system_sgpr_workgroup_id_x 1
		.amdhsa_system_sgpr_workgroup_id_y 0
		.amdhsa_system_sgpr_workgroup_id_z 0
		.amdhsa_system_sgpr_workgroup_info 0
		.amdhsa_system_vgpr_workitem_id 0
		.amdhsa_next_free_vgpr 74
		.amdhsa_next_free_sgpr 48
		.amdhsa_accum_offset 76
		.amdhsa_reserve_vcc 1
		.amdhsa_float_round_mode_32 0
		.amdhsa_float_round_mode_16_64 0
		.amdhsa_float_denorm_mode_32 3
		.amdhsa_float_denorm_mode_16_64 3
		.amdhsa_dx10_clamp 1
		.amdhsa_ieee_mode 1
		.amdhsa_fp16_overflow 0
		.amdhsa_tg_split 0
		.amdhsa_exception_fp_ieee_invalid_op 0
		.amdhsa_exception_fp_denorm_src 0
		.amdhsa_exception_fp_ieee_div_zero 0
		.amdhsa_exception_fp_ieee_overflow 0
		.amdhsa_exception_fp_ieee_underflow 0
		.amdhsa_exception_fp_ieee_inexact 0
		.amdhsa_exception_int_div_zero 0
	.end_amdhsa_kernel
	.section	.text._ZN7rocprim17ROCPRIM_400000_NS6detail17trampoline_kernelINS0_14default_configENS1_25partition_config_selectorILNS1_17partition_subalgoE8EjNS0_10empty_typeEbEEZZNS1_14partition_implILS5_8ELb0ES3_jPKjPS6_PKS6_NS0_5tupleIJPjS6_EEENSE_IJSB_SB_EEENS0_18inequality_wrapperIN6hipcub16HIPCUB_304000_NS8EqualityEEEPlJS6_EEE10hipError_tPvRmT3_T4_T5_T6_T7_T9_mT8_P12ihipStream_tbDpT10_ENKUlT_T0_E_clISt17integral_constantIbLb0EES17_EEDaS12_S13_EUlS12_E_NS1_11comp_targetILNS1_3genE5ELNS1_11target_archE942ELNS1_3gpuE9ELNS1_3repE0EEENS1_30default_config_static_selectorELNS0_4arch9wavefront6targetE1EEEvT1_,"axG",@progbits,_ZN7rocprim17ROCPRIM_400000_NS6detail17trampoline_kernelINS0_14default_configENS1_25partition_config_selectorILNS1_17partition_subalgoE8EjNS0_10empty_typeEbEEZZNS1_14partition_implILS5_8ELb0ES3_jPKjPS6_PKS6_NS0_5tupleIJPjS6_EEENSE_IJSB_SB_EEENS0_18inequality_wrapperIN6hipcub16HIPCUB_304000_NS8EqualityEEEPlJS6_EEE10hipError_tPvRmT3_T4_T5_T6_T7_T9_mT8_P12ihipStream_tbDpT10_ENKUlT_T0_E_clISt17integral_constantIbLb0EES17_EEDaS12_S13_EUlS12_E_NS1_11comp_targetILNS1_3genE5ELNS1_11target_archE942ELNS1_3gpuE9ELNS1_3repE0EEENS1_30default_config_static_selectorELNS0_4arch9wavefront6targetE1EEEvT1_,comdat
.Lfunc_end618:
	.size	_ZN7rocprim17ROCPRIM_400000_NS6detail17trampoline_kernelINS0_14default_configENS1_25partition_config_selectorILNS1_17partition_subalgoE8EjNS0_10empty_typeEbEEZZNS1_14partition_implILS5_8ELb0ES3_jPKjPS6_PKS6_NS0_5tupleIJPjS6_EEENSE_IJSB_SB_EEENS0_18inequality_wrapperIN6hipcub16HIPCUB_304000_NS8EqualityEEEPlJS6_EEE10hipError_tPvRmT3_T4_T5_T6_T7_T9_mT8_P12ihipStream_tbDpT10_ENKUlT_T0_E_clISt17integral_constantIbLb0EES17_EEDaS12_S13_EUlS12_E_NS1_11comp_targetILNS1_3genE5ELNS1_11target_archE942ELNS1_3gpuE9ELNS1_3repE0EEENS1_30default_config_static_selectorELNS0_4arch9wavefront6targetE1EEEvT1_, .Lfunc_end618-_ZN7rocprim17ROCPRIM_400000_NS6detail17trampoline_kernelINS0_14default_configENS1_25partition_config_selectorILNS1_17partition_subalgoE8EjNS0_10empty_typeEbEEZZNS1_14partition_implILS5_8ELb0ES3_jPKjPS6_PKS6_NS0_5tupleIJPjS6_EEENSE_IJSB_SB_EEENS0_18inequality_wrapperIN6hipcub16HIPCUB_304000_NS8EqualityEEEPlJS6_EEE10hipError_tPvRmT3_T4_T5_T6_T7_T9_mT8_P12ihipStream_tbDpT10_ENKUlT_T0_E_clISt17integral_constantIbLb0EES17_EEDaS12_S13_EUlS12_E_NS1_11comp_targetILNS1_3genE5ELNS1_11target_archE942ELNS1_3gpuE9ELNS1_3repE0EEENS1_30default_config_static_selectorELNS0_4arch9wavefront6targetE1EEEvT1_
                                        ; -- End function
	.section	.AMDGPU.csdata,"",@progbits
; Kernel info:
; codeLenInByte = 7852
; NumSgprs: 54
; NumVgprs: 74
; NumAgprs: 0
; TotalNumVgprs: 74
; ScratchSize: 0
; MemoryBound: 0
; FloatMode: 240
; IeeeMode: 1
; LDSByteSize: 30728 bytes/workgroup (compile time only)
; SGPRBlocks: 6
; VGPRBlocks: 9
; NumSGPRsForWavesPerEU: 54
; NumVGPRsForWavesPerEU: 74
; AccumOffset: 76
; Occupancy: 4
; WaveLimiterHint : 1
; COMPUTE_PGM_RSRC2:SCRATCH_EN: 0
; COMPUTE_PGM_RSRC2:USER_SGPR: 2
; COMPUTE_PGM_RSRC2:TRAP_HANDLER: 0
; COMPUTE_PGM_RSRC2:TGID_X_EN: 1
; COMPUTE_PGM_RSRC2:TGID_Y_EN: 0
; COMPUTE_PGM_RSRC2:TGID_Z_EN: 0
; COMPUTE_PGM_RSRC2:TIDIG_COMP_CNT: 0
; COMPUTE_PGM_RSRC3_GFX90A:ACCUM_OFFSET: 18
; COMPUTE_PGM_RSRC3_GFX90A:TG_SPLIT: 0
	.section	.text._ZN7rocprim17ROCPRIM_400000_NS6detail17trampoline_kernelINS0_14default_configENS1_25partition_config_selectorILNS1_17partition_subalgoE8EjNS0_10empty_typeEbEEZZNS1_14partition_implILS5_8ELb0ES3_jPKjPS6_PKS6_NS0_5tupleIJPjS6_EEENSE_IJSB_SB_EEENS0_18inequality_wrapperIN6hipcub16HIPCUB_304000_NS8EqualityEEEPlJS6_EEE10hipError_tPvRmT3_T4_T5_T6_T7_T9_mT8_P12ihipStream_tbDpT10_ENKUlT_T0_E_clISt17integral_constantIbLb0EES17_EEDaS12_S13_EUlS12_E_NS1_11comp_targetILNS1_3genE4ELNS1_11target_archE910ELNS1_3gpuE8ELNS1_3repE0EEENS1_30default_config_static_selectorELNS0_4arch9wavefront6targetE1EEEvT1_,"axG",@progbits,_ZN7rocprim17ROCPRIM_400000_NS6detail17trampoline_kernelINS0_14default_configENS1_25partition_config_selectorILNS1_17partition_subalgoE8EjNS0_10empty_typeEbEEZZNS1_14partition_implILS5_8ELb0ES3_jPKjPS6_PKS6_NS0_5tupleIJPjS6_EEENSE_IJSB_SB_EEENS0_18inequality_wrapperIN6hipcub16HIPCUB_304000_NS8EqualityEEEPlJS6_EEE10hipError_tPvRmT3_T4_T5_T6_T7_T9_mT8_P12ihipStream_tbDpT10_ENKUlT_T0_E_clISt17integral_constantIbLb0EES17_EEDaS12_S13_EUlS12_E_NS1_11comp_targetILNS1_3genE4ELNS1_11target_archE910ELNS1_3gpuE8ELNS1_3repE0EEENS1_30default_config_static_selectorELNS0_4arch9wavefront6targetE1EEEvT1_,comdat
	.protected	_ZN7rocprim17ROCPRIM_400000_NS6detail17trampoline_kernelINS0_14default_configENS1_25partition_config_selectorILNS1_17partition_subalgoE8EjNS0_10empty_typeEbEEZZNS1_14partition_implILS5_8ELb0ES3_jPKjPS6_PKS6_NS0_5tupleIJPjS6_EEENSE_IJSB_SB_EEENS0_18inequality_wrapperIN6hipcub16HIPCUB_304000_NS8EqualityEEEPlJS6_EEE10hipError_tPvRmT3_T4_T5_T6_T7_T9_mT8_P12ihipStream_tbDpT10_ENKUlT_T0_E_clISt17integral_constantIbLb0EES17_EEDaS12_S13_EUlS12_E_NS1_11comp_targetILNS1_3genE4ELNS1_11target_archE910ELNS1_3gpuE8ELNS1_3repE0EEENS1_30default_config_static_selectorELNS0_4arch9wavefront6targetE1EEEvT1_ ; -- Begin function _ZN7rocprim17ROCPRIM_400000_NS6detail17trampoline_kernelINS0_14default_configENS1_25partition_config_selectorILNS1_17partition_subalgoE8EjNS0_10empty_typeEbEEZZNS1_14partition_implILS5_8ELb0ES3_jPKjPS6_PKS6_NS0_5tupleIJPjS6_EEENSE_IJSB_SB_EEENS0_18inequality_wrapperIN6hipcub16HIPCUB_304000_NS8EqualityEEEPlJS6_EEE10hipError_tPvRmT3_T4_T5_T6_T7_T9_mT8_P12ihipStream_tbDpT10_ENKUlT_T0_E_clISt17integral_constantIbLb0EES17_EEDaS12_S13_EUlS12_E_NS1_11comp_targetILNS1_3genE4ELNS1_11target_archE910ELNS1_3gpuE8ELNS1_3repE0EEENS1_30default_config_static_selectorELNS0_4arch9wavefront6targetE1EEEvT1_
	.globl	_ZN7rocprim17ROCPRIM_400000_NS6detail17trampoline_kernelINS0_14default_configENS1_25partition_config_selectorILNS1_17partition_subalgoE8EjNS0_10empty_typeEbEEZZNS1_14partition_implILS5_8ELb0ES3_jPKjPS6_PKS6_NS0_5tupleIJPjS6_EEENSE_IJSB_SB_EEENS0_18inequality_wrapperIN6hipcub16HIPCUB_304000_NS8EqualityEEEPlJS6_EEE10hipError_tPvRmT3_T4_T5_T6_T7_T9_mT8_P12ihipStream_tbDpT10_ENKUlT_T0_E_clISt17integral_constantIbLb0EES17_EEDaS12_S13_EUlS12_E_NS1_11comp_targetILNS1_3genE4ELNS1_11target_archE910ELNS1_3gpuE8ELNS1_3repE0EEENS1_30default_config_static_selectorELNS0_4arch9wavefront6targetE1EEEvT1_
	.p2align	8
	.type	_ZN7rocprim17ROCPRIM_400000_NS6detail17trampoline_kernelINS0_14default_configENS1_25partition_config_selectorILNS1_17partition_subalgoE8EjNS0_10empty_typeEbEEZZNS1_14partition_implILS5_8ELb0ES3_jPKjPS6_PKS6_NS0_5tupleIJPjS6_EEENSE_IJSB_SB_EEENS0_18inequality_wrapperIN6hipcub16HIPCUB_304000_NS8EqualityEEEPlJS6_EEE10hipError_tPvRmT3_T4_T5_T6_T7_T9_mT8_P12ihipStream_tbDpT10_ENKUlT_T0_E_clISt17integral_constantIbLb0EES17_EEDaS12_S13_EUlS12_E_NS1_11comp_targetILNS1_3genE4ELNS1_11target_archE910ELNS1_3gpuE8ELNS1_3repE0EEENS1_30default_config_static_selectorELNS0_4arch9wavefront6targetE1EEEvT1_,@function
_ZN7rocprim17ROCPRIM_400000_NS6detail17trampoline_kernelINS0_14default_configENS1_25partition_config_selectorILNS1_17partition_subalgoE8EjNS0_10empty_typeEbEEZZNS1_14partition_implILS5_8ELb0ES3_jPKjPS6_PKS6_NS0_5tupleIJPjS6_EEENSE_IJSB_SB_EEENS0_18inequality_wrapperIN6hipcub16HIPCUB_304000_NS8EqualityEEEPlJS6_EEE10hipError_tPvRmT3_T4_T5_T6_T7_T9_mT8_P12ihipStream_tbDpT10_ENKUlT_T0_E_clISt17integral_constantIbLb0EES17_EEDaS12_S13_EUlS12_E_NS1_11comp_targetILNS1_3genE4ELNS1_11target_archE910ELNS1_3gpuE8ELNS1_3repE0EEENS1_30default_config_static_selectorELNS0_4arch9wavefront6targetE1EEEvT1_: ; @_ZN7rocprim17ROCPRIM_400000_NS6detail17trampoline_kernelINS0_14default_configENS1_25partition_config_selectorILNS1_17partition_subalgoE8EjNS0_10empty_typeEbEEZZNS1_14partition_implILS5_8ELb0ES3_jPKjPS6_PKS6_NS0_5tupleIJPjS6_EEENSE_IJSB_SB_EEENS0_18inequality_wrapperIN6hipcub16HIPCUB_304000_NS8EqualityEEEPlJS6_EEE10hipError_tPvRmT3_T4_T5_T6_T7_T9_mT8_P12ihipStream_tbDpT10_ENKUlT_T0_E_clISt17integral_constantIbLb0EES17_EEDaS12_S13_EUlS12_E_NS1_11comp_targetILNS1_3genE4ELNS1_11target_archE910ELNS1_3gpuE8ELNS1_3repE0EEENS1_30default_config_static_selectorELNS0_4arch9wavefront6targetE1EEEvT1_
; %bb.0:
	.section	.rodata,"a",@progbits
	.p2align	6, 0x0
	.amdhsa_kernel _ZN7rocprim17ROCPRIM_400000_NS6detail17trampoline_kernelINS0_14default_configENS1_25partition_config_selectorILNS1_17partition_subalgoE8EjNS0_10empty_typeEbEEZZNS1_14partition_implILS5_8ELb0ES3_jPKjPS6_PKS6_NS0_5tupleIJPjS6_EEENSE_IJSB_SB_EEENS0_18inequality_wrapperIN6hipcub16HIPCUB_304000_NS8EqualityEEEPlJS6_EEE10hipError_tPvRmT3_T4_T5_T6_T7_T9_mT8_P12ihipStream_tbDpT10_ENKUlT_T0_E_clISt17integral_constantIbLb0EES17_EEDaS12_S13_EUlS12_E_NS1_11comp_targetILNS1_3genE4ELNS1_11target_archE910ELNS1_3gpuE8ELNS1_3repE0EEENS1_30default_config_static_selectorELNS0_4arch9wavefront6targetE1EEEvT1_
		.amdhsa_group_segment_fixed_size 0
		.amdhsa_private_segment_fixed_size 0
		.amdhsa_kernarg_size 112
		.amdhsa_user_sgpr_count 2
		.amdhsa_user_sgpr_dispatch_ptr 0
		.amdhsa_user_sgpr_queue_ptr 0
		.amdhsa_user_sgpr_kernarg_segment_ptr 1
		.amdhsa_user_sgpr_dispatch_id 0
		.amdhsa_user_sgpr_kernarg_preload_length 0
		.amdhsa_user_sgpr_kernarg_preload_offset 0
		.amdhsa_user_sgpr_private_segment_size 0
		.amdhsa_uses_dynamic_stack 0
		.amdhsa_enable_private_segment 0
		.amdhsa_system_sgpr_workgroup_id_x 1
		.amdhsa_system_sgpr_workgroup_id_y 0
		.amdhsa_system_sgpr_workgroup_id_z 0
		.amdhsa_system_sgpr_workgroup_info 0
		.amdhsa_system_vgpr_workitem_id 0
		.amdhsa_next_free_vgpr 1
		.amdhsa_next_free_sgpr 0
		.amdhsa_accum_offset 4
		.amdhsa_reserve_vcc 0
		.amdhsa_float_round_mode_32 0
		.amdhsa_float_round_mode_16_64 0
		.amdhsa_float_denorm_mode_32 3
		.amdhsa_float_denorm_mode_16_64 3
		.amdhsa_dx10_clamp 1
		.amdhsa_ieee_mode 1
		.amdhsa_fp16_overflow 0
		.amdhsa_tg_split 0
		.amdhsa_exception_fp_ieee_invalid_op 0
		.amdhsa_exception_fp_denorm_src 0
		.amdhsa_exception_fp_ieee_div_zero 0
		.amdhsa_exception_fp_ieee_overflow 0
		.amdhsa_exception_fp_ieee_underflow 0
		.amdhsa_exception_fp_ieee_inexact 0
		.amdhsa_exception_int_div_zero 0
	.end_amdhsa_kernel
	.section	.text._ZN7rocprim17ROCPRIM_400000_NS6detail17trampoline_kernelINS0_14default_configENS1_25partition_config_selectorILNS1_17partition_subalgoE8EjNS0_10empty_typeEbEEZZNS1_14partition_implILS5_8ELb0ES3_jPKjPS6_PKS6_NS0_5tupleIJPjS6_EEENSE_IJSB_SB_EEENS0_18inequality_wrapperIN6hipcub16HIPCUB_304000_NS8EqualityEEEPlJS6_EEE10hipError_tPvRmT3_T4_T5_T6_T7_T9_mT8_P12ihipStream_tbDpT10_ENKUlT_T0_E_clISt17integral_constantIbLb0EES17_EEDaS12_S13_EUlS12_E_NS1_11comp_targetILNS1_3genE4ELNS1_11target_archE910ELNS1_3gpuE8ELNS1_3repE0EEENS1_30default_config_static_selectorELNS0_4arch9wavefront6targetE1EEEvT1_,"axG",@progbits,_ZN7rocprim17ROCPRIM_400000_NS6detail17trampoline_kernelINS0_14default_configENS1_25partition_config_selectorILNS1_17partition_subalgoE8EjNS0_10empty_typeEbEEZZNS1_14partition_implILS5_8ELb0ES3_jPKjPS6_PKS6_NS0_5tupleIJPjS6_EEENSE_IJSB_SB_EEENS0_18inequality_wrapperIN6hipcub16HIPCUB_304000_NS8EqualityEEEPlJS6_EEE10hipError_tPvRmT3_T4_T5_T6_T7_T9_mT8_P12ihipStream_tbDpT10_ENKUlT_T0_E_clISt17integral_constantIbLb0EES17_EEDaS12_S13_EUlS12_E_NS1_11comp_targetILNS1_3genE4ELNS1_11target_archE910ELNS1_3gpuE8ELNS1_3repE0EEENS1_30default_config_static_selectorELNS0_4arch9wavefront6targetE1EEEvT1_,comdat
.Lfunc_end619:
	.size	_ZN7rocprim17ROCPRIM_400000_NS6detail17trampoline_kernelINS0_14default_configENS1_25partition_config_selectorILNS1_17partition_subalgoE8EjNS0_10empty_typeEbEEZZNS1_14partition_implILS5_8ELb0ES3_jPKjPS6_PKS6_NS0_5tupleIJPjS6_EEENSE_IJSB_SB_EEENS0_18inequality_wrapperIN6hipcub16HIPCUB_304000_NS8EqualityEEEPlJS6_EEE10hipError_tPvRmT3_T4_T5_T6_T7_T9_mT8_P12ihipStream_tbDpT10_ENKUlT_T0_E_clISt17integral_constantIbLb0EES17_EEDaS12_S13_EUlS12_E_NS1_11comp_targetILNS1_3genE4ELNS1_11target_archE910ELNS1_3gpuE8ELNS1_3repE0EEENS1_30default_config_static_selectorELNS0_4arch9wavefront6targetE1EEEvT1_, .Lfunc_end619-_ZN7rocprim17ROCPRIM_400000_NS6detail17trampoline_kernelINS0_14default_configENS1_25partition_config_selectorILNS1_17partition_subalgoE8EjNS0_10empty_typeEbEEZZNS1_14partition_implILS5_8ELb0ES3_jPKjPS6_PKS6_NS0_5tupleIJPjS6_EEENSE_IJSB_SB_EEENS0_18inequality_wrapperIN6hipcub16HIPCUB_304000_NS8EqualityEEEPlJS6_EEE10hipError_tPvRmT3_T4_T5_T6_T7_T9_mT8_P12ihipStream_tbDpT10_ENKUlT_T0_E_clISt17integral_constantIbLb0EES17_EEDaS12_S13_EUlS12_E_NS1_11comp_targetILNS1_3genE4ELNS1_11target_archE910ELNS1_3gpuE8ELNS1_3repE0EEENS1_30default_config_static_selectorELNS0_4arch9wavefront6targetE1EEEvT1_
                                        ; -- End function
	.section	.AMDGPU.csdata,"",@progbits
; Kernel info:
; codeLenInByte = 0
; NumSgprs: 6
; NumVgprs: 0
; NumAgprs: 0
; TotalNumVgprs: 0
; ScratchSize: 0
; MemoryBound: 0
; FloatMode: 240
; IeeeMode: 1
; LDSByteSize: 0 bytes/workgroup (compile time only)
; SGPRBlocks: 0
; VGPRBlocks: 0
; NumSGPRsForWavesPerEU: 6
; NumVGPRsForWavesPerEU: 1
; AccumOffset: 4
; Occupancy: 8
; WaveLimiterHint : 0
; COMPUTE_PGM_RSRC2:SCRATCH_EN: 0
; COMPUTE_PGM_RSRC2:USER_SGPR: 2
; COMPUTE_PGM_RSRC2:TRAP_HANDLER: 0
; COMPUTE_PGM_RSRC2:TGID_X_EN: 1
; COMPUTE_PGM_RSRC2:TGID_Y_EN: 0
; COMPUTE_PGM_RSRC2:TGID_Z_EN: 0
; COMPUTE_PGM_RSRC2:TIDIG_COMP_CNT: 0
; COMPUTE_PGM_RSRC3_GFX90A:ACCUM_OFFSET: 0
; COMPUTE_PGM_RSRC3_GFX90A:TG_SPLIT: 0
	.section	.text._ZN7rocprim17ROCPRIM_400000_NS6detail17trampoline_kernelINS0_14default_configENS1_25partition_config_selectorILNS1_17partition_subalgoE8EjNS0_10empty_typeEbEEZZNS1_14partition_implILS5_8ELb0ES3_jPKjPS6_PKS6_NS0_5tupleIJPjS6_EEENSE_IJSB_SB_EEENS0_18inequality_wrapperIN6hipcub16HIPCUB_304000_NS8EqualityEEEPlJS6_EEE10hipError_tPvRmT3_T4_T5_T6_T7_T9_mT8_P12ihipStream_tbDpT10_ENKUlT_T0_E_clISt17integral_constantIbLb0EES17_EEDaS12_S13_EUlS12_E_NS1_11comp_targetILNS1_3genE3ELNS1_11target_archE908ELNS1_3gpuE7ELNS1_3repE0EEENS1_30default_config_static_selectorELNS0_4arch9wavefront6targetE1EEEvT1_,"axG",@progbits,_ZN7rocprim17ROCPRIM_400000_NS6detail17trampoline_kernelINS0_14default_configENS1_25partition_config_selectorILNS1_17partition_subalgoE8EjNS0_10empty_typeEbEEZZNS1_14partition_implILS5_8ELb0ES3_jPKjPS6_PKS6_NS0_5tupleIJPjS6_EEENSE_IJSB_SB_EEENS0_18inequality_wrapperIN6hipcub16HIPCUB_304000_NS8EqualityEEEPlJS6_EEE10hipError_tPvRmT3_T4_T5_T6_T7_T9_mT8_P12ihipStream_tbDpT10_ENKUlT_T0_E_clISt17integral_constantIbLb0EES17_EEDaS12_S13_EUlS12_E_NS1_11comp_targetILNS1_3genE3ELNS1_11target_archE908ELNS1_3gpuE7ELNS1_3repE0EEENS1_30default_config_static_selectorELNS0_4arch9wavefront6targetE1EEEvT1_,comdat
	.protected	_ZN7rocprim17ROCPRIM_400000_NS6detail17trampoline_kernelINS0_14default_configENS1_25partition_config_selectorILNS1_17partition_subalgoE8EjNS0_10empty_typeEbEEZZNS1_14partition_implILS5_8ELb0ES3_jPKjPS6_PKS6_NS0_5tupleIJPjS6_EEENSE_IJSB_SB_EEENS0_18inequality_wrapperIN6hipcub16HIPCUB_304000_NS8EqualityEEEPlJS6_EEE10hipError_tPvRmT3_T4_T5_T6_T7_T9_mT8_P12ihipStream_tbDpT10_ENKUlT_T0_E_clISt17integral_constantIbLb0EES17_EEDaS12_S13_EUlS12_E_NS1_11comp_targetILNS1_3genE3ELNS1_11target_archE908ELNS1_3gpuE7ELNS1_3repE0EEENS1_30default_config_static_selectorELNS0_4arch9wavefront6targetE1EEEvT1_ ; -- Begin function _ZN7rocprim17ROCPRIM_400000_NS6detail17trampoline_kernelINS0_14default_configENS1_25partition_config_selectorILNS1_17partition_subalgoE8EjNS0_10empty_typeEbEEZZNS1_14partition_implILS5_8ELb0ES3_jPKjPS6_PKS6_NS0_5tupleIJPjS6_EEENSE_IJSB_SB_EEENS0_18inequality_wrapperIN6hipcub16HIPCUB_304000_NS8EqualityEEEPlJS6_EEE10hipError_tPvRmT3_T4_T5_T6_T7_T9_mT8_P12ihipStream_tbDpT10_ENKUlT_T0_E_clISt17integral_constantIbLb0EES17_EEDaS12_S13_EUlS12_E_NS1_11comp_targetILNS1_3genE3ELNS1_11target_archE908ELNS1_3gpuE7ELNS1_3repE0EEENS1_30default_config_static_selectorELNS0_4arch9wavefront6targetE1EEEvT1_
	.globl	_ZN7rocprim17ROCPRIM_400000_NS6detail17trampoline_kernelINS0_14default_configENS1_25partition_config_selectorILNS1_17partition_subalgoE8EjNS0_10empty_typeEbEEZZNS1_14partition_implILS5_8ELb0ES3_jPKjPS6_PKS6_NS0_5tupleIJPjS6_EEENSE_IJSB_SB_EEENS0_18inequality_wrapperIN6hipcub16HIPCUB_304000_NS8EqualityEEEPlJS6_EEE10hipError_tPvRmT3_T4_T5_T6_T7_T9_mT8_P12ihipStream_tbDpT10_ENKUlT_T0_E_clISt17integral_constantIbLb0EES17_EEDaS12_S13_EUlS12_E_NS1_11comp_targetILNS1_3genE3ELNS1_11target_archE908ELNS1_3gpuE7ELNS1_3repE0EEENS1_30default_config_static_selectorELNS0_4arch9wavefront6targetE1EEEvT1_
	.p2align	8
	.type	_ZN7rocprim17ROCPRIM_400000_NS6detail17trampoline_kernelINS0_14default_configENS1_25partition_config_selectorILNS1_17partition_subalgoE8EjNS0_10empty_typeEbEEZZNS1_14partition_implILS5_8ELb0ES3_jPKjPS6_PKS6_NS0_5tupleIJPjS6_EEENSE_IJSB_SB_EEENS0_18inequality_wrapperIN6hipcub16HIPCUB_304000_NS8EqualityEEEPlJS6_EEE10hipError_tPvRmT3_T4_T5_T6_T7_T9_mT8_P12ihipStream_tbDpT10_ENKUlT_T0_E_clISt17integral_constantIbLb0EES17_EEDaS12_S13_EUlS12_E_NS1_11comp_targetILNS1_3genE3ELNS1_11target_archE908ELNS1_3gpuE7ELNS1_3repE0EEENS1_30default_config_static_selectorELNS0_4arch9wavefront6targetE1EEEvT1_,@function
_ZN7rocprim17ROCPRIM_400000_NS6detail17trampoline_kernelINS0_14default_configENS1_25partition_config_selectorILNS1_17partition_subalgoE8EjNS0_10empty_typeEbEEZZNS1_14partition_implILS5_8ELb0ES3_jPKjPS6_PKS6_NS0_5tupleIJPjS6_EEENSE_IJSB_SB_EEENS0_18inequality_wrapperIN6hipcub16HIPCUB_304000_NS8EqualityEEEPlJS6_EEE10hipError_tPvRmT3_T4_T5_T6_T7_T9_mT8_P12ihipStream_tbDpT10_ENKUlT_T0_E_clISt17integral_constantIbLb0EES17_EEDaS12_S13_EUlS12_E_NS1_11comp_targetILNS1_3genE3ELNS1_11target_archE908ELNS1_3gpuE7ELNS1_3repE0EEENS1_30default_config_static_selectorELNS0_4arch9wavefront6targetE1EEEvT1_: ; @_ZN7rocprim17ROCPRIM_400000_NS6detail17trampoline_kernelINS0_14default_configENS1_25partition_config_selectorILNS1_17partition_subalgoE8EjNS0_10empty_typeEbEEZZNS1_14partition_implILS5_8ELb0ES3_jPKjPS6_PKS6_NS0_5tupleIJPjS6_EEENSE_IJSB_SB_EEENS0_18inequality_wrapperIN6hipcub16HIPCUB_304000_NS8EqualityEEEPlJS6_EEE10hipError_tPvRmT3_T4_T5_T6_T7_T9_mT8_P12ihipStream_tbDpT10_ENKUlT_T0_E_clISt17integral_constantIbLb0EES17_EEDaS12_S13_EUlS12_E_NS1_11comp_targetILNS1_3genE3ELNS1_11target_archE908ELNS1_3gpuE7ELNS1_3repE0EEENS1_30default_config_static_selectorELNS0_4arch9wavefront6targetE1EEEvT1_
; %bb.0:
	.section	.rodata,"a",@progbits
	.p2align	6, 0x0
	.amdhsa_kernel _ZN7rocprim17ROCPRIM_400000_NS6detail17trampoline_kernelINS0_14default_configENS1_25partition_config_selectorILNS1_17partition_subalgoE8EjNS0_10empty_typeEbEEZZNS1_14partition_implILS5_8ELb0ES3_jPKjPS6_PKS6_NS0_5tupleIJPjS6_EEENSE_IJSB_SB_EEENS0_18inequality_wrapperIN6hipcub16HIPCUB_304000_NS8EqualityEEEPlJS6_EEE10hipError_tPvRmT3_T4_T5_T6_T7_T9_mT8_P12ihipStream_tbDpT10_ENKUlT_T0_E_clISt17integral_constantIbLb0EES17_EEDaS12_S13_EUlS12_E_NS1_11comp_targetILNS1_3genE3ELNS1_11target_archE908ELNS1_3gpuE7ELNS1_3repE0EEENS1_30default_config_static_selectorELNS0_4arch9wavefront6targetE1EEEvT1_
		.amdhsa_group_segment_fixed_size 0
		.amdhsa_private_segment_fixed_size 0
		.amdhsa_kernarg_size 112
		.amdhsa_user_sgpr_count 2
		.amdhsa_user_sgpr_dispatch_ptr 0
		.amdhsa_user_sgpr_queue_ptr 0
		.amdhsa_user_sgpr_kernarg_segment_ptr 1
		.amdhsa_user_sgpr_dispatch_id 0
		.amdhsa_user_sgpr_kernarg_preload_length 0
		.amdhsa_user_sgpr_kernarg_preload_offset 0
		.amdhsa_user_sgpr_private_segment_size 0
		.amdhsa_uses_dynamic_stack 0
		.amdhsa_enable_private_segment 0
		.amdhsa_system_sgpr_workgroup_id_x 1
		.amdhsa_system_sgpr_workgroup_id_y 0
		.amdhsa_system_sgpr_workgroup_id_z 0
		.amdhsa_system_sgpr_workgroup_info 0
		.amdhsa_system_vgpr_workitem_id 0
		.amdhsa_next_free_vgpr 1
		.amdhsa_next_free_sgpr 0
		.amdhsa_accum_offset 4
		.amdhsa_reserve_vcc 0
		.amdhsa_float_round_mode_32 0
		.amdhsa_float_round_mode_16_64 0
		.amdhsa_float_denorm_mode_32 3
		.amdhsa_float_denorm_mode_16_64 3
		.amdhsa_dx10_clamp 1
		.amdhsa_ieee_mode 1
		.amdhsa_fp16_overflow 0
		.amdhsa_tg_split 0
		.amdhsa_exception_fp_ieee_invalid_op 0
		.amdhsa_exception_fp_denorm_src 0
		.amdhsa_exception_fp_ieee_div_zero 0
		.amdhsa_exception_fp_ieee_overflow 0
		.amdhsa_exception_fp_ieee_underflow 0
		.amdhsa_exception_fp_ieee_inexact 0
		.amdhsa_exception_int_div_zero 0
	.end_amdhsa_kernel
	.section	.text._ZN7rocprim17ROCPRIM_400000_NS6detail17trampoline_kernelINS0_14default_configENS1_25partition_config_selectorILNS1_17partition_subalgoE8EjNS0_10empty_typeEbEEZZNS1_14partition_implILS5_8ELb0ES3_jPKjPS6_PKS6_NS0_5tupleIJPjS6_EEENSE_IJSB_SB_EEENS0_18inequality_wrapperIN6hipcub16HIPCUB_304000_NS8EqualityEEEPlJS6_EEE10hipError_tPvRmT3_T4_T5_T6_T7_T9_mT8_P12ihipStream_tbDpT10_ENKUlT_T0_E_clISt17integral_constantIbLb0EES17_EEDaS12_S13_EUlS12_E_NS1_11comp_targetILNS1_3genE3ELNS1_11target_archE908ELNS1_3gpuE7ELNS1_3repE0EEENS1_30default_config_static_selectorELNS0_4arch9wavefront6targetE1EEEvT1_,"axG",@progbits,_ZN7rocprim17ROCPRIM_400000_NS6detail17trampoline_kernelINS0_14default_configENS1_25partition_config_selectorILNS1_17partition_subalgoE8EjNS0_10empty_typeEbEEZZNS1_14partition_implILS5_8ELb0ES3_jPKjPS6_PKS6_NS0_5tupleIJPjS6_EEENSE_IJSB_SB_EEENS0_18inequality_wrapperIN6hipcub16HIPCUB_304000_NS8EqualityEEEPlJS6_EEE10hipError_tPvRmT3_T4_T5_T6_T7_T9_mT8_P12ihipStream_tbDpT10_ENKUlT_T0_E_clISt17integral_constantIbLb0EES17_EEDaS12_S13_EUlS12_E_NS1_11comp_targetILNS1_3genE3ELNS1_11target_archE908ELNS1_3gpuE7ELNS1_3repE0EEENS1_30default_config_static_selectorELNS0_4arch9wavefront6targetE1EEEvT1_,comdat
.Lfunc_end620:
	.size	_ZN7rocprim17ROCPRIM_400000_NS6detail17trampoline_kernelINS0_14default_configENS1_25partition_config_selectorILNS1_17partition_subalgoE8EjNS0_10empty_typeEbEEZZNS1_14partition_implILS5_8ELb0ES3_jPKjPS6_PKS6_NS0_5tupleIJPjS6_EEENSE_IJSB_SB_EEENS0_18inequality_wrapperIN6hipcub16HIPCUB_304000_NS8EqualityEEEPlJS6_EEE10hipError_tPvRmT3_T4_T5_T6_T7_T9_mT8_P12ihipStream_tbDpT10_ENKUlT_T0_E_clISt17integral_constantIbLb0EES17_EEDaS12_S13_EUlS12_E_NS1_11comp_targetILNS1_3genE3ELNS1_11target_archE908ELNS1_3gpuE7ELNS1_3repE0EEENS1_30default_config_static_selectorELNS0_4arch9wavefront6targetE1EEEvT1_, .Lfunc_end620-_ZN7rocprim17ROCPRIM_400000_NS6detail17trampoline_kernelINS0_14default_configENS1_25partition_config_selectorILNS1_17partition_subalgoE8EjNS0_10empty_typeEbEEZZNS1_14partition_implILS5_8ELb0ES3_jPKjPS6_PKS6_NS0_5tupleIJPjS6_EEENSE_IJSB_SB_EEENS0_18inequality_wrapperIN6hipcub16HIPCUB_304000_NS8EqualityEEEPlJS6_EEE10hipError_tPvRmT3_T4_T5_T6_T7_T9_mT8_P12ihipStream_tbDpT10_ENKUlT_T0_E_clISt17integral_constantIbLb0EES17_EEDaS12_S13_EUlS12_E_NS1_11comp_targetILNS1_3genE3ELNS1_11target_archE908ELNS1_3gpuE7ELNS1_3repE0EEENS1_30default_config_static_selectorELNS0_4arch9wavefront6targetE1EEEvT1_
                                        ; -- End function
	.section	.AMDGPU.csdata,"",@progbits
; Kernel info:
; codeLenInByte = 0
; NumSgprs: 6
; NumVgprs: 0
; NumAgprs: 0
; TotalNumVgprs: 0
; ScratchSize: 0
; MemoryBound: 0
; FloatMode: 240
; IeeeMode: 1
; LDSByteSize: 0 bytes/workgroup (compile time only)
; SGPRBlocks: 0
; VGPRBlocks: 0
; NumSGPRsForWavesPerEU: 6
; NumVGPRsForWavesPerEU: 1
; AccumOffset: 4
; Occupancy: 8
; WaveLimiterHint : 0
; COMPUTE_PGM_RSRC2:SCRATCH_EN: 0
; COMPUTE_PGM_RSRC2:USER_SGPR: 2
; COMPUTE_PGM_RSRC2:TRAP_HANDLER: 0
; COMPUTE_PGM_RSRC2:TGID_X_EN: 1
; COMPUTE_PGM_RSRC2:TGID_Y_EN: 0
; COMPUTE_PGM_RSRC2:TGID_Z_EN: 0
; COMPUTE_PGM_RSRC2:TIDIG_COMP_CNT: 0
; COMPUTE_PGM_RSRC3_GFX90A:ACCUM_OFFSET: 0
; COMPUTE_PGM_RSRC3_GFX90A:TG_SPLIT: 0
	.section	.text._ZN7rocprim17ROCPRIM_400000_NS6detail17trampoline_kernelINS0_14default_configENS1_25partition_config_selectorILNS1_17partition_subalgoE8EjNS0_10empty_typeEbEEZZNS1_14partition_implILS5_8ELb0ES3_jPKjPS6_PKS6_NS0_5tupleIJPjS6_EEENSE_IJSB_SB_EEENS0_18inequality_wrapperIN6hipcub16HIPCUB_304000_NS8EqualityEEEPlJS6_EEE10hipError_tPvRmT3_T4_T5_T6_T7_T9_mT8_P12ihipStream_tbDpT10_ENKUlT_T0_E_clISt17integral_constantIbLb0EES17_EEDaS12_S13_EUlS12_E_NS1_11comp_targetILNS1_3genE2ELNS1_11target_archE906ELNS1_3gpuE6ELNS1_3repE0EEENS1_30default_config_static_selectorELNS0_4arch9wavefront6targetE1EEEvT1_,"axG",@progbits,_ZN7rocprim17ROCPRIM_400000_NS6detail17trampoline_kernelINS0_14default_configENS1_25partition_config_selectorILNS1_17partition_subalgoE8EjNS0_10empty_typeEbEEZZNS1_14partition_implILS5_8ELb0ES3_jPKjPS6_PKS6_NS0_5tupleIJPjS6_EEENSE_IJSB_SB_EEENS0_18inequality_wrapperIN6hipcub16HIPCUB_304000_NS8EqualityEEEPlJS6_EEE10hipError_tPvRmT3_T4_T5_T6_T7_T9_mT8_P12ihipStream_tbDpT10_ENKUlT_T0_E_clISt17integral_constantIbLb0EES17_EEDaS12_S13_EUlS12_E_NS1_11comp_targetILNS1_3genE2ELNS1_11target_archE906ELNS1_3gpuE6ELNS1_3repE0EEENS1_30default_config_static_selectorELNS0_4arch9wavefront6targetE1EEEvT1_,comdat
	.protected	_ZN7rocprim17ROCPRIM_400000_NS6detail17trampoline_kernelINS0_14default_configENS1_25partition_config_selectorILNS1_17partition_subalgoE8EjNS0_10empty_typeEbEEZZNS1_14partition_implILS5_8ELb0ES3_jPKjPS6_PKS6_NS0_5tupleIJPjS6_EEENSE_IJSB_SB_EEENS0_18inequality_wrapperIN6hipcub16HIPCUB_304000_NS8EqualityEEEPlJS6_EEE10hipError_tPvRmT3_T4_T5_T6_T7_T9_mT8_P12ihipStream_tbDpT10_ENKUlT_T0_E_clISt17integral_constantIbLb0EES17_EEDaS12_S13_EUlS12_E_NS1_11comp_targetILNS1_3genE2ELNS1_11target_archE906ELNS1_3gpuE6ELNS1_3repE0EEENS1_30default_config_static_selectorELNS0_4arch9wavefront6targetE1EEEvT1_ ; -- Begin function _ZN7rocprim17ROCPRIM_400000_NS6detail17trampoline_kernelINS0_14default_configENS1_25partition_config_selectorILNS1_17partition_subalgoE8EjNS0_10empty_typeEbEEZZNS1_14partition_implILS5_8ELb0ES3_jPKjPS6_PKS6_NS0_5tupleIJPjS6_EEENSE_IJSB_SB_EEENS0_18inequality_wrapperIN6hipcub16HIPCUB_304000_NS8EqualityEEEPlJS6_EEE10hipError_tPvRmT3_T4_T5_T6_T7_T9_mT8_P12ihipStream_tbDpT10_ENKUlT_T0_E_clISt17integral_constantIbLb0EES17_EEDaS12_S13_EUlS12_E_NS1_11comp_targetILNS1_3genE2ELNS1_11target_archE906ELNS1_3gpuE6ELNS1_3repE0EEENS1_30default_config_static_selectorELNS0_4arch9wavefront6targetE1EEEvT1_
	.globl	_ZN7rocprim17ROCPRIM_400000_NS6detail17trampoline_kernelINS0_14default_configENS1_25partition_config_selectorILNS1_17partition_subalgoE8EjNS0_10empty_typeEbEEZZNS1_14partition_implILS5_8ELb0ES3_jPKjPS6_PKS6_NS0_5tupleIJPjS6_EEENSE_IJSB_SB_EEENS0_18inequality_wrapperIN6hipcub16HIPCUB_304000_NS8EqualityEEEPlJS6_EEE10hipError_tPvRmT3_T4_T5_T6_T7_T9_mT8_P12ihipStream_tbDpT10_ENKUlT_T0_E_clISt17integral_constantIbLb0EES17_EEDaS12_S13_EUlS12_E_NS1_11comp_targetILNS1_3genE2ELNS1_11target_archE906ELNS1_3gpuE6ELNS1_3repE0EEENS1_30default_config_static_selectorELNS0_4arch9wavefront6targetE1EEEvT1_
	.p2align	8
	.type	_ZN7rocprim17ROCPRIM_400000_NS6detail17trampoline_kernelINS0_14default_configENS1_25partition_config_selectorILNS1_17partition_subalgoE8EjNS0_10empty_typeEbEEZZNS1_14partition_implILS5_8ELb0ES3_jPKjPS6_PKS6_NS0_5tupleIJPjS6_EEENSE_IJSB_SB_EEENS0_18inequality_wrapperIN6hipcub16HIPCUB_304000_NS8EqualityEEEPlJS6_EEE10hipError_tPvRmT3_T4_T5_T6_T7_T9_mT8_P12ihipStream_tbDpT10_ENKUlT_T0_E_clISt17integral_constantIbLb0EES17_EEDaS12_S13_EUlS12_E_NS1_11comp_targetILNS1_3genE2ELNS1_11target_archE906ELNS1_3gpuE6ELNS1_3repE0EEENS1_30default_config_static_selectorELNS0_4arch9wavefront6targetE1EEEvT1_,@function
_ZN7rocprim17ROCPRIM_400000_NS6detail17trampoline_kernelINS0_14default_configENS1_25partition_config_selectorILNS1_17partition_subalgoE8EjNS0_10empty_typeEbEEZZNS1_14partition_implILS5_8ELb0ES3_jPKjPS6_PKS6_NS0_5tupleIJPjS6_EEENSE_IJSB_SB_EEENS0_18inequality_wrapperIN6hipcub16HIPCUB_304000_NS8EqualityEEEPlJS6_EEE10hipError_tPvRmT3_T4_T5_T6_T7_T9_mT8_P12ihipStream_tbDpT10_ENKUlT_T0_E_clISt17integral_constantIbLb0EES17_EEDaS12_S13_EUlS12_E_NS1_11comp_targetILNS1_3genE2ELNS1_11target_archE906ELNS1_3gpuE6ELNS1_3repE0EEENS1_30default_config_static_selectorELNS0_4arch9wavefront6targetE1EEEvT1_: ; @_ZN7rocprim17ROCPRIM_400000_NS6detail17trampoline_kernelINS0_14default_configENS1_25partition_config_selectorILNS1_17partition_subalgoE8EjNS0_10empty_typeEbEEZZNS1_14partition_implILS5_8ELb0ES3_jPKjPS6_PKS6_NS0_5tupleIJPjS6_EEENSE_IJSB_SB_EEENS0_18inequality_wrapperIN6hipcub16HIPCUB_304000_NS8EqualityEEEPlJS6_EEE10hipError_tPvRmT3_T4_T5_T6_T7_T9_mT8_P12ihipStream_tbDpT10_ENKUlT_T0_E_clISt17integral_constantIbLb0EES17_EEDaS12_S13_EUlS12_E_NS1_11comp_targetILNS1_3genE2ELNS1_11target_archE906ELNS1_3gpuE6ELNS1_3repE0EEENS1_30default_config_static_selectorELNS0_4arch9wavefront6targetE1EEEvT1_
; %bb.0:
	.section	.rodata,"a",@progbits
	.p2align	6, 0x0
	.amdhsa_kernel _ZN7rocprim17ROCPRIM_400000_NS6detail17trampoline_kernelINS0_14default_configENS1_25partition_config_selectorILNS1_17partition_subalgoE8EjNS0_10empty_typeEbEEZZNS1_14partition_implILS5_8ELb0ES3_jPKjPS6_PKS6_NS0_5tupleIJPjS6_EEENSE_IJSB_SB_EEENS0_18inequality_wrapperIN6hipcub16HIPCUB_304000_NS8EqualityEEEPlJS6_EEE10hipError_tPvRmT3_T4_T5_T6_T7_T9_mT8_P12ihipStream_tbDpT10_ENKUlT_T0_E_clISt17integral_constantIbLb0EES17_EEDaS12_S13_EUlS12_E_NS1_11comp_targetILNS1_3genE2ELNS1_11target_archE906ELNS1_3gpuE6ELNS1_3repE0EEENS1_30default_config_static_selectorELNS0_4arch9wavefront6targetE1EEEvT1_
		.amdhsa_group_segment_fixed_size 0
		.amdhsa_private_segment_fixed_size 0
		.amdhsa_kernarg_size 112
		.amdhsa_user_sgpr_count 2
		.amdhsa_user_sgpr_dispatch_ptr 0
		.amdhsa_user_sgpr_queue_ptr 0
		.amdhsa_user_sgpr_kernarg_segment_ptr 1
		.amdhsa_user_sgpr_dispatch_id 0
		.amdhsa_user_sgpr_kernarg_preload_length 0
		.amdhsa_user_sgpr_kernarg_preload_offset 0
		.amdhsa_user_sgpr_private_segment_size 0
		.amdhsa_uses_dynamic_stack 0
		.amdhsa_enable_private_segment 0
		.amdhsa_system_sgpr_workgroup_id_x 1
		.amdhsa_system_sgpr_workgroup_id_y 0
		.amdhsa_system_sgpr_workgroup_id_z 0
		.amdhsa_system_sgpr_workgroup_info 0
		.amdhsa_system_vgpr_workitem_id 0
		.amdhsa_next_free_vgpr 1
		.amdhsa_next_free_sgpr 0
		.amdhsa_accum_offset 4
		.amdhsa_reserve_vcc 0
		.amdhsa_float_round_mode_32 0
		.amdhsa_float_round_mode_16_64 0
		.amdhsa_float_denorm_mode_32 3
		.amdhsa_float_denorm_mode_16_64 3
		.amdhsa_dx10_clamp 1
		.amdhsa_ieee_mode 1
		.amdhsa_fp16_overflow 0
		.amdhsa_tg_split 0
		.amdhsa_exception_fp_ieee_invalid_op 0
		.amdhsa_exception_fp_denorm_src 0
		.amdhsa_exception_fp_ieee_div_zero 0
		.amdhsa_exception_fp_ieee_overflow 0
		.amdhsa_exception_fp_ieee_underflow 0
		.amdhsa_exception_fp_ieee_inexact 0
		.amdhsa_exception_int_div_zero 0
	.end_amdhsa_kernel
	.section	.text._ZN7rocprim17ROCPRIM_400000_NS6detail17trampoline_kernelINS0_14default_configENS1_25partition_config_selectorILNS1_17partition_subalgoE8EjNS0_10empty_typeEbEEZZNS1_14partition_implILS5_8ELb0ES3_jPKjPS6_PKS6_NS0_5tupleIJPjS6_EEENSE_IJSB_SB_EEENS0_18inequality_wrapperIN6hipcub16HIPCUB_304000_NS8EqualityEEEPlJS6_EEE10hipError_tPvRmT3_T4_T5_T6_T7_T9_mT8_P12ihipStream_tbDpT10_ENKUlT_T0_E_clISt17integral_constantIbLb0EES17_EEDaS12_S13_EUlS12_E_NS1_11comp_targetILNS1_3genE2ELNS1_11target_archE906ELNS1_3gpuE6ELNS1_3repE0EEENS1_30default_config_static_selectorELNS0_4arch9wavefront6targetE1EEEvT1_,"axG",@progbits,_ZN7rocprim17ROCPRIM_400000_NS6detail17trampoline_kernelINS0_14default_configENS1_25partition_config_selectorILNS1_17partition_subalgoE8EjNS0_10empty_typeEbEEZZNS1_14partition_implILS5_8ELb0ES3_jPKjPS6_PKS6_NS0_5tupleIJPjS6_EEENSE_IJSB_SB_EEENS0_18inequality_wrapperIN6hipcub16HIPCUB_304000_NS8EqualityEEEPlJS6_EEE10hipError_tPvRmT3_T4_T5_T6_T7_T9_mT8_P12ihipStream_tbDpT10_ENKUlT_T0_E_clISt17integral_constantIbLb0EES17_EEDaS12_S13_EUlS12_E_NS1_11comp_targetILNS1_3genE2ELNS1_11target_archE906ELNS1_3gpuE6ELNS1_3repE0EEENS1_30default_config_static_selectorELNS0_4arch9wavefront6targetE1EEEvT1_,comdat
.Lfunc_end621:
	.size	_ZN7rocprim17ROCPRIM_400000_NS6detail17trampoline_kernelINS0_14default_configENS1_25partition_config_selectorILNS1_17partition_subalgoE8EjNS0_10empty_typeEbEEZZNS1_14partition_implILS5_8ELb0ES3_jPKjPS6_PKS6_NS0_5tupleIJPjS6_EEENSE_IJSB_SB_EEENS0_18inequality_wrapperIN6hipcub16HIPCUB_304000_NS8EqualityEEEPlJS6_EEE10hipError_tPvRmT3_T4_T5_T6_T7_T9_mT8_P12ihipStream_tbDpT10_ENKUlT_T0_E_clISt17integral_constantIbLb0EES17_EEDaS12_S13_EUlS12_E_NS1_11comp_targetILNS1_3genE2ELNS1_11target_archE906ELNS1_3gpuE6ELNS1_3repE0EEENS1_30default_config_static_selectorELNS0_4arch9wavefront6targetE1EEEvT1_, .Lfunc_end621-_ZN7rocprim17ROCPRIM_400000_NS6detail17trampoline_kernelINS0_14default_configENS1_25partition_config_selectorILNS1_17partition_subalgoE8EjNS0_10empty_typeEbEEZZNS1_14partition_implILS5_8ELb0ES3_jPKjPS6_PKS6_NS0_5tupleIJPjS6_EEENSE_IJSB_SB_EEENS0_18inequality_wrapperIN6hipcub16HIPCUB_304000_NS8EqualityEEEPlJS6_EEE10hipError_tPvRmT3_T4_T5_T6_T7_T9_mT8_P12ihipStream_tbDpT10_ENKUlT_T0_E_clISt17integral_constantIbLb0EES17_EEDaS12_S13_EUlS12_E_NS1_11comp_targetILNS1_3genE2ELNS1_11target_archE906ELNS1_3gpuE6ELNS1_3repE0EEENS1_30default_config_static_selectorELNS0_4arch9wavefront6targetE1EEEvT1_
                                        ; -- End function
	.section	.AMDGPU.csdata,"",@progbits
; Kernel info:
; codeLenInByte = 0
; NumSgprs: 6
; NumVgprs: 0
; NumAgprs: 0
; TotalNumVgprs: 0
; ScratchSize: 0
; MemoryBound: 0
; FloatMode: 240
; IeeeMode: 1
; LDSByteSize: 0 bytes/workgroup (compile time only)
; SGPRBlocks: 0
; VGPRBlocks: 0
; NumSGPRsForWavesPerEU: 6
; NumVGPRsForWavesPerEU: 1
; AccumOffset: 4
; Occupancy: 8
; WaveLimiterHint : 0
; COMPUTE_PGM_RSRC2:SCRATCH_EN: 0
; COMPUTE_PGM_RSRC2:USER_SGPR: 2
; COMPUTE_PGM_RSRC2:TRAP_HANDLER: 0
; COMPUTE_PGM_RSRC2:TGID_X_EN: 1
; COMPUTE_PGM_RSRC2:TGID_Y_EN: 0
; COMPUTE_PGM_RSRC2:TGID_Z_EN: 0
; COMPUTE_PGM_RSRC2:TIDIG_COMP_CNT: 0
; COMPUTE_PGM_RSRC3_GFX90A:ACCUM_OFFSET: 0
; COMPUTE_PGM_RSRC3_GFX90A:TG_SPLIT: 0
	.section	.text._ZN7rocprim17ROCPRIM_400000_NS6detail17trampoline_kernelINS0_14default_configENS1_25partition_config_selectorILNS1_17partition_subalgoE8EjNS0_10empty_typeEbEEZZNS1_14partition_implILS5_8ELb0ES3_jPKjPS6_PKS6_NS0_5tupleIJPjS6_EEENSE_IJSB_SB_EEENS0_18inequality_wrapperIN6hipcub16HIPCUB_304000_NS8EqualityEEEPlJS6_EEE10hipError_tPvRmT3_T4_T5_T6_T7_T9_mT8_P12ihipStream_tbDpT10_ENKUlT_T0_E_clISt17integral_constantIbLb0EES17_EEDaS12_S13_EUlS12_E_NS1_11comp_targetILNS1_3genE10ELNS1_11target_archE1200ELNS1_3gpuE4ELNS1_3repE0EEENS1_30default_config_static_selectorELNS0_4arch9wavefront6targetE1EEEvT1_,"axG",@progbits,_ZN7rocprim17ROCPRIM_400000_NS6detail17trampoline_kernelINS0_14default_configENS1_25partition_config_selectorILNS1_17partition_subalgoE8EjNS0_10empty_typeEbEEZZNS1_14partition_implILS5_8ELb0ES3_jPKjPS6_PKS6_NS0_5tupleIJPjS6_EEENSE_IJSB_SB_EEENS0_18inequality_wrapperIN6hipcub16HIPCUB_304000_NS8EqualityEEEPlJS6_EEE10hipError_tPvRmT3_T4_T5_T6_T7_T9_mT8_P12ihipStream_tbDpT10_ENKUlT_T0_E_clISt17integral_constantIbLb0EES17_EEDaS12_S13_EUlS12_E_NS1_11comp_targetILNS1_3genE10ELNS1_11target_archE1200ELNS1_3gpuE4ELNS1_3repE0EEENS1_30default_config_static_selectorELNS0_4arch9wavefront6targetE1EEEvT1_,comdat
	.protected	_ZN7rocprim17ROCPRIM_400000_NS6detail17trampoline_kernelINS0_14default_configENS1_25partition_config_selectorILNS1_17partition_subalgoE8EjNS0_10empty_typeEbEEZZNS1_14partition_implILS5_8ELb0ES3_jPKjPS6_PKS6_NS0_5tupleIJPjS6_EEENSE_IJSB_SB_EEENS0_18inequality_wrapperIN6hipcub16HIPCUB_304000_NS8EqualityEEEPlJS6_EEE10hipError_tPvRmT3_T4_T5_T6_T7_T9_mT8_P12ihipStream_tbDpT10_ENKUlT_T0_E_clISt17integral_constantIbLb0EES17_EEDaS12_S13_EUlS12_E_NS1_11comp_targetILNS1_3genE10ELNS1_11target_archE1200ELNS1_3gpuE4ELNS1_3repE0EEENS1_30default_config_static_selectorELNS0_4arch9wavefront6targetE1EEEvT1_ ; -- Begin function _ZN7rocprim17ROCPRIM_400000_NS6detail17trampoline_kernelINS0_14default_configENS1_25partition_config_selectorILNS1_17partition_subalgoE8EjNS0_10empty_typeEbEEZZNS1_14partition_implILS5_8ELb0ES3_jPKjPS6_PKS6_NS0_5tupleIJPjS6_EEENSE_IJSB_SB_EEENS0_18inequality_wrapperIN6hipcub16HIPCUB_304000_NS8EqualityEEEPlJS6_EEE10hipError_tPvRmT3_T4_T5_T6_T7_T9_mT8_P12ihipStream_tbDpT10_ENKUlT_T0_E_clISt17integral_constantIbLb0EES17_EEDaS12_S13_EUlS12_E_NS1_11comp_targetILNS1_3genE10ELNS1_11target_archE1200ELNS1_3gpuE4ELNS1_3repE0EEENS1_30default_config_static_selectorELNS0_4arch9wavefront6targetE1EEEvT1_
	.globl	_ZN7rocprim17ROCPRIM_400000_NS6detail17trampoline_kernelINS0_14default_configENS1_25partition_config_selectorILNS1_17partition_subalgoE8EjNS0_10empty_typeEbEEZZNS1_14partition_implILS5_8ELb0ES3_jPKjPS6_PKS6_NS0_5tupleIJPjS6_EEENSE_IJSB_SB_EEENS0_18inequality_wrapperIN6hipcub16HIPCUB_304000_NS8EqualityEEEPlJS6_EEE10hipError_tPvRmT3_T4_T5_T6_T7_T9_mT8_P12ihipStream_tbDpT10_ENKUlT_T0_E_clISt17integral_constantIbLb0EES17_EEDaS12_S13_EUlS12_E_NS1_11comp_targetILNS1_3genE10ELNS1_11target_archE1200ELNS1_3gpuE4ELNS1_3repE0EEENS1_30default_config_static_selectorELNS0_4arch9wavefront6targetE1EEEvT1_
	.p2align	8
	.type	_ZN7rocprim17ROCPRIM_400000_NS6detail17trampoline_kernelINS0_14default_configENS1_25partition_config_selectorILNS1_17partition_subalgoE8EjNS0_10empty_typeEbEEZZNS1_14partition_implILS5_8ELb0ES3_jPKjPS6_PKS6_NS0_5tupleIJPjS6_EEENSE_IJSB_SB_EEENS0_18inequality_wrapperIN6hipcub16HIPCUB_304000_NS8EqualityEEEPlJS6_EEE10hipError_tPvRmT3_T4_T5_T6_T7_T9_mT8_P12ihipStream_tbDpT10_ENKUlT_T0_E_clISt17integral_constantIbLb0EES17_EEDaS12_S13_EUlS12_E_NS1_11comp_targetILNS1_3genE10ELNS1_11target_archE1200ELNS1_3gpuE4ELNS1_3repE0EEENS1_30default_config_static_selectorELNS0_4arch9wavefront6targetE1EEEvT1_,@function
_ZN7rocprim17ROCPRIM_400000_NS6detail17trampoline_kernelINS0_14default_configENS1_25partition_config_selectorILNS1_17partition_subalgoE8EjNS0_10empty_typeEbEEZZNS1_14partition_implILS5_8ELb0ES3_jPKjPS6_PKS6_NS0_5tupleIJPjS6_EEENSE_IJSB_SB_EEENS0_18inequality_wrapperIN6hipcub16HIPCUB_304000_NS8EqualityEEEPlJS6_EEE10hipError_tPvRmT3_T4_T5_T6_T7_T9_mT8_P12ihipStream_tbDpT10_ENKUlT_T0_E_clISt17integral_constantIbLb0EES17_EEDaS12_S13_EUlS12_E_NS1_11comp_targetILNS1_3genE10ELNS1_11target_archE1200ELNS1_3gpuE4ELNS1_3repE0EEENS1_30default_config_static_selectorELNS0_4arch9wavefront6targetE1EEEvT1_: ; @_ZN7rocprim17ROCPRIM_400000_NS6detail17trampoline_kernelINS0_14default_configENS1_25partition_config_selectorILNS1_17partition_subalgoE8EjNS0_10empty_typeEbEEZZNS1_14partition_implILS5_8ELb0ES3_jPKjPS6_PKS6_NS0_5tupleIJPjS6_EEENSE_IJSB_SB_EEENS0_18inequality_wrapperIN6hipcub16HIPCUB_304000_NS8EqualityEEEPlJS6_EEE10hipError_tPvRmT3_T4_T5_T6_T7_T9_mT8_P12ihipStream_tbDpT10_ENKUlT_T0_E_clISt17integral_constantIbLb0EES17_EEDaS12_S13_EUlS12_E_NS1_11comp_targetILNS1_3genE10ELNS1_11target_archE1200ELNS1_3gpuE4ELNS1_3repE0EEENS1_30default_config_static_selectorELNS0_4arch9wavefront6targetE1EEEvT1_
; %bb.0:
	.section	.rodata,"a",@progbits
	.p2align	6, 0x0
	.amdhsa_kernel _ZN7rocprim17ROCPRIM_400000_NS6detail17trampoline_kernelINS0_14default_configENS1_25partition_config_selectorILNS1_17partition_subalgoE8EjNS0_10empty_typeEbEEZZNS1_14partition_implILS5_8ELb0ES3_jPKjPS6_PKS6_NS0_5tupleIJPjS6_EEENSE_IJSB_SB_EEENS0_18inequality_wrapperIN6hipcub16HIPCUB_304000_NS8EqualityEEEPlJS6_EEE10hipError_tPvRmT3_T4_T5_T6_T7_T9_mT8_P12ihipStream_tbDpT10_ENKUlT_T0_E_clISt17integral_constantIbLb0EES17_EEDaS12_S13_EUlS12_E_NS1_11comp_targetILNS1_3genE10ELNS1_11target_archE1200ELNS1_3gpuE4ELNS1_3repE0EEENS1_30default_config_static_selectorELNS0_4arch9wavefront6targetE1EEEvT1_
		.amdhsa_group_segment_fixed_size 0
		.amdhsa_private_segment_fixed_size 0
		.amdhsa_kernarg_size 112
		.amdhsa_user_sgpr_count 2
		.amdhsa_user_sgpr_dispatch_ptr 0
		.amdhsa_user_sgpr_queue_ptr 0
		.amdhsa_user_sgpr_kernarg_segment_ptr 1
		.amdhsa_user_sgpr_dispatch_id 0
		.amdhsa_user_sgpr_kernarg_preload_length 0
		.amdhsa_user_sgpr_kernarg_preload_offset 0
		.amdhsa_user_sgpr_private_segment_size 0
		.amdhsa_uses_dynamic_stack 0
		.amdhsa_enable_private_segment 0
		.amdhsa_system_sgpr_workgroup_id_x 1
		.amdhsa_system_sgpr_workgroup_id_y 0
		.amdhsa_system_sgpr_workgroup_id_z 0
		.amdhsa_system_sgpr_workgroup_info 0
		.amdhsa_system_vgpr_workitem_id 0
		.amdhsa_next_free_vgpr 1
		.amdhsa_next_free_sgpr 0
		.amdhsa_accum_offset 4
		.amdhsa_reserve_vcc 0
		.amdhsa_float_round_mode_32 0
		.amdhsa_float_round_mode_16_64 0
		.amdhsa_float_denorm_mode_32 3
		.amdhsa_float_denorm_mode_16_64 3
		.amdhsa_dx10_clamp 1
		.amdhsa_ieee_mode 1
		.amdhsa_fp16_overflow 0
		.amdhsa_tg_split 0
		.amdhsa_exception_fp_ieee_invalid_op 0
		.amdhsa_exception_fp_denorm_src 0
		.amdhsa_exception_fp_ieee_div_zero 0
		.amdhsa_exception_fp_ieee_overflow 0
		.amdhsa_exception_fp_ieee_underflow 0
		.amdhsa_exception_fp_ieee_inexact 0
		.amdhsa_exception_int_div_zero 0
	.end_amdhsa_kernel
	.section	.text._ZN7rocprim17ROCPRIM_400000_NS6detail17trampoline_kernelINS0_14default_configENS1_25partition_config_selectorILNS1_17partition_subalgoE8EjNS0_10empty_typeEbEEZZNS1_14partition_implILS5_8ELb0ES3_jPKjPS6_PKS6_NS0_5tupleIJPjS6_EEENSE_IJSB_SB_EEENS0_18inequality_wrapperIN6hipcub16HIPCUB_304000_NS8EqualityEEEPlJS6_EEE10hipError_tPvRmT3_T4_T5_T6_T7_T9_mT8_P12ihipStream_tbDpT10_ENKUlT_T0_E_clISt17integral_constantIbLb0EES17_EEDaS12_S13_EUlS12_E_NS1_11comp_targetILNS1_3genE10ELNS1_11target_archE1200ELNS1_3gpuE4ELNS1_3repE0EEENS1_30default_config_static_selectorELNS0_4arch9wavefront6targetE1EEEvT1_,"axG",@progbits,_ZN7rocprim17ROCPRIM_400000_NS6detail17trampoline_kernelINS0_14default_configENS1_25partition_config_selectorILNS1_17partition_subalgoE8EjNS0_10empty_typeEbEEZZNS1_14partition_implILS5_8ELb0ES3_jPKjPS6_PKS6_NS0_5tupleIJPjS6_EEENSE_IJSB_SB_EEENS0_18inequality_wrapperIN6hipcub16HIPCUB_304000_NS8EqualityEEEPlJS6_EEE10hipError_tPvRmT3_T4_T5_T6_T7_T9_mT8_P12ihipStream_tbDpT10_ENKUlT_T0_E_clISt17integral_constantIbLb0EES17_EEDaS12_S13_EUlS12_E_NS1_11comp_targetILNS1_3genE10ELNS1_11target_archE1200ELNS1_3gpuE4ELNS1_3repE0EEENS1_30default_config_static_selectorELNS0_4arch9wavefront6targetE1EEEvT1_,comdat
.Lfunc_end622:
	.size	_ZN7rocprim17ROCPRIM_400000_NS6detail17trampoline_kernelINS0_14default_configENS1_25partition_config_selectorILNS1_17partition_subalgoE8EjNS0_10empty_typeEbEEZZNS1_14partition_implILS5_8ELb0ES3_jPKjPS6_PKS6_NS0_5tupleIJPjS6_EEENSE_IJSB_SB_EEENS0_18inequality_wrapperIN6hipcub16HIPCUB_304000_NS8EqualityEEEPlJS6_EEE10hipError_tPvRmT3_T4_T5_T6_T7_T9_mT8_P12ihipStream_tbDpT10_ENKUlT_T0_E_clISt17integral_constantIbLb0EES17_EEDaS12_S13_EUlS12_E_NS1_11comp_targetILNS1_3genE10ELNS1_11target_archE1200ELNS1_3gpuE4ELNS1_3repE0EEENS1_30default_config_static_selectorELNS0_4arch9wavefront6targetE1EEEvT1_, .Lfunc_end622-_ZN7rocprim17ROCPRIM_400000_NS6detail17trampoline_kernelINS0_14default_configENS1_25partition_config_selectorILNS1_17partition_subalgoE8EjNS0_10empty_typeEbEEZZNS1_14partition_implILS5_8ELb0ES3_jPKjPS6_PKS6_NS0_5tupleIJPjS6_EEENSE_IJSB_SB_EEENS0_18inequality_wrapperIN6hipcub16HIPCUB_304000_NS8EqualityEEEPlJS6_EEE10hipError_tPvRmT3_T4_T5_T6_T7_T9_mT8_P12ihipStream_tbDpT10_ENKUlT_T0_E_clISt17integral_constantIbLb0EES17_EEDaS12_S13_EUlS12_E_NS1_11comp_targetILNS1_3genE10ELNS1_11target_archE1200ELNS1_3gpuE4ELNS1_3repE0EEENS1_30default_config_static_selectorELNS0_4arch9wavefront6targetE1EEEvT1_
                                        ; -- End function
	.section	.AMDGPU.csdata,"",@progbits
; Kernel info:
; codeLenInByte = 0
; NumSgprs: 6
; NumVgprs: 0
; NumAgprs: 0
; TotalNumVgprs: 0
; ScratchSize: 0
; MemoryBound: 0
; FloatMode: 240
; IeeeMode: 1
; LDSByteSize: 0 bytes/workgroup (compile time only)
; SGPRBlocks: 0
; VGPRBlocks: 0
; NumSGPRsForWavesPerEU: 6
; NumVGPRsForWavesPerEU: 1
; AccumOffset: 4
; Occupancy: 8
; WaveLimiterHint : 0
; COMPUTE_PGM_RSRC2:SCRATCH_EN: 0
; COMPUTE_PGM_RSRC2:USER_SGPR: 2
; COMPUTE_PGM_RSRC2:TRAP_HANDLER: 0
; COMPUTE_PGM_RSRC2:TGID_X_EN: 1
; COMPUTE_PGM_RSRC2:TGID_Y_EN: 0
; COMPUTE_PGM_RSRC2:TGID_Z_EN: 0
; COMPUTE_PGM_RSRC2:TIDIG_COMP_CNT: 0
; COMPUTE_PGM_RSRC3_GFX90A:ACCUM_OFFSET: 0
; COMPUTE_PGM_RSRC3_GFX90A:TG_SPLIT: 0
	.section	.text._ZN7rocprim17ROCPRIM_400000_NS6detail17trampoline_kernelINS0_14default_configENS1_25partition_config_selectorILNS1_17partition_subalgoE8EjNS0_10empty_typeEbEEZZNS1_14partition_implILS5_8ELb0ES3_jPKjPS6_PKS6_NS0_5tupleIJPjS6_EEENSE_IJSB_SB_EEENS0_18inequality_wrapperIN6hipcub16HIPCUB_304000_NS8EqualityEEEPlJS6_EEE10hipError_tPvRmT3_T4_T5_T6_T7_T9_mT8_P12ihipStream_tbDpT10_ENKUlT_T0_E_clISt17integral_constantIbLb0EES17_EEDaS12_S13_EUlS12_E_NS1_11comp_targetILNS1_3genE9ELNS1_11target_archE1100ELNS1_3gpuE3ELNS1_3repE0EEENS1_30default_config_static_selectorELNS0_4arch9wavefront6targetE1EEEvT1_,"axG",@progbits,_ZN7rocprim17ROCPRIM_400000_NS6detail17trampoline_kernelINS0_14default_configENS1_25partition_config_selectorILNS1_17partition_subalgoE8EjNS0_10empty_typeEbEEZZNS1_14partition_implILS5_8ELb0ES3_jPKjPS6_PKS6_NS0_5tupleIJPjS6_EEENSE_IJSB_SB_EEENS0_18inequality_wrapperIN6hipcub16HIPCUB_304000_NS8EqualityEEEPlJS6_EEE10hipError_tPvRmT3_T4_T5_T6_T7_T9_mT8_P12ihipStream_tbDpT10_ENKUlT_T0_E_clISt17integral_constantIbLb0EES17_EEDaS12_S13_EUlS12_E_NS1_11comp_targetILNS1_3genE9ELNS1_11target_archE1100ELNS1_3gpuE3ELNS1_3repE0EEENS1_30default_config_static_selectorELNS0_4arch9wavefront6targetE1EEEvT1_,comdat
	.protected	_ZN7rocprim17ROCPRIM_400000_NS6detail17trampoline_kernelINS0_14default_configENS1_25partition_config_selectorILNS1_17partition_subalgoE8EjNS0_10empty_typeEbEEZZNS1_14partition_implILS5_8ELb0ES3_jPKjPS6_PKS6_NS0_5tupleIJPjS6_EEENSE_IJSB_SB_EEENS0_18inequality_wrapperIN6hipcub16HIPCUB_304000_NS8EqualityEEEPlJS6_EEE10hipError_tPvRmT3_T4_T5_T6_T7_T9_mT8_P12ihipStream_tbDpT10_ENKUlT_T0_E_clISt17integral_constantIbLb0EES17_EEDaS12_S13_EUlS12_E_NS1_11comp_targetILNS1_3genE9ELNS1_11target_archE1100ELNS1_3gpuE3ELNS1_3repE0EEENS1_30default_config_static_selectorELNS0_4arch9wavefront6targetE1EEEvT1_ ; -- Begin function _ZN7rocprim17ROCPRIM_400000_NS6detail17trampoline_kernelINS0_14default_configENS1_25partition_config_selectorILNS1_17partition_subalgoE8EjNS0_10empty_typeEbEEZZNS1_14partition_implILS5_8ELb0ES3_jPKjPS6_PKS6_NS0_5tupleIJPjS6_EEENSE_IJSB_SB_EEENS0_18inequality_wrapperIN6hipcub16HIPCUB_304000_NS8EqualityEEEPlJS6_EEE10hipError_tPvRmT3_T4_T5_T6_T7_T9_mT8_P12ihipStream_tbDpT10_ENKUlT_T0_E_clISt17integral_constantIbLb0EES17_EEDaS12_S13_EUlS12_E_NS1_11comp_targetILNS1_3genE9ELNS1_11target_archE1100ELNS1_3gpuE3ELNS1_3repE0EEENS1_30default_config_static_selectorELNS0_4arch9wavefront6targetE1EEEvT1_
	.globl	_ZN7rocprim17ROCPRIM_400000_NS6detail17trampoline_kernelINS0_14default_configENS1_25partition_config_selectorILNS1_17partition_subalgoE8EjNS0_10empty_typeEbEEZZNS1_14partition_implILS5_8ELb0ES3_jPKjPS6_PKS6_NS0_5tupleIJPjS6_EEENSE_IJSB_SB_EEENS0_18inequality_wrapperIN6hipcub16HIPCUB_304000_NS8EqualityEEEPlJS6_EEE10hipError_tPvRmT3_T4_T5_T6_T7_T9_mT8_P12ihipStream_tbDpT10_ENKUlT_T0_E_clISt17integral_constantIbLb0EES17_EEDaS12_S13_EUlS12_E_NS1_11comp_targetILNS1_3genE9ELNS1_11target_archE1100ELNS1_3gpuE3ELNS1_3repE0EEENS1_30default_config_static_selectorELNS0_4arch9wavefront6targetE1EEEvT1_
	.p2align	8
	.type	_ZN7rocprim17ROCPRIM_400000_NS6detail17trampoline_kernelINS0_14default_configENS1_25partition_config_selectorILNS1_17partition_subalgoE8EjNS0_10empty_typeEbEEZZNS1_14partition_implILS5_8ELb0ES3_jPKjPS6_PKS6_NS0_5tupleIJPjS6_EEENSE_IJSB_SB_EEENS0_18inequality_wrapperIN6hipcub16HIPCUB_304000_NS8EqualityEEEPlJS6_EEE10hipError_tPvRmT3_T4_T5_T6_T7_T9_mT8_P12ihipStream_tbDpT10_ENKUlT_T0_E_clISt17integral_constantIbLb0EES17_EEDaS12_S13_EUlS12_E_NS1_11comp_targetILNS1_3genE9ELNS1_11target_archE1100ELNS1_3gpuE3ELNS1_3repE0EEENS1_30default_config_static_selectorELNS0_4arch9wavefront6targetE1EEEvT1_,@function
_ZN7rocprim17ROCPRIM_400000_NS6detail17trampoline_kernelINS0_14default_configENS1_25partition_config_selectorILNS1_17partition_subalgoE8EjNS0_10empty_typeEbEEZZNS1_14partition_implILS5_8ELb0ES3_jPKjPS6_PKS6_NS0_5tupleIJPjS6_EEENSE_IJSB_SB_EEENS0_18inequality_wrapperIN6hipcub16HIPCUB_304000_NS8EqualityEEEPlJS6_EEE10hipError_tPvRmT3_T4_T5_T6_T7_T9_mT8_P12ihipStream_tbDpT10_ENKUlT_T0_E_clISt17integral_constantIbLb0EES17_EEDaS12_S13_EUlS12_E_NS1_11comp_targetILNS1_3genE9ELNS1_11target_archE1100ELNS1_3gpuE3ELNS1_3repE0EEENS1_30default_config_static_selectorELNS0_4arch9wavefront6targetE1EEEvT1_: ; @_ZN7rocprim17ROCPRIM_400000_NS6detail17trampoline_kernelINS0_14default_configENS1_25partition_config_selectorILNS1_17partition_subalgoE8EjNS0_10empty_typeEbEEZZNS1_14partition_implILS5_8ELb0ES3_jPKjPS6_PKS6_NS0_5tupleIJPjS6_EEENSE_IJSB_SB_EEENS0_18inequality_wrapperIN6hipcub16HIPCUB_304000_NS8EqualityEEEPlJS6_EEE10hipError_tPvRmT3_T4_T5_T6_T7_T9_mT8_P12ihipStream_tbDpT10_ENKUlT_T0_E_clISt17integral_constantIbLb0EES17_EEDaS12_S13_EUlS12_E_NS1_11comp_targetILNS1_3genE9ELNS1_11target_archE1100ELNS1_3gpuE3ELNS1_3repE0EEENS1_30default_config_static_selectorELNS0_4arch9wavefront6targetE1EEEvT1_
; %bb.0:
	.section	.rodata,"a",@progbits
	.p2align	6, 0x0
	.amdhsa_kernel _ZN7rocprim17ROCPRIM_400000_NS6detail17trampoline_kernelINS0_14default_configENS1_25partition_config_selectorILNS1_17partition_subalgoE8EjNS0_10empty_typeEbEEZZNS1_14partition_implILS5_8ELb0ES3_jPKjPS6_PKS6_NS0_5tupleIJPjS6_EEENSE_IJSB_SB_EEENS0_18inequality_wrapperIN6hipcub16HIPCUB_304000_NS8EqualityEEEPlJS6_EEE10hipError_tPvRmT3_T4_T5_T6_T7_T9_mT8_P12ihipStream_tbDpT10_ENKUlT_T0_E_clISt17integral_constantIbLb0EES17_EEDaS12_S13_EUlS12_E_NS1_11comp_targetILNS1_3genE9ELNS1_11target_archE1100ELNS1_3gpuE3ELNS1_3repE0EEENS1_30default_config_static_selectorELNS0_4arch9wavefront6targetE1EEEvT1_
		.amdhsa_group_segment_fixed_size 0
		.amdhsa_private_segment_fixed_size 0
		.amdhsa_kernarg_size 112
		.amdhsa_user_sgpr_count 2
		.amdhsa_user_sgpr_dispatch_ptr 0
		.amdhsa_user_sgpr_queue_ptr 0
		.amdhsa_user_sgpr_kernarg_segment_ptr 1
		.amdhsa_user_sgpr_dispatch_id 0
		.amdhsa_user_sgpr_kernarg_preload_length 0
		.amdhsa_user_sgpr_kernarg_preload_offset 0
		.amdhsa_user_sgpr_private_segment_size 0
		.amdhsa_uses_dynamic_stack 0
		.amdhsa_enable_private_segment 0
		.amdhsa_system_sgpr_workgroup_id_x 1
		.amdhsa_system_sgpr_workgroup_id_y 0
		.amdhsa_system_sgpr_workgroup_id_z 0
		.amdhsa_system_sgpr_workgroup_info 0
		.amdhsa_system_vgpr_workitem_id 0
		.amdhsa_next_free_vgpr 1
		.amdhsa_next_free_sgpr 0
		.amdhsa_accum_offset 4
		.amdhsa_reserve_vcc 0
		.amdhsa_float_round_mode_32 0
		.amdhsa_float_round_mode_16_64 0
		.amdhsa_float_denorm_mode_32 3
		.amdhsa_float_denorm_mode_16_64 3
		.amdhsa_dx10_clamp 1
		.amdhsa_ieee_mode 1
		.amdhsa_fp16_overflow 0
		.amdhsa_tg_split 0
		.amdhsa_exception_fp_ieee_invalid_op 0
		.amdhsa_exception_fp_denorm_src 0
		.amdhsa_exception_fp_ieee_div_zero 0
		.amdhsa_exception_fp_ieee_overflow 0
		.amdhsa_exception_fp_ieee_underflow 0
		.amdhsa_exception_fp_ieee_inexact 0
		.amdhsa_exception_int_div_zero 0
	.end_amdhsa_kernel
	.section	.text._ZN7rocprim17ROCPRIM_400000_NS6detail17trampoline_kernelINS0_14default_configENS1_25partition_config_selectorILNS1_17partition_subalgoE8EjNS0_10empty_typeEbEEZZNS1_14partition_implILS5_8ELb0ES3_jPKjPS6_PKS6_NS0_5tupleIJPjS6_EEENSE_IJSB_SB_EEENS0_18inequality_wrapperIN6hipcub16HIPCUB_304000_NS8EqualityEEEPlJS6_EEE10hipError_tPvRmT3_T4_T5_T6_T7_T9_mT8_P12ihipStream_tbDpT10_ENKUlT_T0_E_clISt17integral_constantIbLb0EES17_EEDaS12_S13_EUlS12_E_NS1_11comp_targetILNS1_3genE9ELNS1_11target_archE1100ELNS1_3gpuE3ELNS1_3repE0EEENS1_30default_config_static_selectorELNS0_4arch9wavefront6targetE1EEEvT1_,"axG",@progbits,_ZN7rocprim17ROCPRIM_400000_NS6detail17trampoline_kernelINS0_14default_configENS1_25partition_config_selectorILNS1_17partition_subalgoE8EjNS0_10empty_typeEbEEZZNS1_14partition_implILS5_8ELb0ES3_jPKjPS6_PKS6_NS0_5tupleIJPjS6_EEENSE_IJSB_SB_EEENS0_18inequality_wrapperIN6hipcub16HIPCUB_304000_NS8EqualityEEEPlJS6_EEE10hipError_tPvRmT3_T4_T5_T6_T7_T9_mT8_P12ihipStream_tbDpT10_ENKUlT_T0_E_clISt17integral_constantIbLb0EES17_EEDaS12_S13_EUlS12_E_NS1_11comp_targetILNS1_3genE9ELNS1_11target_archE1100ELNS1_3gpuE3ELNS1_3repE0EEENS1_30default_config_static_selectorELNS0_4arch9wavefront6targetE1EEEvT1_,comdat
.Lfunc_end623:
	.size	_ZN7rocprim17ROCPRIM_400000_NS6detail17trampoline_kernelINS0_14default_configENS1_25partition_config_selectorILNS1_17partition_subalgoE8EjNS0_10empty_typeEbEEZZNS1_14partition_implILS5_8ELb0ES3_jPKjPS6_PKS6_NS0_5tupleIJPjS6_EEENSE_IJSB_SB_EEENS0_18inequality_wrapperIN6hipcub16HIPCUB_304000_NS8EqualityEEEPlJS6_EEE10hipError_tPvRmT3_T4_T5_T6_T7_T9_mT8_P12ihipStream_tbDpT10_ENKUlT_T0_E_clISt17integral_constantIbLb0EES17_EEDaS12_S13_EUlS12_E_NS1_11comp_targetILNS1_3genE9ELNS1_11target_archE1100ELNS1_3gpuE3ELNS1_3repE0EEENS1_30default_config_static_selectorELNS0_4arch9wavefront6targetE1EEEvT1_, .Lfunc_end623-_ZN7rocprim17ROCPRIM_400000_NS6detail17trampoline_kernelINS0_14default_configENS1_25partition_config_selectorILNS1_17partition_subalgoE8EjNS0_10empty_typeEbEEZZNS1_14partition_implILS5_8ELb0ES3_jPKjPS6_PKS6_NS0_5tupleIJPjS6_EEENSE_IJSB_SB_EEENS0_18inequality_wrapperIN6hipcub16HIPCUB_304000_NS8EqualityEEEPlJS6_EEE10hipError_tPvRmT3_T4_T5_T6_T7_T9_mT8_P12ihipStream_tbDpT10_ENKUlT_T0_E_clISt17integral_constantIbLb0EES17_EEDaS12_S13_EUlS12_E_NS1_11comp_targetILNS1_3genE9ELNS1_11target_archE1100ELNS1_3gpuE3ELNS1_3repE0EEENS1_30default_config_static_selectorELNS0_4arch9wavefront6targetE1EEEvT1_
                                        ; -- End function
	.section	.AMDGPU.csdata,"",@progbits
; Kernel info:
; codeLenInByte = 0
; NumSgprs: 6
; NumVgprs: 0
; NumAgprs: 0
; TotalNumVgprs: 0
; ScratchSize: 0
; MemoryBound: 0
; FloatMode: 240
; IeeeMode: 1
; LDSByteSize: 0 bytes/workgroup (compile time only)
; SGPRBlocks: 0
; VGPRBlocks: 0
; NumSGPRsForWavesPerEU: 6
; NumVGPRsForWavesPerEU: 1
; AccumOffset: 4
; Occupancy: 8
; WaveLimiterHint : 0
; COMPUTE_PGM_RSRC2:SCRATCH_EN: 0
; COMPUTE_PGM_RSRC2:USER_SGPR: 2
; COMPUTE_PGM_RSRC2:TRAP_HANDLER: 0
; COMPUTE_PGM_RSRC2:TGID_X_EN: 1
; COMPUTE_PGM_RSRC2:TGID_Y_EN: 0
; COMPUTE_PGM_RSRC2:TGID_Z_EN: 0
; COMPUTE_PGM_RSRC2:TIDIG_COMP_CNT: 0
; COMPUTE_PGM_RSRC3_GFX90A:ACCUM_OFFSET: 0
; COMPUTE_PGM_RSRC3_GFX90A:TG_SPLIT: 0
	.section	.text._ZN7rocprim17ROCPRIM_400000_NS6detail17trampoline_kernelINS0_14default_configENS1_25partition_config_selectorILNS1_17partition_subalgoE8EjNS0_10empty_typeEbEEZZNS1_14partition_implILS5_8ELb0ES3_jPKjPS6_PKS6_NS0_5tupleIJPjS6_EEENSE_IJSB_SB_EEENS0_18inequality_wrapperIN6hipcub16HIPCUB_304000_NS8EqualityEEEPlJS6_EEE10hipError_tPvRmT3_T4_T5_T6_T7_T9_mT8_P12ihipStream_tbDpT10_ENKUlT_T0_E_clISt17integral_constantIbLb0EES17_EEDaS12_S13_EUlS12_E_NS1_11comp_targetILNS1_3genE8ELNS1_11target_archE1030ELNS1_3gpuE2ELNS1_3repE0EEENS1_30default_config_static_selectorELNS0_4arch9wavefront6targetE1EEEvT1_,"axG",@progbits,_ZN7rocprim17ROCPRIM_400000_NS6detail17trampoline_kernelINS0_14default_configENS1_25partition_config_selectorILNS1_17partition_subalgoE8EjNS0_10empty_typeEbEEZZNS1_14partition_implILS5_8ELb0ES3_jPKjPS6_PKS6_NS0_5tupleIJPjS6_EEENSE_IJSB_SB_EEENS0_18inequality_wrapperIN6hipcub16HIPCUB_304000_NS8EqualityEEEPlJS6_EEE10hipError_tPvRmT3_T4_T5_T6_T7_T9_mT8_P12ihipStream_tbDpT10_ENKUlT_T0_E_clISt17integral_constantIbLb0EES17_EEDaS12_S13_EUlS12_E_NS1_11comp_targetILNS1_3genE8ELNS1_11target_archE1030ELNS1_3gpuE2ELNS1_3repE0EEENS1_30default_config_static_selectorELNS0_4arch9wavefront6targetE1EEEvT1_,comdat
	.protected	_ZN7rocprim17ROCPRIM_400000_NS6detail17trampoline_kernelINS0_14default_configENS1_25partition_config_selectorILNS1_17partition_subalgoE8EjNS0_10empty_typeEbEEZZNS1_14partition_implILS5_8ELb0ES3_jPKjPS6_PKS6_NS0_5tupleIJPjS6_EEENSE_IJSB_SB_EEENS0_18inequality_wrapperIN6hipcub16HIPCUB_304000_NS8EqualityEEEPlJS6_EEE10hipError_tPvRmT3_T4_T5_T6_T7_T9_mT8_P12ihipStream_tbDpT10_ENKUlT_T0_E_clISt17integral_constantIbLb0EES17_EEDaS12_S13_EUlS12_E_NS1_11comp_targetILNS1_3genE8ELNS1_11target_archE1030ELNS1_3gpuE2ELNS1_3repE0EEENS1_30default_config_static_selectorELNS0_4arch9wavefront6targetE1EEEvT1_ ; -- Begin function _ZN7rocprim17ROCPRIM_400000_NS6detail17trampoline_kernelINS0_14default_configENS1_25partition_config_selectorILNS1_17partition_subalgoE8EjNS0_10empty_typeEbEEZZNS1_14partition_implILS5_8ELb0ES3_jPKjPS6_PKS6_NS0_5tupleIJPjS6_EEENSE_IJSB_SB_EEENS0_18inequality_wrapperIN6hipcub16HIPCUB_304000_NS8EqualityEEEPlJS6_EEE10hipError_tPvRmT3_T4_T5_T6_T7_T9_mT8_P12ihipStream_tbDpT10_ENKUlT_T0_E_clISt17integral_constantIbLb0EES17_EEDaS12_S13_EUlS12_E_NS1_11comp_targetILNS1_3genE8ELNS1_11target_archE1030ELNS1_3gpuE2ELNS1_3repE0EEENS1_30default_config_static_selectorELNS0_4arch9wavefront6targetE1EEEvT1_
	.globl	_ZN7rocprim17ROCPRIM_400000_NS6detail17trampoline_kernelINS0_14default_configENS1_25partition_config_selectorILNS1_17partition_subalgoE8EjNS0_10empty_typeEbEEZZNS1_14partition_implILS5_8ELb0ES3_jPKjPS6_PKS6_NS0_5tupleIJPjS6_EEENSE_IJSB_SB_EEENS0_18inequality_wrapperIN6hipcub16HIPCUB_304000_NS8EqualityEEEPlJS6_EEE10hipError_tPvRmT3_T4_T5_T6_T7_T9_mT8_P12ihipStream_tbDpT10_ENKUlT_T0_E_clISt17integral_constantIbLb0EES17_EEDaS12_S13_EUlS12_E_NS1_11comp_targetILNS1_3genE8ELNS1_11target_archE1030ELNS1_3gpuE2ELNS1_3repE0EEENS1_30default_config_static_selectorELNS0_4arch9wavefront6targetE1EEEvT1_
	.p2align	8
	.type	_ZN7rocprim17ROCPRIM_400000_NS6detail17trampoline_kernelINS0_14default_configENS1_25partition_config_selectorILNS1_17partition_subalgoE8EjNS0_10empty_typeEbEEZZNS1_14partition_implILS5_8ELb0ES3_jPKjPS6_PKS6_NS0_5tupleIJPjS6_EEENSE_IJSB_SB_EEENS0_18inequality_wrapperIN6hipcub16HIPCUB_304000_NS8EqualityEEEPlJS6_EEE10hipError_tPvRmT3_T4_T5_T6_T7_T9_mT8_P12ihipStream_tbDpT10_ENKUlT_T0_E_clISt17integral_constantIbLb0EES17_EEDaS12_S13_EUlS12_E_NS1_11comp_targetILNS1_3genE8ELNS1_11target_archE1030ELNS1_3gpuE2ELNS1_3repE0EEENS1_30default_config_static_selectorELNS0_4arch9wavefront6targetE1EEEvT1_,@function
_ZN7rocprim17ROCPRIM_400000_NS6detail17trampoline_kernelINS0_14default_configENS1_25partition_config_selectorILNS1_17partition_subalgoE8EjNS0_10empty_typeEbEEZZNS1_14partition_implILS5_8ELb0ES3_jPKjPS6_PKS6_NS0_5tupleIJPjS6_EEENSE_IJSB_SB_EEENS0_18inequality_wrapperIN6hipcub16HIPCUB_304000_NS8EqualityEEEPlJS6_EEE10hipError_tPvRmT3_T4_T5_T6_T7_T9_mT8_P12ihipStream_tbDpT10_ENKUlT_T0_E_clISt17integral_constantIbLb0EES17_EEDaS12_S13_EUlS12_E_NS1_11comp_targetILNS1_3genE8ELNS1_11target_archE1030ELNS1_3gpuE2ELNS1_3repE0EEENS1_30default_config_static_selectorELNS0_4arch9wavefront6targetE1EEEvT1_: ; @_ZN7rocprim17ROCPRIM_400000_NS6detail17trampoline_kernelINS0_14default_configENS1_25partition_config_selectorILNS1_17partition_subalgoE8EjNS0_10empty_typeEbEEZZNS1_14partition_implILS5_8ELb0ES3_jPKjPS6_PKS6_NS0_5tupleIJPjS6_EEENSE_IJSB_SB_EEENS0_18inequality_wrapperIN6hipcub16HIPCUB_304000_NS8EqualityEEEPlJS6_EEE10hipError_tPvRmT3_T4_T5_T6_T7_T9_mT8_P12ihipStream_tbDpT10_ENKUlT_T0_E_clISt17integral_constantIbLb0EES17_EEDaS12_S13_EUlS12_E_NS1_11comp_targetILNS1_3genE8ELNS1_11target_archE1030ELNS1_3gpuE2ELNS1_3repE0EEENS1_30default_config_static_selectorELNS0_4arch9wavefront6targetE1EEEvT1_
; %bb.0:
	.section	.rodata,"a",@progbits
	.p2align	6, 0x0
	.amdhsa_kernel _ZN7rocprim17ROCPRIM_400000_NS6detail17trampoline_kernelINS0_14default_configENS1_25partition_config_selectorILNS1_17partition_subalgoE8EjNS0_10empty_typeEbEEZZNS1_14partition_implILS5_8ELb0ES3_jPKjPS6_PKS6_NS0_5tupleIJPjS6_EEENSE_IJSB_SB_EEENS0_18inequality_wrapperIN6hipcub16HIPCUB_304000_NS8EqualityEEEPlJS6_EEE10hipError_tPvRmT3_T4_T5_T6_T7_T9_mT8_P12ihipStream_tbDpT10_ENKUlT_T0_E_clISt17integral_constantIbLb0EES17_EEDaS12_S13_EUlS12_E_NS1_11comp_targetILNS1_3genE8ELNS1_11target_archE1030ELNS1_3gpuE2ELNS1_3repE0EEENS1_30default_config_static_selectorELNS0_4arch9wavefront6targetE1EEEvT1_
		.amdhsa_group_segment_fixed_size 0
		.amdhsa_private_segment_fixed_size 0
		.amdhsa_kernarg_size 112
		.amdhsa_user_sgpr_count 2
		.amdhsa_user_sgpr_dispatch_ptr 0
		.amdhsa_user_sgpr_queue_ptr 0
		.amdhsa_user_sgpr_kernarg_segment_ptr 1
		.amdhsa_user_sgpr_dispatch_id 0
		.amdhsa_user_sgpr_kernarg_preload_length 0
		.amdhsa_user_sgpr_kernarg_preload_offset 0
		.amdhsa_user_sgpr_private_segment_size 0
		.amdhsa_uses_dynamic_stack 0
		.amdhsa_enable_private_segment 0
		.amdhsa_system_sgpr_workgroup_id_x 1
		.amdhsa_system_sgpr_workgroup_id_y 0
		.amdhsa_system_sgpr_workgroup_id_z 0
		.amdhsa_system_sgpr_workgroup_info 0
		.amdhsa_system_vgpr_workitem_id 0
		.amdhsa_next_free_vgpr 1
		.amdhsa_next_free_sgpr 0
		.amdhsa_accum_offset 4
		.amdhsa_reserve_vcc 0
		.amdhsa_float_round_mode_32 0
		.amdhsa_float_round_mode_16_64 0
		.amdhsa_float_denorm_mode_32 3
		.amdhsa_float_denorm_mode_16_64 3
		.amdhsa_dx10_clamp 1
		.amdhsa_ieee_mode 1
		.amdhsa_fp16_overflow 0
		.amdhsa_tg_split 0
		.amdhsa_exception_fp_ieee_invalid_op 0
		.amdhsa_exception_fp_denorm_src 0
		.amdhsa_exception_fp_ieee_div_zero 0
		.amdhsa_exception_fp_ieee_overflow 0
		.amdhsa_exception_fp_ieee_underflow 0
		.amdhsa_exception_fp_ieee_inexact 0
		.amdhsa_exception_int_div_zero 0
	.end_amdhsa_kernel
	.section	.text._ZN7rocprim17ROCPRIM_400000_NS6detail17trampoline_kernelINS0_14default_configENS1_25partition_config_selectorILNS1_17partition_subalgoE8EjNS0_10empty_typeEbEEZZNS1_14partition_implILS5_8ELb0ES3_jPKjPS6_PKS6_NS0_5tupleIJPjS6_EEENSE_IJSB_SB_EEENS0_18inequality_wrapperIN6hipcub16HIPCUB_304000_NS8EqualityEEEPlJS6_EEE10hipError_tPvRmT3_T4_T5_T6_T7_T9_mT8_P12ihipStream_tbDpT10_ENKUlT_T0_E_clISt17integral_constantIbLb0EES17_EEDaS12_S13_EUlS12_E_NS1_11comp_targetILNS1_3genE8ELNS1_11target_archE1030ELNS1_3gpuE2ELNS1_3repE0EEENS1_30default_config_static_selectorELNS0_4arch9wavefront6targetE1EEEvT1_,"axG",@progbits,_ZN7rocprim17ROCPRIM_400000_NS6detail17trampoline_kernelINS0_14default_configENS1_25partition_config_selectorILNS1_17partition_subalgoE8EjNS0_10empty_typeEbEEZZNS1_14partition_implILS5_8ELb0ES3_jPKjPS6_PKS6_NS0_5tupleIJPjS6_EEENSE_IJSB_SB_EEENS0_18inequality_wrapperIN6hipcub16HIPCUB_304000_NS8EqualityEEEPlJS6_EEE10hipError_tPvRmT3_T4_T5_T6_T7_T9_mT8_P12ihipStream_tbDpT10_ENKUlT_T0_E_clISt17integral_constantIbLb0EES17_EEDaS12_S13_EUlS12_E_NS1_11comp_targetILNS1_3genE8ELNS1_11target_archE1030ELNS1_3gpuE2ELNS1_3repE0EEENS1_30default_config_static_selectorELNS0_4arch9wavefront6targetE1EEEvT1_,comdat
.Lfunc_end624:
	.size	_ZN7rocprim17ROCPRIM_400000_NS6detail17trampoline_kernelINS0_14default_configENS1_25partition_config_selectorILNS1_17partition_subalgoE8EjNS0_10empty_typeEbEEZZNS1_14partition_implILS5_8ELb0ES3_jPKjPS6_PKS6_NS0_5tupleIJPjS6_EEENSE_IJSB_SB_EEENS0_18inequality_wrapperIN6hipcub16HIPCUB_304000_NS8EqualityEEEPlJS6_EEE10hipError_tPvRmT3_T4_T5_T6_T7_T9_mT8_P12ihipStream_tbDpT10_ENKUlT_T0_E_clISt17integral_constantIbLb0EES17_EEDaS12_S13_EUlS12_E_NS1_11comp_targetILNS1_3genE8ELNS1_11target_archE1030ELNS1_3gpuE2ELNS1_3repE0EEENS1_30default_config_static_selectorELNS0_4arch9wavefront6targetE1EEEvT1_, .Lfunc_end624-_ZN7rocprim17ROCPRIM_400000_NS6detail17trampoline_kernelINS0_14default_configENS1_25partition_config_selectorILNS1_17partition_subalgoE8EjNS0_10empty_typeEbEEZZNS1_14partition_implILS5_8ELb0ES3_jPKjPS6_PKS6_NS0_5tupleIJPjS6_EEENSE_IJSB_SB_EEENS0_18inequality_wrapperIN6hipcub16HIPCUB_304000_NS8EqualityEEEPlJS6_EEE10hipError_tPvRmT3_T4_T5_T6_T7_T9_mT8_P12ihipStream_tbDpT10_ENKUlT_T0_E_clISt17integral_constantIbLb0EES17_EEDaS12_S13_EUlS12_E_NS1_11comp_targetILNS1_3genE8ELNS1_11target_archE1030ELNS1_3gpuE2ELNS1_3repE0EEENS1_30default_config_static_selectorELNS0_4arch9wavefront6targetE1EEEvT1_
                                        ; -- End function
	.section	.AMDGPU.csdata,"",@progbits
; Kernel info:
; codeLenInByte = 0
; NumSgprs: 6
; NumVgprs: 0
; NumAgprs: 0
; TotalNumVgprs: 0
; ScratchSize: 0
; MemoryBound: 0
; FloatMode: 240
; IeeeMode: 1
; LDSByteSize: 0 bytes/workgroup (compile time only)
; SGPRBlocks: 0
; VGPRBlocks: 0
; NumSGPRsForWavesPerEU: 6
; NumVGPRsForWavesPerEU: 1
; AccumOffset: 4
; Occupancy: 8
; WaveLimiterHint : 0
; COMPUTE_PGM_RSRC2:SCRATCH_EN: 0
; COMPUTE_PGM_RSRC2:USER_SGPR: 2
; COMPUTE_PGM_RSRC2:TRAP_HANDLER: 0
; COMPUTE_PGM_RSRC2:TGID_X_EN: 1
; COMPUTE_PGM_RSRC2:TGID_Y_EN: 0
; COMPUTE_PGM_RSRC2:TGID_Z_EN: 0
; COMPUTE_PGM_RSRC2:TIDIG_COMP_CNT: 0
; COMPUTE_PGM_RSRC3_GFX90A:ACCUM_OFFSET: 0
; COMPUTE_PGM_RSRC3_GFX90A:TG_SPLIT: 0
	.section	.text._ZN7rocprim17ROCPRIM_400000_NS6detail17trampoline_kernelINS0_14default_configENS1_25partition_config_selectorILNS1_17partition_subalgoE8EjNS0_10empty_typeEbEEZZNS1_14partition_implILS5_8ELb0ES3_jPKjPS6_PKS6_NS0_5tupleIJPjS6_EEENSE_IJSB_SB_EEENS0_18inequality_wrapperIN6hipcub16HIPCUB_304000_NS8EqualityEEEPlJS6_EEE10hipError_tPvRmT3_T4_T5_T6_T7_T9_mT8_P12ihipStream_tbDpT10_ENKUlT_T0_E_clISt17integral_constantIbLb1EES17_EEDaS12_S13_EUlS12_E_NS1_11comp_targetILNS1_3genE0ELNS1_11target_archE4294967295ELNS1_3gpuE0ELNS1_3repE0EEENS1_30default_config_static_selectorELNS0_4arch9wavefront6targetE1EEEvT1_,"axG",@progbits,_ZN7rocprim17ROCPRIM_400000_NS6detail17trampoline_kernelINS0_14default_configENS1_25partition_config_selectorILNS1_17partition_subalgoE8EjNS0_10empty_typeEbEEZZNS1_14partition_implILS5_8ELb0ES3_jPKjPS6_PKS6_NS0_5tupleIJPjS6_EEENSE_IJSB_SB_EEENS0_18inequality_wrapperIN6hipcub16HIPCUB_304000_NS8EqualityEEEPlJS6_EEE10hipError_tPvRmT3_T4_T5_T6_T7_T9_mT8_P12ihipStream_tbDpT10_ENKUlT_T0_E_clISt17integral_constantIbLb1EES17_EEDaS12_S13_EUlS12_E_NS1_11comp_targetILNS1_3genE0ELNS1_11target_archE4294967295ELNS1_3gpuE0ELNS1_3repE0EEENS1_30default_config_static_selectorELNS0_4arch9wavefront6targetE1EEEvT1_,comdat
	.protected	_ZN7rocprim17ROCPRIM_400000_NS6detail17trampoline_kernelINS0_14default_configENS1_25partition_config_selectorILNS1_17partition_subalgoE8EjNS0_10empty_typeEbEEZZNS1_14partition_implILS5_8ELb0ES3_jPKjPS6_PKS6_NS0_5tupleIJPjS6_EEENSE_IJSB_SB_EEENS0_18inequality_wrapperIN6hipcub16HIPCUB_304000_NS8EqualityEEEPlJS6_EEE10hipError_tPvRmT3_T4_T5_T6_T7_T9_mT8_P12ihipStream_tbDpT10_ENKUlT_T0_E_clISt17integral_constantIbLb1EES17_EEDaS12_S13_EUlS12_E_NS1_11comp_targetILNS1_3genE0ELNS1_11target_archE4294967295ELNS1_3gpuE0ELNS1_3repE0EEENS1_30default_config_static_selectorELNS0_4arch9wavefront6targetE1EEEvT1_ ; -- Begin function _ZN7rocprim17ROCPRIM_400000_NS6detail17trampoline_kernelINS0_14default_configENS1_25partition_config_selectorILNS1_17partition_subalgoE8EjNS0_10empty_typeEbEEZZNS1_14partition_implILS5_8ELb0ES3_jPKjPS6_PKS6_NS0_5tupleIJPjS6_EEENSE_IJSB_SB_EEENS0_18inequality_wrapperIN6hipcub16HIPCUB_304000_NS8EqualityEEEPlJS6_EEE10hipError_tPvRmT3_T4_T5_T6_T7_T9_mT8_P12ihipStream_tbDpT10_ENKUlT_T0_E_clISt17integral_constantIbLb1EES17_EEDaS12_S13_EUlS12_E_NS1_11comp_targetILNS1_3genE0ELNS1_11target_archE4294967295ELNS1_3gpuE0ELNS1_3repE0EEENS1_30default_config_static_selectorELNS0_4arch9wavefront6targetE1EEEvT1_
	.globl	_ZN7rocprim17ROCPRIM_400000_NS6detail17trampoline_kernelINS0_14default_configENS1_25partition_config_selectorILNS1_17partition_subalgoE8EjNS0_10empty_typeEbEEZZNS1_14partition_implILS5_8ELb0ES3_jPKjPS6_PKS6_NS0_5tupleIJPjS6_EEENSE_IJSB_SB_EEENS0_18inequality_wrapperIN6hipcub16HIPCUB_304000_NS8EqualityEEEPlJS6_EEE10hipError_tPvRmT3_T4_T5_T6_T7_T9_mT8_P12ihipStream_tbDpT10_ENKUlT_T0_E_clISt17integral_constantIbLb1EES17_EEDaS12_S13_EUlS12_E_NS1_11comp_targetILNS1_3genE0ELNS1_11target_archE4294967295ELNS1_3gpuE0ELNS1_3repE0EEENS1_30default_config_static_selectorELNS0_4arch9wavefront6targetE1EEEvT1_
	.p2align	8
	.type	_ZN7rocprim17ROCPRIM_400000_NS6detail17trampoline_kernelINS0_14default_configENS1_25partition_config_selectorILNS1_17partition_subalgoE8EjNS0_10empty_typeEbEEZZNS1_14partition_implILS5_8ELb0ES3_jPKjPS6_PKS6_NS0_5tupleIJPjS6_EEENSE_IJSB_SB_EEENS0_18inequality_wrapperIN6hipcub16HIPCUB_304000_NS8EqualityEEEPlJS6_EEE10hipError_tPvRmT3_T4_T5_T6_T7_T9_mT8_P12ihipStream_tbDpT10_ENKUlT_T0_E_clISt17integral_constantIbLb1EES17_EEDaS12_S13_EUlS12_E_NS1_11comp_targetILNS1_3genE0ELNS1_11target_archE4294967295ELNS1_3gpuE0ELNS1_3repE0EEENS1_30default_config_static_selectorELNS0_4arch9wavefront6targetE1EEEvT1_,@function
_ZN7rocprim17ROCPRIM_400000_NS6detail17trampoline_kernelINS0_14default_configENS1_25partition_config_selectorILNS1_17partition_subalgoE8EjNS0_10empty_typeEbEEZZNS1_14partition_implILS5_8ELb0ES3_jPKjPS6_PKS6_NS0_5tupleIJPjS6_EEENSE_IJSB_SB_EEENS0_18inequality_wrapperIN6hipcub16HIPCUB_304000_NS8EqualityEEEPlJS6_EEE10hipError_tPvRmT3_T4_T5_T6_T7_T9_mT8_P12ihipStream_tbDpT10_ENKUlT_T0_E_clISt17integral_constantIbLb1EES17_EEDaS12_S13_EUlS12_E_NS1_11comp_targetILNS1_3genE0ELNS1_11target_archE4294967295ELNS1_3gpuE0ELNS1_3repE0EEENS1_30default_config_static_selectorELNS0_4arch9wavefront6targetE1EEEvT1_: ; @_ZN7rocprim17ROCPRIM_400000_NS6detail17trampoline_kernelINS0_14default_configENS1_25partition_config_selectorILNS1_17partition_subalgoE8EjNS0_10empty_typeEbEEZZNS1_14partition_implILS5_8ELb0ES3_jPKjPS6_PKS6_NS0_5tupleIJPjS6_EEENSE_IJSB_SB_EEENS0_18inequality_wrapperIN6hipcub16HIPCUB_304000_NS8EqualityEEEPlJS6_EEE10hipError_tPvRmT3_T4_T5_T6_T7_T9_mT8_P12ihipStream_tbDpT10_ENKUlT_T0_E_clISt17integral_constantIbLb1EES17_EEDaS12_S13_EUlS12_E_NS1_11comp_targetILNS1_3genE0ELNS1_11target_archE4294967295ELNS1_3gpuE0ELNS1_3repE0EEENS1_30default_config_static_selectorELNS0_4arch9wavefront6targetE1EEEvT1_
; %bb.0:
	.section	.rodata,"a",@progbits
	.p2align	6, 0x0
	.amdhsa_kernel _ZN7rocprim17ROCPRIM_400000_NS6detail17trampoline_kernelINS0_14default_configENS1_25partition_config_selectorILNS1_17partition_subalgoE8EjNS0_10empty_typeEbEEZZNS1_14partition_implILS5_8ELb0ES3_jPKjPS6_PKS6_NS0_5tupleIJPjS6_EEENSE_IJSB_SB_EEENS0_18inequality_wrapperIN6hipcub16HIPCUB_304000_NS8EqualityEEEPlJS6_EEE10hipError_tPvRmT3_T4_T5_T6_T7_T9_mT8_P12ihipStream_tbDpT10_ENKUlT_T0_E_clISt17integral_constantIbLb1EES17_EEDaS12_S13_EUlS12_E_NS1_11comp_targetILNS1_3genE0ELNS1_11target_archE4294967295ELNS1_3gpuE0ELNS1_3repE0EEENS1_30default_config_static_selectorELNS0_4arch9wavefront6targetE1EEEvT1_
		.amdhsa_group_segment_fixed_size 0
		.amdhsa_private_segment_fixed_size 0
		.amdhsa_kernarg_size 128
		.amdhsa_user_sgpr_count 2
		.amdhsa_user_sgpr_dispatch_ptr 0
		.amdhsa_user_sgpr_queue_ptr 0
		.amdhsa_user_sgpr_kernarg_segment_ptr 1
		.amdhsa_user_sgpr_dispatch_id 0
		.amdhsa_user_sgpr_kernarg_preload_length 0
		.amdhsa_user_sgpr_kernarg_preload_offset 0
		.amdhsa_user_sgpr_private_segment_size 0
		.amdhsa_uses_dynamic_stack 0
		.amdhsa_enable_private_segment 0
		.amdhsa_system_sgpr_workgroup_id_x 1
		.amdhsa_system_sgpr_workgroup_id_y 0
		.amdhsa_system_sgpr_workgroup_id_z 0
		.amdhsa_system_sgpr_workgroup_info 0
		.amdhsa_system_vgpr_workitem_id 0
		.amdhsa_next_free_vgpr 1
		.amdhsa_next_free_sgpr 0
		.amdhsa_accum_offset 4
		.amdhsa_reserve_vcc 0
		.amdhsa_float_round_mode_32 0
		.amdhsa_float_round_mode_16_64 0
		.amdhsa_float_denorm_mode_32 3
		.amdhsa_float_denorm_mode_16_64 3
		.amdhsa_dx10_clamp 1
		.amdhsa_ieee_mode 1
		.amdhsa_fp16_overflow 0
		.amdhsa_tg_split 0
		.amdhsa_exception_fp_ieee_invalid_op 0
		.amdhsa_exception_fp_denorm_src 0
		.amdhsa_exception_fp_ieee_div_zero 0
		.amdhsa_exception_fp_ieee_overflow 0
		.amdhsa_exception_fp_ieee_underflow 0
		.amdhsa_exception_fp_ieee_inexact 0
		.amdhsa_exception_int_div_zero 0
	.end_amdhsa_kernel
	.section	.text._ZN7rocprim17ROCPRIM_400000_NS6detail17trampoline_kernelINS0_14default_configENS1_25partition_config_selectorILNS1_17partition_subalgoE8EjNS0_10empty_typeEbEEZZNS1_14partition_implILS5_8ELb0ES3_jPKjPS6_PKS6_NS0_5tupleIJPjS6_EEENSE_IJSB_SB_EEENS0_18inequality_wrapperIN6hipcub16HIPCUB_304000_NS8EqualityEEEPlJS6_EEE10hipError_tPvRmT3_T4_T5_T6_T7_T9_mT8_P12ihipStream_tbDpT10_ENKUlT_T0_E_clISt17integral_constantIbLb1EES17_EEDaS12_S13_EUlS12_E_NS1_11comp_targetILNS1_3genE0ELNS1_11target_archE4294967295ELNS1_3gpuE0ELNS1_3repE0EEENS1_30default_config_static_selectorELNS0_4arch9wavefront6targetE1EEEvT1_,"axG",@progbits,_ZN7rocprim17ROCPRIM_400000_NS6detail17trampoline_kernelINS0_14default_configENS1_25partition_config_selectorILNS1_17partition_subalgoE8EjNS0_10empty_typeEbEEZZNS1_14partition_implILS5_8ELb0ES3_jPKjPS6_PKS6_NS0_5tupleIJPjS6_EEENSE_IJSB_SB_EEENS0_18inequality_wrapperIN6hipcub16HIPCUB_304000_NS8EqualityEEEPlJS6_EEE10hipError_tPvRmT3_T4_T5_T6_T7_T9_mT8_P12ihipStream_tbDpT10_ENKUlT_T0_E_clISt17integral_constantIbLb1EES17_EEDaS12_S13_EUlS12_E_NS1_11comp_targetILNS1_3genE0ELNS1_11target_archE4294967295ELNS1_3gpuE0ELNS1_3repE0EEENS1_30default_config_static_selectorELNS0_4arch9wavefront6targetE1EEEvT1_,comdat
.Lfunc_end625:
	.size	_ZN7rocprim17ROCPRIM_400000_NS6detail17trampoline_kernelINS0_14default_configENS1_25partition_config_selectorILNS1_17partition_subalgoE8EjNS0_10empty_typeEbEEZZNS1_14partition_implILS5_8ELb0ES3_jPKjPS6_PKS6_NS0_5tupleIJPjS6_EEENSE_IJSB_SB_EEENS0_18inequality_wrapperIN6hipcub16HIPCUB_304000_NS8EqualityEEEPlJS6_EEE10hipError_tPvRmT3_T4_T5_T6_T7_T9_mT8_P12ihipStream_tbDpT10_ENKUlT_T0_E_clISt17integral_constantIbLb1EES17_EEDaS12_S13_EUlS12_E_NS1_11comp_targetILNS1_3genE0ELNS1_11target_archE4294967295ELNS1_3gpuE0ELNS1_3repE0EEENS1_30default_config_static_selectorELNS0_4arch9wavefront6targetE1EEEvT1_, .Lfunc_end625-_ZN7rocprim17ROCPRIM_400000_NS6detail17trampoline_kernelINS0_14default_configENS1_25partition_config_selectorILNS1_17partition_subalgoE8EjNS0_10empty_typeEbEEZZNS1_14partition_implILS5_8ELb0ES3_jPKjPS6_PKS6_NS0_5tupleIJPjS6_EEENSE_IJSB_SB_EEENS0_18inequality_wrapperIN6hipcub16HIPCUB_304000_NS8EqualityEEEPlJS6_EEE10hipError_tPvRmT3_T4_T5_T6_T7_T9_mT8_P12ihipStream_tbDpT10_ENKUlT_T0_E_clISt17integral_constantIbLb1EES17_EEDaS12_S13_EUlS12_E_NS1_11comp_targetILNS1_3genE0ELNS1_11target_archE4294967295ELNS1_3gpuE0ELNS1_3repE0EEENS1_30default_config_static_selectorELNS0_4arch9wavefront6targetE1EEEvT1_
                                        ; -- End function
	.section	.AMDGPU.csdata,"",@progbits
; Kernel info:
; codeLenInByte = 0
; NumSgprs: 6
; NumVgprs: 0
; NumAgprs: 0
; TotalNumVgprs: 0
; ScratchSize: 0
; MemoryBound: 0
; FloatMode: 240
; IeeeMode: 1
; LDSByteSize: 0 bytes/workgroup (compile time only)
; SGPRBlocks: 0
; VGPRBlocks: 0
; NumSGPRsForWavesPerEU: 6
; NumVGPRsForWavesPerEU: 1
; AccumOffset: 4
; Occupancy: 8
; WaveLimiterHint : 0
; COMPUTE_PGM_RSRC2:SCRATCH_EN: 0
; COMPUTE_PGM_RSRC2:USER_SGPR: 2
; COMPUTE_PGM_RSRC2:TRAP_HANDLER: 0
; COMPUTE_PGM_RSRC2:TGID_X_EN: 1
; COMPUTE_PGM_RSRC2:TGID_Y_EN: 0
; COMPUTE_PGM_RSRC2:TGID_Z_EN: 0
; COMPUTE_PGM_RSRC2:TIDIG_COMP_CNT: 0
; COMPUTE_PGM_RSRC3_GFX90A:ACCUM_OFFSET: 0
; COMPUTE_PGM_RSRC3_GFX90A:TG_SPLIT: 0
	.section	.text._ZN7rocprim17ROCPRIM_400000_NS6detail17trampoline_kernelINS0_14default_configENS1_25partition_config_selectorILNS1_17partition_subalgoE8EjNS0_10empty_typeEbEEZZNS1_14partition_implILS5_8ELb0ES3_jPKjPS6_PKS6_NS0_5tupleIJPjS6_EEENSE_IJSB_SB_EEENS0_18inequality_wrapperIN6hipcub16HIPCUB_304000_NS8EqualityEEEPlJS6_EEE10hipError_tPvRmT3_T4_T5_T6_T7_T9_mT8_P12ihipStream_tbDpT10_ENKUlT_T0_E_clISt17integral_constantIbLb1EES17_EEDaS12_S13_EUlS12_E_NS1_11comp_targetILNS1_3genE5ELNS1_11target_archE942ELNS1_3gpuE9ELNS1_3repE0EEENS1_30default_config_static_selectorELNS0_4arch9wavefront6targetE1EEEvT1_,"axG",@progbits,_ZN7rocprim17ROCPRIM_400000_NS6detail17trampoline_kernelINS0_14default_configENS1_25partition_config_selectorILNS1_17partition_subalgoE8EjNS0_10empty_typeEbEEZZNS1_14partition_implILS5_8ELb0ES3_jPKjPS6_PKS6_NS0_5tupleIJPjS6_EEENSE_IJSB_SB_EEENS0_18inequality_wrapperIN6hipcub16HIPCUB_304000_NS8EqualityEEEPlJS6_EEE10hipError_tPvRmT3_T4_T5_T6_T7_T9_mT8_P12ihipStream_tbDpT10_ENKUlT_T0_E_clISt17integral_constantIbLb1EES17_EEDaS12_S13_EUlS12_E_NS1_11comp_targetILNS1_3genE5ELNS1_11target_archE942ELNS1_3gpuE9ELNS1_3repE0EEENS1_30default_config_static_selectorELNS0_4arch9wavefront6targetE1EEEvT1_,comdat
	.protected	_ZN7rocprim17ROCPRIM_400000_NS6detail17trampoline_kernelINS0_14default_configENS1_25partition_config_selectorILNS1_17partition_subalgoE8EjNS0_10empty_typeEbEEZZNS1_14partition_implILS5_8ELb0ES3_jPKjPS6_PKS6_NS0_5tupleIJPjS6_EEENSE_IJSB_SB_EEENS0_18inequality_wrapperIN6hipcub16HIPCUB_304000_NS8EqualityEEEPlJS6_EEE10hipError_tPvRmT3_T4_T5_T6_T7_T9_mT8_P12ihipStream_tbDpT10_ENKUlT_T0_E_clISt17integral_constantIbLb1EES17_EEDaS12_S13_EUlS12_E_NS1_11comp_targetILNS1_3genE5ELNS1_11target_archE942ELNS1_3gpuE9ELNS1_3repE0EEENS1_30default_config_static_selectorELNS0_4arch9wavefront6targetE1EEEvT1_ ; -- Begin function _ZN7rocprim17ROCPRIM_400000_NS6detail17trampoline_kernelINS0_14default_configENS1_25partition_config_selectorILNS1_17partition_subalgoE8EjNS0_10empty_typeEbEEZZNS1_14partition_implILS5_8ELb0ES3_jPKjPS6_PKS6_NS0_5tupleIJPjS6_EEENSE_IJSB_SB_EEENS0_18inequality_wrapperIN6hipcub16HIPCUB_304000_NS8EqualityEEEPlJS6_EEE10hipError_tPvRmT3_T4_T5_T6_T7_T9_mT8_P12ihipStream_tbDpT10_ENKUlT_T0_E_clISt17integral_constantIbLb1EES17_EEDaS12_S13_EUlS12_E_NS1_11comp_targetILNS1_3genE5ELNS1_11target_archE942ELNS1_3gpuE9ELNS1_3repE0EEENS1_30default_config_static_selectorELNS0_4arch9wavefront6targetE1EEEvT1_
	.globl	_ZN7rocprim17ROCPRIM_400000_NS6detail17trampoline_kernelINS0_14default_configENS1_25partition_config_selectorILNS1_17partition_subalgoE8EjNS0_10empty_typeEbEEZZNS1_14partition_implILS5_8ELb0ES3_jPKjPS6_PKS6_NS0_5tupleIJPjS6_EEENSE_IJSB_SB_EEENS0_18inequality_wrapperIN6hipcub16HIPCUB_304000_NS8EqualityEEEPlJS6_EEE10hipError_tPvRmT3_T4_T5_T6_T7_T9_mT8_P12ihipStream_tbDpT10_ENKUlT_T0_E_clISt17integral_constantIbLb1EES17_EEDaS12_S13_EUlS12_E_NS1_11comp_targetILNS1_3genE5ELNS1_11target_archE942ELNS1_3gpuE9ELNS1_3repE0EEENS1_30default_config_static_selectorELNS0_4arch9wavefront6targetE1EEEvT1_
	.p2align	8
	.type	_ZN7rocprim17ROCPRIM_400000_NS6detail17trampoline_kernelINS0_14default_configENS1_25partition_config_selectorILNS1_17partition_subalgoE8EjNS0_10empty_typeEbEEZZNS1_14partition_implILS5_8ELb0ES3_jPKjPS6_PKS6_NS0_5tupleIJPjS6_EEENSE_IJSB_SB_EEENS0_18inequality_wrapperIN6hipcub16HIPCUB_304000_NS8EqualityEEEPlJS6_EEE10hipError_tPvRmT3_T4_T5_T6_T7_T9_mT8_P12ihipStream_tbDpT10_ENKUlT_T0_E_clISt17integral_constantIbLb1EES17_EEDaS12_S13_EUlS12_E_NS1_11comp_targetILNS1_3genE5ELNS1_11target_archE942ELNS1_3gpuE9ELNS1_3repE0EEENS1_30default_config_static_selectorELNS0_4arch9wavefront6targetE1EEEvT1_,@function
_ZN7rocprim17ROCPRIM_400000_NS6detail17trampoline_kernelINS0_14default_configENS1_25partition_config_selectorILNS1_17partition_subalgoE8EjNS0_10empty_typeEbEEZZNS1_14partition_implILS5_8ELb0ES3_jPKjPS6_PKS6_NS0_5tupleIJPjS6_EEENSE_IJSB_SB_EEENS0_18inequality_wrapperIN6hipcub16HIPCUB_304000_NS8EqualityEEEPlJS6_EEE10hipError_tPvRmT3_T4_T5_T6_T7_T9_mT8_P12ihipStream_tbDpT10_ENKUlT_T0_E_clISt17integral_constantIbLb1EES17_EEDaS12_S13_EUlS12_E_NS1_11comp_targetILNS1_3genE5ELNS1_11target_archE942ELNS1_3gpuE9ELNS1_3repE0EEENS1_30default_config_static_selectorELNS0_4arch9wavefront6targetE1EEEvT1_: ; @_ZN7rocprim17ROCPRIM_400000_NS6detail17trampoline_kernelINS0_14default_configENS1_25partition_config_selectorILNS1_17partition_subalgoE8EjNS0_10empty_typeEbEEZZNS1_14partition_implILS5_8ELb0ES3_jPKjPS6_PKS6_NS0_5tupleIJPjS6_EEENSE_IJSB_SB_EEENS0_18inequality_wrapperIN6hipcub16HIPCUB_304000_NS8EqualityEEEPlJS6_EEE10hipError_tPvRmT3_T4_T5_T6_T7_T9_mT8_P12ihipStream_tbDpT10_ENKUlT_T0_E_clISt17integral_constantIbLb1EES17_EEDaS12_S13_EUlS12_E_NS1_11comp_targetILNS1_3genE5ELNS1_11target_archE942ELNS1_3gpuE9ELNS1_3repE0EEENS1_30default_config_static_selectorELNS0_4arch9wavefront6targetE1EEEvT1_
; %bb.0:
	s_load_dwordx4 s[36:39], s[0:1], 0x40
	s_load_dwordx2 s[8:9], s[0:1], 0x50
	s_load_dwordx2 s[42:43], s[0:1], 0x60
	v_cmp_ne_u32_e64 s[2:3], 0, v0
	v_cmp_eq_u32_e64 s[18:19], 0, v0
	s_and_saveexec_b64 s[4:5], s[18:19]
	s_cbranch_execz .LBB626_4
; %bb.1:
	s_mov_b64 s[10:11], exec
	v_mbcnt_lo_u32_b32 v1, s10, 0
	v_mbcnt_hi_u32_b32 v1, s11, v1
	v_cmp_eq_u32_e32 vcc, 0, v1
                                        ; implicit-def: $vgpr2
	s_and_saveexec_b64 s[6:7], vcc
	s_cbranch_execz .LBB626_3
; %bb.2:
	s_load_dwordx2 s[12:13], s[0:1], 0x70
	s_bcnt1_i32_b64 s10, s[10:11]
	v_mov_b32_e32 v2, 0
	v_mov_b32_e32 v3, s10
	s_waitcnt lgkmcnt(0)
	global_atomic_add v2, v2, v3, s[12:13] sc0
.LBB626_3:
	s_or_b64 exec, exec, s[6:7]
	s_waitcnt vmcnt(0)
	v_readfirstlane_b32 s6, v2
	v_mov_b32_e32 v2, 0
	s_nop 0
	v_add_u32_e32 v1, s6, v1
	ds_write_b32 v2, v1
.LBB626_4:
	s_or_b64 exec, exec, s[4:5]
	v_mov_b32_e32 v3, 0
	s_load_dwordx4 s[4:7], s[0:1], 0x8
	s_load_dwordx2 s[40:41], s[0:1], 0x28
	s_load_dword s10, s[0:1], 0x68
	s_waitcnt lgkmcnt(0)
	s_barrier
	ds_read_b32 v1, v3
	s_waitcnt lgkmcnt(0)
	s_barrier
	global_load_dwordx2 v[18:19], v3, s[38:39]
	s_lshl_b64 s[0:1], s[6:7], 2
	s_add_u32 s4, s4, s0
	s_movk_i32 s0, 0x1e00
	v_mul_lo_u32 v2, v1, s0
	s_mul_i32 s0, s10, 0x1e00
	s_addc_u32 s5, s5, s1
	s_add_i32 s1, s0, s6
	v_mov_b32_e32 v5, s9
	s_add_i32 s9, s10, -1
	s_sub_i32 s50, s8, s1
	s_add_u32 s0, s6, s0
	v_readfirstlane_b32 s33, v1
	s_addc_u32 s1, s7, 0
	v_mov_b32_e32 v4, s8
	s_cmp_eq_u32 s33, s9
	v_cmp_ge_u64_e32 vcc, s[0:1], v[4:5]
	s_cselect_b64 s[34:35], -1, 0
	s_and_b64 s[44:45], vcc, s[34:35]
	s_xor_b64 s[38:39], s[44:45], -1
	v_lshlrev_b64 v[4:5], 2, v[2:3]
	s_mov_b64 s[0:1], -1
	v_lshl_add_u64 v[34:35], s[4:5], 0, v[4:5]
	s_and_b64 vcc, exec, s[38:39]
	s_cbranch_vccz .LBB626_6
; %bb.5:
	v_lshlrev_b32_e32 v2, 2, v0
	v_lshl_add_u64 v[4:5], v[34:35], 0, v[2:3]
	v_add_co_u32_e32 v6, vcc, 0x1000, v4
	v_readfirstlane_b32 s0, v34
	s_nop 0
	v_addc_co_u32_e32 v7, vcc, 0, v5, vcc
	v_add_co_u32_e32 v8, vcc, 0x2000, v4
	v_readfirstlane_b32 s1, v35
	s_nop 0
	v_addc_co_u32_e32 v9, vcc, 0, v5, vcc
	v_add_co_u32_e32 v10, vcc, 0x3000, v4
	s_nop 1
	global_load_dword v1, v2, s[0:1]
	global_load_dword v3, v2, s[0:1] offset:2048
	v_addc_co_u32_e32 v11, vcc, 0, v5, vcc
	v_add_co_u32_e32 v12, vcc, 0x4000, v4
	s_mov_b64 s[0:1], 0
	s_nop 0
	v_addc_co_u32_e32 v13, vcc, 0, v5, vcc
	global_load_dword v14, v[6:7], off
	global_load_dword v15, v[6:7], off offset:2048
	global_load_dword v16, v[8:9], off
	global_load_dword v17, v[8:9], off offset:2048
	;; [unrolled: 2-line block ×4, first 2 shown]
	v_add_co_u32_e32 v6, vcc, 0x5000, v4
	s_nop 1
	v_addc_co_u32_e32 v7, vcc, 0, v5, vcc
	v_add_co_u32_e32 v8, vcc, 0x6000, v4
	s_nop 1
	v_addc_co_u32_e32 v9, vcc, 0, v5, vcc
	global_load_dword v10, v[6:7], off
	global_load_dword v11, v[6:7], off offset:2048
	global_load_dword v12, v[8:9], off
	global_load_dword v13, v[8:9], off offset:2048
	v_add_co_u32_e32 v4, vcc, 0x7000, v4
	s_nop 1
	v_addc_co_u32_e32 v5, vcc, 0, v5, vcc
	global_load_dword v4, v[4:5], off
	s_waitcnt vmcnt(13)
	ds_write2st64_b32 v2, v1, v3 offset1:8
	s_waitcnt vmcnt(11)
	ds_write2st64_b32 v2, v14, v15 offset0:16 offset1:24
	s_waitcnt vmcnt(9)
	ds_write2st64_b32 v2, v16, v17 offset0:32 offset1:40
	;; [unrolled: 2-line block ×6, first 2 shown]
	s_waitcnt vmcnt(0)
	ds_write_b32 v2, v4 offset:28672
	s_waitcnt lgkmcnt(0)
	s_barrier
.LBB626_6:
	s_andn2_b64 vcc, exec, s[0:1]
	s_addk_i32 s50, 0x1e00
	s_cbranch_vccnz .LBB626_38
; %bb.7:
	v_cmp_gt_u32_e32 vcc, s50, v0
                                        ; implicit-def: $vgpr2_vgpr3_vgpr4_vgpr5_vgpr6_vgpr7_vgpr8_vgpr9_vgpr10_vgpr11_vgpr12_vgpr13_vgpr14_vgpr15_vgpr16_vgpr17
	s_and_saveexec_b64 s[0:1], vcc
	s_cbranch_execz .LBB626_9
; %bb.8:
	v_lshlrev_b32_e32 v1, 2, v0
	v_readfirstlane_b32 s4, v34
	v_readfirstlane_b32 s5, v35
	s_nop 4
	global_load_dword v2, v1, s[4:5]
.LBB626_9:
	s_or_b64 exec, exec, s[0:1]
	v_or_b32_e32 v1, 0x200, v0
	v_cmp_gt_u32_e32 vcc, s50, v1
	s_and_saveexec_b64 s[0:1], vcc
	s_cbranch_execz .LBB626_11
; %bb.10:
	v_lshlrev_b32_e32 v1, 2, v0
	v_readfirstlane_b32 s4, v34
	v_readfirstlane_b32 s5, v35
	s_nop 4
	global_load_dword v3, v1, s[4:5] offset:2048
.LBB626_11:
	s_or_b64 exec, exec, s[0:1]
	v_or_b32_e32 v1, 0x400, v0
	v_cmp_gt_u32_e32 vcc, s50, v1
	s_and_saveexec_b64 s[0:1], vcc
	s_cbranch_execz .LBB626_13
; %bb.12:
	v_lshlrev_b32_e32 v1, 2, v1
	v_readfirstlane_b32 s4, v34
	v_readfirstlane_b32 s5, v35
	s_nop 4
	global_load_dword v4, v1, s[4:5]
.LBB626_13:
	s_or_b64 exec, exec, s[0:1]
	v_or_b32_e32 v1, 0x600, v0
	v_cmp_gt_u32_e32 vcc, s50, v1
	s_and_saveexec_b64 s[0:1], vcc
	s_cbranch_execz .LBB626_15
; %bb.14:
	v_lshlrev_b32_e32 v1, 2, v1
	v_readfirstlane_b32 s4, v34
	v_readfirstlane_b32 s5, v35
	s_nop 4
	global_load_dword v5, v1, s[4:5]
.LBB626_15:
	;; [unrolled: 12-line block ×13, first 2 shown]
	s_or_b64 exec, exec, s[0:1]
	v_lshlrev_b32_e32 v1, 2, v0
	s_waitcnt vmcnt(0)
	ds_write2st64_b32 v1, v2, v3 offset1:8
	ds_write2st64_b32 v1, v4, v5 offset0:16 offset1:24
	ds_write2st64_b32 v1, v6, v7 offset0:32 offset1:40
	;; [unrolled: 1-line block ×6, first 2 shown]
	ds_write_b32 v1, v16 offset:28672
	s_waitcnt lgkmcnt(0)
	s_barrier
.LBB626_38:
	v_mul_u32_u24_e32 v10, 15, v0
	v_lshlrev_b32_e32 v17, 2, v10
	ds_read2_b32 v[32:33], v17 offset1:1
	ds_read2_b32 v[30:31], v17 offset0:2 offset1:3
	ds_read2_b32 v[28:29], v17 offset0:4 offset1:5
	;; [unrolled: 1-line block ×6, first 2 shown]
	ds_read_b32 v1, v17 offset:56
	s_cmp_lg_u32 s33, 0
	s_cselect_b64 s[46:47], -1, 0
	s_cmp_lg_u64 s[6:7], 0
	s_cselect_b64 s[0:1], -1, 0
	s_or_b64 s[0:1], s[0:1], s[46:47]
	v_mad_u32_u24 v15, v0, 15, 1
	v_mad_u32_u24 v11, v0, 15, 2
	;; [unrolled: 1-line block ×14, first 2 shown]
	s_mov_b64 s[48:49], 0
	s_and_b64 vcc, exec, s[0:1]
	s_waitcnt lgkmcnt(0)
	s_barrier
	s_cbranch_vccz .LBB626_43
; %bb.39:
	global_load_dword v34, v[34:35], off offset:-4
	v_lshlrev_b32_e32 v35, 2, v0
	s_and_b64 vcc, exec, s[38:39]
	ds_write_b32 v35, v1
	s_cbranch_vccz .LBB626_45
; %bb.40:
	s_waitcnt vmcnt(0)
	v_mov_b32_e32 v36, v34
	s_waitcnt lgkmcnt(0)
	s_barrier
	s_and_saveexec_b64 s[0:1], s[2:3]
	s_cbranch_execz .LBB626_42
; %bb.41:
	v_add_u32_e32 v36, -4, v35
	ds_read_b32 v36, v36
.LBB626_42:
	s_or_b64 exec, exec, s[0:1]
	v_cmp_ne_u32_e32 vcc, v21, v1
	s_waitcnt lgkmcnt(0)
	v_cmp_ne_u32_e64 s[0:1], v36, v32
	v_cndmask_b32_e64 v37, 0, 1, vcc
	v_cmp_ne_u32_e32 vcc, v20, v21
	s_nop 1
	v_cndmask_b32_e64 v40, 0, 1, vcc
	v_cmp_ne_u32_e32 vcc, v23, v20
	s_nop 1
	;; [unrolled: 3-line block ×13, first 2 shown]
	v_cndmask_b32_e64 v52, 0, 1, vcc
	s_branch .LBB626_49
.LBB626_43:
                                        ; implicit-def: $sgpr0_sgpr1
                                        ; implicit-def: $vgpr37
                                        ; implicit-def: $vgpr40
                                        ; implicit-def: $vgpr41
                                        ; implicit-def: $vgpr42
                                        ; implicit-def: $vgpr43
                                        ; implicit-def: $vgpr44
                                        ; implicit-def: $vgpr45
                                        ; implicit-def: $vgpr46
                                        ; implicit-def: $vgpr52
                                        ; implicit-def: $vgpr51
                                        ; implicit-def: $vgpr50
                                        ; implicit-def: $vgpr49
                                        ; implicit-def: $vgpr48
                                        ; implicit-def: $vgpr47
	s_branch .LBB626_50
.LBB626_44:
                                        ; implicit-def: $sgpr6
	s_branch .LBB626_58
.LBB626_45:
                                        ; implicit-def: $sgpr0_sgpr1
                                        ; implicit-def: $vgpr37
                                        ; implicit-def: $vgpr40
                                        ; implicit-def: $vgpr41
                                        ; implicit-def: $vgpr42
                                        ; implicit-def: $vgpr43
                                        ; implicit-def: $vgpr44
                                        ; implicit-def: $vgpr45
                                        ; implicit-def: $vgpr46
                                        ; implicit-def: $vgpr52
                                        ; implicit-def: $vgpr51
                                        ; implicit-def: $vgpr50
                                        ; implicit-def: $vgpr49
                                        ; implicit-def: $vgpr48
                                        ; implicit-def: $vgpr47
	s_cbranch_execz .LBB626_49
; %bb.46:
	s_waitcnt lgkmcnt(0)
	s_barrier
	s_and_saveexec_b64 s[0:1], s[2:3]
	s_cbranch_execz .LBB626_48
; %bb.47:
	s_waitcnt vmcnt(0)
	v_add_u32_e32 v34, -4, v35
	ds_read_b32 v34, v34
.LBB626_48:
	s_or_b64 exec, exec, s[0:1]
	v_cmp_gt_u32_e32 vcc, s50, v2
	v_cmp_ne_u32_e64 s[0:1], v21, v1
	s_and_b64 s[0:1], vcc, s[0:1]
	v_cmp_gt_u32_e32 vcc, s50, v5
	v_cndmask_b32_e64 v37, 0, 1, s[0:1]
	v_cmp_ne_u32_e64 s[0:1], v20, v21
	s_and_b64 s[0:1], vcc, s[0:1]
	v_cmp_gt_u32_e32 vcc, s50, v4
	v_cndmask_b32_e64 v40, 0, 1, s[0:1]
	v_cmp_ne_u32_e64 s[0:1], v23, v20
	s_and_b64 s[0:1], vcc, s[0:1]
	v_cmp_gt_u32_e32 vcc, s50, v9
	v_cndmask_b32_e64 v41, 0, 1, s[0:1]
	v_cmp_ne_u32_e64 s[0:1], v22, v23
	s_and_b64 s[0:1], vcc, s[0:1]
	v_cmp_gt_u32_e32 vcc, s50, v8
	v_cndmask_b32_e64 v42, 0, 1, s[0:1]
	v_cmp_ne_u32_e64 s[0:1], v25, v22
	s_and_b64 s[0:1], vcc, s[0:1]
	v_cmp_gt_u32_e32 vcc, s50, v14
	v_cndmask_b32_e64 v43, 0, 1, s[0:1]
	v_cmp_ne_u32_e64 s[0:1], v24, v25
	s_and_b64 s[0:1], vcc, s[0:1]
	v_cmp_gt_u32_e32 vcc, s50, v13
	v_cndmask_b32_e64 v44, 0, 1, s[0:1]
	v_cmp_ne_u32_e64 s[0:1], v27, v24
	s_and_b64 s[0:1], vcc, s[0:1]
	v_cmp_gt_u32_e32 vcc, s50, v16
	v_cndmask_b32_e64 v45, 0, 1, s[0:1]
	v_cmp_ne_u32_e64 s[0:1], v26, v27
	s_and_b64 s[0:1], vcc, s[0:1]
	v_cmp_gt_u32_e32 vcc, s50, v3
	v_cndmask_b32_e64 v46, 0, 1, s[0:1]
	v_cmp_ne_u32_e64 s[0:1], v29, v26
	s_and_b64 s[0:1], vcc, s[0:1]
	v_cmp_gt_u32_e32 vcc, s50, v7
	v_cndmask_b32_e64 v47, 0, 1, s[0:1]
	v_cmp_ne_u32_e64 s[0:1], v28, v29
	s_and_b64 s[0:1], vcc, s[0:1]
	v_cmp_gt_u32_e32 vcc, s50, v6
	v_cndmask_b32_e64 v48, 0, 1, s[0:1]
	v_cmp_ne_u32_e64 s[0:1], v31, v28
	s_and_b64 s[0:1], vcc, s[0:1]
	v_cmp_gt_u32_e32 vcc, s50, v12
	v_cndmask_b32_e64 v49, 0, 1, s[0:1]
	v_cmp_ne_u32_e64 s[0:1], v30, v31
	s_and_b64 s[0:1], vcc, s[0:1]
	v_cmp_gt_u32_e32 vcc, s50, v11
	v_cndmask_b32_e64 v50, 0, 1, s[0:1]
	v_cmp_ne_u32_e64 s[0:1], v33, v30
	s_and_b64 s[0:1], vcc, s[0:1]
	v_cmp_gt_u32_e32 vcc, s50, v15
	v_cndmask_b32_e64 v51, 0, 1, s[0:1]
	v_cmp_ne_u32_e64 s[0:1], v32, v33
	s_and_b64 s[0:1], vcc, s[0:1]
	v_cmp_gt_u32_e32 vcc, s50, v10
	v_cndmask_b32_e64 v52, 0, 1, s[0:1]
	s_waitcnt vmcnt(0) lgkmcnt(0)
	v_cmp_ne_u32_e64 s[0:1], v34, v32
	s_and_b64 s[0:1], vcc, s[0:1]
.LBB626_49:
	s_mov_b64 s[48:49], -1
	s_cbranch_execnz .LBB626_44
.LBB626_50:
	s_movk_i32 s0, 0xffc8
	v_mad_i32_i24 v17, v0, s0, v17
	s_and_b64 vcc, exec, s[38:39]
	v_cmp_ne_u32_e64 s[0:1], v21, v1
	v_cmp_ne_u32_e64 s[4:5], v20, v21
	;; [unrolled: 1-line block ×14, first 2 shown]
	ds_write_b32 v17, v1
	s_cbranch_vccz .LBB626_54
; %bb.51:
	v_cndmask_b32_e64 v37, 0, 1, s[0:1]
	v_cndmask_b32_e64 v40, 0, 1, s[4:5]
	v_cndmask_b32_e64 v41, 0, 1, s[6:7]
	v_cndmask_b32_e64 v42, 0, 1, s[8:9]
	v_cndmask_b32_e64 v43, 0, 1, s[10:11]
	v_cndmask_b32_e64 v44, 0, 1, s[12:13]
	v_cndmask_b32_e64 v45, 0, 1, s[14:15]
	v_cndmask_b32_e64 v46, 0, 1, s[16:17]
	v_cndmask_b32_e64 v47, 0, 1, s[20:21]
	v_cndmask_b32_e64 v48, 0, 1, s[22:23]
	v_cndmask_b32_e64 v49, 0, 1, s[24:25]
	v_cndmask_b32_e64 v50, 0, 1, s[26:27]
	v_cndmask_b32_e64 v51, 0, 1, s[28:29]
	v_cndmask_b32_e64 v52, 0, 1, s[30:31]
	s_waitcnt lgkmcnt(0)
	s_barrier
	s_waitcnt lgkmcnt(0)
                                        ; implicit-def: $sgpr0_sgpr1
	s_and_saveexec_b64 s[4:5], s[2:3]
	s_xor_b64 s[4:5], exec, s[4:5]
	s_cbranch_execz .LBB626_53
; %bb.52:
	s_waitcnt vmcnt(0)
	v_add_u32_e32 v34, -4, v17
	ds_read_b32 v34, v34
	s_or_b64 s[48:49], s[48:49], exec
	s_waitcnt lgkmcnt(0)
	v_cmp_ne_u32_e32 vcc, v34, v32
	s_and_b64 s[0:1], vcc, exec
.LBB626_53:
	s_or_b64 exec, exec, s[4:5]
	s_mov_b32 s6, 1
	s_branch .LBB626_58
.LBB626_54:
                                        ; implicit-def: $sgpr0_sgpr1
                                        ; implicit-def: $vgpr37
                                        ; implicit-def: $vgpr40
                                        ; implicit-def: $vgpr41
                                        ; implicit-def: $vgpr42
                                        ; implicit-def: $vgpr43
                                        ; implicit-def: $vgpr44
                                        ; implicit-def: $vgpr45
                                        ; implicit-def: $vgpr46
                                        ; implicit-def: $vgpr52
                                        ; implicit-def: $vgpr51
                                        ; implicit-def: $vgpr50
                                        ; implicit-def: $vgpr49
                                        ; implicit-def: $vgpr48
                                        ; implicit-def: $vgpr47
                                        ; implicit-def: $sgpr6
	s_cbranch_execz .LBB626_58
; %bb.55:
	v_cmp_gt_u32_e32 vcc, s50, v2
	v_cmp_ne_u32_e64 s[0:1], v21, v1
	s_and_b64 s[0:1], vcc, s[0:1]
	v_cmp_gt_u32_e32 vcc, s50, v5
	v_cndmask_b32_e64 v37, 0, 1, s[0:1]
	v_cmp_ne_u32_e64 s[0:1], v20, v21
	s_and_b64 s[0:1], vcc, s[0:1]
	v_cmp_gt_u32_e32 vcc, s50, v4
	v_cndmask_b32_e64 v40, 0, 1, s[0:1]
	v_cmp_ne_u32_e64 s[0:1], v23, v20
	s_and_b64 s[0:1], vcc, s[0:1]
	v_cmp_gt_u32_e32 vcc, s50, v9
	v_cndmask_b32_e64 v41, 0, 1, s[0:1]
	v_cmp_ne_u32_e64 s[0:1], v22, v23
	s_and_b64 s[0:1], vcc, s[0:1]
	v_cmp_gt_u32_e32 vcc, s50, v8
	v_cndmask_b32_e64 v42, 0, 1, s[0:1]
	v_cmp_ne_u32_e64 s[0:1], v25, v22
	s_and_b64 s[0:1], vcc, s[0:1]
	v_cmp_gt_u32_e32 vcc, s50, v14
	v_cndmask_b32_e64 v43, 0, 1, s[0:1]
	v_cmp_ne_u32_e64 s[0:1], v24, v25
	s_and_b64 s[0:1], vcc, s[0:1]
	v_cmp_gt_u32_e32 vcc, s50, v13
	v_cndmask_b32_e64 v44, 0, 1, s[0:1]
	v_cmp_ne_u32_e64 s[0:1], v27, v24
	s_and_b64 s[0:1], vcc, s[0:1]
	v_cmp_gt_u32_e32 vcc, s50, v16
	v_cndmask_b32_e64 v45, 0, 1, s[0:1]
	v_cmp_ne_u32_e64 s[0:1], v26, v27
	s_and_b64 s[0:1], vcc, s[0:1]
	v_cmp_gt_u32_e32 vcc, s50, v3
	v_cndmask_b32_e64 v46, 0, 1, s[0:1]
	v_cmp_ne_u32_e64 s[0:1], v29, v26
	s_and_b64 s[0:1], vcc, s[0:1]
	v_cmp_gt_u32_e32 vcc, s50, v7
	v_cndmask_b32_e64 v47, 0, 1, s[0:1]
	v_cmp_ne_u32_e64 s[0:1], v28, v29
	s_and_b64 s[0:1], vcc, s[0:1]
	v_cmp_gt_u32_e32 vcc, s50, v6
	v_cndmask_b32_e64 v48, 0, 1, s[0:1]
	v_cmp_ne_u32_e64 s[0:1], v31, v28
	s_and_b64 s[0:1], vcc, s[0:1]
	v_cmp_gt_u32_e32 vcc, s50, v12
	v_cndmask_b32_e64 v49, 0, 1, s[0:1]
	v_cmp_ne_u32_e64 s[0:1], v30, v31
	s_and_b64 s[0:1], vcc, s[0:1]
	v_cmp_gt_u32_e32 vcc, s50, v11
	v_cndmask_b32_e64 v50, 0, 1, s[0:1]
	v_cmp_ne_u32_e64 s[0:1], v33, v30
	s_and_b64 s[0:1], vcc, s[0:1]
	v_cmp_gt_u32_e32 vcc, s50, v15
	v_cndmask_b32_e64 v51, 0, 1, s[0:1]
	v_cmp_ne_u32_e64 s[0:1], v32, v33
	s_and_b64 s[0:1], vcc, s[0:1]
	s_waitcnt lgkmcnt(0)
	v_cndmask_b32_e64 v52, 0, 1, s[0:1]
	s_barrier
	s_waitcnt lgkmcnt(0)
                                        ; implicit-def: $sgpr0_sgpr1
	s_and_saveexec_b64 s[4:5], s[2:3]
	s_cbranch_execz .LBB626_57
; %bb.56:
	v_add_u32_e32 v17, -4, v17
	ds_read_b32 v17, v17
	v_cmp_gt_u32_e32 vcc, s50, v10
	s_or_b64 s[48:49], s[48:49], exec
	s_waitcnt lgkmcnt(0)
	v_cmp_ne_u32_e64 s[0:1], v17, v32
	s_and_b64 s[0:1], vcc, s[0:1]
	s_and_b64 s[0:1], s[0:1], exec
.LBB626_57:
	s_or_b64 exec, exec, s[4:5]
	s_mov_b32 s6, 1
.LBB626_58:
	v_mov_b32_e32 v53, s6
	s_and_saveexec_b64 s[2:3], s[48:49]
; %bb.59:
	v_cndmask_b32_e64 v53, 0, 1, s[0:1]
; %bb.60:
	s_or_b64 exec, exec, s[2:3]
	s_andn2_b64 vcc, exec, s[44:45]
	s_cbranch_vccnz .LBB626_62
; %bb.61:
	v_cmp_gt_u32_e32 vcc, s50, v10
	s_nop 1
	v_cndmask_b32_e32 v53, 0, v53, vcc
	v_cmp_gt_u32_e32 vcc, s50, v15
	s_nop 1
	v_cndmask_b32_e32 v52, 0, v52, vcc
	v_cmp_gt_u32_e32 vcc, s50, v11
	s_nop 1
	v_cndmask_b32_e32 v51, 0, v51, vcc
	v_cmp_gt_u32_e32 vcc, s50, v12
	s_nop 1
	v_cndmask_b32_e32 v50, 0, v50, vcc
	v_cmp_gt_u32_e32 vcc, s50, v6
	s_nop 1
	v_cndmask_b32_e32 v49, 0, v49, vcc
	v_cmp_gt_u32_e32 vcc, s50, v7
	s_nop 1
	v_cndmask_b32_e32 v48, 0, v48, vcc
	v_cmp_gt_u32_e32 vcc, s50, v3
	s_nop 1
	v_cndmask_b32_e32 v47, 0, v47, vcc
	v_cmp_gt_u32_e32 vcc, s50, v16
	s_nop 1
	v_cndmask_b32_e32 v46, 0, v46, vcc
	v_cmp_gt_u32_e32 vcc, s50, v13
	s_nop 1
	v_cndmask_b32_e32 v45, 0, v45, vcc
	v_cmp_gt_u32_e32 vcc, s50, v14
	s_nop 1
	v_cndmask_b32_e32 v44, 0, v44, vcc
	v_cmp_gt_u32_e32 vcc, s50, v8
	s_nop 1
	v_cndmask_b32_e32 v43, 0, v43, vcc
	v_cmp_gt_u32_e32 vcc, s50, v9
	s_nop 1
	v_cndmask_b32_e32 v42, 0, v42, vcc
	v_cmp_gt_u32_e32 vcc, s50, v4
	s_nop 1
	v_cndmask_b32_e32 v41, 0, v41, vcc
	v_cmp_gt_u32_e32 vcc, s50, v5
	s_nop 1
	v_cndmask_b32_e32 v40, 0, v40, vcc
	v_cmp_gt_u32_e32 vcc, s50, v2
	s_nop 1
	v_cndmask_b32_e32 v37, 0, v37, vcc
.LBB626_62:
	v_and_b32_e32 v56, 0xff, v49
	v_and_b32_e32 v57, 0xff, v48
	;; [unrolled: 1-line block ×5, first 2 shown]
	v_add3_u32 v3, v57, v58, v56
	v_and_b32_e32 v38, 0xff, v53
	v_and_b32_e32 v39, 0xff, v52
	v_add3_u32 v3, v3, v55, v54
	v_and_b32_e32 v59, 0xff, v46
	v_and_b32_e32 v60, 0xff, v45
	;; [unrolled: 3-line block ×5, first 2 shown]
	v_add3_u32 v3, v3, v63, v64
	v_add3_u32 v68, v3, v65, v2
	v_mbcnt_lo_u32_b32 v2, -1, 0
	v_mbcnt_hi_u32_b32 v66, -1, v2
	v_and_b32_e32 v2, 15, v66
	v_cmp_eq_u32_e64 s[14:15], 0, v2
	v_cmp_lt_u32_e64 s[12:13], 1, v2
	v_cmp_lt_u32_e64 s[10:11], 3, v2
	;; [unrolled: 1-line block ×3, first 2 shown]
	v_and_b32_e32 v2, 16, v66
	v_cmp_eq_u32_e64 s[6:7], 0, v2
	v_or_b32_e32 v2, 63, v0
	v_cmp_lt_u32_e64 s[2:3], 31, v66
	v_lshrrev_b32_e32 v67, 6, v0
	v_cmp_eq_u32_e64 s[4:5], v2, v0
	s_and_b64 vcc, exec, s[46:47]
	s_waitcnt lgkmcnt(0)
	s_barrier
	s_cbranch_vccz .LBB626_93
; %bb.63:
	v_mov_b32_dpp v2, v68 row_shr:1 row_mask:0xf bank_mask:0xf
	v_cndmask_b32_e64 v2, v2, 0, s[14:15]
	v_add_u32_e32 v2, v2, v68
	s_nop 1
	v_mov_b32_dpp v3, v2 row_shr:2 row_mask:0xf bank_mask:0xf
	v_cndmask_b32_e64 v3, 0, v3, s[12:13]
	v_add_u32_e32 v2, v2, v3
	s_nop 1
	;; [unrolled: 4-line block ×4, first 2 shown]
	v_mov_b32_dpp v3, v2 row_bcast:15 row_mask:0xf bank_mask:0xf
	v_cndmask_b32_e64 v3, v3, 0, s[6:7]
	v_add_u32_e32 v2, v2, v3
	s_nop 1
	v_mov_b32_dpp v3, v2 row_bcast:31 row_mask:0xf bank_mask:0xf
	v_cndmask_b32_e64 v3, 0, v3, s[2:3]
	v_add_u32_e32 v2, v2, v3
	s_and_saveexec_b64 s[0:1], s[4:5]
	s_cbranch_execz .LBB626_65
; %bb.64:
	v_lshlrev_b32_e32 v3, 2, v67
	ds_write_b32 v3, v2
.LBB626_65:
	s_or_b64 exec, exec, s[0:1]
	v_cmp_gt_u32_e32 vcc, 8, v0
	s_waitcnt lgkmcnt(0)
	s_barrier
	s_and_saveexec_b64 s[0:1], vcc
	s_cbranch_execz .LBB626_67
; %bb.66:
	v_lshlrev_b32_e32 v3, 2, v0
	ds_read_b32 v4, v3
	v_and_b32_e32 v5, 7, v66
	v_cmp_ne_u32_e32 vcc, 0, v5
	s_waitcnt lgkmcnt(0)
	v_mov_b32_dpp v6, v4 row_shr:1 row_mask:0xf bank_mask:0xf
	v_cndmask_b32_e32 v6, 0, v6, vcc
	v_add_u32_e32 v4, v6, v4
	v_cmp_lt_u32_e32 vcc, 1, v5
	s_nop 0
	v_mov_b32_dpp v6, v4 row_shr:2 row_mask:0xf bank_mask:0xf
	v_cndmask_b32_e32 v6, 0, v6, vcc
	v_add_u32_e32 v4, v4, v6
	v_cmp_lt_u32_e32 vcc, 3, v5
	s_nop 0
	v_mov_b32_dpp v6, v4 row_shr:4 row_mask:0xf bank_mask:0xf
	v_cndmask_b32_e32 v5, 0, v6, vcc
	v_add_u32_e32 v4, v4, v5
	ds_write_b32 v3, v4
.LBB626_67:
	s_or_b64 exec, exec, s[0:1]
	v_cmp_gt_u32_e32 vcc, 64, v0
	v_cmp_lt_u32_e64 s[0:1], 63, v0
	s_waitcnt lgkmcnt(0)
	s_barrier
	s_waitcnt lgkmcnt(0)
                                        ; implicit-def: $vgpr12
	s_and_saveexec_b64 s[16:17], s[0:1]
	s_cbranch_execz .LBB626_69
; %bb.68:
	v_lshl_add_u32 v3, v67, 2, -4
	ds_read_b32 v12, v3
	s_waitcnt lgkmcnt(0)
	v_add_u32_e32 v2, v12, v2
.LBB626_69:
	s_or_b64 exec, exec, s[16:17]
	v_add_u32_e32 v3, -1, v66
	v_and_b32_e32 v4, 64, v66
	v_cmp_lt_i32_e64 s[0:1], v3, v4
	v_cmp_eq_u32_e64 s[16:17], 0, v66
	s_nop 0
	v_cndmask_b32_e64 v3, v3, v66, s[0:1]
	v_lshlrev_b32_e32 v3, 2, v3
	ds_bpermute_b32 v13, v3, v2
	s_and_saveexec_b64 s[0:1], vcc
	s_cbranch_execz .LBB626_92
; %bb.70:
	v_mov_b32_e32 v11, 0
	ds_read_b32 v2, v11 offset:28
	s_and_saveexec_b64 s[20:21], s[16:17]
	s_cbranch_execz .LBB626_72
; %bb.71:
	s_add_i32 s22, s33, 64
	s_mov_b32 s23, 0
	s_lshl_b64 s[22:23], s[22:23], 3
	s_add_u32 s22, s42, s22
	v_mov_b32_e32 v3, 1
	s_addc_u32 s23, s43, s23
	s_waitcnt lgkmcnt(0)
	global_store_dwordx2 v11, v[2:3], s[22:23] sc1
.LBB626_72:
	s_or_b64 exec, exec, s[20:21]
	v_xad_u32 v4, v66, -1, s33
	v_add_u32_e32 v10, 64, v4
	v_lshl_add_u64 v[6:7], v[10:11], 3, s[42:43]
	global_load_dwordx2 v[8:9], v[6:7], off sc1
	s_waitcnt vmcnt(0)
	v_cmp_eq_u16_sdwa s[22:23], v9, v11 src0_sel:BYTE_0 src1_sel:DWORD
	s_and_saveexec_b64 s[20:21], s[22:23]
	s_cbranch_execz .LBB626_78
; %bb.73:
	s_mov_b32 s24, 1
	s_mov_b64 s[22:23], 0
	v_mov_b32_e32 v3, 0
.LBB626_74:                             ; =>This Loop Header: Depth=1
                                        ;     Child Loop BB626_75 Depth 2
	s_max_u32 s25, s24, 1
.LBB626_75:                             ;   Parent Loop BB626_74 Depth=1
                                        ; =>  This Inner Loop Header: Depth=2
	s_add_i32 s25, s25, -1
	s_cmp_eq_u32 s25, 0
	s_sleep 1
	s_cbranch_scc0 .LBB626_75
; %bb.76:                               ;   in Loop: Header=BB626_74 Depth=1
	global_load_dwordx2 v[8:9], v[6:7], off sc1
	s_cmp_lt_u32 s24, 32
	s_cselect_b64 s[26:27], -1, 0
	s_cmp_lg_u64 s[26:27], 0
	s_addc_u32 s24, s24, 0
	s_waitcnt vmcnt(0)
	v_cmp_ne_u16_sdwa s[26:27], v9, v3 src0_sel:BYTE_0 src1_sel:DWORD
	s_or_b64 s[22:23], s[26:27], s[22:23]
	s_andn2_b64 exec, exec, s[22:23]
	s_cbranch_execnz .LBB626_74
; %bb.77:
	s_or_b64 exec, exec, s[22:23]
.LBB626_78:
	s_or_b64 exec, exec, s[20:21]
	v_and_b32_e32 v15, 63, v66
	v_mov_b32_e32 v14, 2
	v_cmp_ne_u32_e32 vcc, 63, v15
	v_cmp_eq_u16_sdwa s[20:21], v9, v14 src0_sel:BYTE_0 src1_sel:DWORD
	v_lshlrev_b64 v[6:7], v66, -1
	v_addc_co_u32_e32 v10, vcc, 0, v66, vcc
	v_and_b32_e32 v3, s21, v7
	v_lshlrev_b32_e32 v16, 2, v10
	v_or_b32_e32 v3, 0x80000000, v3
	ds_bpermute_b32 v10, v16, v8
	v_and_b32_e32 v5, s20, v6
	v_ffbl_b32_e32 v3, v3
	v_add_u32_e32 v3, 32, v3
	v_ffbl_b32_e32 v5, v5
	v_min_u32_e32 v3, v5, v3
	v_cmp_lt_u32_e32 vcc, v15, v3
	v_add_u32_e32 v34, 2, v15
	v_add_u32_e32 v36, 4, v15
	s_waitcnt lgkmcnt(0)
	v_cndmask_b32_e32 v5, 0, v10, vcc
	v_cmp_gt_u32_e32 vcc, 62, v15
	v_add_u32_e32 v5, v5, v8
	v_add_u32_e32 v70, 8, v15
	v_cndmask_b32_e64 v8, 0, 1, vcc
	v_lshlrev_b32_e32 v8, 1, v8
	v_add_lshl_u32 v17, v8, v66, 2
	ds_bpermute_b32 v8, v17, v5
	v_cmp_le_u32_e32 vcc, v34, v3
	v_add_u32_e32 v72, 16, v15
	v_add_u32_e32 v74, 32, v15
	s_waitcnt lgkmcnt(0)
	v_cndmask_b32_e32 v8, 0, v8, vcc
	v_cmp_gt_u32_e32 vcc, 60, v15
	v_add_u32_e32 v5, v5, v8
	s_nop 0
	v_cndmask_b32_e64 v8, 0, 1, vcc
	v_lshlrev_b32_e32 v8, 2, v8
	v_add_lshl_u32 v35, v8, v66, 2
	ds_bpermute_b32 v8, v35, v5
	v_cmp_le_u32_e32 vcc, v36, v3
	s_waitcnt lgkmcnt(0)
	s_nop 0
	v_cndmask_b32_e32 v8, 0, v8, vcc
	v_cmp_gt_u32_e32 vcc, 56, v15
	v_add_u32_e32 v5, v5, v8
	s_nop 0
	v_cndmask_b32_e64 v8, 0, 1, vcc
	v_lshlrev_b32_e32 v8, 3, v8
	v_add_lshl_u32 v69, v8, v66, 2
	ds_bpermute_b32 v8, v69, v5
	v_cmp_le_u32_e32 vcc, v70, v3
	s_waitcnt lgkmcnt(0)
	s_nop 0
	;; [unrolled: 11-line block ×4, first 2 shown]
	v_cndmask_b32_e32 v3, 0, v8, vcc
	v_add_u32_e32 v8, v5, v3
	v_mov_b32_e32 v5, 0
	s_branch .LBB626_80
.LBB626_79:                             ;   in Loop: Header=BB626_80 Depth=1
	s_or_b64 exec, exec, s[20:21]
	v_cmp_eq_u16_sdwa s[20:21], v9, v14 src0_sel:BYTE_0 src1_sel:DWORD
	ds_bpermute_b32 v75, v16, v8
	v_subrev_u32_e32 v4, 64, v4
	v_and_b32_e32 v10, s21, v7
	v_or_b32_e32 v10, 0x80000000, v10
	v_and_b32_e32 v11, s20, v6
	v_ffbl_b32_e32 v10, v10
	v_add_u32_e32 v10, 32, v10
	v_ffbl_b32_e32 v11, v11
	v_min_u32_e32 v10, v11, v10
	v_cmp_lt_u32_e32 vcc, v15, v10
	s_waitcnt lgkmcnt(0)
	s_nop 0
	v_cndmask_b32_e32 v11, 0, v75, vcc
	v_add_u32_e32 v8, v11, v8
	ds_bpermute_b32 v11, v17, v8
	v_cmp_le_u32_e32 vcc, v34, v10
	s_waitcnt lgkmcnt(0)
	s_nop 0
	v_cndmask_b32_e32 v11, 0, v11, vcc
	v_add_u32_e32 v8, v8, v11
	ds_bpermute_b32 v11, v35, v8
	v_cmp_le_u32_e32 vcc, v36, v10
	;; [unrolled: 6-line block ×5, first 2 shown]
	s_waitcnt lgkmcnt(0)
	s_nop 0
	v_cndmask_b32_e32 v10, 0, v11, vcc
	v_add3_u32 v8, v10, v3, v8
.LBB626_80:                             ; =>This Loop Header: Depth=1
                                        ;     Child Loop BB626_83 Depth 2
                                        ;       Child Loop BB626_84 Depth 3
	v_cmp_ne_u16_sdwa s[20:21], v9, v14 src0_sel:BYTE_0 src1_sel:DWORD
	s_nop 1
	v_cndmask_b32_e64 v3, 0, 1, s[20:21]
	;;#ASMSTART
	;;#ASMEND
	s_nop 0
	v_cmp_ne_u32_e32 vcc, 0, v3
	s_cmp_lg_u64 vcc, exec
	v_mov_b32_e32 v3, v8
	s_cbranch_scc1 .LBB626_87
; %bb.81:                               ;   in Loop: Header=BB626_80 Depth=1
	v_lshl_add_u64 v[10:11], v[4:5], 3, s[42:43]
	global_load_dwordx2 v[8:9], v[10:11], off sc1
	s_waitcnt vmcnt(0)
	v_cmp_eq_u16_sdwa s[22:23], v9, v5 src0_sel:BYTE_0 src1_sel:DWORD
	s_and_saveexec_b64 s[20:21], s[22:23]
	s_cbranch_execz .LBB626_79
; %bb.82:                               ;   in Loop: Header=BB626_80 Depth=1
	s_mov_b32 s24, 1
	s_mov_b64 s[22:23], 0
.LBB626_83:                             ;   Parent Loop BB626_80 Depth=1
                                        ; =>  This Loop Header: Depth=2
                                        ;       Child Loop BB626_84 Depth 3
	s_max_u32 s25, s24, 1
.LBB626_84:                             ;   Parent Loop BB626_80 Depth=1
                                        ;     Parent Loop BB626_83 Depth=2
                                        ; =>    This Inner Loop Header: Depth=3
	s_add_i32 s25, s25, -1
	s_cmp_eq_u32 s25, 0
	s_sleep 1
	s_cbranch_scc0 .LBB626_84
; %bb.85:                               ;   in Loop: Header=BB626_83 Depth=2
	global_load_dwordx2 v[8:9], v[10:11], off sc1
	s_cmp_lt_u32 s24, 32
	s_cselect_b64 s[26:27], -1, 0
	s_cmp_lg_u64 s[26:27], 0
	s_addc_u32 s24, s24, 0
	s_waitcnt vmcnt(0)
	v_cmp_ne_u16_sdwa s[26:27], v9, v5 src0_sel:BYTE_0 src1_sel:DWORD
	s_or_b64 s[22:23], s[26:27], s[22:23]
	s_andn2_b64 exec, exec, s[22:23]
	s_cbranch_execnz .LBB626_83
; %bb.86:                               ;   in Loop: Header=BB626_80 Depth=1
	s_or_b64 exec, exec, s[22:23]
	s_branch .LBB626_79
.LBB626_87:                             ;   in Loop: Header=BB626_80 Depth=1
                                        ; implicit-def: $vgpr8
                                        ; implicit-def: $vgpr9
	s_cbranch_execz .LBB626_80
; %bb.88:
	s_and_saveexec_b64 s[20:21], s[16:17]
	s_cbranch_execz .LBB626_90
; %bb.89:
	s_add_i32 s22, s33, 64
	s_mov_b32 s23, 0
	s_lshl_b64 s[22:23], s[22:23], 3
	s_add_u32 s22, s42, s22
	v_add_u32_e32 v4, v3, v2
	v_mov_b32_e32 v5, 2
	s_addc_u32 s23, s43, s23
	v_mov_b32_e32 v6, 0
	global_store_dwordx2 v6, v[4:5], s[22:23] sc1
	ds_write_b64 v6, v[2:3] offset:30720
.LBB626_90:
	s_or_b64 exec, exec, s[20:21]
	s_and_b64 exec, exec, s[18:19]
	s_cbranch_execz .LBB626_92
; %bb.91:
	v_mov_b32_e32 v2, 0
	ds_write_b32 v2, v3 offset:28
.LBB626_92:
	s_or_b64 exec, exec, s[0:1]
	v_mov_b32_e32 v14, 0
	s_waitcnt lgkmcnt(0)
	s_barrier
	ds_read_b32 v2, v14 offset:28
	v_cndmask_b32_e64 v3, v13, v12, s[16:17]
	v_cndmask_b32_e64 v3, v3, 0, s[18:19]
	s_waitcnt lgkmcnt(0)
	s_barrier
	v_add_u32_e32 v2, v2, v3
	v_add_u32_e32 v3, v2, v38
	;; [unrolled: 1-line block ×10, first 2 shown]
	s_waitcnt vmcnt(0)
	ds_read_b64 v[34:35], v14 offset:30720
	v_add_u32_e32 v12, v11, v61
	v_add_u32_e32 v13, v12, v62
	v_add_u32_e32 v14, v13, v63
	v_add_u32_e32 v15, v14, v64
	v_add_u32_e32 v16, v15, v65
	s_waitcnt lgkmcnt(0)
	v_mov_b32_e32 v36, v35
	s_branch .LBB626_103
.LBB626_93:
                                        ; implicit-def: $vgpr36
                                        ; implicit-def: $vgpr34
                                        ; implicit-def: $vgpr2_vgpr3_vgpr4_vgpr5_vgpr6_vgpr7_vgpr8_vgpr9_vgpr10_vgpr11_vgpr12_vgpr13_vgpr14_vgpr15_vgpr16_vgpr17
	s_cbranch_execz .LBB626_103
; %bb.94:
	s_nop 0
	v_mov_b32_dpp v2, v68 row_shr:1 row_mask:0xf bank_mask:0xf
	v_cndmask_b32_e64 v2, v2, 0, s[14:15]
	v_add_u32_e32 v2, v2, v68
	s_nop 1
	v_mov_b32_dpp v3, v2 row_shr:2 row_mask:0xf bank_mask:0xf
	v_cndmask_b32_e64 v3, 0, v3, s[12:13]
	v_add_u32_e32 v2, v2, v3
	;; [unrolled: 4-line block ×4, first 2 shown]
	s_nop 1
	v_mov_b32_dpp v3, v2 row_bcast:15 row_mask:0xf bank_mask:0xf
	v_cndmask_b32_e64 v3, v3, 0, s[6:7]
	v_add_u32_e32 v2, v2, v3
	s_nop 1
	v_mov_b32_dpp v3, v2 row_bcast:31 row_mask:0xf bank_mask:0xf
	v_cndmask_b32_e64 v3, 0, v3, s[2:3]
	v_add_u32_e32 v2, v2, v3
	s_and_saveexec_b64 s[0:1], s[4:5]
	s_cbranch_execz .LBB626_96
; %bb.95:
	v_lshlrev_b32_e32 v3, 2, v67
	ds_write_b32 v3, v2
.LBB626_96:
	s_or_b64 exec, exec, s[0:1]
	v_cmp_gt_u32_e32 vcc, 8, v0
	s_waitcnt lgkmcnt(0)
	s_barrier
	s_and_saveexec_b64 s[0:1], vcc
	s_cbranch_execz .LBB626_98
; %bb.97:
	v_lshlrev_b32_e32 v3, 2, v0
	ds_read_b32 v4, v3
	v_and_b32_e32 v5, 7, v66
	v_cmp_ne_u32_e32 vcc, 0, v5
	s_waitcnt lgkmcnt(0)
	v_mov_b32_dpp v6, v4 row_shr:1 row_mask:0xf bank_mask:0xf
	v_cndmask_b32_e32 v6, 0, v6, vcc
	v_add_u32_e32 v4, v6, v4
	v_cmp_lt_u32_e32 vcc, 1, v5
	s_nop 0
	v_mov_b32_dpp v6, v4 row_shr:2 row_mask:0xf bank_mask:0xf
	v_cndmask_b32_e32 v6, 0, v6, vcc
	v_add_u32_e32 v4, v4, v6
	v_cmp_lt_u32_e32 vcc, 3, v5
	s_nop 0
	v_mov_b32_dpp v6, v4 row_shr:4 row_mask:0xf bank_mask:0xf
	v_cndmask_b32_e32 v5, 0, v6, vcc
	v_add_u32_e32 v4, v4, v5
	ds_write_b32 v3, v4
.LBB626_98:
	s_or_b64 exec, exec, s[0:1]
	v_cmp_lt_u32_e32 vcc, 63, v0
	v_mov_b32_e32 v4, 0
	v_mov_b32_e32 v3, 0
	s_waitcnt lgkmcnt(0)
	s_barrier
	s_and_saveexec_b64 s[0:1], vcc
	s_cbranch_execz .LBB626_100
; %bb.99:
	v_lshl_add_u32 v3, v67, 2, -4
	ds_read_b32 v3, v3
.LBB626_100:
	s_or_b64 exec, exec, s[0:1]
	v_add_u32_e32 v5, -1, v66
	v_and_b32_e32 v6, 64, v66
	v_cmp_lt_i32_e32 vcc, v5, v6
	s_waitcnt lgkmcnt(0)
	v_add_u32_e32 v2, v3, v2
	s_waitcnt vmcnt(0)
	ds_read_b32 v34, v4 offset:28
	v_cndmask_b32_e32 v5, v5, v66, vcc
	v_lshlrev_b32_e32 v5, 2, v5
	ds_bpermute_b32 v2, v5, v2
	s_and_saveexec_b64 s[0:1], s[18:19]
	s_cbranch_execz .LBB626_102
; %bb.101:
	v_mov_b32_e32 v4, 0
	v_mov_b32_e32 v35, 2
	s_waitcnt lgkmcnt(1)
	global_store_dwordx2 v4, v[34:35], s[42:43] offset:512 sc1
.LBB626_102:
	s_or_b64 exec, exec, s[0:1]
	v_cmp_eq_u32_e32 vcc, 0, v66
	v_mov_b32_e32 v36, 0
	s_waitcnt lgkmcnt(0)
	v_cndmask_b32_e32 v2, v2, v3, vcc
	v_cndmask_b32_e64 v2, v2, 0, s[18:19]
	v_add_u32_e32 v3, v2, v38
	v_add_u32_e32 v4, v3, v39
	;; [unrolled: 1-line block ×14, first 2 shown]
	s_barrier
.LBB626_103:
	s_movk_i32 s0, 0x201
	s_waitcnt vmcnt(0)
	v_cmp_gt_u32_e32 vcc, s0, v34
	s_mov_b64 s[0:1], -1
	s_cbranch_vccnz .LBB626_107
; %bb.104:
	s_and_b64 vcc, exec, s[0:1]
	s_cbranch_vccnz .LBB626_153
.LBB626_105:
	s_and_b64 s[0:1], s[18:19], s[34:35]
	s_and_saveexec_b64 s[2:3], s[0:1]
	s_cbranch_execnz .LBB626_197
.LBB626_106:
	s_endpgm
.LBB626_107:
	v_add_u32_e32 v17, v36, v34
	v_lshlrev_b64 v[38:39], 2, v[18:19]
	v_cmp_lt_u32_e32 vcc, v2, v17
	v_lshl_add_u64 v[38:39], s[40:41], 0, v[38:39]
	s_or_b64 s[2:3], s[38:39], vcc
	s_and_saveexec_b64 s[0:1], s[2:3]
	s_cbranch_execz .LBB626_110
; %bb.108:
	v_and_b32_e32 v35, 1, v53
	v_cmp_eq_u32_e32 vcc, 1, v35
	s_and_b64 exec, exec, vcc
	s_cbranch_execz .LBB626_110
; %bb.109:
	v_mov_b32_e32 v55, 0
	v_mov_b32_e32 v54, v2
	v_lshl_add_u64 v[54:55], v[54:55], 2, v[38:39]
	global_store_dword v[54:55], v32, off
.LBB626_110:
	s_or_b64 exec, exec, s[0:1]
	v_cmp_lt_u32_e32 vcc, v3, v17
	s_or_b64 s[2:3], s[38:39], vcc
	s_and_saveexec_b64 s[0:1], s[2:3]
	s_cbranch_execz .LBB626_113
; %bb.111:
	v_and_b32_e32 v35, 1, v52
	v_cmp_eq_u32_e32 vcc, 1, v35
	s_and_b64 exec, exec, vcc
	s_cbranch_execz .LBB626_113
; %bb.112:
	v_mov_b32_e32 v55, 0
	v_mov_b32_e32 v54, v3
	v_lshl_add_u64 v[54:55], v[54:55], 2, v[38:39]
	global_store_dword v[54:55], v33, off
.LBB626_113:
	s_or_b64 exec, exec, s[0:1]
	v_cmp_lt_u32_e32 vcc, v4, v17
	;; [unrolled: 16-line block ×14, first 2 shown]
	s_or_b64 s[2:3], s[38:39], vcc
	s_and_saveexec_b64 s[0:1], s[2:3]
	s_cbranch_execz .LBB626_152
; %bb.150:
	v_and_b32_e32 v17, 1, v37
	v_cmp_eq_u32_e32 vcc, 1, v17
	s_and_b64 exec, exec, vcc
	s_cbranch_execz .LBB626_152
; %bb.151:
	v_mov_b32_e32 v17, 0
	v_lshl_add_u64 v[38:39], v[16:17], 2, v[38:39]
	global_store_dword v[38:39], v1, off
.LBB626_152:
	s_or_b64 exec, exec, s[0:1]
	s_branch .LBB626_105
.LBB626_153:
	v_and_b32_e32 v17, 1, v53
	v_cmp_eq_u32_e32 vcc, 1, v17
	s_and_saveexec_b64 s[0:1], vcc
	s_cbranch_execz .LBB626_155
; %bb.154:
	v_sub_u32_e32 v2, v2, v36
	v_lshlrev_b32_e32 v2, 2, v2
	ds_write_b32 v2, v32
.LBB626_155:
	s_or_b64 exec, exec, s[0:1]
	v_and_b32_e32 v2, 1, v52
	v_cmp_eq_u32_e32 vcc, 1, v2
	s_and_saveexec_b64 s[0:1], vcc
	s_cbranch_execz .LBB626_157
; %bb.156:
	v_sub_u32_e32 v2, v3, v36
	v_lshlrev_b32_e32 v2, 2, v2
	ds_write_b32 v2, v33
.LBB626_157:
	s_or_b64 exec, exec, s[0:1]
	;; [unrolled: 10-line block ×15, first 2 shown]
	v_cmp_lt_u32_e32 vcc, v0, v34
	s_waitcnt lgkmcnt(0)
	s_barrier
	s_and_saveexec_b64 s[0:1], vcc
	s_cbranch_execz .LBB626_196
; %bb.184:
	v_mov_b32_e32 v37, 0
	v_lshlrev_b64 v[2:3], 2, v[18:19]
	v_lshl_add_u64 v[2:3], s[40:41], 0, v[2:3]
	v_lshlrev_b64 v[4:5], 2, v[36:37]
	v_xad_u32 v1, v0, -1, v34
	s_movk_i32 s2, 0x1ff
	v_lshl_add_u64 v[2:3], v[2:3], 0, v[4:5]
	v_cmp_lt_u32_e32 vcc, s2, v1
	s_mov_b64 s[4:5], -1
	s_and_saveexec_b64 s[2:3], vcc
	s_cbranch_execz .LBB626_193
; %bb.185:
	v_lshrrev_b32_e32 v8, 9, v1
	v_add_u32_e32 v4, -1, v8
	v_or_b32_e32 v1, 0x200, v0
	v_lshrrev_b32_e32 v5, 1, v4
	v_add_u32_e32 v10, 1, v5
	v_cmp_lt_u32_e32 vcc, 13, v4
	v_lshlrev_b32_e32 v9, 2, v0
	v_mov_b64_e32 v[4:5], v[0:1]
	s_and_saveexec_b64 s[4:5], vcc
	s_cbranch_execz .LBB626_189
; %bb.186:
	v_and_b32_e32 v11, -8, v10
	s_mov_b32 s8, 0
	s_mov_b64 s[6:7], 0
	v_mov_b32_e32 v7, 0
	v_mov_b32_e32 v12, v9
	v_mov_b64_e32 v[4:5], v[0:1]
.LBB626_187:                            ; =>This Inner Loop Header: Depth=1
	ds_read2st64_b32 v[14:15], v12 offset1:8
	v_mov_b32_e32 v6, v4
	ds_read2st64_b32 v[28:29], v12 offset0:48 offset1:56
	v_lshl_add_u64 v[50:51], v[6:7], 2, v[2:3]
	v_mov_b32_e32 v6, v5
	ds_read2st64_b32 v[20:21], v12 offset0:16 offset1:24
	ds_read2st64_b32 v[32:33], v12 offset0:64 offset1:72
	v_lshl_add_u64 v[52:53], v[6:7], 2, v[2:3]
	v_add_u32_e32 v6, 0x400, v4
	ds_read2st64_b32 v[40:41], v12 offset0:80 offset1:88
	v_lshl_add_u64 v[54:55], v[6:7], 2, v[2:3]
	v_add_u32_e32 v6, 0x800, v4
	v_add_u32_e32 v16, 0x400, v5
	v_mov_b32_e32 v17, v7
	v_add_u32_e32 v22, 0x800, v5
	ds_read2st64_b32 v[24:25], v12 offset0:32 offset1:40
	v_mov_b32_e32 v23, v7
	ds_read2st64_b32 v[44:45], v12 offset0:96 offset1:104
	v_lshl_add_u64 v[56:57], v[6:7], 2, v[2:3]
	v_add_u32_e32 v6, 0xc00, v4
	v_add_u32_e32 v26, 0xc00, v5
	v_mov_b32_e32 v27, v7
	ds_read2st64_b32 v[48:49], v12 offset0:112 offset1:120
	v_lshl_add_u64 v[16:17], v[16:17], 2, v[2:3]
	v_lshl_add_u64 v[22:23], v[22:23], 2, v[2:3]
	s_waitcnt lgkmcnt(7)
	global_store_dword v[50:51], v14, off
	global_store_dword v[52:53], v15, off
	s_waitcnt lgkmcnt(5)
	global_store_dword v[54:55], v20, off
	global_store_dword v[16:17], v21, off
	;; [unrolled: 3-line block ×3, first 2 shown]
	v_lshl_add_u64 v[14:15], v[6:7], 2, v[2:3]
	v_add_u32_e32 v6, 0x1000, v4
	v_add_u32_e32 v30, 0x1000, v5
	v_mov_b32_e32 v31, v7
	v_lshl_add_u64 v[26:27], v[26:27], 2, v[2:3]
	global_store_dword v[14:15], v28, off
	global_store_dword v[26:27], v29, off
	v_lshl_add_u64 v[14:15], v[6:7], 2, v[2:3]
	v_add_u32_e32 v6, 0x1400, v4
	v_add_u32_e32 v38, 0x1400, v5
	v_mov_b32_e32 v39, v7
	v_add_u32_e32 v11, -8, v11
	v_lshl_add_u64 v[30:31], v[30:31], 2, v[2:3]
	global_store_dword v[14:15], v32, off
	global_store_dword v[30:31], v33, off
	v_lshl_add_u64 v[14:15], v[6:7], 2, v[2:3]
	v_add_u32_e32 v6, 0x1800, v4
	v_add_u32_e32 v42, 0x1800, v5
	v_mov_b32_e32 v43, v7
	s_add_i32 s8, s8, 16
	v_lshl_add_u64 v[38:39], v[38:39], 2, v[2:3]
	v_cmp_eq_u32_e32 vcc, 0, v11
	global_store_dword v[14:15], v40, off
	global_store_dword v[38:39], v41, off
	v_lshl_add_u64 v[14:15], v[6:7], 2, v[2:3]
	v_add_u32_e32 v6, 0x1c00, v4
	v_add_u32_e32 v46, 0x1c00, v5
	v_mov_b32_e32 v47, v7
	v_add_u32_e32 v12, 0x8000, v12
	v_lshl_add_u64 v[42:43], v[42:43], 2, v[2:3]
	v_add_u32_e32 v5, 0x2000, v5
	v_mov_b32_e32 v37, s8
	s_or_b64 s[6:7], vcc, s[6:7]
	v_add_u32_e32 v4, 0x2000, v4
	s_waitcnt lgkmcnt(1)
	global_store_dword v[14:15], v44, off
	global_store_dword v[42:43], v45, off
	v_lshl_add_u64 v[14:15], v[6:7], 2, v[2:3]
	v_lshl_add_u64 v[46:47], v[46:47], 2, v[2:3]
	s_waitcnt lgkmcnt(0)
	global_store_dword v[14:15], v48, off
	global_store_dword v[46:47], v49, off
	s_andn2_b64 exec, exec, s[6:7]
	s_cbranch_execnz .LBB626_187
; %bb.188:
	s_or_b64 exec, exec, s[6:7]
.LBB626_189:
	s_or_b64 exec, exec, s[4:5]
	v_and_b32_e32 v1, 7, v10
	v_cmp_ne_u32_e32 vcc, 0, v1
	s_and_saveexec_b64 s[4:5], vcc
	s_cbranch_execz .LBB626_192
; %bb.190:
	v_lshl_or_b32 v9, v37, 11, v9
	s_mov_b64 s[6:7], 0
	v_mov_b32_e32 v7, 0
.LBB626_191:                            ; =>This Inner Loop Header: Depth=1
	ds_read2st64_b32 v[10:11], v9 offset1:8
	v_add_u32_e32 v1, -1, v1
	v_mov_b32_e32 v6, v4
	v_cmp_eq_u32_e32 vcc, 0, v1
	v_add_u32_e32 v4, 0x400, v4
	v_add_u32_e32 v9, 0x1000, v9
	v_lshl_add_u64 v[12:13], v[6:7], 2, v[2:3]
	v_mov_b32_e32 v6, v5
	v_add_u32_e32 v5, 0x400, v5
	s_or_b64 s[6:7], vcc, s[6:7]
	v_lshl_add_u64 v[14:15], v[6:7], 2, v[2:3]
	s_waitcnt lgkmcnt(0)
	global_store_dword v[12:13], v10, off
	global_store_dword v[14:15], v11, off
	s_andn2_b64 exec, exec, s[6:7]
	s_cbranch_execnz .LBB626_191
.LBB626_192:
	s_or_b64 exec, exec, s[4:5]
	v_add_u32_e32 v1, 1, v8
	v_and_b32_e32 v4, 0xfffffe, v1
	v_cmp_ne_u32_e32 vcc, v1, v4
	v_lshl_or_b32 v0, v4, 9, v0
	s_orn2_b64 s[4:5], vcc, exec
.LBB626_193:
	s_or_b64 exec, exec, s[2:3]
	s_and_b64 exec, exec, s[4:5]
	s_cbranch_execz .LBB626_196
; %bb.194:
	v_lshlrev_b32_e32 v4, 2, v0
	s_mov_b64 s[2:3], 0
	v_mov_b32_e32 v1, 0
.LBB626_195:                            ; =>This Inner Loop Header: Depth=1
	ds_read_b32 v5, v4
	v_lshl_add_u64 v[6:7], v[0:1], 2, v[2:3]
	v_add_u32_e32 v0, 0x200, v0
	v_cmp_ge_u32_e32 vcc, v0, v34
	v_add_u32_e32 v4, 0x800, v4
	s_or_b64 s[2:3], vcc, s[2:3]
	s_waitcnt lgkmcnt(0)
	global_store_dword v[6:7], v5, off
	s_andn2_b64 exec, exec, s[2:3]
	s_cbranch_execnz .LBB626_195
.LBB626_196:
	s_or_b64 exec, exec, s[0:1]
	s_and_b64 s[0:1], s[18:19], s[34:35]
	s_and_saveexec_b64 s[2:3], s[0:1]
	s_cbranch_execz .LBB626_106
.LBB626_197:
	v_mov_b32_e32 v35, 0
	v_lshl_add_u64 v[0:1], v[18:19], 0, v[34:35]
	v_mov_b32_e32 v37, v35
	v_lshl_add_u64 v[0:1], v[0:1], 0, v[36:37]
	global_store_dwordx2 v35, v[0:1], s[36:37]
	s_endpgm
	.section	.rodata,"a",@progbits
	.p2align	6, 0x0
	.amdhsa_kernel _ZN7rocprim17ROCPRIM_400000_NS6detail17trampoline_kernelINS0_14default_configENS1_25partition_config_selectorILNS1_17partition_subalgoE8EjNS0_10empty_typeEbEEZZNS1_14partition_implILS5_8ELb0ES3_jPKjPS6_PKS6_NS0_5tupleIJPjS6_EEENSE_IJSB_SB_EEENS0_18inequality_wrapperIN6hipcub16HIPCUB_304000_NS8EqualityEEEPlJS6_EEE10hipError_tPvRmT3_T4_T5_T6_T7_T9_mT8_P12ihipStream_tbDpT10_ENKUlT_T0_E_clISt17integral_constantIbLb1EES17_EEDaS12_S13_EUlS12_E_NS1_11comp_targetILNS1_3genE5ELNS1_11target_archE942ELNS1_3gpuE9ELNS1_3repE0EEENS1_30default_config_static_selectorELNS0_4arch9wavefront6targetE1EEEvT1_
		.amdhsa_group_segment_fixed_size 30728
		.amdhsa_private_segment_fixed_size 0
		.amdhsa_kernarg_size 128
		.amdhsa_user_sgpr_count 2
		.amdhsa_user_sgpr_dispatch_ptr 0
		.amdhsa_user_sgpr_queue_ptr 0
		.amdhsa_user_sgpr_kernarg_segment_ptr 1
		.amdhsa_user_sgpr_dispatch_id 0
		.amdhsa_user_sgpr_kernarg_preload_length 0
		.amdhsa_user_sgpr_kernarg_preload_offset 0
		.amdhsa_user_sgpr_private_segment_size 0
		.amdhsa_uses_dynamic_stack 0
		.amdhsa_enable_private_segment 0
		.amdhsa_system_sgpr_workgroup_id_x 1
		.amdhsa_system_sgpr_workgroup_id_y 0
		.amdhsa_system_sgpr_workgroup_id_z 0
		.amdhsa_system_sgpr_workgroup_info 0
		.amdhsa_system_vgpr_workitem_id 0
		.amdhsa_next_free_vgpr 76
		.amdhsa_next_free_sgpr 51
		.amdhsa_accum_offset 76
		.amdhsa_reserve_vcc 1
		.amdhsa_float_round_mode_32 0
		.amdhsa_float_round_mode_16_64 0
		.amdhsa_float_denorm_mode_32 3
		.amdhsa_float_denorm_mode_16_64 3
		.amdhsa_dx10_clamp 1
		.amdhsa_ieee_mode 1
		.amdhsa_fp16_overflow 0
		.amdhsa_tg_split 0
		.amdhsa_exception_fp_ieee_invalid_op 0
		.amdhsa_exception_fp_denorm_src 0
		.amdhsa_exception_fp_ieee_div_zero 0
		.amdhsa_exception_fp_ieee_overflow 0
		.amdhsa_exception_fp_ieee_underflow 0
		.amdhsa_exception_fp_ieee_inexact 0
		.amdhsa_exception_int_div_zero 0
	.end_amdhsa_kernel
	.section	.text._ZN7rocprim17ROCPRIM_400000_NS6detail17trampoline_kernelINS0_14default_configENS1_25partition_config_selectorILNS1_17partition_subalgoE8EjNS0_10empty_typeEbEEZZNS1_14partition_implILS5_8ELb0ES3_jPKjPS6_PKS6_NS0_5tupleIJPjS6_EEENSE_IJSB_SB_EEENS0_18inequality_wrapperIN6hipcub16HIPCUB_304000_NS8EqualityEEEPlJS6_EEE10hipError_tPvRmT3_T4_T5_T6_T7_T9_mT8_P12ihipStream_tbDpT10_ENKUlT_T0_E_clISt17integral_constantIbLb1EES17_EEDaS12_S13_EUlS12_E_NS1_11comp_targetILNS1_3genE5ELNS1_11target_archE942ELNS1_3gpuE9ELNS1_3repE0EEENS1_30default_config_static_selectorELNS0_4arch9wavefront6targetE1EEEvT1_,"axG",@progbits,_ZN7rocprim17ROCPRIM_400000_NS6detail17trampoline_kernelINS0_14default_configENS1_25partition_config_selectorILNS1_17partition_subalgoE8EjNS0_10empty_typeEbEEZZNS1_14partition_implILS5_8ELb0ES3_jPKjPS6_PKS6_NS0_5tupleIJPjS6_EEENSE_IJSB_SB_EEENS0_18inequality_wrapperIN6hipcub16HIPCUB_304000_NS8EqualityEEEPlJS6_EEE10hipError_tPvRmT3_T4_T5_T6_T7_T9_mT8_P12ihipStream_tbDpT10_ENKUlT_T0_E_clISt17integral_constantIbLb1EES17_EEDaS12_S13_EUlS12_E_NS1_11comp_targetILNS1_3genE5ELNS1_11target_archE942ELNS1_3gpuE9ELNS1_3repE0EEENS1_30default_config_static_selectorELNS0_4arch9wavefront6targetE1EEEvT1_,comdat
.Lfunc_end626:
	.size	_ZN7rocprim17ROCPRIM_400000_NS6detail17trampoline_kernelINS0_14default_configENS1_25partition_config_selectorILNS1_17partition_subalgoE8EjNS0_10empty_typeEbEEZZNS1_14partition_implILS5_8ELb0ES3_jPKjPS6_PKS6_NS0_5tupleIJPjS6_EEENSE_IJSB_SB_EEENS0_18inequality_wrapperIN6hipcub16HIPCUB_304000_NS8EqualityEEEPlJS6_EEE10hipError_tPvRmT3_T4_T5_T6_T7_T9_mT8_P12ihipStream_tbDpT10_ENKUlT_T0_E_clISt17integral_constantIbLb1EES17_EEDaS12_S13_EUlS12_E_NS1_11comp_targetILNS1_3genE5ELNS1_11target_archE942ELNS1_3gpuE9ELNS1_3repE0EEENS1_30default_config_static_selectorELNS0_4arch9wavefront6targetE1EEEvT1_, .Lfunc_end626-_ZN7rocprim17ROCPRIM_400000_NS6detail17trampoline_kernelINS0_14default_configENS1_25partition_config_selectorILNS1_17partition_subalgoE8EjNS0_10empty_typeEbEEZZNS1_14partition_implILS5_8ELb0ES3_jPKjPS6_PKS6_NS0_5tupleIJPjS6_EEENSE_IJSB_SB_EEENS0_18inequality_wrapperIN6hipcub16HIPCUB_304000_NS8EqualityEEEPlJS6_EEE10hipError_tPvRmT3_T4_T5_T6_T7_T9_mT8_P12ihipStream_tbDpT10_ENKUlT_T0_E_clISt17integral_constantIbLb1EES17_EEDaS12_S13_EUlS12_E_NS1_11comp_targetILNS1_3genE5ELNS1_11target_archE942ELNS1_3gpuE9ELNS1_3repE0EEENS1_30default_config_static_selectorELNS0_4arch9wavefront6targetE1EEEvT1_
                                        ; -- End function
	.section	.AMDGPU.csdata,"",@progbits
; Kernel info:
; codeLenInByte = 8228
; NumSgprs: 57
; NumVgprs: 76
; NumAgprs: 0
; TotalNumVgprs: 76
; ScratchSize: 0
; MemoryBound: 0
; FloatMode: 240
; IeeeMode: 1
; LDSByteSize: 30728 bytes/workgroup (compile time only)
; SGPRBlocks: 7
; VGPRBlocks: 9
; NumSGPRsForWavesPerEU: 57
; NumVGPRsForWavesPerEU: 76
; AccumOffset: 76
; Occupancy: 4
; WaveLimiterHint : 1
; COMPUTE_PGM_RSRC2:SCRATCH_EN: 0
; COMPUTE_PGM_RSRC2:USER_SGPR: 2
; COMPUTE_PGM_RSRC2:TRAP_HANDLER: 0
; COMPUTE_PGM_RSRC2:TGID_X_EN: 1
; COMPUTE_PGM_RSRC2:TGID_Y_EN: 0
; COMPUTE_PGM_RSRC2:TGID_Z_EN: 0
; COMPUTE_PGM_RSRC2:TIDIG_COMP_CNT: 0
; COMPUTE_PGM_RSRC3_GFX90A:ACCUM_OFFSET: 18
; COMPUTE_PGM_RSRC3_GFX90A:TG_SPLIT: 0
	.section	.text._ZN7rocprim17ROCPRIM_400000_NS6detail17trampoline_kernelINS0_14default_configENS1_25partition_config_selectorILNS1_17partition_subalgoE8EjNS0_10empty_typeEbEEZZNS1_14partition_implILS5_8ELb0ES3_jPKjPS6_PKS6_NS0_5tupleIJPjS6_EEENSE_IJSB_SB_EEENS0_18inequality_wrapperIN6hipcub16HIPCUB_304000_NS8EqualityEEEPlJS6_EEE10hipError_tPvRmT3_T4_T5_T6_T7_T9_mT8_P12ihipStream_tbDpT10_ENKUlT_T0_E_clISt17integral_constantIbLb1EES17_EEDaS12_S13_EUlS12_E_NS1_11comp_targetILNS1_3genE4ELNS1_11target_archE910ELNS1_3gpuE8ELNS1_3repE0EEENS1_30default_config_static_selectorELNS0_4arch9wavefront6targetE1EEEvT1_,"axG",@progbits,_ZN7rocprim17ROCPRIM_400000_NS6detail17trampoline_kernelINS0_14default_configENS1_25partition_config_selectorILNS1_17partition_subalgoE8EjNS0_10empty_typeEbEEZZNS1_14partition_implILS5_8ELb0ES3_jPKjPS6_PKS6_NS0_5tupleIJPjS6_EEENSE_IJSB_SB_EEENS0_18inequality_wrapperIN6hipcub16HIPCUB_304000_NS8EqualityEEEPlJS6_EEE10hipError_tPvRmT3_T4_T5_T6_T7_T9_mT8_P12ihipStream_tbDpT10_ENKUlT_T0_E_clISt17integral_constantIbLb1EES17_EEDaS12_S13_EUlS12_E_NS1_11comp_targetILNS1_3genE4ELNS1_11target_archE910ELNS1_3gpuE8ELNS1_3repE0EEENS1_30default_config_static_selectorELNS0_4arch9wavefront6targetE1EEEvT1_,comdat
	.protected	_ZN7rocprim17ROCPRIM_400000_NS6detail17trampoline_kernelINS0_14default_configENS1_25partition_config_selectorILNS1_17partition_subalgoE8EjNS0_10empty_typeEbEEZZNS1_14partition_implILS5_8ELb0ES3_jPKjPS6_PKS6_NS0_5tupleIJPjS6_EEENSE_IJSB_SB_EEENS0_18inequality_wrapperIN6hipcub16HIPCUB_304000_NS8EqualityEEEPlJS6_EEE10hipError_tPvRmT3_T4_T5_T6_T7_T9_mT8_P12ihipStream_tbDpT10_ENKUlT_T0_E_clISt17integral_constantIbLb1EES17_EEDaS12_S13_EUlS12_E_NS1_11comp_targetILNS1_3genE4ELNS1_11target_archE910ELNS1_3gpuE8ELNS1_3repE0EEENS1_30default_config_static_selectorELNS0_4arch9wavefront6targetE1EEEvT1_ ; -- Begin function _ZN7rocprim17ROCPRIM_400000_NS6detail17trampoline_kernelINS0_14default_configENS1_25partition_config_selectorILNS1_17partition_subalgoE8EjNS0_10empty_typeEbEEZZNS1_14partition_implILS5_8ELb0ES3_jPKjPS6_PKS6_NS0_5tupleIJPjS6_EEENSE_IJSB_SB_EEENS0_18inequality_wrapperIN6hipcub16HIPCUB_304000_NS8EqualityEEEPlJS6_EEE10hipError_tPvRmT3_T4_T5_T6_T7_T9_mT8_P12ihipStream_tbDpT10_ENKUlT_T0_E_clISt17integral_constantIbLb1EES17_EEDaS12_S13_EUlS12_E_NS1_11comp_targetILNS1_3genE4ELNS1_11target_archE910ELNS1_3gpuE8ELNS1_3repE0EEENS1_30default_config_static_selectorELNS0_4arch9wavefront6targetE1EEEvT1_
	.globl	_ZN7rocprim17ROCPRIM_400000_NS6detail17trampoline_kernelINS0_14default_configENS1_25partition_config_selectorILNS1_17partition_subalgoE8EjNS0_10empty_typeEbEEZZNS1_14partition_implILS5_8ELb0ES3_jPKjPS6_PKS6_NS0_5tupleIJPjS6_EEENSE_IJSB_SB_EEENS0_18inequality_wrapperIN6hipcub16HIPCUB_304000_NS8EqualityEEEPlJS6_EEE10hipError_tPvRmT3_T4_T5_T6_T7_T9_mT8_P12ihipStream_tbDpT10_ENKUlT_T0_E_clISt17integral_constantIbLb1EES17_EEDaS12_S13_EUlS12_E_NS1_11comp_targetILNS1_3genE4ELNS1_11target_archE910ELNS1_3gpuE8ELNS1_3repE0EEENS1_30default_config_static_selectorELNS0_4arch9wavefront6targetE1EEEvT1_
	.p2align	8
	.type	_ZN7rocprim17ROCPRIM_400000_NS6detail17trampoline_kernelINS0_14default_configENS1_25partition_config_selectorILNS1_17partition_subalgoE8EjNS0_10empty_typeEbEEZZNS1_14partition_implILS5_8ELb0ES3_jPKjPS6_PKS6_NS0_5tupleIJPjS6_EEENSE_IJSB_SB_EEENS0_18inequality_wrapperIN6hipcub16HIPCUB_304000_NS8EqualityEEEPlJS6_EEE10hipError_tPvRmT3_T4_T5_T6_T7_T9_mT8_P12ihipStream_tbDpT10_ENKUlT_T0_E_clISt17integral_constantIbLb1EES17_EEDaS12_S13_EUlS12_E_NS1_11comp_targetILNS1_3genE4ELNS1_11target_archE910ELNS1_3gpuE8ELNS1_3repE0EEENS1_30default_config_static_selectorELNS0_4arch9wavefront6targetE1EEEvT1_,@function
_ZN7rocprim17ROCPRIM_400000_NS6detail17trampoline_kernelINS0_14default_configENS1_25partition_config_selectorILNS1_17partition_subalgoE8EjNS0_10empty_typeEbEEZZNS1_14partition_implILS5_8ELb0ES3_jPKjPS6_PKS6_NS0_5tupleIJPjS6_EEENSE_IJSB_SB_EEENS0_18inequality_wrapperIN6hipcub16HIPCUB_304000_NS8EqualityEEEPlJS6_EEE10hipError_tPvRmT3_T4_T5_T6_T7_T9_mT8_P12ihipStream_tbDpT10_ENKUlT_T0_E_clISt17integral_constantIbLb1EES17_EEDaS12_S13_EUlS12_E_NS1_11comp_targetILNS1_3genE4ELNS1_11target_archE910ELNS1_3gpuE8ELNS1_3repE0EEENS1_30default_config_static_selectorELNS0_4arch9wavefront6targetE1EEEvT1_: ; @_ZN7rocprim17ROCPRIM_400000_NS6detail17trampoline_kernelINS0_14default_configENS1_25partition_config_selectorILNS1_17partition_subalgoE8EjNS0_10empty_typeEbEEZZNS1_14partition_implILS5_8ELb0ES3_jPKjPS6_PKS6_NS0_5tupleIJPjS6_EEENSE_IJSB_SB_EEENS0_18inequality_wrapperIN6hipcub16HIPCUB_304000_NS8EqualityEEEPlJS6_EEE10hipError_tPvRmT3_T4_T5_T6_T7_T9_mT8_P12ihipStream_tbDpT10_ENKUlT_T0_E_clISt17integral_constantIbLb1EES17_EEDaS12_S13_EUlS12_E_NS1_11comp_targetILNS1_3genE4ELNS1_11target_archE910ELNS1_3gpuE8ELNS1_3repE0EEENS1_30default_config_static_selectorELNS0_4arch9wavefront6targetE1EEEvT1_
; %bb.0:
	.section	.rodata,"a",@progbits
	.p2align	6, 0x0
	.amdhsa_kernel _ZN7rocprim17ROCPRIM_400000_NS6detail17trampoline_kernelINS0_14default_configENS1_25partition_config_selectorILNS1_17partition_subalgoE8EjNS0_10empty_typeEbEEZZNS1_14partition_implILS5_8ELb0ES3_jPKjPS6_PKS6_NS0_5tupleIJPjS6_EEENSE_IJSB_SB_EEENS0_18inequality_wrapperIN6hipcub16HIPCUB_304000_NS8EqualityEEEPlJS6_EEE10hipError_tPvRmT3_T4_T5_T6_T7_T9_mT8_P12ihipStream_tbDpT10_ENKUlT_T0_E_clISt17integral_constantIbLb1EES17_EEDaS12_S13_EUlS12_E_NS1_11comp_targetILNS1_3genE4ELNS1_11target_archE910ELNS1_3gpuE8ELNS1_3repE0EEENS1_30default_config_static_selectorELNS0_4arch9wavefront6targetE1EEEvT1_
		.amdhsa_group_segment_fixed_size 0
		.amdhsa_private_segment_fixed_size 0
		.amdhsa_kernarg_size 128
		.amdhsa_user_sgpr_count 2
		.amdhsa_user_sgpr_dispatch_ptr 0
		.amdhsa_user_sgpr_queue_ptr 0
		.amdhsa_user_sgpr_kernarg_segment_ptr 1
		.amdhsa_user_sgpr_dispatch_id 0
		.amdhsa_user_sgpr_kernarg_preload_length 0
		.amdhsa_user_sgpr_kernarg_preload_offset 0
		.amdhsa_user_sgpr_private_segment_size 0
		.amdhsa_uses_dynamic_stack 0
		.amdhsa_enable_private_segment 0
		.amdhsa_system_sgpr_workgroup_id_x 1
		.amdhsa_system_sgpr_workgroup_id_y 0
		.amdhsa_system_sgpr_workgroup_id_z 0
		.amdhsa_system_sgpr_workgroup_info 0
		.amdhsa_system_vgpr_workitem_id 0
		.amdhsa_next_free_vgpr 1
		.amdhsa_next_free_sgpr 0
		.amdhsa_accum_offset 4
		.amdhsa_reserve_vcc 0
		.amdhsa_float_round_mode_32 0
		.amdhsa_float_round_mode_16_64 0
		.amdhsa_float_denorm_mode_32 3
		.amdhsa_float_denorm_mode_16_64 3
		.amdhsa_dx10_clamp 1
		.amdhsa_ieee_mode 1
		.amdhsa_fp16_overflow 0
		.amdhsa_tg_split 0
		.amdhsa_exception_fp_ieee_invalid_op 0
		.amdhsa_exception_fp_denorm_src 0
		.amdhsa_exception_fp_ieee_div_zero 0
		.amdhsa_exception_fp_ieee_overflow 0
		.amdhsa_exception_fp_ieee_underflow 0
		.amdhsa_exception_fp_ieee_inexact 0
		.amdhsa_exception_int_div_zero 0
	.end_amdhsa_kernel
	.section	.text._ZN7rocprim17ROCPRIM_400000_NS6detail17trampoline_kernelINS0_14default_configENS1_25partition_config_selectorILNS1_17partition_subalgoE8EjNS0_10empty_typeEbEEZZNS1_14partition_implILS5_8ELb0ES3_jPKjPS6_PKS6_NS0_5tupleIJPjS6_EEENSE_IJSB_SB_EEENS0_18inequality_wrapperIN6hipcub16HIPCUB_304000_NS8EqualityEEEPlJS6_EEE10hipError_tPvRmT3_T4_T5_T6_T7_T9_mT8_P12ihipStream_tbDpT10_ENKUlT_T0_E_clISt17integral_constantIbLb1EES17_EEDaS12_S13_EUlS12_E_NS1_11comp_targetILNS1_3genE4ELNS1_11target_archE910ELNS1_3gpuE8ELNS1_3repE0EEENS1_30default_config_static_selectorELNS0_4arch9wavefront6targetE1EEEvT1_,"axG",@progbits,_ZN7rocprim17ROCPRIM_400000_NS6detail17trampoline_kernelINS0_14default_configENS1_25partition_config_selectorILNS1_17partition_subalgoE8EjNS0_10empty_typeEbEEZZNS1_14partition_implILS5_8ELb0ES3_jPKjPS6_PKS6_NS0_5tupleIJPjS6_EEENSE_IJSB_SB_EEENS0_18inequality_wrapperIN6hipcub16HIPCUB_304000_NS8EqualityEEEPlJS6_EEE10hipError_tPvRmT3_T4_T5_T6_T7_T9_mT8_P12ihipStream_tbDpT10_ENKUlT_T0_E_clISt17integral_constantIbLb1EES17_EEDaS12_S13_EUlS12_E_NS1_11comp_targetILNS1_3genE4ELNS1_11target_archE910ELNS1_3gpuE8ELNS1_3repE0EEENS1_30default_config_static_selectorELNS0_4arch9wavefront6targetE1EEEvT1_,comdat
.Lfunc_end627:
	.size	_ZN7rocprim17ROCPRIM_400000_NS6detail17trampoline_kernelINS0_14default_configENS1_25partition_config_selectorILNS1_17partition_subalgoE8EjNS0_10empty_typeEbEEZZNS1_14partition_implILS5_8ELb0ES3_jPKjPS6_PKS6_NS0_5tupleIJPjS6_EEENSE_IJSB_SB_EEENS0_18inequality_wrapperIN6hipcub16HIPCUB_304000_NS8EqualityEEEPlJS6_EEE10hipError_tPvRmT3_T4_T5_T6_T7_T9_mT8_P12ihipStream_tbDpT10_ENKUlT_T0_E_clISt17integral_constantIbLb1EES17_EEDaS12_S13_EUlS12_E_NS1_11comp_targetILNS1_3genE4ELNS1_11target_archE910ELNS1_3gpuE8ELNS1_3repE0EEENS1_30default_config_static_selectorELNS0_4arch9wavefront6targetE1EEEvT1_, .Lfunc_end627-_ZN7rocprim17ROCPRIM_400000_NS6detail17trampoline_kernelINS0_14default_configENS1_25partition_config_selectorILNS1_17partition_subalgoE8EjNS0_10empty_typeEbEEZZNS1_14partition_implILS5_8ELb0ES3_jPKjPS6_PKS6_NS0_5tupleIJPjS6_EEENSE_IJSB_SB_EEENS0_18inequality_wrapperIN6hipcub16HIPCUB_304000_NS8EqualityEEEPlJS6_EEE10hipError_tPvRmT3_T4_T5_T6_T7_T9_mT8_P12ihipStream_tbDpT10_ENKUlT_T0_E_clISt17integral_constantIbLb1EES17_EEDaS12_S13_EUlS12_E_NS1_11comp_targetILNS1_3genE4ELNS1_11target_archE910ELNS1_3gpuE8ELNS1_3repE0EEENS1_30default_config_static_selectorELNS0_4arch9wavefront6targetE1EEEvT1_
                                        ; -- End function
	.section	.AMDGPU.csdata,"",@progbits
; Kernel info:
; codeLenInByte = 0
; NumSgprs: 6
; NumVgprs: 0
; NumAgprs: 0
; TotalNumVgprs: 0
; ScratchSize: 0
; MemoryBound: 0
; FloatMode: 240
; IeeeMode: 1
; LDSByteSize: 0 bytes/workgroup (compile time only)
; SGPRBlocks: 0
; VGPRBlocks: 0
; NumSGPRsForWavesPerEU: 6
; NumVGPRsForWavesPerEU: 1
; AccumOffset: 4
; Occupancy: 8
; WaveLimiterHint : 0
; COMPUTE_PGM_RSRC2:SCRATCH_EN: 0
; COMPUTE_PGM_RSRC2:USER_SGPR: 2
; COMPUTE_PGM_RSRC2:TRAP_HANDLER: 0
; COMPUTE_PGM_RSRC2:TGID_X_EN: 1
; COMPUTE_PGM_RSRC2:TGID_Y_EN: 0
; COMPUTE_PGM_RSRC2:TGID_Z_EN: 0
; COMPUTE_PGM_RSRC2:TIDIG_COMP_CNT: 0
; COMPUTE_PGM_RSRC3_GFX90A:ACCUM_OFFSET: 0
; COMPUTE_PGM_RSRC3_GFX90A:TG_SPLIT: 0
	.section	.text._ZN7rocprim17ROCPRIM_400000_NS6detail17trampoline_kernelINS0_14default_configENS1_25partition_config_selectorILNS1_17partition_subalgoE8EjNS0_10empty_typeEbEEZZNS1_14partition_implILS5_8ELb0ES3_jPKjPS6_PKS6_NS0_5tupleIJPjS6_EEENSE_IJSB_SB_EEENS0_18inequality_wrapperIN6hipcub16HIPCUB_304000_NS8EqualityEEEPlJS6_EEE10hipError_tPvRmT3_T4_T5_T6_T7_T9_mT8_P12ihipStream_tbDpT10_ENKUlT_T0_E_clISt17integral_constantIbLb1EES17_EEDaS12_S13_EUlS12_E_NS1_11comp_targetILNS1_3genE3ELNS1_11target_archE908ELNS1_3gpuE7ELNS1_3repE0EEENS1_30default_config_static_selectorELNS0_4arch9wavefront6targetE1EEEvT1_,"axG",@progbits,_ZN7rocprim17ROCPRIM_400000_NS6detail17trampoline_kernelINS0_14default_configENS1_25partition_config_selectorILNS1_17partition_subalgoE8EjNS0_10empty_typeEbEEZZNS1_14partition_implILS5_8ELb0ES3_jPKjPS6_PKS6_NS0_5tupleIJPjS6_EEENSE_IJSB_SB_EEENS0_18inequality_wrapperIN6hipcub16HIPCUB_304000_NS8EqualityEEEPlJS6_EEE10hipError_tPvRmT3_T4_T5_T6_T7_T9_mT8_P12ihipStream_tbDpT10_ENKUlT_T0_E_clISt17integral_constantIbLb1EES17_EEDaS12_S13_EUlS12_E_NS1_11comp_targetILNS1_3genE3ELNS1_11target_archE908ELNS1_3gpuE7ELNS1_3repE0EEENS1_30default_config_static_selectorELNS0_4arch9wavefront6targetE1EEEvT1_,comdat
	.protected	_ZN7rocprim17ROCPRIM_400000_NS6detail17trampoline_kernelINS0_14default_configENS1_25partition_config_selectorILNS1_17partition_subalgoE8EjNS0_10empty_typeEbEEZZNS1_14partition_implILS5_8ELb0ES3_jPKjPS6_PKS6_NS0_5tupleIJPjS6_EEENSE_IJSB_SB_EEENS0_18inequality_wrapperIN6hipcub16HIPCUB_304000_NS8EqualityEEEPlJS6_EEE10hipError_tPvRmT3_T4_T5_T6_T7_T9_mT8_P12ihipStream_tbDpT10_ENKUlT_T0_E_clISt17integral_constantIbLb1EES17_EEDaS12_S13_EUlS12_E_NS1_11comp_targetILNS1_3genE3ELNS1_11target_archE908ELNS1_3gpuE7ELNS1_3repE0EEENS1_30default_config_static_selectorELNS0_4arch9wavefront6targetE1EEEvT1_ ; -- Begin function _ZN7rocprim17ROCPRIM_400000_NS6detail17trampoline_kernelINS0_14default_configENS1_25partition_config_selectorILNS1_17partition_subalgoE8EjNS0_10empty_typeEbEEZZNS1_14partition_implILS5_8ELb0ES3_jPKjPS6_PKS6_NS0_5tupleIJPjS6_EEENSE_IJSB_SB_EEENS0_18inequality_wrapperIN6hipcub16HIPCUB_304000_NS8EqualityEEEPlJS6_EEE10hipError_tPvRmT3_T4_T5_T6_T7_T9_mT8_P12ihipStream_tbDpT10_ENKUlT_T0_E_clISt17integral_constantIbLb1EES17_EEDaS12_S13_EUlS12_E_NS1_11comp_targetILNS1_3genE3ELNS1_11target_archE908ELNS1_3gpuE7ELNS1_3repE0EEENS1_30default_config_static_selectorELNS0_4arch9wavefront6targetE1EEEvT1_
	.globl	_ZN7rocprim17ROCPRIM_400000_NS6detail17trampoline_kernelINS0_14default_configENS1_25partition_config_selectorILNS1_17partition_subalgoE8EjNS0_10empty_typeEbEEZZNS1_14partition_implILS5_8ELb0ES3_jPKjPS6_PKS6_NS0_5tupleIJPjS6_EEENSE_IJSB_SB_EEENS0_18inequality_wrapperIN6hipcub16HIPCUB_304000_NS8EqualityEEEPlJS6_EEE10hipError_tPvRmT3_T4_T5_T6_T7_T9_mT8_P12ihipStream_tbDpT10_ENKUlT_T0_E_clISt17integral_constantIbLb1EES17_EEDaS12_S13_EUlS12_E_NS1_11comp_targetILNS1_3genE3ELNS1_11target_archE908ELNS1_3gpuE7ELNS1_3repE0EEENS1_30default_config_static_selectorELNS0_4arch9wavefront6targetE1EEEvT1_
	.p2align	8
	.type	_ZN7rocprim17ROCPRIM_400000_NS6detail17trampoline_kernelINS0_14default_configENS1_25partition_config_selectorILNS1_17partition_subalgoE8EjNS0_10empty_typeEbEEZZNS1_14partition_implILS5_8ELb0ES3_jPKjPS6_PKS6_NS0_5tupleIJPjS6_EEENSE_IJSB_SB_EEENS0_18inequality_wrapperIN6hipcub16HIPCUB_304000_NS8EqualityEEEPlJS6_EEE10hipError_tPvRmT3_T4_T5_T6_T7_T9_mT8_P12ihipStream_tbDpT10_ENKUlT_T0_E_clISt17integral_constantIbLb1EES17_EEDaS12_S13_EUlS12_E_NS1_11comp_targetILNS1_3genE3ELNS1_11target_archE908ELNS1_3gpuE7ELNS1_3repE0EEENS1_30default_config_static_selectorELNS0_4arch9wavefront6targetE1EEEvT1_,@function
_ZN7rocprim17ROCPRIM_400000_NS6detail17trampoline_kernelINS0_14default_configENS1_25partition_config_selectorILNS1_17partition_subalgoE8EjNS0_10empty_typeEbEEZZNS1_14partition_implILS5_8ELb0ES3_jPKjPS6_PKS6_NS0_5tupleIJPjS6_EEENSE_IJSB_SB_EEENS0_18inequality_wrapperIN6hipcub16HIPCUB_304000_NS8EqualityEEEPlJS6_EEE10hipError_tPvRmT3_T4_T5_T6_T7_T9_mT8_P12ihipStream_tbDpT10_ENKUlT_T0_E_clISt17integral_constantIbLb1EES17_EEDaS12_S13_EUlS12_E_NS1_11comp_targetILNS1_3genE3ELNS1_11target_archE908ELNS1_3gpuE7ELNS1_3repE0EEENS1_30default_config_static_selectorELNS0_4arch9wavefront6targetE1EEEvT1_: ; @_ZN7rocprim17ROCPRIM_400000_NS6detail17trampoline_kernelINS0_14default_configENS1_25partition_config_selectorILNS1_17partition_subalgoE8EjNS0_10empty_typeEbEEZZNS1_14partition_implILS5_8ELb0ES3_jPKjPS6_PKS6_NS0_5tupleIJPjS6_EEENSE_IJSB_SB_EEENS0_18inequality_wrapperIN6hipcub16HIPCUB_304000_NS8EqualityEEEPlJS6_EEE10hipError_tPvRmT3_T4_T5_T6_T7_T9_mT8_P12ihipStream_tbDpT10_ENKUlT_T0_E_clISt17integral_constantIbLb1EES17_EEDaS12_S13_EUlS12_E_NS1_11comp_targetILNS1_3genE3ELNS1_11target_archE908ELNS1_3gpuE7ELNS1_3repE0EEENS1_30default_config_static_selectorELNS0_4arch9wavefront6targetE1EEEvT1_
; %bb.0:
	.section	.rodata,"a",@progbits
	.p2align	6, 0x0
	.amdhsa_kernel _ZN7rocprim17ROCPRIM_400000_NS6detail17trampoline_kernelINS0_14default_configENS1_25partition_config_selectorILNS1_17partition_subalgoE8EjNS0_10empty_typeEbEEZZNS1_14partition_implILS5_8ELb0ES3_jPKjPS6_PKS6_NS0_5tupleIJPjS6_EEENSE_IJSB_SB_EEENS0_18inequality_wrapperIN6hipcub16HIPCUB_304000_NS8EqualityEEEPlJS6_EEE10hipError_tPvRmT3_T4_T5_T6_T7_T9_mT8_P12ihipStream_tbDpT10_ENKUlT_T0_E_clISt17integral_constantIbLb1EES17_EEDaS12_S13_EUlS12_E_NS1_11comp_targetILNS1_3genE3ELNS1_11target_archE908ELNS1_3gpuE7ELNS1_3repE0EEENS1_30default_config_static_selectorELNS0_4arch9wavefront6targetE1EEEvT1_
		.amdhsa_group_segment_fixed_size 0
		.amdhsa_private_segment_fixed_size 0
		.amdhsa_kernarg_size 128
		.amdhsa_user_sgpr_count 2
		.amdhsa_user_sgpr_dispatch_ptr 0
		.amdhsa_user_sgpr_queue_ptr 0
		.amdhsa_user_sgpr_kernarg_segment_ptr 1
		.amdhsa_user_sgpr_dispatch_id 0
		.amdhsa_user_sgpr_kernarg_preload_length 0
		.amdhsa_user_sgpr_kernarg_preload_offset 0
		.amdhsa_user_sgpr_private_segment_size 0
		.amdhsa_uses_dynamic_stack 0
		.amdhsa_enable_private_segment 0
		.amdhsa_system_sgpr_workgroup_id_x 1
		.amdhsa_system_sgpr_workgroup_id_y 0
		.amdhsa_system_sgpr_workgroup_id_z 0
		.amdhsa_system_sgpr_workgroup_info 0
		.amdhsa_system_vgpr_workitem_id 0
		.amdhsa_next_free_vgpr 1
		.amdhsa_next_free_sgpr 0
		.amdhsa_accum_offset 4
		.amdhsa_reserve_vcc 0
		.amdhsa_float_round_mode_32 0
		.amdhsa_float_round_mode_16_64 0
		.amdhsa_float_denorm_mode_32 3
		.amdhsa_float_denorm_mode_16_64 3
		.amdhsa_dx10_clamp 1
		.amdhsa_ieee_mode 1
		.amdhsa_fp16_overflow 0
		.amdhsa_tg_split 0
		.amdhsa_exception_fp_ieee_invalid_op 0
		.amdhsa_exception_fp_denorm_src 0
		.amdhsa_exception_fp_ieee_div_zero 0
		.amdhsa_exception_fp_ieee_overflow 0
		.amdhsa_exception_fp_ieee_underflow 0
		.amdhsa_exception_fp_ieee_inexact 0
		.amdhsa_exception_int_div_zero 0
	.end_amdhsa_kernel
	.section	.text._ZN7rocprim17ROCPRIM_400000_NS6detail17trampoline_kernelINS0_14default_configENS1_25partition_config_selectorILNS1_17partition_subalgoE8EjNS0_10empty_typeEbEEZZNS1_14partition_implILS5_8ELb0ES3_jPKjPS6_PKS6_NS0_5tupleIJPjS6_EEENSE_IJSB_SB_EEENS0_18inequality_wrapperIN6hipcub16HIPCUB_304000_NS8EqualityEEEPlJS6_EEE10hipError_tPvRmT3_T4_T5_T6_T7_T9_mT8_P12ihipStream_tbDpT10_ENKUlT_T0_E_clISt17integral_constantIbLb1EES17_EEDaS12_S13_EUlS12_E_NS1_11comp_targetILNS1_3genE3ELNS1_11target_archE908ELNS1_3gpuE7ELNS1_3repE0EEENS1_30default_config_static_selectorELNS0_4arch9wavefront6targetE1EEEvT1_,"axG",@progbits,_ZN7rocprim17ROCPRIM_400000_NS6detail17trampoline_kernelINS0_14default_configENS1_25partition_config_selectorILNS1_17partition_subalgoE8EjNS0_10empty_typeEbEEZZNS1_14partition_implILS5_8ELb0ES3_jPKjPS6_PKS6_NS0_5tupleIJPjS6_EEENSE_IJSB_SB_EEENS0_18inequality_wrapperIN6hipcub16HIPCUB_304000_NS8EqualityEEEPlJS6_EEE10hipError_tPvRmT3_T4_T5_T6_T7_T9_mT8_P12ihipStream_tbDpT10_ENKUlT_T0_E_clISt17integral_constantIbLb1EES17_EEDaS12_S13_EUlS12_E_NS1_11comp_targetILNS1_3genE3ELNS1_11target_archE908ELNS1_3gpuE7ELNS1_3repE0EEENS1_30default_config_static_selectorELNS0_4arch9wavefront6targetE1EEEvT1_,comdat
.Lfunc_end628:
	.size	_ZN7rocprim17ROCPRIM_400000_NS6detail17trampoline_kernelINS0_14default_configENS1_25partition_config_selectorILNS1_17partition_subalgoE8EjNS0_10empty_typeEbEEZZNS1_14partition_implILS5_8ELb0ES3_jPKjPS6_PKS6_NS0_5tupleIJPjS6_EEENSE_IJSB_SB_EEENS0_18inequality_wrapperIN6hipcub16HIPCUB_304000_NS8EqualityEEEPlJS6_EEE10hipError_tPvRmT3_T4_T5_T6_T7_T9_mT8_P12ihipStream_tbDpT10_ENKUlT_T0_E_clISt17integral_constantIbLb1EES17_EEDaS12_S13_EUlS12_E_NS1_11comp_targetILNS1_3genE3ELNS1_11target_archE908ELNS1_3gpuE7ELNS1_3repE0EEENS1_30default_config_static_selectorELNS0_4arch9wavefront6targetE1EEEvT1_, .Lfunc_end628-_ZN7rocprim17ROCPRIM_400000_NS6detail17trampoline_kernelINS0_14default_configENS1_25partition_config_selectorILNS1_17partition_subalgoE8EjNS0_10empty_typeEbEEZZNS1_14partition_implILS5_8ELb0ES3_jPKjPS6_PKS6_NS0_5tupleIJPjS6_EEENSE_IJSB_SB_EEENS0_18inequality_wrapperIN6hipcub16HIPCUB_304000_NS8EqualityEEEPlJS6_EEE10hipError_tPvRmT3_T4_T5_T6_T7_T9_mT8_P12ihipStream_tbDpT10_ENKUlT_T0_E_clISt17integral_constantIbLb1EES17_EEDaS12_S13_EUlS12_E_NS1_11comp_targetILNS1_3genE3ELNS1_11target_archE908ELNS1_3gpuE7ELNS1_3repE0EEENS1_30default_config_static_selectorELNS0_4arch9wavefront6targetE1EEEvT1_
                                        ; -- End function
	.section	.AMDGPU.csdata,"",@progbits
; Kernel info:
; codeLenInByte = 0
; NumSgprs: 6
; NumVgprs: 0
; NumAgprs: 0
; TotalNumVgprs: 0
; ScratchSize: 0
; MemoryBound: 0
; FloatMode: 240
; IeeeMode: 1
; LDSByteSize: 0 bytes/workgroup (compile time only)
; SGPRBlocks: 0
; VGPRBlocks: 0
; NumSGPRsForWavesPerEU: 6
; NumVGPRsForWavesPerEU: 1
; AccumOffset: 4
; Occupancy: 8
; WaveLimiterHint : 0
; COMPUTE_PGM_RSRC2:SCRATCH_EN: 0
; COMPUTE_PGM_RSRC2:USER_SGPR: 2
; COMPUTE_PGM_RSRC2:TRAP_HANDLER: 0
; COMPUTE_PGM_RSRC2:TGID_X_EN: 1
; COMPUTE_PGM_RSRC2:TGID_Y_EN: 0
; COMPUTE_PGM_RSRC2:TGID_Z_EN: 0
; COMPUTE_PGM_RSRC2:TIDIG_COMP_CNT: 0
; COMPUTE_PGM_RSRC3_GFX90A:ACCUM_OFFSET: 0
; COMPUTE_PGM_RSRC3_GFX90A:TG_SPLIT: 0
	.section	.text._ZN7rocprim17ROCPRIM_400000_NS6detail17trampoline_kernelINS0_14default_configENS1_25partition_config_selectorILNS1_17partition_subalgoE8EjNS0_10empty_typeEbEEZZNS1_14partition_implILS5_8ELb0ES3_jPKjPS6_PKS6_NS0_5tupleIJPjS6_EEENSE_IJSB_SB_EEENS0_18inequality_wrapperIN6hipcub16HIPCUB_304000_NS8EqualityEEEPlJS6_EEE10hipError_tPvRmT3_T4_T5_T6_T7_T9_mT8_P12ihipStream_tbDpT10_ENKUlT_T0_E_clISt17integral_constantIbLb1EES17_EEDaS12_S13_EUlS12_E_NS1_11comp_targetILNS1_3genE2ELNS1_11target_archE906ELNS1_3gpuE6ELNS1_3repE0EEENS1_30default_config_static_selectorELNS0_4arch9wavefront6targetE1EEEvT1_,"axG",@progbits,_ZN7rocprim17ROCPRIM_400000_NS6detail17trampoline_kernelINS0_14default_configENS1_25partition_config_selectorILNS1_17partition_subalgoE8EjNS0_10empty_typeEbEEZZNS1_14partition_implILS5_8ELb0ES3_jPKjPS6_PKS6_NS0_5tupleIJPjS6_EEENSE_IJSB_SB_EEENS0_18inequality_wrapperIN6hipcub16HIPCUB_304000_NS8EqualityEEEPlJS6_EEE10hipError_tPvRmT3_T4_T5_T6_T7_T9_mT8_P12ihipStream_tbDpT10_ENKUlT_T0_E_clISt17integral_constantIbLb1EES17_EEDaS12_S13_EUlS12_E_NS1_11comp_targetILNS1_3genE2ELNS1_11target_archE906ELNS1_3gpuE6ELNS1_3repE0EEENS1_30default_config_static_selectorELNS0_4arch9wavefront6targetE1EEEvT1_,comdat
	.protected	_ZN7rocprim17ROCPRIM_400000_NS6detail17trampoline_kernelINS0_14default_configENS1_25partition_config_selectorILNS1_17partition_subalgoE8EjNS0_10empty_typeEbEEZZNS1_14partition_implILS5_8ELb0ES3_jPKjPS6_PKS6_NS0_5tupleIJPjS6_EEENSE_IJSB_SB_EEENS0_18inequality_wrapperIN6hipcub16HIPCUB_304000_NS8EqualityEEEPlJS6_EEE10hipError_tPvRmT3_T4_T5_T6_T7_T9_mT8_P12ihipStream_tbDpT10_ENKUlT_T0_E_clISt17integral_constantIbLb1EES17_EEDaS12_S13_EUlS12_E_NS1_11comp_targetILNS1_3genE2ELNS1_11target_archE906ELNS1_3gpuE6ELNS1_3repE0EEENS1_30default_config_static_selectorELNS0_4arch9wavefront6targetE1EEEvT1_ ; -- Begin function _ZN7rocprim17ROCPRIM_400000_NS6detail17trampoline_kernelINS0_14default_configENS1_25partition_config_selectorILNS1_17partition_subalgoE8EjNS0_10empty_typeEbEEZZNS1_14partition_implILS5_8ELb0ES3_jPKjPS6_PKS6_NS0_5tupleIJPjS6_EEENSE_IJSB_SB_EEENS0_18inequality_wrapperIN6hipcub16HIPCUB_304000_NS8EqualityEEEPlJS6_EEE10hipError_tPvRmT3_T4_T5_T6_T7_T9_mT8_P12ihipStream_tbDpT10_ENKUlT_T0_E_clISt17integral_constantIbLb1EES17_EEDaS12_S13_EUlS12_E_NS1_11comp_targetILNS1_3genE2ELNS1_11target_archE906ELNS1_3gpuE6ELNS1_3repE0EEENS1_30default_config_static_selectorELNS0_4arch9wavefront6targetE1EEEvT1_
	.globl	_ZN7rocprim17ROCPRIM_400000_NS6detail17trampoline_kernelINS0_14default_configENS1_25partition_config_selectorILNS1_17partition_subalgoE8EjNS0_10empty_typeEbEEZZNS1_14partition_implILS5_8ELb0ES3_jPKjPS6_PKS6_NS0_5tupleIJPjS6_EEENSE_IJSB_SB_EEENS0_18inequality_wrapperIN6hipcub16HIPCUB_304000_NS8EqualityEEEPlJS6_EEE10hipError_tPvRmT3_T4_T5_T6_T7_T9_mT8_P12ihipStream_tbDpT10_ENKUlT_T0_E_clISt17integral_constantIbLb1EES17_EEDaS12_S13_EUlS12_E_NS1_11comp_targetILNS1_3genE2ELNS1_11target_archE906ELNS1_3gpuE6ELNS1_3repE0EEENS1_30default_config_static_selectorELNS0_4arch9wavefront6targetE1EEEvT1_
	.p2align	8
	.type	_ZN7rocprim17ROCPRIM_400000_NS6detail17trampoline_kernelINS0_14default_configENS1_25partition_config_selectorILNS1_17partition_subalgoE8EjNS0_10empty_typeEbEEZZNS1_14partition_implILS5_8ELb0ES3_jPKjPS6_PKS6_NS0_5tupleIJPjS6_EEENSE_IJSB_SB_EEENS0_18inequality_wrapperIN6hipcub16HIPCUB_304000_NS8EqualityEEEPlJS6_EEE10hipError_tPvRmT3_T4_T5_T6_T7_T9_mT8_P12ihipStream_tbDpT10_ENKUlT_T0_E_clISt17integral_constantIbLb1EES17_EEDaS12_S13_EUlS12_E_NS1_11comp_targetILNS1_3genE2ELNS1_11target_archE906ELNS1_3gpuE6ELNS1_3repE0EEENS1_30default_config_static_selectorELNS0_4arch9wavefront6targetE1EEEvT1_,@function
_ZN7rocprim17ROCPRIM_400000_NS6detail17trampoline_kernelINS0_14default_configENS1_25partition_config_selectorILNS1_17partition_subalgoE8EjNS0_10empty_typeEbEEZZNS1_14partition_implILS5_8ELb0ES3_jPKjPS6_PKS6_NS0_5tupleIJPjS6_EEENSE_IJSB_SB_EEENS0_18inequality_wrapperIN6hipcub16HIPCUB_304000_NS8EqualityEEEPlJS6_EEE10hipError_tPvRmT3_T4_T5_T6_T7_T9_mT8_P12ihipStream_tbDpT10_ENKUlT_T0_E_clISt17integral_constantIbLb1EES17_EEDaS12_S13_EUlS12_E_NS1_11comp_targetILNS1_3genE2ELNS1_11target_archE906ELNS1_3gpuE6ELNS1_3repE0EEENS1_30default_config_static_selectorELNS0_4arch9wavefront6targetE1EEEvT1_: ; @_ZN7rocprim17ROCPRIM_400000_NS6detail17trampoline_kernelINS0_14default_configENS1_25partition_config_selectorILNS1_17partition_subalgoE8EjNS0_10empty_typeEbEEZZNS1_14partition_implILS5_8ELb0ES3_jPKjPS6_PKS6_NS0_5tupleIJPjS6_EEENSE_IJSB_SB_EEENS0_18inequality_wrapperIN6hipcub16HIPCUB_304000_NS8EqualityEEEPlJS6_EEE10hipError_tPvRmT3_T4_T5_T6_T7_T9_mT8_P12ihipStream_tbDpT10_ENKUlT_T0_E_clISt17integral_constantIbLb1EES17_EEDaS12_S13_EUlS12_E_NS1_11comp_targetILNS1_3genE2ELNS1_11target_archE906ELNS1_3gpuE6ELNS1_3repE0EEENS1_30default_config_static_selectorELNS0_4arch9wavefront6targetE1EEEvT1_
; %bb.0:
	.section	.rodata,"a",@progbits
	.p2align	6, 0x0
	.amdhsa_kernel _ZN7rocprim17ROCPRIM_400000_NS6detail17trampoline_kernelINS0_14default_configENS1_25partition_config_selectorILNS1_17partition_subalgoE8EjNS0_10empty_typeEbEEZZNS1_14partition_implILS5_8ELb0ES3_jPKjPS6_PKS6_NS0_5tupleIJPjS6_EEENSE_IJSB_SB_EEENS0_18inequality_wrapperIN6hipcub16HIPCUB_304000_NS8EqualityEEEPlJS6_EEE10hipError_tPvRmT3_T4_T5_T6_T7_T9_mT8_P12ihipStream_tbDpT10_ENKUlT_T0_E_clISt17integral_constantIbLb1EES17_EEDaS12_S13_EUlS12_E_NS1_11comp_targetILNS1_3genE2ELNS1_11target_archE906ELNS1_3gpuE6ELNS1_3repE0EEENS1_30default_config_static_selectorELNS0_4arch9wavefront6targetE1EEEvT1_
		.amdhsa_group_segment_fixed_size 0
		.amdhsa_private_segment_fixed_size 0
		.amdhsa_kernarg_size 128
		.amdhsa_user_sgpr_count 2
		.amdhsa_user_sgpr_dispatch_ptr 0
		.amdhsa_user_sgpr_queue_ptr 0
		.amdhsa_user_sgpr_kernarg_segment_ptr 1
		.amdhsa_user_sgpr_dispatch_id 0
		.amdhsa_user_sgpr_kernarg_preload_length 0
		.amdhsa_user_sgpr_kernarg_preload_offset 0
		.amdhsa_user_sgpr_private_segment_size 0
		.amdhsa_uses_dynamic_stack 0
		.amdhsa_enable_private_segment 0
		.amdhsa_system_sgpr_workgroup_id_x 1
		.amdhsa_system_sgpr_workgroup_id_y 0
		.amdhsa_system_sgpr_workgroup_id_z 0
		.amdhsa_system_sgpr_workgroup_info 0
		.amdhsa_system_vgpr_workitem_id 0
		.amdhsa_next_free_vgpr 1
		.amdhsa_next_free_sgpr 0
		.amdhsa_accum_offset 4
		.amdhsa_reserve_vcc 0
		.amdhsa_float_round_mode_32 0
		.amdhsa_float_round_mode_16_64 0
		.amdhsa_float_denorm_mode_32 3
		.amdhsa_float_denorm_mode_16_64 3
		.amdhsa_dx10_clamp 1
		.amdhsa_ieee_mode 1
		.amdhsa_fp16_overflow 0
		.amdhsa_tg_split 0
		.amdhsa_exception_fp_ieee_invalid_op 0
		.amdhsa_exception_fp_denorm_src 0
		.amdhsa_exception_fp_ieee_div_zero 0
		.amdhsa_exception_fp_ieee_overflow 0
		.amdhsa_exception_fp_ieee_underflow 0
		.amdhsa_exception_fp_ieee_inexact 0
		.amdhsa_exception_int_div_zero 0
	.end_amdhsa_kernel
	.section	.text._ZN7rocprim17ROCPRIM_400000_NS6detail17trampoline_kernelINS0_14default_configENS1_25partition_config_selectorILNS1_17partition_subalgoE8EjNS0_10empty_typeEbEEZZNS1_14partition_implILS5_8ELb0ES3_jPKjPS6_PKS6_NS0_5tupleIJPjS6_EEENSE_IJSB_SB_EEENS0_18inequality_wrapperIN6hipcub16HIPCUB_304000_NS8EqualityEEEPlJS6_EEE10hipError_tPvRmT3_T4_T5_T6_T7_T9_mT8_P12ihipStream_tbDpT10_ENKUlT_T0_E_clISt17integral_constantIbLb1EES17_EEDaS12_S13_EUlS12_E_NS1_11comp_targetILNS1_3genE2ELNS1_11target_archE906ELNS1_3gpuE6ELNS1_3repE0EEENS1_30default_config_static_selectorELNS0_4arch9wavefront6targetE1EEEvT1_,"axG",@progbits,_ZN7rocprim17ROCPRIM_400000_NS6detail17trampoline_kernelINS0_14default_configENS1_25partition_config_selectorILNS1_17partition_subalgoE8EjNS0_10empty_typeEbEEZZNS1_14partition_implILS5_8ELb0ES3_jPKjPS6_PKS6_NS0_5tupleIJPjS6_EEENSE_IJSB_SB_EEENS0_18inequality_wrapperIN6hipcub16HIPCUB_304000_NS8EqualityEEEPlJS6_EEE10hipError_tPvRmT3_T4_T5_T6_T7_T9_mT8_P12ihipStream_tbDpT10_ENKUlT_T0_E_clISt17integral_constantIbLb1EES17_EEDaS12_S13_EUlS12_E_NS1_11comp_targetILNS1_3genE2ELNS1_11target_archE906ELNS1_3gpuE6ELNS1_3repE0EEENS1_30default_config_static_selectorELNS0_4arch9wavefront6targetE1EEEvT1_,comdat
.Lfunc_end629:
	.size	_ZN7rocprim17ROCPRIM_400000_NS6detail17trampoline_kernelINS0_14default_configENS1_25partition_config_selectorILNS1_17partition_subalgoE8EjNS0_10empty_typeEbEEZZNS1_14partition_implILS5_8ELb0ES3_jPKjPS6_PKS6_NS0_5tupleIJPjS6_EEENSE_IJSB_SB_EEENS0_18inequality_wrapperIN6hipcub16HIPCUB_304000_NS8EqualityEEEPlJS6_EEE10hipError_tPvRmT3_T4_T5_T6_T7_T9_mT8_P12ihipStream_tbDpT10_ENKUlT_T0_E_clISt17integral_constantIbLb1EES17_EEDaS12_S13_EUlS12_E_NS1_11comp_targetILNS1_3genE2ELNS1_11target_archE906ELNS1_3gpuE6ELNS1_3repE0EEENS1_30default_config_static_selectorELNS0_4arch9wavefront6targetE1EEEvT1_, .Lfunc_end629-_ZN7rocprim17ROCPRIM_400000_NS6detail17trampoline_kernelINS0_14default_configENS1_25partition_config_selectorILNS1_17partition_subalgoE8EjNS0_10empty_typeEbEEZZNS1_14partition_implILS5_8ELb0ES3_jPKjPS6_PKS6_NS0_5tupleIJPjS6_EEENSE_IJSB_SB_EEENS0_18inequality_wrapperIN6hipcub16HIPCUB_304000_NS8EqualityEEEPlJS6_EEE10hipError_tPvRmT3_T4_T5_T6_T7_T9_mT8_P12ihipStream_tbDpT10_ENKUlT_T0_E_clISt17integral_constantIbLb1EES17_EEDaS12_S13_EUlS12_E_NS1_11comp_targetILNS1_3genE2ELNS1_11target_archE906ELNS1_3gpuE6ELNS1_3repE0EEENS1_30default_config_static_selectorELNS0_4arch9wavefront6targetE1EEEvT1_
                                        ; -- End function
	.section	.AMDGPU.csdata,"",@progbits
; Kernel info:
; codeLenInByte = 0
; NumSgprs: 6
; NumVgprs: 0
; NumAgprs: 0
; TotalNumVgprs: 0
; ScratchSize: 0
; MemoryBound: 0
; FloatMode: 240
; IeeeMode: 1
; LDSByteSize: 0 bytes/workgroup (compile time only)
; SGPRBlocks: 0
; VGPRBlocks: 0
; NumSGPRsForWavesPerEU: 6
; NumVGPRsForWavesPerEU: 1
; AccumOffset: 4
; Occupancy: 8
; WaveLimiterHint : 0
; COMPUTE_PGM_RSRC2:SCRATCH_EN: 0
; COMPUTE_PGM_RSRC2:USER_SGPR: 2
; COMPUTE_PGM_RSRC2:TRAP_HANDLER: 0
; COMPUTE_PGM_RSRC2:TGID_X_EN: 1
; COMPUTE_PGM_RSRC2:TGID_Y_EN: 0
; COMPUTE_PGM_RSRC2:TGID_Z_EN: 0
; COMPUTE_PGM_RSRC2:TIDIG_COMP_CNT: 0
; COMPUTE_PGM_RSRC3_GFX90A:ACCUM_OFFSET: 0
; COMPUTE_PGM_RSRC3_GFX90A:TG_SPLIT: 0
	.section	.text._ZN7rocprim17ROCPRIM_400000_NS6detail17trampoline_kernelINS0_14default_configENS1_25partition_config_selectorILNS1_17partition_subalgoE8EjNS0_10empty_typeEbEEZZNS1_14partition_implILS5_8ELb0ES3_jPKjPS6_PKS6_NS0_5tupleIJPjS6_EEENSE_IJSB_SB_EEENS0_18inequality_wrapperIN6hipcub16HIPCUB_304000_NS8EqualityEEEPlJS6_EEE10hipError_tPvRmT3_T4_T5_T6_T7_T9_mT8_P12ihipStream_tbDpT10_ENKUlT_T0_E_clISt17integral_constantIbLb1EES17_EEDaS12_S13_EUlS12_E_NS1_11comp_targetILNS1_3genE10ELNS1_11target_archE1200ELNS1_3gpuE4ELNS1_3repE0EEENS1_30default_config_static_selectorELNS0_4arch9wavefront6targetE1EEEvT1_,"axG",@progbits,_ZN7rocprim17ROCPRIM_400000_NS6detail17trampoline_kernelINS0_14default_configENS1_25partition_config_selectorILNS1_17partition_subalgoE8EjNS0_10empty_typeEbEEZZNS1_14partition_implILS5_8ELb0ES3_jPKjPS6_PKS6_NS0_5tupleIJPjS6_EEENSE_IJSB_SB_EEENS0_18inequality_wrapperIN6hipcub16HIPCUB_304000_NS8EqualityEEEPlJS6_EEE10hipError_tPvRmT3_T4_T5_T6_T7_T9_mT8_P12ihipStream_tbDpT10_ENKUlT_T0_E_clISt17integral_constantIbLb1EES17_EEDaS12_S13_EUlS12_E_NS1_11comp_targetILNS1_3genE10ELNS1_11target_archE1200ELNS1_3gpuE4ELNS1_3repE0EEENS1_30default_config_static_selectorELNS0_4arch9wavefront6targetE1EEEvT1_,comdat
	.protected	_ZN7rocprim17ROCPRIM_400000_NS6detail17trampoline_kernelINS0_14default_configENS1_25partition_config_selectorILNS1_17partition_subalgoE8EjNS0_10empty_typeEbEEZZNS1_14partition_implILS5_8ELb0ES3_jPKjPS6_PKS6_NS0_5tupleIJPjS6_EEENSE_IJSB_SB_EEENS0_18inequality_wrapperIN6hipcub16HIPCUB_304000_NS8EqualityEEEPlJS6_EEE10hipError_tPvRmT3_T4_T5_T6_T7_T9_mT8_P12ihipStream_tbDpT10_ENKUlT_T0_E_clISt17integral_constantIbLb1EES17_EEDaS12_S13_EUlS12_E_NS1_11comp_targetILNS1_3genE10ELNS1_11target_archE1200ELNS1_3gpuE4ELNS1_3repE0EEENS1_30default_config_static_selectorELNS0_4arch9wavefront6targetE1EEEvT1_ ; -- Begin function _ZN7rocprim17ROCPRIM_400000_NS6detail17trampoline_kernelINS0_14default_configENS1_25partition_config_selectorILNS1_17partition_subalgoE8EjNS0_10empty_typeEbEEZZNS1_14partition_implILS5_8ELb0ES3_jPKjPS6_PKS6_NS0_5tupleIJPjS6_EEENSE_IJSB_SB_EEENS0_18inequality_wrapperIN6hipcub16HIPCUB_304000_NS8EqualityEEEPlJS6_EEE10hipError_tPvRmT3_T4_T5_T6_T7_T9_mT8_P12ihipStream_tbDpT10_ENKUlT_T0_E_clISt17integral_constantIbLb1EES17_EEDaS12_S13_EUlS12_E_NS1_11comp_targetILNS1_3genE10ELNS1_11target_archE1200ELNS1_3gpuE4ELNS1_3repE0EEENS1_30default_config_static_selectorELNS0_4arch9wavefront6targetE1EEEvT1_
	.globl	_ZN7rocprim17ROCPRIM_400000_NS6detail17trampoline_kernelINS0_14default_configENS1_25partition_config_selectorILNS1_17partition_subalgoE8EjNS0_10empty_typeEbEEZZNS1_14partition_implILS5_8ELb0ES3_jPKjPS6_PKS6_NS0_5tupleIJPjS6_EEENSE_IJSB_SB_EEENS0_18inequality_wrapperIN6hipcub16HIPCUB_304000_NS8EqualityEEEPlJS6_EEE10hipError_tPvRmT3_T4_T5_T6_T7_T9_mT8_P12ihipStream_tbDpT10_ENKUlT_T0_E_clISt17integral_constantIbLb1EES17_EEDaS12_S13_EUlS12_E_NS1_11comp_targetILNS1_3genE10ELNS1_11target_archE1200ELNS1_3gpuE4ELNS1_3repE0EEENS1_30default_config_static_selectorELNS0_4arch9wavefront6targetE1EEEvT1_
	.p2align	8
	.type	_ZN7rocprim17ROCPRIM_400000_NS6detail17trampoline_kernelINS0_14default_configENS1_25partition_config_selectorILNS1_17partition_subalgoE8EjNS0_10empty_typeEbEEZZNS1_14partition_implILS5_8ELb0ES3_jPKjPS6_PKS6_NS0_5tupleIJPjS6_EEENSE_IJSB_SB_EEENS0_18inequality_wrapperIN6hipcub16HIPCUB_304000_NS8EqualityEEEPlJS6_EEE10hipError_tPvRmT3_T4_T5_T6_T7_T9_mT8_P12ihipStream_tbDpT10_ENKUlT_T0_E_clISt17integral_constantIbLb1EES17_EEDaS12_S13_EUlS12_E_NS1_11comp_targetILNS1_3genE10ELNS1_11target_archE1200ELNS1_3gpuE4ELNS1_3repE0EEENS1_30default_config_static_selectorELNS0_4arch9wavefront6targetE1EEEvT1_,@function
_ZN7rocprim17ROCPRIM_400000_NS6detail17trampoline_kernelINS0_14default_configENS1_25partition_config_selectorILNS1_17partition_subalgoE8EjNS0_10empty_typeEbEEZZNS1_14partition_implILS5_8ELb0ES3_jPKjPS6_PKS6_NS0_5tupleIJPjS6_EEENSE_IJSB_SB_EEENS0_18inequality_wrapperIN6hipcub16HIPCUB_304000_NS8EqualityEEEPlJS6_EEE10hipError_tPvRmT3_T4_T5_T6_T7_T9_mT8_P12ihipStream_tbDpT10_ENKUlT_T0_E_clISt17integral_constantIbLb1EES17_EEDaS12_S13_EUlS12_E_NS1_11comp_targetILNS1_3genE10ELNS1_11target_archE1200ELNS1_3gpuE4ELNS1_3repE0EEENS1_30default_config_static_selectorELNS0_4arch9wavefront6targetE1EEEvT1_: ; @_ZN7rocprim17ROCPRIM_400000_NS6detail17trampoline_kernelINS0_14default_configENS1_25partition_config_selectorILNS1_17partition_subalgoE8EjNS0_10empty_typeEbEEZZNS1_14partition_implILS5_8ELb0ES3_jPKjPS6_PKS6_NS0_5tupleIJPjS6_EEENSE_IJSB_SB_EEENS0_18inequality_wrapperIN6hipcub16HIPCUB_304000_NS8EqualityEEEPlJS6_EEE10hipError_tPvRmT3_T4_T5_T6_T7_T9_mT8_P12ihipStream_tbDpT10_ENKUlT_T0_E_clISt17integral_constantIbLb1EES17_EEDaS12_S13_EUlS12_E_NS1_11comp_targetILNS1_3genE10ELNS1_11target_archE1200ELNS1_3gpuE4ELNS1_3repE0EEENS1_30default_config_static_selectorELNS0_4arch9wavefront6targetE1EEEvT1_
; %bb.0:
	.section	.rodata,"a",@progbits
	.p2align	6, 0x0
	.amdhsa_kernel _ZN7rocprim17ROCPRIM_400000_NS6detail17trampoline_kernelINS0_14default_configENS1_25partition_config_selectorILNS1_17partition_subalgoE8EjNS0_10empty_typeEbEEZZNS1_14partition_implILS5_8ELb0ES3_jPKjPS6_PKS6_NS0_5tupleIJPjS6_EEENSE_IJSB_SB_EEENS0_18inequality_wrapperIN6hipcub16HIPCUB_304000_NS8EqualityEEEPlJS6_EEE10hipError_tPvRmT3_T4_T5_T6_T7_T9_mT8_P12ihipStream_tbDpT10_ENKUlT_T0_E_clISt17integral_constantIbLb1EES17_EEDaS12_S13_EUlS12_E_NS1_11comp_targetILNS1_3genE10ELNS1_11target_archE1200ELNS1_3gpuE4ELNS1_3repE0EEENS1_30default_config_static_selectorELNS0_4arch9wavefront6targetE1EEEvT1_
		.amdhsa_group_segment_fixed_size 0
		.amdhsa_private_segment_fixed_size 0
		.amdhsa_kernarg_size 128
		.amdhsa_user_sgpr_count 2
		.amdhsa_user_sgpr_dispatch_ptr 0
		.amdhsa_user_sgpr_queue_ptr 0
		.amdhsa_user_sgpr_kernarg_segment_ptr 1
		.amdhsa_user_sgpr_dispatch_id 0
		.amdhsa_user_sgpr_kernarg_preload_length 0
		.amdhsa_user_sgpr_kernarg_preload_offset 0
		.amdhsa_user_sgpr_private_segment_size 0
		.amdhsa_uses_dynamic_stack 0
		.amdhsa_enable_private_segment 0
		.amdhsa_system_sgpr_workgroup_id_x 1
		.amdhsa_system_sgpr_workgroup_id_y 0
		.amdhsa_system_sgpr_workgroup_id_z 0
		.amdhsa_system_sgpr_workgroup_info 0
		.amdhsa_system_vgpr_workitem_id 0
		.amdhsa_next_free_vgpr 1
		.amdhsa_next_free_sgpr 0
		.amdhsa_accum_offset 4
		.amdhsa_reserve_vcc 0
		.amdhsa_float_round_mode_32 0
		.amdhsa_float_round_mode_16_64 0
		.amdhsa_float_denorm_mode_32 3
		.amdhsa_float_denorm_mode_16_64 3
		.amdhsa_dx10_clamp 1
		.amdhsa_ieee_mode 1
		.amdhsa_fp16_overflow 0
		.amdhsa_tg_split 0
		.amdhsa_exception_fp_ieee_invalid_op 0
		.amdhsa_exception_fp_denorm_src 0
		.amdhsa_exception_fp_ieee_div_zero 0
		.amdhsa_exception_fp_ieee_overflow 0
		.amdhsa_exception_fp_ieee_underflow 0
		.amdhsa_exception_fp_ieee_inexact 0
		.amdhsa_exception_int_div_zero 0
	.end_amdhsa_kernel
	.section	.text._ZN7rocprim17ROCPRIM_400000_NS6detail17trampoline_kernelINS0_14default_configENS1_25partition_config_selectorILNS1_17partition_subalgoE8EjNS0_10empty_typeEbEEZZNS1_14partition_implILS5_8ELb0ES3_jPKjPS6_PKS6_NS0_5tupleIJPjS6_EEENSE_IJSB_SB_EEENS0_18inequality_wrapperIN6hipcub16HIPCUB_304000_NS8EqualityEEEPlJS6_EEE10hipError_tPvRmT3_T4_T5_T6_T7_T9_mT8_P12ihipStream_tbDpT10_ENKUlT_T0_E_clISt17integral_constantIbLb1EES17_EEDaS12_S13_EUlS12_E_NS1_11comp_targetILNS1_3genE10ELNS1_11target_archE1200ELNS1_3gpuE4ELNS1_3repE0EEENS1_30default_config_static_selectorELNS0_4arch9wavefront6targetE1EEEvT1_,"axG",@progbits,_ZN7rocprim17ROCPRIM_400000_NS6detail17trampoline_kernelINS0_14default_configENS1_25partition_config_selectorILNS1_17partition_subalgoE8EjNS0_10empty_typeEbEEZZNS1_14partition_implILS5_8ELb0ES3_jPKjPS6_PKS6_NS0_5tupleIJPjS6_EEENSE_IJSB_SB_EEENS0_18inequality_wrapperIN6hipcub16HIPCUB_304000_NS8EqualityEEEPlJS6_EEE10hipError_tPvRmT3_T4_T5_T6_T7_T9_mT8_P12ihipStream_tbDpT10_ENKUlT_T0_E_clISt17integral_constantIbLb1EES17_EEDaS12_S13_EUlS12_E_NS1_11comp_targetILNS1_3genE10ELNS1_11target_archE1200ELNS1_3gpuE4ELNS1_3repE0EEENS1_30default_config_static_selectorELNS0_4arch9wavefront6targetE1EEEvT1_,comdat
.Lfunc_end630:
	.size	_ZN7rocprim17ROCPRIM_400000_NS6detail17trampoline_kernelINS0_14default_configENS1_25partition_config_selectorILNS1_17partition_subalgoE8EjNS0_10empty_typeEbEEZZNS1_14partition_implILS5_8ELb0ES3_jPKjPS6_PKS6_NS0_5tupleIJPjS6_EEENSE_IJSB_SB_EEENS0_18inequality_wrapperIN6hipcub16HIPCUB_304000_NS8EqualityEEEPlJS6_EEE10hipError_tPvRmT3_T4_T5_T6_T7_T9_mT8_P12ihipStream_tbDpT10_ENKUlT_T0_E_clISt17integral_constantIbLb1EES17_EEDaS12_S13_EUlS12_E_NS1_11comp_targetILNS1_3genE10ELNS1_11target_archE1200ELNS1_3gpuE4ELNS1_3repE0EEENS1_30default_config_static_selectorELNS0_4arch9wavefront6targetE1EEEvT1_, .Lfunc_end630-_ZN7rocprim17ROCPRIM_400000_NS6detail17trampoline_kernelINS0_14default_configENS1_25partition_config_selectorILNS1_17partition_subalgoE8EjNS0_10empty_typeEbEEZZNS1_14partition_implILS5_8ELb0ES3_jPKjPS6_PKS6_NS0_5tupleIJPjS6_EEENSE_IJSB_SB_EEENS0_18inequality_wrapperIN6hipcub16HIPCUB_304000_NS8EqualityEEEPlJS6_EEE10hipError_tPvRmT3_T4_T5_T6_T7_T9_mT8_P12ihipStream_tbDpT10_ENKUlT_T0_E_clISt17integral_constantIbLb1EES17_EEDaS12_S13_EUlS12_E_NS1_11comp_targetILNS1_3genE10ELNS1_11target_archE1200ELNS1_3gpuE4ELNS1_3repE0EEENS1_30default_config_static_selectorELNS0_4arch9wavefront6targetE1EEEvT1_
                                        ; -- End function
	.section	.AMDGPU.csdata,"",@progbits
; Kernel info:
; codeLenInByte = 0
; NumSgprs: 6
; NumVgprs: 0
; NumAgprs: 0
; TotalNumVgprs: 0
; ScratchSize: 0
; MemoryBound: 0
; FloatMode: 240
; IeeeMode: 1
; LDSByteSize: 0 bytes/workgroup (compile time only)
; SGPRBlocks: 0
; VGPRBlocks: 0
; NumSGPRsForWavesPerEU: 6
; NumVGPRsForWavesPerEU: 1
; AccumOffset: 4
; Occupancy: 8
; WaveLimiterHint : 0
; COMPUTE_PGM_RSRC2:SCRATCH_EN: 0
; COMPUTE_PGM_RSRC2:USER_SGPR: 2
; COMPUTE_PGM_RSRC2:TRAP_HANDLER: 0
; COMPUTE_PGM_RSRC2:TGID_X_EN: 1
; COMPUTE_PGM_RSRC2:TGID_Y_EN: 0
; COMPUTE_PGM_RSRC2:TGID_Z_EN: 0
; COMPUTE_PGM_RSRC2:TIDIG_COMP_CNT: 0
; COMPUTE_PGM_RSRC3_GFX90A:ACCUM_OFFSET: 0
; COMPUTE_PGM_RSRC3_GFX90A:TG_SPLIT: 0
	.section	.text._ZN7rocprim17ROCPRIM_400000_NS6detail17trampoline_kernelINS0_14default_configENS1_25partition_config_selectorILNS1_17partition_subalgoE8EjNS0_10empty_typeEbEEZZNS1_14partition_implILS5_8ELb0ES3_jPKjPS6_PKS6_NS0_5tupleIJPjS6_EEENSE_IJSB_SB_EEENS0_18inequality_wrapperIN6hipcub16HIPCUB_304000_NS8EqualityEEEPlJS6_EEE10hipError_tPvRmT3_T4_T5_T6_T7_T9_mT8_P12ihipStream_tbDpT10_ENKUlT_T0_E_clISt17integral_constantIbLb1EES17_EEDaS12_S13_EUlS12_E_NS1_11comp_targetILNS1_3genE9ELNS1_11target_archE1100ELNS1_3gpuE3ELNS1_3repE0EEENS1_30default_config_static_selectorELNS0_4arch9wavefront6targetE1EEEvT1_,"axG",@progbits,_ZN7rocprim17ROCPRIM_400000_NS6detail17trampoline_kernelINS0_14default_configENS1_25partition_config_selectorILNS1_17partition_subalgoE8EjNS0_10empty_typeEbEEZZNS1_14partition_implILS5_8ELb0ES3_jPKjPS6_PKS6_NS0_5tupleIJPjS6_EEENSE_IJSB_SB_EEENS0_18inequality_wrapperIN6hipcub16HIPCUB_304000_NS8EqualityEEEPlJS6_EEE10hipError_tPvRmT3_T4_T5_T6_T7_T9_mT8_P12ihipStream_tbDpT10_ENKUlT_T0_E_clISt17integral_constantIbLb1EES17_EEDaS12_S13_EUlS12_E_NS1_11comp_targetILNS1_3genE9ELNS1_11target_archE1100ELNS1_3gpuE3ELNS1_3repE0EEENS1_30default_config_static_selectorELNS0_4arch9wavefront6targetE1EEEvT1_,comdat
	.protected	_ZN7rocprim17ROCPRIM_400000_NS6detail17trampoline_kernelINS0_14default_configENS1_25partition_config_selectorILNS1_17partition_subalgoE8EjNS0_10empty_typeEbEEZZNS1_14partition_implILS5_8ELb0ES3_jPKjPS6_PKS6_NS0_5tupleIJPjS6_EEENSE_IJSB_SB_EEENS0_18inequality_wrapperIN6hipcub16HIPCUB_304000_NS8EqualityEEEPlJS6_EEE10hipError_tPvRmT3_T4_T5_T6_T7_T9_mT8_P12ihipStream_tbDpT10_ENKUlT_T0_E_clISt17integral_constantIbLb1EES17_EEDaS12_S13_EUlS12_E_NS1_11comp_targetILNS1_3genE9ELNS1_11target_archE1100ELNS1_3gpuE3ELNS1_3repE0EEENS1_30default_config_static_selectorELNS0_4arch9wavefront6targetE1EEEvT1_ ; -- Begin function _ZN7rocprim17ROCPRIM_400000_NS6detail17trampoline_kernelINS0_14default_configENS1_25partition_config_selectorILNS1_17partition_subalgoE8EjNS0_10empty_typeEbEEZZNS1_14partition_implILS5_8ELb0ES3_jPKjPS6_PKS6_NS0_5tupleIJPjS6_EEENSE_IJSB_SB_EEENS0_18inequality_wrapperIN6hipcub16HIPCUB_304000_NS8EqualityEEEPlJS6_EEE10hipError_tPvRmT3_T4_T5_T6_T7_T9_mT8_P12ihipStream_tbDpT10_ENKUlT_T0_E_clISt17integral_constantIbLb1EES17_EEDaS12_S13_EUlS12_E_NS1_11comp_targetILNS1_3genE9ELNS1_11target_archE1100ELNS1_3gpuE3ELNS1_3repE0EEENS1_30default_config_static_selectorELNS0_4arch9wavefront6targetE1EEEvT1_
	.globl	_ZN7rocprim17ROCPRIM_400000_NS6detail17trampoline_kernelINS0_14default_configENS1_25partition_config_selectorILNS1_17partition_subalgoE8EjNS0_10empty_typeEbEEZZNS1_14partition_implILS5_8ELb0ES3_jPKjPS6_PKS6_NS0_5tupleIJPjS6_EEENSE_IJSB_SB_EEENS0_18inequality_wrapperIN6hipcub16HIPCUB_304000_NS8EqualityEEEPlJS6_EEE10hipError_tPvRmT3_T4_T5_T6_T7_T9_mT8_P12ihipStream_tbDpT10_ENKUlT_T0_E_clISt17integral_constantIbLb1EES17_EEDaS12_S13_EUlS12_E_NS1_11comp_targetILNS1_3genE9ELNS1_11target_archE1100ELNS1_3gpuE3ELNS1_3repE0EEENS1_30default_config_static_selectorELNS0_4arch9wavefront6targetE1EEEvT1_
	.p2align	8
	.type	_ZN7rocprim17ROCPRIM_400000_NS6detail17trampoline_kernelINS0_14default_configENS1_25partition_config_selectorILNS1_17partition_subalgoE8EjNS0_10empty_typeEbEEZZNS1_14partition_implILS5_8ELb0ES3_jPKjPS6_PKS6_NS0_5tupleIJPjS6_EEENSE_IJSB_SB_EEENS0_18inequality_wrapperIN6hipcub16HIPCUB_304000_NS8EqualityEEEPlJS6_EEE10hipError_tPvRmT3_T4_T5_T6_T7_T9_mT8_P12ihipStream_tbDpT10_ENKUlT_T0_E_clISt17integral_constantIbLb1EES17_EEDaS12_S13_EUlS12_E_NS1_11comp_targetILNS1_3genE9ELNS1_11target_archE1100ELNS1_3gpuE3ELNS1_3repE0EEENS1_30default_config_static_selectorELNS0_4arch9wavefront6targetE1EEEvT1_,@function
_ZN7rocprim17ROCPRIM_400000_NS6detail17trampoline_kernelINS0_14default_configENS1_25partition_config_selectorILNS1_17partition_subalgoE8EjNS0_10empty_typeEbEEZZNS1_14partition_implILS5_8ELb0ES3_jPKjPS6_PKS6_NS0_5tupleIJPjS6_EEENSE_IJSB_SB_EEENS0_18inequality_wrapperIN6hipcub16HIPCUB_304000_NS8EqualityEEEPlJS6_EEE10hipError_tPvRmT3_T4_T5_T6_T7_T9_mT8_P12ihipStream_tbDpT10_ENKUlT_T0_E_clISt17integral_constantIbLb1EES17_EEDaS12_S13_EUlS12_E_NS1_11comp_targetILNS1_3genE9ELNS1_11target_archE1100ELNS1_3gpuE3ELNS1_3repE0EEENS1_30default_config_static_selectorELNS0_4arch9wavefront6targetE1EEEvT1_: ; @_ZN7rocprim17ROCPRIM_400000_NS6detail17trampoline_kernelINS0_14default_configENS1_25partition_config_selectorILNS1_17partition_subalgoE8EjNS0_10empty_typeEbEEZZNS1_14partition_implILS5_8ELb0ES3_jPKjPS6_PKS6_NS0_5tupleIJPjS6_EEENSE_IJSB_SB_EEENS0_18inequality_wrapperIN6hipcub16HIPCUB_304000_NS8EqualityEEEPlJS6_EEE10hipError_tPvRmT3_T4_T5_T6_T7_T9_mT8_P12ihipStream_tbDpT10_ENKUlT_T0_E_clISt17integral_constantIbLb1EES17_EEDaS12_S13_EUlS12_E_NS1_11comp_targetILNS1_3genE9ELNS1_11target_archE1100ELNS1_3gpuE3ELNS1_3repE0EEENS1_30default_config_static_selectorELNS0_4arch9wavefront6targetE1EEEvT1_
; %bb.0:
	.section	.rodata,"a",@progbits
	.p2align	6, 0x0
	.amdhsa_kernel _ZN7rocprim17ROCPRIM_400000_NS6detail17trampoline_kernelINS0_14default_configENS1_25partition_config_selectorILNS1_17partition_subalgoE8EjNS0_10empty_typeEbEEZZNS1_14partition_implILS5_8ELb0ES3_jPKjPS6_PKS6_NS0_5tupleIJPjS6_EEENSE_IJSB_SB_EEENS0_18inequality_wrapperIN6hipcub16HIPCUB_304000_NS8EqualityEEEPlJS6_EEE10hipError_tPvRmT3_T4_T5_T6_T7_T9_mT8_P12ihipStream_tbDpT10_ENKUlT_T0_E_clISt17integral_constantIbLb1EES17_EEDaS12_S13_EUlS12_E_NS1_11comp_targetILNS1_3genE9ELNS1_11target_archE1100ELNS1_3gpuE3ELNS1_3repE0EEENS1_30default_config_static_selectorELNS0_4arch9wavefront6targetE1EEEvT1_
		.amdhsa_group_segment_fixed_size 0
		.amdhsa_private_segment_fixed_size 0
		.amdhsa_kernarg_size 128
		.amdhsa_user_sgpr_count 2
		.amdhsa_user_sgpr_dispatch_ptr 0
		.amdhsa_user_sgpr_queue_ptr 0
		.amdhsa_user_sgpr_kernarg_segment_ptr 1
		.amdhsa_user_sgpr_dispatch_id 0
		.amdhsa_user_sgpr_kernarg_preload_length 0
		.amdhsa_user_sgpr_kernarg_preload_offset 0
		.amdhsa_user_sgpr_private_segment_size 0
		.amdhsa_uses_dynamic_stack 0
		.amdhsa_enable_private_segment 0
		.amdhsa_system_sgpr_workgroup_id_x 1
		.amdhsa_system_sgpr_workgroup_id_y 0
		.amdhsa_system_sgpr_workgroup_id_z 0
		.amdhsa_system_sgpr_workgroup_info 0
		.amdhsa_system_vgpr_workitem_id 0
		.amdhsa_next_free_vgpr 1
		.amdhsa_next_free_sgpr 0
		.amdhsa_accum_offset 4
		.amdhsa_reserve_vcc 0
		.amdhsa_float_round_mode_32 0
		.amdhsa_float_round_mode_16_64 0
		.amdhsa_float_denorm_mode_32 3
		.amdhsa_float_denorm_mode_16_64 3
		.amdhsa_dx10_clamp 1
		.amdhsa_ieee_mode 1
		.amdhsa_fp16_overflow 0
		.amdhsa_tg_split 0
		.amdhsa_exception_fp_ieee_invalid_op 0
		.amdhsa_exception_fp_denorm_src 0
		.amdhsa_exception_fp_ieee_div_zero 0
		.amdhsa_exception_fp_ieee_overflow 0
		.amdhsa_exception_fp_ieee_underflow 0
		.amdhsa_exception_fp_ieee_inexact 0
		.amdhsa_exception_int_div_zero 0
	.end_amdhsa_kernel
	.section	.text._ZN7rocprim17ROCPRIM_400000_NS6detail17trampoline_kernelINS0_14default_configENS1_25partition_config_selectorILNS1_17partition_subalgoE8EjNS0_10empty_typeEbEEZZNS1_14partition_implILS5_8ELb0ES3_jPKjPS6_PKS6_NS0_5tupleIJPjS6_EEENSE_IJSB_SB_EEENS0_18inequality_wrapperIN6hipcub16HIPCUB_304000_NS8EqualityEEEPlJS6_EEE10hipError_tPvRmT3_T4_T5_T6_T7_T9_mT8_P12ihipStream_tbDpT10_ENKUlT_T0_E_clISt17integral_constantIbLb1EES17_EEDaS12_S13_EUlS12_E_NS1_11comp_targetILNS1_3genE9ELNS1_11target_archE1100ELNS1_3gpuE3ELNS1_3repE0EEENS1_30default_config_static_selectorELNS0_4arch9wavefront6targetE1EEEvT1_,"axG",@progbits,_ZN7rocprim17ROCPRIM_400000_NS6detail17trampoline_kernelINS0_14default_configENS1_25partition_config_selectorILNS1_17partition_subalgoE8EjNS0_10empty_typeEbEEZZNS1_14partition_implILS5_8ELb0ES3_jPKjPS6_PKS6_NS0_5tupleIJPjS6_EEENSE_IJSB_SB_EEENS0_18inequality_wrapperIN6hipcub16HIPCUB_304000_NS8EqualityEEEPlJS6_EEE10hipError_tPvRmT3_T4_T5_T6_T7_T9_mT8_P12ihipStream_tbDpT10_ENKUlT_T0_E_clISt17integral_constantIbLb1EES17_EEDaS12_S13_EUlS12_E_NS1_11comp_targetILNS1_3genE9ELNS1_11target_archE1100ELNS1_3gpuE3ELNS1_3repE0EEENS1_30default_config_static_selectorELNS0_4arch9wavefront6targetE1EEEvT1_,comdat
.Lfunc_end631:
	.size	_ZN7rocprim17ROCPRIM_400000_NS6detail17trampoline_kernelINS0_14default_configENS1_25partition_config_selectorILNS1_17partition_subalgoE8EjNS0_10empty_typeEbEEZZNS1_14partition_implILS5_8ELb0ES3_jPKjPS6_PKS6_NS0_5tupleIJPjS6_EEENSE_IJSB_SB_EEENS0_18inequality_wrapperIN6hipcub16HIPCUB_304000_NS8EqualityEEEPlJS6_EEE10hipError_tPvRmT3_T4_T5_T6_T7_T9_mT8_P12ihipStream_tbDpT10_ENKUlT_T0_E_clISt17integral_constantIbLb1EES17_EEDaS12_S13_EUlS12_E_NS1_11comp_targetILNS1_3genE9ELNS1_11target_archE1100ELNS1_3gpuE3ELNS1_3repE0EEENS1_30default_config_static_selectorELNS0_4arch9wavefront6targetE1EEEvT1_, .Lfunc_end631-_ZN7rocprim17ROCPRIM_400000_NS6detail17trampoline_kernelINS0_14default_configENS1_25partition_config_selectorILNS1_17partition_subalgoE8EjNS0_10empty_typeEbEEZZNS1_14partition_implILS5_8ELb0ES3_jPKjPS6_PKS6_NS0_5tupleIJPjS6_EEENSE_IJSB_SB_EEENS0_18inequality_wrapperIN6hipcub16HIPCUB_304000_NS8EqualityEEEPlJS6_EEE10hipError_tPvRmT3_T4_T5_T6_T7_T9_mT8_P12ihipStream_tbDpT10_ENKUlT_T0_E_clISt17integral_constantIbLb1EES17_EEDaS12_S13_EUlS12_E_NS1_11comp_targetILNS1_3genE9ELNS1_11target_archE1100ELNS1_3gpuE3ELNS1_3repE0EEENS1_30default_config_static_selectorELNS0_4arch9wavefront6targetE1EEEvT1_
                                        ; -- End function
	.section	.AMDGPU.csdata,"",@progbits
; Kernel info:
; codeLenInByte = 0
; NumSgprs: 6
; NumVgprs: 0
; NumAgprs: 0
; TotalNumVgprs: 0
; ScratchSize: 0
; MemoryBound: 0
; FloatMode: 240
; IeeeMode: 1
; LDSByteSize: 0 bytes/workgroup (compile time only)
; SGPRBlocks: 0
; VGPRBlocks: 0
; NumSGPRsForWavesPerEU: 6
; NumVGPRsForWavesPerEU: 1
; AccumOffset: 4
; Occupancy: 8
; WaveLimiterHint : 0
; COMPUTE_PGM_RSRC2:SCRATCH_EN: 0
; COMPUTE_PGM_RSRC2:USER_SGPR: 2
; COMPUTE_PGM_RSRC2:TRAP_HANDLER: 0
; COMPUTE_PGM_RSRC2:TGID_X_EN: 1
; COMPUTE_PGM_RSRC2:TGID_Y_EN: 0
; COMPUTE_PGM_RSRC2:TGID_Z_EN: 0
; COMPUTE_PGM_RSRC2:TIDIG_COMP_CNT: 0
; COMPUTE_PGM_RSRC3_GFX90A:ACCUM_OFFSET: 0
; COMPUTE_PGM_RSRC3_GFX90A:TG_SPLIT: 0
	.section	.text._ZN7rocprim17ROCPRIM_400000_NS6detail17trampoline_kernelINS0_14default_configENS1_25partition_config_selectorILNS1_17partition_subalgoE8EjNS0_10empty_typeEbEEZZNS1_14partition_implILS5_8ELb0ES3_jPKjPS6_PKS6_NS0_5tupleIJPjS6_EEENSE_IJSB_SB_EEENS0_18inequality_wrapperIN6hipcub16HIPCUB_304000_NS8EqualityEEEPlJS6_EEE10hipError_tPvRmT3_T4_T5_T6_T7_T9_mT8_P12ihipStream_tbDpT10_ENKUlT_T0_E_clISt17integral_constantIbLb1EES17_EEDaS12_S13_EUlS12_E_NS1_11comp_targetILNS1_3genE8ELNS1_11target_archE1030ELNS1_3gpuE2ELNS1_3repE0EEENS1_30default_config_static_selectorELNS0_4arch9wavefront6targetE1EEEvT1_,"axG",@progbits,_ZN7rocprim17ROCPRIM_400000_NS6detail17trampoline_kernelINS0_14default_configENS1_25partition_config_selectorILNS1_17partition_subalgoE8EjNS0_10empty_typeEbEEZZNS1_14partition_implILS5_8ELb0ES3_jPKjPS6_PKS6_NS0_5tupleIJPjS6_EEENSE_IJSB_SB_EEENS0_18inequality_wrapperIN6hipcub16HIPCUB_304000_NS8EqualityEEEPlJS6_EEE10hipError_tPvRmT3_T4_T5_T6_T7_T9_mT8_P12ihipStream_tbDpT10_ENKUlT_T0_E_clISt17integral_constantIbLb1EES17_EEDaS12_S13_EUlS12_E_NS1_11comp_targetILNS1_3genE8ELNS1_11target_archE1030ELNS1_3gpuE2ELNS1_3repE0EEENS1_30default_config_static_selectorELNS0_4arch9wavefront6targetE1EEEvT1_,comdat
	.protected	_ZN7rocprim17ROCPRIM_400000_NS6detail17trampoline_kernelINS0_14default_configENS1_25partition_config_selectorILNS1_17partition_subalgoE8EjNS0_10empty_typeEbEEZZNS1_14partition_implILS5_8ELb0ES3_jPKjPS6_PKS6_NS0_5tupleIJPjS6_EEENSE_IJSB_SB_EEENS0_18inequality_wrapperIN6hipcub16HIPCUB_304000_NS8EqualityEEEPlJS6_EEE10hipError_tPvRmT3_T4_T5_T6_T7_T9_mT8_P12ihipStream_tbDpT10_ENKUlT_T0_E_clISt17integral_constantIbLb1EES17_EEDaS12_S13_EUlS12_E_NS1_11comp_targetILNS1_3genE8ELNS1_11target_archE1030ELNS1_3gpuE2ELNS1_3repE0EEENS1_30default_config_static_selectorELNS0_4arch9wavefront6targetE1EEEvT1_ ; -- Begin function _ZN7rocprim17ROCPRIM_400000_NS6detail17trampoline_kernelINS0_14default_configENS1_25partition_config_selectorILNS1_17partition_subalgoE8EjNS0_10empty_typeEbEEZZNS1_14partition_implILS5_8ELb0ES3_jPKjPS6_PKS6_NS0_5tupleIJPjS6_EEENSE_IJSB_SB_EEENS0_18inequality_wrapperIN6hipcub16HIPCUB_304000_NS8EqualityEEEPlJS6_EEE10hipError_tPvRmT3_T4_T5_T6_T7_T9_mT8_P12ihipStream_tbDpT10_ENKUlT_T0_E_clISt17integral_constantIbLb1EES17_EEDaS12_S13_EUlS12_E_NS1_11comp_targetILNS1_3genE8ELNS1_11target_archE1030ELNS1_3gpuE2ELNS1_3repE0EEENS1_30default_config_static_selectorELNS0_4arch9wavefront6targetE1EEEvT1_
	.globl	_ZN7rocprim17ROCPRIM_400000_NS6detail17trampoline_kernelINS0_14default_configENS1_25partition_config_selectorILNS1_17partition_subalgoE8EjNS0_10empty_typeEbEEZZNS1_14partition_implILS5_8ELb0ES3_jPKjPS6_PKS6_NS0_5tupleIJPjS6_EEENSE_IJSB_SB_EEENS0_18inequality_wrapperIN6hipcub16HIPCUB_304000_NS8EqualityEEEPlJS6_EEE10hipError_tPvRmT3_T4_T5_T6_T7_T9_mT8_P12ihipStream_tbDpT10_ENKUlT_T0_E_clISt17integral_constantIbLb1EES17_EEDaS12_S13_EUlS12_E_NS1_11comp_targetILNS1_3genE8ELNS1_11target_archE1030ELNS1_3gpuE2ELNS1_3repE0EEENS1_30default_config_static_selectorELNS0_4arch9wavefront6targetE1EEEvT1_
	.p2align	8
	.type	_ZN7rocprim17ROCPRIM_400000_NS6detail17trampoline_kernelINS0_14default_configENS1_25partition_config_selectorILNS1_17partition_subalgoE8EjNS0_10empty_typeEbEEZZNS1_14partition_implILS5_8ELb0ES3_jPKjPS6_PKS6_NS0_5tupleIJPjS6_EEENSE_IJSB_SB_EEENS0_18inequality_wrapperIN6hipcub16HIPCUB_304000_NS8EqualityEEEPlJS6_EEE10hipError_tPvRmT3_T4_T5_T6_T7_T9_mT8_P12ihipStream_tbDpT10_ENKUlT_T0_E_clISt17integral_constantIbLb1EES17_EEDaS12_S13_EUlS12_E_NS1_11comp_targetILNS1_3genE8ELNS1_11target_archE1030ELNS1_3gpuE2ELNS1_3repE0EEENS1_30default_config_static_selectorELNS0_4arch9wavefront6targetE1EEEvT1_,@function
_ZN7rocprim17ROCPRIM_400000_NS6detail17trampoline_kernelINS0_14default_configENS1_25partition_config_selectorILNS1_17partition_subalgoE8EjNS0_10empty_typeEbEEZZNS1_14partition_implILS5_8ELb0ES3_jPKjPS6_PKS6_NS0_5tupleIJPjS6_EEENSE_IJSB_SB_EEENS0_18inequality_wrapperIN6hipcub16HIPCUB_304000_NS8EqualityEEEPlJS6_EEE10hipError_tPvRmT3_T4_T5_T6_T7_T9_mT8_P12ihipStream_tbDpT10_ENKUlT_T0_E_clISt17integral_constantIbLb1EES17_EEDaS12_S13_EUlS12_E_NS1_11comp_targetILNS1_3genE8ELNS1_11target_archE1030ELNS1_3gpuE2ELNS1_3repE0EEENS1_30default_config_static_selectorELNS0_4arch9wavefront6targetE1EEEvT1_: ; @_ZN7rocprim17ROCPRIM_400000_NS6detail17trampoline_kernelINS0_14default_configENS1_25partition_config_selectorILNS1_17partition_subalgoE8EjNS0_10empty_typeEbEEZZNS1_14partition_implILS5_8ELb0ES3_jPKjPS6_PKS6_NS0_5tupleIJPjS6_EEENSE_IJSB_SB_EEENS0_18inequality_wrapperIN6hipcub16HIPCUB_304000_NS8EqualityEEEPlJS6_EEE10hipError_tPvRmT3_T4_T5_T6_T7_T9_mT8_P12ihipStream_tbDpT10_ENKUlT_T0_E_clISt17integral_constantIbLb1EES17_EEDaS12_S13_EUlS12_E_NS1_11comp_targetILNS1_3genE8ELNS1_11target_archE1030ELNS1_3gpuE2ELNS1_3repE0EEENS1_30default_config_static_selectorELNS0_4arch9wavefront6targetE1EEEvT1_
; %bb.0:
	.section	.rodata,"a",@progbits
	.p2align	6, 0x0
	.amdhsa_kernel _ZN7rocprim17ROCPRIM_400000_NS6detail17trampoline_kernelINS0_14default_configENS1_25partition_config_selectorILNS1_17partition_subalgoE8EjNS0_10empty_typeEbEEZZNS1_14partition_implILS5_8ELb0ES3_jPKjPS6_PKS6_NS0_5tupleIJPjS6_EEENSE_IJSB_SB_EEENS0_18inequality_wrapperIN6hipcub16HIPCUB_304000_NS8EqualityEEEPlJS6_EEE10hipError_tPvRmT3_T4_T5_T6_T7_T9_mT8_P12ihipStream_tbDpT10_ENKUlT_T0_E_clISt17integral_constantIbLb1EES17_EEDaS12_S13_EUlS12_E_NS1_11comp_targetILNS1_3genE8ELNS1_11target_archE1030ELNS1_3gpuE2ELNS1_3repE0EEENS1_30default_config_static_selectorELNS0_4arch9wavefront6targetE1EEEvT1_
		.amdhsa_group_segment_fixed_size 0
		.amdhsa_private_segment_fixed_size 0
		.amdhsa_kernarg_size 128
		.amdhsa_user_sgpr_count 2
		.amdhsa_user_sgpr_dispatch_ptr 0
		.amdhsa_user_sgpr_queue_ptr 0
		.amdhsa_user_sgpr_kernarg_segment_ptr 1
		.amdhsa_user_sgpr_dispatch_id 0
		.amdhsa_user_sgpr_kernarg_preload_length 0
		.amdhsa_user_sgpr_kernarg_preload_offset 0
		.amdhsa_user_sgpr_private_segment_size 0
		.amdhsa_uses_dynamic_stack 0
		.amdhsa_enable_private_segment 0
		.amdhsa_system_sgpr_workgroup_id_x 1
		.amdhsa_system_sgpr_workgroup_id_y 0
		.amdhsa_system_sgpr_workgroup_id_z 0
		.amdhsa_system_sgpr_workgroup_info 0
		.amdhsa_system_vgpr_workitem_id 0
		.amdhsa_next_free_vgpr 1
		.amdhsa_next_free_sgpr 0
		.amdhsa_accum_offset 4
		.amdhsa_reserve_vcc 0
		.amdhsa_float_round_mode_32 0
		.amdhsa_float_round_mode_16_64 0
		.amdhsa_float_denorm_mode_32 3
		.amdhsa_float_denorm_mode_16_64 3
		.amdhsa_dx10_clamp 1
		.amdhsa_ieee_mode 1
		.amdhsa_fp16_overflow 0
		.amdhsa_tg_split 0
		.amdhsa_exception_fp_ieee_invalid_op 0
		.amdhsa_exception_fp_denorm_src 0
		.amdhsa_exception_fp_ieee_div_zero 0
		.amdhsa_exception_fp_ieee_overflow 0
		.amdhsa_exception_fp_ieee_underflow 0
		.amdhsa_exception_fp_ieee_inexact 0
		.amdhsa_exception_int_div_zero 0
	.end_amdhsa_kernel
	.section	.text._ZN7rocprim17ROCPRIM_400000_NS6detail17trampoline_kernelINS0_14default_configENS1_25partition_config_selectorILNS1_17partition_subalgoE8EjNS0_10empty_typeEbEEZZNS1_14partition_implILS5_8ELb0ES3_jPKjPS6_PKS6_NS0_5tupleIJPjS6_EEENSE_IJSB_SB_EEENS0_18inequality_wrapperIN6hipcub16HIPCUB_304000_NS8EqualityEEEPlJS6_EEE10hipError_tPvRmT3_T4_T5_T6_T7_T9_mT8_P12ihipStream_tbDpT10_ENKUlT_T0_E_clISt17integral_constantIbLb1EES17_EEDaS12_S13_EUlS12_E_NS1_11comp_targetILNS1_3genE8ELNS1_11target_archE1030ELNS1_3gpuE2ELNS1_3repE0EEENS1_30default_config_static_selectorELNS0_4arch9wavefront6targetE1EEEvT1_,"axG",@progbits,_ZN7rocprim17ROCPRIM_400000_NS6detail17trampoline_kernelINS0_14default_configENS1_25partition_config_selectorILNS1_17partition_subalgoE8EjNS0_10empty_typeEbEEZZNS1_14partition_implILS5_8ELb0ES3_jPKjPS6_PKS6_NS0_5tupleIJPjS6_EEENSE_IJSB_SB_EEENS0_18inequality_wrapperIN6hipcub16HIPCUB_304000_NS8EqualityEEEPlJS6_EEE10hipError_tPvRmT3_T4_T5_T6_T7_T9_mT8_P12ihipStream_tbDpT10_ENKUlT_T0_E_clISt17integral_constantIbLb1EES17_EEDaS12_S13_EUlS12_E_NS1_11comp_targetILNS1_3genE8ELNS1_11target_archE1030ELNS1_3gpuE2ELNS1_3repE0EEENS1_30default_config_static_selectorELNS0_4arch9wavefront6targetE1EEEvT1_,comdat
.Lfunc_end632:
	.size	_ZN7rocprim17ROCPRIM_400000_NS6detail17trampoline_kernelINS0_14default_configENS1_25partition_config_selectorILNS1_17partition_subalgoE8EjNS0_10empty_typeEbEEZZNS1_14partition_implILS5_8ELb0ES3_jPKjPS6_PKS6_NS0_5tupleIJPjS6_EEENSE_IJSB_SB_EEENS0_18inequality_wrapperIN6hipcub16HIPCUB_304000_NS8EqualityEEEPlJS6_EEE10hipError_tPvRmT3_T4_T5_T6_T7_T9_mT8_P12ihipStream_tbDpT10_ENKUlT_T0_E_clISt17integral_constantIbLb1EES17_EEDaS12_S13_EUlS12_E_NS1_11comp_targetILNS1_3genE8ELNS1_11target_archE1030ELNS1_3gpuE2ELNS1_3repE0EEENS1_30default_config_static_selectorELNS0_4arch9wavefront6targetE1EEEvT1_, .Lfunc_end632-_ZN7rocprim17ROCPRIM_400000_NS6detail17trampoline_kernelINS0_14default_configENS1_25partition_config_selectorILNS1_17partition_subalgoE8EjNS0_10empty_typeEbEEZZNS1_14partition_implILS5_8ELb0ES3_jPKjPS6_PKS6_NS0_5tupleIJPjS6_EEENSE_IJSB_SB_EEENS0_18inequality_wrapperIN6hipcub16HIPCUB_304000_NS8EqualityEEEPlJS6_EEE10hipError_tPvRmT3_T4_T5_T6_T7_T9_mT8_P12ihipStream_tbDpT10_ENKUlT_T0_E_clISt17integral_constantIbLb1EES17_EEDaS12_S13_EUlS12_E_NS1_11comp_targetILNS1_3genE8ELNS1_11target_archE1030ELNS1_3gpuE2ELNS1_3repE0EEENS1_30default_config_static_selectorELNS0_4arch9wavefront6targetE1EEEvT1_
                                        ; -- End function
	.section	.AMDGPU.csdata,"",@progbits
; Kernel info:
; codeLenInByte = 0
; NumSgprs: 6
; NumVgprs: 0
; NumAgprs: 0
; TotalNumVgprs: 0
; ScratchSize: 0
; MemoryBound: 0
; FloatMode: 240
; IeeeMode: 1
; LDSByteSize: 0 bytes/workgroup (compile time only)
; SGPRBlocks: 0
; VGPRBlocks: 0
; NumSGPRsForWavesPerEU: 6
; NumVGPRsForWavesPerEU: 1
; AccumOffset: 4
; Occupancy: 8
; WaveLimiterHint : 0
; COMPUTE_PGM_RSRC2:SCRATCH_EN: 0
; COMPUTE_PGM_RSRC2:USER_SGPR: 2
; COMPUTE_PGM_RSRC2:TRAP_HANDLER: 0
; COMPUTE_PGM_RSRC2:TGID_X_EN: 1
; COMPUTE_PGM_RSRC2:TGID_Y_EN: 0
; COMPUTE_PGM_RSRC2:TGID_Z_EN: 0
; COMPUTE_PGM_RSRC2:TIDIG_COMP_CNT: 0
; COMPUTE_PGM_RSRC3_GFX90A:ACCUM_OFFSET: 0
; COMPUTE_PGM_RSRC3_GFX90A:TG_SPLIT: 0
	.section	.text._ZN7rocprim17ROCPRIM_400000_NS6detail17trampoline_kernelINS0_14default_configENS1_25partition_config_selectorILNS1_17partition_subalgoE8EjNS0_10empty_typeEbEEZZNS1_14partition_implILS5_8ELb0ES3_jPKjPS6_PKS6_NS0_5tupleIJPjS6_EEENSE_IJSB_SB_EEENS0_18inequality_wrapperIN6hipcub16HIPCUB_304000_NS8EqualityEEEPlJS6_EEE10hipError_tPvRmT3_T4_T5_T6_T7_T9_mT8_P12ihipStream_tbDpT10_ENKUlT_T0_E_clISt17integral_constantIbLb1EES16_IbLb0EEEEDaS12_S13_EUlS12_E_NS1_11comp_targetILNS1_3genE0ELNS1_11target_archE4294967295ELNS1_3gpuE0ELNS1_3repE0EEENS1_30default_config_static_selectorELNS0_4arch9wavefront6targetE1EEEvT1_,"axG",@progbits,_ZN7rocprim17ROCPRIM_400000_NS6detail17trampoline_kernelINS0_14default_configENS1_25partition_config_selectorILNS1_17partition_subalgoE8EjNS0_10empty_typeEbEEZZNS1_14partition_implILS5_8ELb0ES3_jPKjPS6_PKS6_NS0_5tupleIJPjS6_EEENSE_IJSB_SB_EEENS0_18inequality_wrapperIN6hipcub16HIPCUB_304000_NS8EqualityEEEPlJS6_EEE10hipError_tPvRmT3_T4_T5_T6_T7_T9_mT8_P12ihipStream_tbDpT10_ENKUlT_T0_E_clISt17integral_constantIbLb1EES16_IbLb0EEEEDaS12_S13_EUlS12_E_NS1_11comp_targetILNS1_3genE0ELNS1_11target_archE4294967295ELNS1_3gpuE0ELNS1_3repE0EEENS1_30default_config_static_selectorELNS0_4arch9wavefront6targetE1EEEvT1_,comdat
	.protected	_ZN7rocprim17ROCPRIM_400000_NS6detail17trampoline_kernelINS0_14default_configENS1_25partition_config_selectorILNS1_17partition_subalgoE8EjNS0_10empty_typeEbEEZZNS1_14partition_implILS5_8ELb0ES3_jPKjPS6_PKS6_NS0_5tupleIJPjS6_EEENSE_IJSB_SB_EEENS0_18inequality_wrapperIN6hipcub16HIPCUB_304000_NS8EqualityEEEPlJS6_EEE10hipError_tPvRmT3_T4_T5_T6_T7_T9_mT8_P12ihipStream_tbDpT10_ENKUlT_T0_E_clISt17integral_constantIbLb1EES16_IbLb0EEEEDaS12_S13_EUlS12_E_NS1_11comp_targetILNS1_3genE0ELNS1_11target_archE4294967295ELNS1_3gpuE0ELNS1_3repE0EEENS1_30default_config_static_selectorELNS0_4arch9wavefront6targetE1EEEvT1_ ; -- Begin function _ZN7rocprim17ROCPRIM_400000_NS6detail17trampoline_kernelINS0_14default_configENS1_25partition_config_selectorILNS1_17partition_subalgoE8EjNS0_10empty_typeEbEEZZNS1_14partition_implILS5_8ELb0ES3_jPKjPS6_PKS6_NS0_5tupleIJPjS6_EEENSE_IJSB_SB_EEENS0_18inequality_wrapperIN6hipcub16HIPCUB_304000_NS8EqualityEEEPlJS6_EEE10hipError_tPvRmT3_T4_T5_T6_T7_T9_mT8_P12ihipStream_tbDpT10_ENKUlT_T0_E_clISt17integral_constantIbLb1EES16_IbLb0EEEEDaS12_S13_EUlS12_E_NS1_11comp_targetILNS1_3genE0ELNS1_11target_archE4294967295ELNS1_3gpuE0ELNS1_3repE0EEENS1_30default_config_static_selectorELNS0_4arch9wavefront6targetE1EEEvT1_
	.globl	_ZN7rocprim17ROCPRIM_400000_NS6detail17trampoline_kernelINS0_14default_configENS1_25partition_config_selectorILNS1_17partition_subalgoE8EjNS0_10empty_typeEbEEZZNS1_14partition_implILS5_8ELb0ES3_jPKjPS6_PKS6_NS0_5tupleIJPjS6_EEENSE_IJSB_SB_EEENS0_18inequality_wrapperIN6hipcub16HIPCUB_304000_NS8EqualityEEEPlJS6_EEE10hipError_tPvRmT3_T4_T5_T6_T7_T9_mT8_P12ihipStream_tbDpT10_ENKUlT_T0_E_clISt17integral_constantIbLb1EES16_IbLb0EEEEDaS12_S13_EUlS12_E_NS1_11comp_targetILNS1_3genE0ELNS1_11target_archE4294967295ELNS1_3gpuE0ELNS1_3repE0EEENS1_30default_config_static_selectorELNS0_4arch9wavefront6targetE1EEEvT1_
	.p2align	8
	.type	_ZN7rocprim17ROCPRIM_400000_NS6detail17trampoline_kernelINS0_14default_configENS1_25partition_config_selectorILNS1_17partition_subalgoE8EjNS0_10empty_typeEbEEZZNS1_14partition_implILS5_8ELb0ES3_jPKjPS6_PKS6_NS0_5tupleIJPjS6_EEENSE_IJSB_SB_EEENS0_18inequality_wrapperIN6hipcub16HIPCUB_304000_NS8EqualityEEEPlJS6_EEE10hipError_tPvRmT3_T4_T5_T6_T7_T9_mT8_P12ihipStream_tbDpT10_ENKUlT_T0_E_clISt17integral_constantIbLb1EES16_IbLb0EEEEDaS12_S13_EUlS12_E_NS1_11comp_targetILNS1_3genE0ELNS1_11target_archE4294967295ELNS1_3gpuE0ELNS1_3repE0EEENS1_30default_config_static_selectorELNS0_4arch9wavefront6targetE1EEEvT1_,@function
_ZN7rocprim17ROCPRIM_400000_NS6detail17trampoline_kernelINS0_14default_configENS1_25partition_config_selectorILNS1_17partition_subalgoE8EjNS0_10empty_typeEbEEZZNS1_14partition_implILS5_8ELb0ES3_jPKjPS6_PKS6_NS0_5tupleIJPjS6_EEENSE_IJSB_SB_EEENS0_18inequality_wrapperIN6hipcub16HIPCUB_304000_NS8EqualityEEEPlJS6_EEE10hipError_tPvRmT3_T4_T5_T6_T7_T9_mT8_P12ihipStream_tbDpT10_ENKUlT_T0_E_clISt17integral_constantIbLb1EES16_IbLb0EEEEDaS12_S13_EUlS12_E_NS1_11comp_targetILNS1_3genE0ELNS1_11target_archE4294967295ELNS1_3gpuE0ELNS1_3repE0EEENS1_30default_config_static_selectorELNS0_4arch9wavefront6targetE1EEEvT1_: ; @_ZN7rocprim17ROCPRIM_400000_NS6detail17trampoline_kernelINS0_14default_configENS1_25partition_config_selectorILNS1_17partition_subalgoE8EjNS0_10empty_typeEbEEZZNS1_14partition_implILS5_8ELb0ES3_jPKjPS6_PKS6_NS0_5tupleIJPjS6_EEENSE_IJSB_SB_EEENS0_18inequality_wrapperIN6hipcub16HIPCUB_304000_NS8EqualityEEEPlJS6_EEE10hipError_tPvRmT3_T4_T5_T6_T7_T9_mT8_P12ihipStream_tbDpT10_ENKUlT_T0_E_clISt17integral_constantIbLb1EES16_IbLb0EEEEDaS12_S13_EUlS12_E_NS1_11comp_targetILNS1_3genE0ELNS1_11target_archE4294967295ELNS1_3gpuE0ELNS1_3repE0EEENS1_30default_config_static_selectorELNS0_4arch9wavefront6targetE1EEEvT1_
; %bb.0:
	.section	.rodata,"a",@progbits
	.p2align	6, 0x0
	.amdhsa_kernel _ZN7rocprim17ROCPRIM_400000_NS6detail17trampoline_kernelINS0_14default_configENS1_25partition_config_selectorILNS1_17partition_subalgoE8EjNS0_10empty_typeEbEEZZNS1_14partition_implILS5_8ELb0ES3_jPKjPS6_PKS6_NS0_5tupleIJPjS6_EEENSE_IJSB_SB_EEENS0_18inequality_wrapperIN6hipcub16HIPCUB_304000_NS8EqualityEEEPlJS6_EEE10hipError_tPvRmT3_T4_T5_T6_T7_T9_mT8_P12ihipStream_tbDpT10_ENKUlT_T0_E_clISt17integral_constantIbLb1EES16_IbLb0EEEEDaS12_S13_EUlS12_E_NS1_11comp_targetILNS1_3genE0ELNS1_11target_archE4294967295ELNS1_3gpuE0ELNS1_3repE0EEENS1_30default_config_static_selectorELNS0_4arch9wavefront6targetE1EEEvT1_
		.amdhsa_group_segment_fixed_size 0
		.amdhsa_private_segment_fixed_size 0
		.amdhsa_kernarg_size 112
		.amdhsa_user_sgpr_count 2
		.amdhsa_user_sgpr_dispatch_ptr 0
		.amdhsa_user_sgpr_queue_ptr 0
		.amdhsa_user_sgpr_kernarg_segment_ptr 1
		.amdhsa_user_sgpr_dispatch_id 0
		.amdhsa_user_sgpr_kernarg_preload_length 0
		.amdhsa_user_sgpr_kernarg_preload_offset 0
		.amdhsa_user_sgpr_private_segment_size 0
		.amdhsa_uses_dynamic_stack 0
		.amdhsa_enable_private_segment 0
		.amdhsa_system_sgpr_workgroup_id_x 1
		.amdhsa_system_sgpr_workgroup_id_y 0
		.amdhsa_system_sgpr_workgroup_id_z 0
		.amdhsa_system_sgpr_workgroup_info 0
		.amdhsa_system_vgpr_workitem_id 0
		.amdhsa_next_free_vgpr 1
		.amdhsa_next_free_sgpr 0
		.amdhsa_accum_offset 4
		.amdhsa_reserve_vcc 0
		.amdhsa_float_round_mode_32 0
		.amdhsa_float_round_mode_16_64 0
		.amdhsa_float_denorm_mode_32 3
		.amdhsa_float_denorm_mode_16_64 3
		.amdhsa_dx10_clamp 1
		.amdhsa_ieee_mode 1
		.amdhsa_fp16_overflow 0
		.amdhsa_tg_split 0
		.amdhsa_exception_fp_ieee_invalid_op 0
		.amdhsa_exception_fp_denorm_src 0
		.amdhsa_exception_fp_ieee_div_zero 0
		.amdhsa_exception_fp_ieee_overflow 0
		.amdhsa_exception_fp_ieee_underflow 0
		.amdhsa_exception_fp_ieee_inexact 0
		.amdhsa_exception_int_div_zero 0
	.end_amdhsa_kernel
	.section	.text._ZN7rocprim17ROCPRIM_400000_NS6detail17trampoline_kernelINS0_14default_configENS1_25partition_config_selectorILNS1_17partition_subalgoE8EjNS0_10empty_typeEbEEZZNS1_14partition_implILS5_8ELb0ES3_jPKjPS6_PKS6_NS0_5tupleIJPjS6_EEENSE_IJSB_SB_EEENS0_18inequality_wrapperIN6hipcub16HIPCUB_304000_NS8EqualityEEEPlJS6_EEE10hipError_tPvRmT3_T4_T5_T6_T7_T9_mT8_P12ihipStream_tbDpT10_ENKUlT_T0_E_clISt17integral_constantIbLb1EES16_IbLb0EEEEDaS12_S13_EUlS12_E_NS1_11comp_targetILNS1_3genE0ELNS1_11target_archE4294967295ELNS1_3gpuE0ELNS1_3repE0EEENS1_30default_config_static_selectorELNS0_4arch9wavefront6targetE1EEEvT1_,"axG",@progbits,_ZN7rocprim17ROCPRIM_400000_NS6detail17trampoline_kernelINS0_14default_configENS1_25partition_config_selectorILNS1_17partition_subalgoE8EjNS0_10empty_typeEbEEZZNS1_14partition_implILS5_8ELb0ES3_jPKjPS6_PKS6_NS0_5tupleIJPjS6_EEENSE_IJSB_SB_EEENS0_18inequality_wrapperIN6hipcub16HIPCUB_304000_NS8EqualityEEEPlJS6_EEE10hipError_tPvRmT3_T4_T5_T6_T7_T9_mT8_P12ihipStream_tbDpT10_ENKUlT_T0_E_clISt17integral_constantIbLb1EES16_IbLb0EEEEDaS12_S13_EUlS12_E_NS1_11comp_targetILNS1_3genE0ELNS1_11target_archE4294967295ELNS1_3gpuE0ELNS1_3repE0EEENS1_30default_config_static_selectorELNS0_4arch9wavefront6targetE1EEEvT1_,comdat
.Lfunc_end633:
	.size	_ZN7rocprim17ROCPRIM_400000_NS6detail17trampoline_kernelINS0_14default_configENS1_25partition_config_selectorILNS1_17partition_subalgoE8EjNS0_10empty_typeEbEEZZNS1_14partition_implILS5_8ELb0ES3_jPKjPS6_PKS6_NS0_5tupleIJPjS6_EEENSE_IJSB_SB_EEENS0_18inequality_wrapperIN6hipcub16HIPCUB_304000_NS8EqualityEEEPlJS6_EEE10hipError_tPvRmT3_T4_T5_T6_T7_T9_mT8_P12ihipStream_tbDpT10_ENKUlT_T0_E_clISt17integral_constantIbLb1EES16_IbLb0EEEEDaS12_S13_EUlS12_E_NS1_11comp_targetILNS1_3genE0ELNS1_11target_archE4294967295ELNS1_3gpuE0ELNS1_3repE0EEENS1_30default_config_static_selectorELNS0_4arch9wavefront6targetE1EEEvT1_, .Lfunc_end633-_ZN7rocprim17ROCPRIM_400000_NS6detail17trampoline_kernelINS0_14default_configENS1_25partition_config_selectorILNS1_17partition_subalgoE8EjNS0_10empty_typeEbEEZZNS1_14partition_implILS5_8ELb0ES3_jPKjPS6_PKS6_NS0_5tupleIJPjS6_EEENSE_IJSB_SB_EEENS0_18inequality_wrapperIN6hipcub16HIPCUB_304000_NS8EqualityEEEPlJS6_EEE10hipError_tPvRmT3_T4_T5_T6_T7_T9_mT8_P12ihipStream_tbDpT10_ENKUlT_T0_E_clISt17integral_constantIbLb1EES16_IbLb0EEEEDaS12_S13_EUlS12_E_NS1_11comp_targetILNS1_3genE0ELNS1_11target_archE4294967295ELNS1_3gpuE0ELNS1_3repE0EEENS1_30default_config_static_selectorELNS0_4arch9wavefront6targetE1EEEvT1_
                                        ; -- End function
	.section	.AMDGPU.csdata,"",@progbits
; Kernel info:
; codeLenInByte = 0
; NumSgprs: 6
; NumVgprs: 0
; NumAgprs: 0
; TotalNumVgprs: 0
; ScratchSize: 0
; MemoryBound: 0
; FloatMode: 240
; IeeeMode: 1
; LDSByteSize: 0 bytes/workgroup (compile time only)
; SGPRBlocks: 0
; VGPRBlocks: 0
; NumSGPRsForWavesPerEU: 6
; NumVGPRsForWavesPerEU: 1
; AccumOffset: 4
; Occupancy: 8
; WaveLimiterHint : 0
; COMPUTE_PGM_RSRC2:SCRATCH_EN: 0
; COMPUTE_PGM_RSRC2:USER_SGPR: 2
; COMPUTE_PGM_RSRC2:TRAP_HANDLER: 0
; COMPUTE_PGM_RSRC2:TGID_X_EN: 1
; COMPUTE_PGM_RSRC2:TGID_Y_EN: 0
; COMPUTE_PGM_RSRC2:TGID_Z_EN: 0
; COMPUTE_PGM_RSRC2:TIDIG_COMP_CNT: 0
; COMPUTE_PGM_RSRC3_GFX90A:ACCUM_OFFSET: 0
; COMPUTE_PGM_RSRC3_GFX90A:TG_SPLIT: 0
	.section	.text._ZN7rocprim17ROCPRIM_400000_NS6detail17trampoline_kernelINS0_14default_configENS1_25partition_config_selectorILNS1_17partition_subalgoE8EjNS0_10empty_typeEbEEZZNS1_14partition_implILS5_8ELb0ES3_jPKjPS6_PKS6_NS0_5tupleIJPjS6_EEENSE_IJSB_SB_EEENS0_18inequality_wrapperIN6hipcub16HIPCUB_304000_NS8EqualityEEEPlJS6_EEE10hipError_tPvRmT3_T4_T5_T6_T7_T9_mT8_P12ihipStream_tbDpT10_ENKUlT_T0_E_clISt17integral_constantIbLb1EES16_IbLb0EEEEDaS12_S13_EUlS12_E_NS1_11comp_targetILNS1_3genE5ELNS1_11target_archE942ELNS1_3gpuE9ELNS1_3repE0EEENS1_30default_config_static_selectorELNS0_4arch9wavefront6targetE1EEEvT1_,"axG",@progbits,_ZN7rocprim17ROCPRIM_400000_NS6detail17trampoline_kernelINS0_14default_configENS1_25partition_config_selectorILNS1_17partition_subalgoE8EjNS0_10empty_typeEbEEZZNS1_14partition_implILS5_8ELb0ES3_jPKjPS6_PKS6_NS0_5tupleIJPjS6_EEENSE_IJSB_SB_EEENS0_18inequality_wrapperIN6hipcub16HIPCUB_304000_NS8EqualityEEEPlJS6_EEE10hipError_tPvRmT3_T4_T5_T6_T7_T9_mT8_P12ihipStream_tbDpT10_ENKUlT_T0_E_clISt17integral_constantIbLb1EES16_IbLb0EEEEDaS12_S13_EUlS12_E_NS1_11comp_targetILNS1_3genE5ELNS1_11target_archE942ELNS1_3gpuE9ELNS1_3repE0EEENS1_30default_config_static_selectorELNS0_4arch9wavefront6targetE1EEEvT1_,comdat
	.protected	_ZN7rocprim17ROCPRIM_400000_NS6detail17trampoline_kernelINS0_14default_configENS1_25partition_config_selectorILNS1_17partition_subalgoE8EjNS0_10empty_typeEbEEZZNS1_14partition_implILS5_8ELb0ES3_jPKjPS6_PKS6_NS0_5tupleIJPjS6_EEENSE_IJSB_SB_EEENS0_18inequality_wrapperIN6hipcub16HIPCUB_304000_NS8EqualityEEEPlJS6_EEE10hipError_tPvRmT3_T4_T5_T6_T7_T9_mT8_P12ihipStream_tbDpT10_ENKUlT_T0_E_clISt17integral_constantIbLb1EES16_IbLb0EEEEDaS12_S13_EUlS12_E_NS1_11comp_targetILNS1_3genE5ELNS1_11target_archE942ELNS1_3gpuE9ELNS1_3repE0EEENS1_30default_config_static_selectorELNS0_4arch9wavefront6targetE1EEEvT1_ ; -- Begin function _ZN7rocprim17ROCPRIM_400000_NS6detail17trampoline_kernelINS0_14default_configENS1_25partition_config_selectorILNS1_17partition_subalgoE8EjNS0_10empty_typeEbEEZZNS1_14partition_implILS5_8ELb0ES3_jPKjPS6_PKS6_NS0_5tupleIJPjS6_EEENSE_IJSB_SB_EEENS0_18inequality_wrapperIN6hipcub16HIPCUB_304000_NS8EqualityEEEPlJS6_EEE10hipError_tPvRmT3_T4_T5_T6_T7_T9_mT8_P12ihipStream_tbDpT10_ENKUlT_T0_E_clISt17integral_constantIbLb1EES16_IbLb0EEEEDaS12_S13_EUlS12_E_NS1_11comp_targetILNS1_3genE5ELNS1_11target_archE942ELNS1_3gpuE9ELNS1_3repE0EEENS1_30default_config_static_selectorELNS0_4arch9wavefront6targetE1EEEvT1_
	.globl	_ZN7rocprim17ROCPRIM_400000_NS6detail17trampoline_kernelINS0_14default_configENS1_25partition_config_selectorILNS1_17partition_subalgoE8EjNS0_10empty_typeEbEEZZNS1_14partition_implILS5_8ELb0ES3_jPKjPS6_PKS6_NS0_5tupleIJPjS6_EEENSE_IJSB_SB_EEENS0_18inequality_wrapperIN6hipcub16HIPCUB_304000_NS8EqualityEEEPlJS6_EEE10hipError_tPvRmT3_T4_T5_T6_T7_T9_mT8_P12ihipStream_tbDpT10_ENKUlT_T0_E_clISt17integral_constantIbLb1EES16_IbLb0EEEEDaS12_S13_EUlS12_E_NS1_11comp_targetILNS1_3genE5ELNS1_11target_archE942ELNS1_3gpuE9ELNS1_3repE0EEENS1_30default_config_static_selectorELNS0_4arch9wavefront6targetE1EEEvT1_
	.p2align	8
	.type	_ZN7rocprim17ROCPRIM_400000_NS6detail17trampoline_kernelINS0_14default_configENS1_25partition_config_selectorILNS1_17partition_subalgoE8EjNS0_10empty_typeEbEEZZNS1_14partition_implILS5_8ELb0ES3_jPKjPS6_PKS6_NS0_5tupleIJPjS6_EEENSE_IJSB_SB_EEENS0_18inequality_wrapperIN6hipcub16HIPCUB_304000_NS8EqualityEEEPlJS6_EEE10hipError_tPvRmT3_T4_T5_T6_T7_T9_mT8_P12ihipStream_tbDpT10_ENKUlT_T0_E_clISt17integral_constantIbLb1EES16_IbLb0EEEEDaS12_S13_EUlS12_E_NS1_11comp_targetILNS1_3genE5ELNS1_11target_archE942ELNS1_3gpuE9ELNS1_3repE0EEENS1_30default_config_static_selectorELNS0_4arch9wavefront6targetE1EEEvT1_,@function
_ZN7rocprim17ROCPRIM_400000_NS6detail17trampoline_kernelINS0_14default_configENS1_25partition_config_selectorILNS1_17partition_subalgoE8EjNS0_10empty_typeEbEEZZNS1_14partition_implILS5_8ELb0ES3_jPKjPS6_PKS6_NS0_5tupleIJPjS6_EEENSE_IJSB_SB_EEENS0_18inequality_wrapperIN6hipcub16HIPCUB_304000_NS8EqualityEEEPlJS6_EEE10hipError_tPvRmT3_T4_T5_T6_T7_T9_mT8_P12ihipStream_tbDpT10_ENKUlT_T0_E_clISt17integral_constantIbLb1EES16_IbLb0EEEEDaS12_S13_EUlS12_E_NS1_11comp_targetILNS1_3genE5ELNS1_11target_archE942ELNS1_3gpuE9ELNS1_3repE0EEENS1_30default_config_static_selectorELNS0_4arch9wavefront6targetE1EEEvT1_: ; @_ZN7rocprim17ROCPRIM_400000_NS6detail17trampoline_kernelINS0_14default_configENS1_25partition_config_selectorILNS1_17partition_subalgoE8EjNS0_10empty_typeEbEEZZNS1_14partition_implILS5_8ELb0ES3_jPKjPS6_PKS6_NS0_5tupleIJPjS6_EEENSE_IJSB_SB_EEENS0_18inequality_wrapperIN6hipcub16HIPCUB_304000_NS8EqualityEEEPlJS6_EEE10hipError_tPvRmT3_T4_T5_T6_T7_T9_mT8_P12ihipStream_tbDpT10_ENKUlT_T0_E_clISt17integral_constantIbLb1EES16_IbLb0EEEEDaS12_S13_EUlS12_E_NS1_11comp_targetILNS1_3genE5ELNS1_11target_archE942ELNS1_3gpuE9ELNS1_3repE0EEENS1_30default_config_static_selectorELNS0_4arch9wavefront6targetE1EEEvT1_
; %bb.0:
	s_load_dwordx2 s[8:9], s[0:1], 0x50
	s_load_dwordx4 s[4:7], s[0:1], 0x8
	s_load_dwordx4 s[36:39], s[0:1], 0x40
	s_load_dword s3, s[0:1], 0x68
	s_waitcnt lgkmcnt(0)
	v_mov_b32_e32 v3, s9
	s_lshl_b64 s[10:11], s[6:7], 2
	s_add_u32 s10, s4, s10
	s_mul_i32 s9, s3, 0x1e00
	s_addc_u32 s11, s5, s11
	s_add_i32 s12, s3, -1
	s_add_i32 s3, s9, s6
	s_sub_i32 s3, s8, s3
	v_mov_b32_e32 v2, s8
	s_add_u32 s8, s6, s9
	s_addc_u32 s9, s7, 0
	s_cmp_eq_u32 s2, s12
	s_load_dwordx2 s[34:35], s[38:39], 0x0
	v_cmp_ge_u64_e32 vcc, s[8:9], v[2:3]
	s_cselect_b64 s[38:39], -1, 0
	s_mul_i32 s4, s2, 0x1e00
	s_mov_b32 s5, 0
	s_and_b64 s[42:43], s[38:39], vcc
	s_xor_b64 s[40:41], s[42:43], -1
	s_lshl_b64 s[4:5], s[4:5], 2
	s_add_u32 s4, s10, s4
	s_mov_b64 s[8:9], -1
	s_addc_u32 s5, s11, s5
	s_and_b64 vcc, exec, s[40:41]
	s_cbranch_vccz .LBB634_2
; %bb.1:
	v_lshlrev_b32_e32 v2, 2, v0
	v_mov_b32_e32 v3, 0
	v_lshl_add_u64 v[4:5], s[4:5], 0, v[2:3]
	v_add_co_u32_e32 v6, vcc, 0x1000, v4
	global_load_dword v1, v2, s[4:5]
	global_load_dword v3, v2, s[4:5] offset:2048
	v_addc_co_u32_e32 v7, vcc, 0, v5, vcc
	v_add_co_u32_e32 v8, vcc, 0x2000, v4
	s_mov_b64 s[8:9], 0
	s_nop 0
	v_addc_co_u32_e32 v9, vcc, 0, v5, vcc
	v_add_co_u32_e32 v10, vcc, 0x3000, v4
	s_nop 1
	v_addc_co_u32_e32 v11, vcc, 0, v5, vcc
	v_add_co_u32_e32 v12, vcc, 0x4000, v4
	s_nop 1
	v_addc_co_u32_e32 v13, vcc, 0, v5, vcc
	global_load_dword v14, v[6:7], off
	global_load_dword v15, v[6:7], off offset:2048
	global_load_dword v16, v[8:9], off
	global_load_dword v17, v[8:9], off offset:2048
	;; [unrolled: 2-line block ×4, first 2 shown]
	v_add_co_u32_e32 v6, vcc, 0x5000, v4
	s_nop 1
	v_addc_co_u32_e32 v7, vcc, 0, v5, vcc
	v_add_co_u32_e32 v8, vcc, 0x6000, v4
	s_nop 1
	v_addc_co_u32_e32 v9, vcc, 0, v5, vcc
	global_load_dword v10, v[6:7], off
	global_load_dword v11, v[6:7], off offset:2048
	global_load_dword v12, v[8:9], off
	global_load_dword v13, v[8:9], off offset:2048
	v_add_co_u32_e32 v4, vcc, 0x7000, v4
	s_nop 1
	v_addc_co_u32_e32 v5, vcc, 0, v5, vcc
	global_load_dword v4, v[4:5], off
	s_waitcnt vmcnt(13)
	ds_write2st64_b32 v2, v1, v3 offset1:8
	s_waitcnt vmcnt(11)
	ds_write2st64_b32 v2, v14, v15 offset0:16 offset1:24
	s_waitcnt vmcnt(9)
	ds_write2st64_b32 v2, v16, v17 offset0:32 offset1:40
	;; [unrolled: 2-line block ×6, first 2 shown]
	s_waitcnt vmcnt(0)
	ds_write_b32 v2, v4 offset:28672
	s_waitcnt lgkmcnt(0)
	s_barrier
.LBB634_2:
	s_andn2_b64 vcc, exec, s[8:9]
	s_addk_i32 s3, 0x1e00
	s_cbranch_vccnz .LBB634_34
; %bb.3:
	v_cmp_gt_u32_e32 vcc, s3, v0
                                        ; implicit-def: $vgpr2_vgpr3_vgpr4_vgpr5_vgpr6_vgpr7_vgpr8_vgpr9_vgpr10_vgpr11_vgpr12_vgpr13_vgpr14_vgpr15_vgpr16_vgpr17
	s_and_saveexec_b64 s[8:9], vcc
	s_cbranch_execz .LBB634_5
; %bb.4:
	v_lshlrev_b32_e32 v1, 2, v0
	global_load_dword v2, v1, s[4:5]
.LBB634_5:
	s_or_b64 exec, exec, s[8:9]
	v_or_b32_e32 v1, 0x200, v0
	v_cmp_gt_u32_e32 vcc, s3, v1
	s_and_saveexec_b64 s[8:9], vcc
	s_cbranch_execz .LBB634_7
; %bb.6:
	v_lshlrev_b32_e32 v1, 2, v0
	global_load_dword v3, v1, s[4:5] offset:2048
.LBB634_7:
	s_or_b64 exec, exec, s[8:9]
	v_or_b32_e32 v1, 0x400, v0
	v_cmp_gt_u32_e32 vcc, s3, v1
	s_and_saveexec_b64 s[8:9], vcc
	s_cbranch_execz .LBB634_9
; %bb.8:
	v_lshlrev_b32_e32 v1, 2, v1
	global_load_dword v4, v1, s[4:5]
.LBB634_9:
	s_or_b64 exec, exec, s[8:9]
	v_or_b32_e32 v1, 0x600, v0
	v_cmp_gt_u32_e32 vcc, s3, v1
	s_and_saveexec_b64 s[8:9], vcc
	s_cbranch_execz .LBB634_11
; %bb.10:
	v_lshlrev_b32_e32 v1, 2, v1
	global_load_dword v5, v1, s[4:5]
.LBB634_11:
	s_or_b64 exec, exec, s[8:9]
	v_or_b32_e32 v1, 0x800, v0
	v_cmp_gt_u32_e32 vcc, s3, v1
	s_and_saveexec_b64 s[8:9], vcc
	s_cbranch_execz .LBB634_13
; %bb.12:
	v_lshlrev_b32_e32 v1, 2, v1
	global_load_dword v6, v1, s[4:5]
.LBB634_13:
	s_or_b64 exec, exec, s[8:9]
	v_or_b32_e32 v1, 0xa00, v0
	v_cmp_gt_u32_e32 vcc, s3, v1
	s_and_saveexec_b64 s[8:9], vcc
	s_cbranch_execz .LBB634_15
; %bb.14:
	v_lshlrev_b32_e32 v1, 2, v1
	global_load_dword v7, v1, s[4:5]
.LBB634_15:
	s_or_b64 exec, exec, s[8:9]
	v_or_b32_e32 v1, 0xc00, v0
	v_cmp_gt_u32_e32 vcc, s3, v1
	s_and_saveexec_b64 s[8:9], vcc
	s_cbranch_execz .LBB634_17
; %bb.16:
	v_lshlrev_b32_e32 v1, 2, v1
	global_load_dword v8, v1, s[4:5]
.LBB634_17:
	s_or_b64 exec, exec, s[8:9]
	v_or_b32_e32 v1, 0xe00, v0
	v_cmp_gt_u32_e32 vcc, s3, v1
	s_and_saveexec_b64 s[8:9], vcc
	s_cbranch_execz .LBB634_19
; %bb.18:
	v_lshlrev_b32_e32 v1, 2, v1
	global_load_dword v9, v1, s[4:5]
.LBB634_19:
	s_or_b64 exec, exec, s[8:9]
	v_or_b32_e32 v1, 0x1000, v0
	v_cmp_gt_u32_e32 vcc, s3, v1
	s_and_saveexec_b64 s[8:9], vcc
	s_cbranch_execz .LBB634_21
; %bb.20:
	v_lshlrev_b32_e32 v1, 2, v1
	global_load_dword v10, v1, s[4:5]
.LBB634_21:
	s_or_b64 exec, exec, s[8:9]
	v_or_b32_e32 v1, 0x1200, v0
	v_cmp_gt_u32_e32 vcc, s3, v1
	s_and_saveexec_b64 s[8:9], vcc
	s_cbranch_execz .LBB634_23
; %bb.22:
	v_lshlrev_b32_e32 v1, 2, v1
	global_load_dword v11, v1, s[4:5]
.LBB634_23:
	s_or_b64 exec, exec, s[8:9]
	v_or_b32_e32 v1, 0x1400, v0
	v_cmp_gt_u32_e32 vcc, s3, v1
	s_and_saveexec_b64 s[8:9], vcc
	s_cbranch_execz .LBB634_25
; %bb.24:
	v_lshlrev_b32_e32 v1, 2, v1
	global_load_dword v12, v1, s[4:5]
.LBB634_25:
	s_or_b64 exec, exec, s[8:9]
	v_or_b32_e32 v1, 0x1600, v0
	v_cmp_gt_u32_e32 vcc, s3, v1
	s_and_saveexec_b64 s[8:9], vcc
	s_cbranch_execz .LBB634_27
; %bb.26:
	v_lshlrev_b32_e32 v1, 2, v1
	global_load_dword v13, v1, s[4:5]
.LBB634_27:
	s_or_b64 exec, exec, s[8:9]
	v_or_b32_e32 v1, 0x1800, v0
	v_cmp_gt_u32_e32 vcc, s3, v1
	s_and_saveexec_b64 s[8:9], vcc
	s_cbranch_execz .LBB634_29
; %bb.28:
	v_lshlrev_b32_e32 v1, 2, v1
	global_load_dword v14, v1, s[4:5]
.LBB634_29:
	s_or_b64 exec, exec, s[8:9]
	v_or_b32_e32 v1, 0x1a00, v0
	v_cmp_gt_u32_e32 vcc, s3, v1
	s_and_saveexec_b64 s[8:9], vcc
	s_cbranch_execz .LBB634_31
; %bb.30:
	v_lshlrev_b32_e32 v1, 2, v1
	global_load_dword v15, v1, s[4:5]
.LBB634_31:
	s_or_b64 exec, exec, s[8:9]
	v_or_b32_e32 v1, 0x1c00, v0
	v_cmp_gt_u32_e32 vcc, s3, v1
	s_and_saveexec_b64 s[8:9], vcc
	s_cbranch_execz .LBB634_33
; %bb.32:
	v_lshlrev_b32_e32 v1, 2, v1
	global_load_dword v16, v1, s[4:5]
.LBB634_33:
	s_or_b64 exec, exec, s[8:9]
	v_lshlrev_b32_e32 v1, 2, v0
	s_waitcnt vmcnt(0)
	ds_write2st64_b32 v1, v2, v3 offset1:8
	ds_write2st64_b32 v1, v4, v5 offset0:16 offset1:24
	ds_write2st64_b32 v1, v6, v7 offset0:32 offset1:40
	ds_write2st64_b32 v1, v8, v9 offset0:48 offset1:56
	ds_write2st64_b32 v1, v10, v11 offset0:64 offset1:72
	ds_write2st64_b32 v1, v12, v13 offset0:80 offset1:88
	ds_write2st64_b32 v1, v14, v15 offset0:96 offset1:104
	ds_write_b32 v1, v16 offset:28672
	s_waitcnt lgkmcnt(0)
	s_barrier
.LBB634_34:
	v_mul_u32_u24_e32 v10, 15, v0
	v_lshlrev_b32_e32 v17, 2, v10
	s_waitcnt lgkmcnt(0)
	ds_read2_b32 v[30:31], v17 offset1:1
	ds_read2_b32 v[28:29], v17 offset0:2 offset1:3
	ds_read2_b32 v[26:27], v17 offset0:4 offset1:5
	;; [unrolled: 1-line block ×6, first 2 shown]
	ds_read_b32 v1, v17 offset:56
	s_cmp_lg_u32 s2, 0
	s_cselect_b64 s[44:45], -1, 0
	s_cmp_lg_u64 s[6:7], 0
	s_cselect_b64 s[6:7], -1, 0
	s_or_b64 s[6:7], s[44:45], s[6:7]
	v_mad_u32_u24 v15, v0, 15, 1
	v_mad_u32_u24 v11, v0, 15, 2
	;; [unrolled: 1-line block ×14, first 2 shown]
	s_mov_b64 s[46:47], 0
	s_and_b64 vcc, exec, s[6:7]
	s_waitcnt lgkmcnt(0)
	s_barrier
	s_cbranch_vccz .LBB634_39
; %bb.35:
	s_add_u32 s4, s4, -4
	s_addc_u32 s5, s5, -1
	s_load_dword s8, s[4:5], 0x0
	v_lshlrev_b32_e32 v32, 2, v0
	s_and_b64 vcc, exec, s[40:41]
	ds_write_b32 v32, v1
	s_cbranch_vccz .LBB634_41
; %bb.36:
	v_cmp_ne_u32_e32 vcc, 0, v0
	s_waitcnt lgkmcnt(0)
	v_mov_b32_e32 v33, s8
	s_barrier
	s_and_saveexec_b64 s[4:5], vcc
	s_cbranch_execz .LBB634_38
; %bb.37:
	v_add_u32_e32 v33, -4, v32
	ds_read_b32 v33, v33
.LBB634_38:
	s_or_b64 exec, exec, s[4:5]
	v_cmp_ne_u32_e32 vcc, v19, v1
	s_waitcnt lgkmcnt(0)
	v_cmp_ne_u32_e64 s[4:5], v33, v30
	v_cndmask_b32_e64 v35, 0, 1, vcc
	v_cmp_ne_u32_e32 vcc, v18, v19
	s_nop 1
	v_cndmask_b32_e64 v36, 0, 1, vcc
	v_cmp_ne_u32_e32 vcc, v21, v18
	s_nop 1
	;; [unrolled: 3-line block ×13, first 2 shown]
	v_cndmask_b32_e64 v48, 0, 1, vcc
	s_branch .LBB634_45
.LBB634_39:
                                        ; implicit-def: $sgpr4_sgpr5
                                        ; implicit-def: $vgpr35
                                        ; implicit-def: $vgpr36
                                        ; implicit-def: $vgpr37
                                        ; implicit-def: $vgpr38
                                        ; implicit-def: $vgpr39
                                        ; implicit-def: $vgpr40
                                        ; implicit-def: $vgpr41
                                        ; implicit-def: $vgpr42
                                        ; implicit-def: $vgpr48
                                        ; implicit-def: $vgpr47
                                        ; implicit-def: $vgpr46
                                        ; implicit-def: $vgpr45
                                        ; implicit-def: $vgpr44
                                        ; implicit-def: $vgpr43
	s_branch .LBB634_46
.LBB634_40:
                                        ; implicit-def: $sgpr8
	s_branch .LBB634_54
.LBB634_41:
                                        ; implicit-def: $sgpr4_sgpr5
                                        ; implicit-def: $vgpr35
                                        ; implicit-def: $vgpr36
                                        ; implicit-def: $vgpr37
                                        ; implicit-def: $vgpr38
                                        ; implicit-def: $vgpr39
                                        ; implicit-def: $vgpr40
                                        ; implicit-def: $vgpr41
                                        ; implicit-def: $vgpr42
                                        ; implicit-def: $vgpr48
                                        ; implicit-def: $vgpr47
                                        ; implicit-def: $vgpr46
                                        ; implicit-def: $vgpr45
                                        ; implicit-def: $vgpr44
                                        ; implicit-def: $vgpr43
	s_cbranch_execz .LBB634_45
; %bb.42:
	v_cmp_ne_u32_e32 vcc, 0, v0
	s_waitcnt lgkmcnt(0)
	v_mov_b32_e32 v33, s8
	s_barrier
	s_and_saveexec_b64 s[4:5], vcc
	s_cbranch_execz .LBB634_44
; %bb.43:
	v_add_u32_e32 v32, -4, v32
	ds_read_b32 v33, v32
.LBB634_44:
	s_or_b64 exec, exec, s[4:5]
	v_cmp_gt_u32_e32 vcc, s3, v2
	v_cmp_ne_u32_e64 s[4:5], v19, v1
	s_and_b64 s[4:5], vcc, s[4:5]
	v_cmp_gt_u32_e32 vcc, s3, v5
	v_cndmask_b32_e64 v35, 0, 1, s[4:5]
	v_cmp_ne_u32_e64 s[4:5], v18, v19
	s_and_b64 s[4:5], vcc, s[4:5]
	v_cmp_gt_u32_e32 vcc, s3, v4
	v_cndmask_b32_e64 v36, 0, 1, s[4:5]
	;; [unrolled: 4-line block ×14, first 2 shown]
	s_waitcnt lgkmcnt(0)
	v_cmp_ne_u32_e64 s[4:5], v33, v30
	s_and_b64 s[4:5], vcc, s[4:5]
.LBB634_45:
	s_mov_b64 s[46:47], -1
	s_cbranch_execnz .LBB634_40
.LBB634_46:
	s_movk_i32 s4, 0xffc8
	v_mad_i32_i24 v17, v0, s4, v17
	s_and_b64 vcc, exec, s[40:41]
	v_cmp_ne_u32_e64 s[30:31], v19, v1
	v_cmp_ne_u32_e64 s[4:5], v18, v19
	;; [unrolled: 1-line block ×3, first 2 shown]
	s_waitcnt lgkmcnt(0)
	v_cmp_ne_u32_e64 s[8:9], v20, v21
	v_cmp_ne_u32_e64 s[10:11], v23, v20
	;; [unrolled: 1-line block ×11, first 2 shown]
	ds_write_b32 v17, v1
	s_cbranch_vccz .LBB634_50
; %bb.47:
	v_cndmask_b32_e64 v35, 0, 1, s[30:31]
	v_cndmask_b32_e64 v36, 0, 1, s[4:5]
	;; [unrolled: 1-line block ×14, first 2 shown]
	v_cmp_ne_u32_e32 vcc, 0, v0
	s_waitcnt lgkmcnt(0)
	s_barrier
	s_waitcnt lgkmcnt(0)
                                        ; implicit-def: $sgpr4_sgpr5
	s_and_saveexec_b64 s[6:7], vcc
	s_xor_b64 s[6:7], exec, s[6:7]
	s_cbranch_execz .LBB634_49
; %bb.48:
	v_add_u32_e32 v32, -4, v17
	ds_read_b32 v32, v32
	s_or_b64 s[46:47], s[46:47], exec
	s_waitcnt lgkmcnt(0)
	v_cmp_ne_u32_e32 vcc, v32, v30
	s_and_b64 s[4:5], vcc, exec
.LBB634_49:
	s_or_b64 exec, exec, s[6:7]
	s_mov_b32 s8, 1
	s_branch .LBB634_54
.LBB634_50:
                                        ; implicit-def: $sgpr4_sgpr5
                                        ; implicit-def: $vgpr35
                                        ; implicit-def: $vgpr36
                                        ; implicit-def: $vgpr37
                                        ; implicit-def: $vgpr38
                                        ; implicit-def: $vgpr39
                                        ; implicit-def: $vgpr40
                                        ; implicit-def: $vgpr41
                                        ; implicit-def: $vgpr42
                                        ; implicit-def: $vgpr48
                                        ; implicit-def: $vgpr47
                                        ; implicit-def: $vgpr46
                                        ; implicit-def: $vgpr45
                                        ; implicit-def: $vgpr44
                                        ; implicit-def: $vgpr43
                                        ; implicit-def: $sgpr8
	s_cbranch_execz .LBB634_54
; %bb.51:
	v_cmp_gt_u32_e32 vcc, s3, v2
	v_cmp_ne_u32_e64 s[4:5], v19, v1
	s_and_b64 s[4:5], vcc, s[4:5]
	v_cmp_gt_u32_e32 vcc, s3, v5
	v_cndmask_b32_e64 v35, 0, 1, s[4:5]
	v_cmp_ne_u32_e64 s[4:5], v18, v19
	s_and_b64 s[4:5], vcc, s[4:5]
	v_cmp_gt_u32_e32 vcc, s3, v4
	v_cndmask_b32_e64 v36, 0, 1, s[4:5]
	;; [unrolled: 4-line block ×13, first 2 shown]
	v_cmp_ne_u32_e64 s[4:5], v30, v31
	s_and_b64 s[4:5], vcc, s[4:5]
	v_cmp_ne_u32_e32 vcc, 0, v0
	v_cndmask_b32_e64 v48, 0, 1, s[4:5]
	s_waitcnt lgkmcnt(0)
	s_barrier
	s_waitcnt lgkmcnt(0)
                                        ; implicit-def: $sgpr4_sgpr5
	s_and_saveexec_b64 s[6:7], vcc
	s_cbranch_execz .LBB634_53
; %bb.52:
	v_add_u32_e32 v17, -4, v17
	ds_read_b32 v17, v17
	v_cmp_gt_u32_e32 vcc, s3, v10
	s_or_b64 s[46:47], s[46:47], exec
	s_waitcnt lgkmcnt(0)
	v_cmp_ne_u32_e64 s[4:5], v17, v30
	s_and_b64 s[4:5], vcc, s[4:5]
	s_and_b64 s[4:5], s[4:5], exec
.LBB634_53:
	s_or_b64 exec, exec, s[6:7]
	s_mov_b32 s8, 1
.LBB634_54:
	s_waitcnt lgkmcnt(0)
	v_mov_b32_e32 v49, s8
	s_and_saveexec_b64 s[6:7], s[46:47]
; %bb.55:
	v_cndmask_b32_e64 v49, 0, 1, s[4:5]
; %bb.56:
	s_or_b64 exec, exec, s[6:7]
	s_load_dwordx2 s[20:21], s[0:1], 0x60
	s_andn2_b64 vcc, exec, s[42:43]
	s_cbranch_vccnz .LBB634_58
; %bb.57:
	v_cmp_gt_u32_e32 vcc, s3, v10
	s_nop 1
	v_cndmask_b32_e32 v49, 0, v49, vcc
	v_cmp_gt_u32_e32 vcc, s3, v15
	s_nop 1
	v_cndmask_b32_e32 v48, 0, v48, vcc
	;; [unrolled: 3-line block ×15, first 2 shown]
.LBB634_58:
	v_and_b32_e32 v54, 0xff, v45
	v_and_b32_e32 v55, 0xff, v44
	;; [unrolled: 1-line block ×5, first 2 shown]
	v_add3_u32 v3, v55, v56, v54
	v_and_b32_e32 v50, 0xff, v49
	v_and_b32_e32 v51, 0xff, v48
	v_add3_u32 v3, v3, v53, v52
	v_and_b32_e32 v57, 0xff, v42
	v_and_b32_e32 v58, 0xff, v41
	;; [unrolled: 3-line block ×5, first 2 shown]
	v_add3_u32 v3, v3, v61, v62
	v_add3_u32 v66, v3, v63, v2
	v_mbcnt_lo_u32_b32 v2, -1, 0
	v_mbcnt_hi_u32_b32 v64, -1, v2
	v_and_b32_e32 v2, 15, v64
	v_cmp_eq_u32_e64 s[14:15], 0, v2
	v_cmp_lt_u32_e64 s[12:13], 1, v2
	v_cmp_lt_u32_e64 s[10:11], 3, v2
	;; [unrolled: 1-line block ×3, first 2 shown]
	v_and_b32_e32 v2, 16, v64
	v_cmp_eq_u32_e64 s[6:7], 0, v2
	v_or_b32_e32 v2, 63, v0
	v_cmp_lt_u32_e64 s[18:19], 31, v64
	v_lshrrev_b32_e32 v65, 6, v0
	v_cmp_eq_u32_e64 s[4:5], v2, v0
	s_and_b64 vcc, exec, s[44:45]
	s_waitcnt lgkmcnt(0)
	s_barrier
	s_cbranch_vccz .LBB634_89
; %bb.59:
	v_mov_b32_dpp v2, v66 row_shr:1 row_mask:0xf bank_mask:0xf
	v_cndmask_b32_e64 v2, v2, 0, s[14:15]
	v_add_u32_e32 v2, v2, v66
	s_nop 1
	v_mov_b32_dpp v3, v2 row_shr:2 row_mask:0xf bank_mask:0xf
	v_cndmask_b32_e64 v3, 0, v3, s[12:13]
	v_add_u32_e32 v2, v2, v3
	s_nop 1
	v_mov_b32_dpp v3, v2 row_shr:4 row_mask:0xf bank_mask:0xf
	v_cndmask_b32_e64 v3, 0, v3, s[10:11]
	v_add_u32_e32 v2, v2, v3
	s_nop 1
	v_mov_b32_dpp v3, v2 row_shr:8 row_mask:0xf bank_mask:0xf
	v_cndmask_b32_e64 v3, 0, v3, s[8:9]
	v_add_u32_e32 v2, v2, v3
	s_nop 1
	v_mov_b32_dpp v3, v2 row_bcast:15 row_mask:0xf bank_mask:0xf
	v_cndmask_b32_e64 v3, v3, 0, s[6:7]
	v_add_u32_e32 v2, v2, v3
	s_nop 1
	v_mov_b32_dpp v3, v2 row_bcast:31 row_mask:0xf bank_mask:0xf
	v_cndmask_b32_e64 v3, 0, v3, s[18:19]
	v_add_u32_e32 v2, v2, v3
	s_and_saveexec_b64 s[16:17], s[4:5]
	s_cbranch_execz .LBB634_61
; %bb.60:
	v_lshlrev_b32_e32 v3, 2, v65
	ds_write_b32 v3, v2
.LBB634_61:
	s_or_b64 exec, exec, s[16:17]
	v_cmp_gt_u32_e32 vcc, 8, v0
	s_waitcnt lgkmcnt(0)
	s_barrier
	s_and_saveexec_b64 s[16:17], vcc
	s_cbranch_execz .LBB634_63
; %bb.62:
	v_lshlrev_b32_e32 v3, 2, v0
	ds_read_b32 v4, v3
	v_and_b32_e32 v5, 7, v64
	v_cmp_ne_u32_e32 vcc, 0, v5
	s_waitcnt lgkmcnt(0)
	v_mov_b32_dpp v6, v4 row_shr:1 row_mask:0xf bank_mask:0xf
	v_cndmask_b32_e32 v6, 0, v6, vcc
	v_add_u32_e32 v4, v6, v4
	v_cmp_lt_u32_e32 vcc, 1, v5
	s_nop 0
	v_mov_b32_dpp v6, v4 row_shr:2 row_mask:0xf bank_mask:0xf
	v_cndmask_b32_e32 v6, 0, v6, vcc
	v_add_u32_e32 v4, v4, v6
	v_cmp_lt_u32_e32 vcc, 3, v5
	s_nop 0
	v_mov_b32_dpp v6, v4 row_shr:4 row_mask:0xf bank_mask:0xf
	v_cndmask_b32_e32 v5, 0, v6, vcc
	v_add_u32_e32 v4, v4, v5
	ds_write_b32 v3, v4
.LBB634_63:
	s_or_b64 exec, exec, s[16:17]
	v_cmp_gt_u32_e32 vcc, 64, v0
	v_cmp_lt_u32_e64 s[16:17], 63, v0
	s_waitcnt lgkmcnt(0)
	s_barrier
	s_waitcnt lgkmcnt(0)
                                        ; implicit-def: $vgpr12
	s_and_saveexec_b64 s[22:23], s[16:17]
	s_cbranch_execz .LBB634_65
; %bb.64:
	v_lshl_add_u32 v3, v65, 2, -4
	ds_read_b32 v12, v3
	s_waitcnt lgkmcnt(0)
	v_add_u32_e32 v2, v12, v2
.LBB634_65:
	s_or_b64 exec, exec, s[22:23]
	v_add_u32_e32 v3, -1, v64
	v_and_b32_e32 v4, 64, v64
	v_cmp_lt_i32_e64 s[16:17], v3, v4
	s_nop 1
	v_cndmask_b32_e64 v3, v3, v64, s[16:17]
	v_lshlrev_b32_e32 v3, 2, v3
	ds_bpermute_b32 v13, v3, v2
	v_cmp_eq_u32_e64 s[16:17], 0, v64
	s_and_saveexec_b64 s[22:23], vcc
	s_cbranch_execz .LBB634_88
; %bb.66:
	v_mov_b32_e32 v11, 0
	ds_read_b32 v2, v11 offset:28
	s_and_saveexec_b64 s[24:25], s[16:17]
	s_cbranch_execz .LBB634_68
; %bb.67:
	s_add_i32 s26, s2, 64
	s_mov_b32 s27, 0
	s_lshl_b64 s[26:27], s[26:27], 3
	s_add_u32 s26, s20, s26
	v_mov_b32_e32 v3, 1
	s_addc_u32 s27, s21, s27
	s_waitcnt lgkmcnt(0)
	global_store_dwordx2 v11, v[2:3], s[26:27] sc1
.LBB634_68:
	s_or_b64 exec, exec, s[24:25]
	v_xad_u32 v4, v64, -1, s2
	v_add_u32_e32 v10, 64, v4
	v_lshl_add_u64 v[6:7], v[10:11], 3, s[20:21]
	global_load_dwordx2 v[8:9], v[6:7], off sc1
	s_waitcnt vmcnt(0)
	v_cmp_eq_u16_sdwa s[26:27], v9, v11 src0_sel:BYTE_0 src1_sel:DWORD
	s_and_saveexec_b64 s[24:25], s[26:27]
	s_cbranch_execz .LBB634_74
; %bb.69:
	s_mov_b32 s3, 1
	s_mov_b64 s[26:27], 0
	v_mov_b32_e32 v3, 0
.LBB634_70:                             ; =>This Loop Header: Depth=1
                                        ;     Child Loop BB634_71 Depth 2
	s_max_u32 s28, s3, 1
.LBB634_71:                             ;   Parent Loop BB634_70 Depth=1
                                        ; =>  This Inner Loop Header: Depth=2
	s_add_i32 s28, s28, -1
	s_cmp_eq_u32 s28, 0
	s_sleep 1
	s_cbranch_scc0 .LBB634_71
; %bb.72:                               ;   in Loop: Header=BB634_70 Depth=1
	global_load_dwordx2 v[8:9], v[6:7], off sc1
	s_cmp_lt_u32 s3, 32
	s_cselect_b64 s[28:29], -1, 0
	s_cmp_lg_u64 s[28:29], 0
	s_addc_u32 s3, s3, 0
	s_waitcnt vmcnt(0)
	v_cmp_ne_u16_sdwa s[28:29], v9, v3 src0_sel:BYTE_0 src1_sel:DWORD
	s_or_b64 s[26:27], s[28:29], s[26:27]
	s_andn2_b64 exec, exec, s[26:27]
	s_cbranch_execnz .LBB634_70
; %bb.73:
	s_or_b64 exec, exec, s[26:27]
.LBB634_74:
	s_or_b64 exec, exec, s[24:25]
	v_and_b32_e32 v15, 63, v64
	v_mov_b32_e32 v14, 2
	v_cmp_ne_u32_e32 vcc, 63, v15
	v_cmp_eq_u16_sdwa s[24:25], v9, v14 src0_sel:BYTE_0 src1_sel:DWORD
	v_lshlrev_b64 v[6:7], v64, -1
	v_addc_co_u32_e32 v10, vcc, 0, v64, vcc
	v_and_b32_e32 v3, s25, v7
	v_lshlrev_b32_e32 v16, 2, v10
	v_or_b32_e32 v3, 0x80000000, v3
	ds_bpermute_b32 v10, v16, v8
	v_and_b32_e32 v5, s24, v6
	v_ffbl_b32_e32 v3, v3
	v_add_u32_e32 v3, 32, v3
	v_ffbl_b32_e32 v5, v5
	v_min_u32_e32 v3, v5, v3
	v_cmp_lt_u32_e32 vcc, v15, v3
	v_add_u32_e32 v32, 2, v15
	v_add_u32_e32 v34, 4, v15
	s_waitcnt lgkmcnt(0)
	v_cndmask_b32_e32 v5, 0, v10, vcc
	v_cmp_gt_u32_e32 vcc, 62, v15
	v_add_u32_e32 v5, v5, v8
	v_add_u32_e32 v68, 8, v15
	v_cndmask_b32_e64 v8, 0, 1, vcc
	v_lshlrev_b32_e32 v8, 1, v8
	v_add_lshl_u32 v17, v8, v64, 2
	ds_bpermute_b32 v8, v17, v5
	v_cmp_le_u32_e32 vcc, v32, v3
	v_add_u32_e32 v70, 16, v15
	v_add_u32_e32 v72, 32, v15
	s_waitcnt lgkmcnt(0)
	v_cndmask_b32_e32 v8, 0, v8, vcc
	v_cmp_gt_u32_e32 vcc, 60, v15
	v_add_u32_e32 v5, v5, v8
	s_nop 0
	v_cndmask_b32_e64 v8, 0, 1, vcc
	v_lshlrev_b32_e32 v8, 2, v8
	v_add_lshl_u32 v33, v8, v64, 2
	ds_bpermute_b32 v8, v33, v5
	v_cmp_le_u32_e32 vcc, v34, v3
	s_waitcnt lgkmcnt(0)
	s_nop 0
	v_cndmask_b32_e32 v8, 0, v8, vcc
	v_cmp_gt_u32_e32 vcc, 56, v15
	v_add_u32_e32 v5, v5, v8
	s_nop 0
	v_cndmask_b32_e64 v8, 0, 1, vcc
	v_lshlrev_b32_e32 v8, 3, v8
	v_add_lshl_u32 v67, v8, v64, 2
	ds_bpermute_b32 v8, v67, v5
	v_cmp_le_u32_e32 vcc, v68, v3
	s_waitcnt lgkmcnt(0)
	s_nop 0
	v_cndmask_b32_e32 v8, 0, v8, vcc
	v_cmp_gt_u32_e32 vcc, 48, v15
	v_add_u32_e32 v5, v5, v8
	s_nop 0
	v_cndmask_b32_e64 v8, 0, 1, vcc
	v_lshlrev_b32_e32 v8, 4, v8
	v_add_lshl_u32 v69, v8, v64, 2
	ds_bpermute_b32 v8, v69, v5
	v_cmp_le_u32_e32 vcc, v70, v3
	s_waitcnt lgkmcnt(0)
	s_nop 0
	v_cndmask_b32_e32 v8, 0, v8, vcc
	v_cmp_gt_u32_e32 vcc, 32, v15
	v_add_u32_e32 v5, v5, v8
	s_nop 0
	v_cndmask_b32_e64 v8, 0, 1, vcc
	v_lshlrev_b32_e32 v8, 5, v8
	v_add_lshl_u32 v71, v8, v64, 2
	ds_bpermute_b32 v8, v71, v5
	v_cmp_le_u32_e32 vcc, v72, v3
	s_waitcnt lgkmcnt(0)
	s_nop 0
	v_cndmask_b32_e32 v3, 0, v8, vcc
	v_add_u32_e32 v8, v5, v3
	v_mov_b32_e32 v5, 0
	s_branch .LBB634_76
.LBB634_75:                             ;   in Loop: Header=BB634_76 Depth=1
	s_or_b64 exec, exec, s[24:25]
	v_cmp_eq_u16_sdwa s[24:25], v9, v14 src0_sel:BYTE_0 src1_sel:DWORD
	ds_bpermute_b32 v73, v16, v8
	v_subrev_u32_e32 v4, 64, v4
	v_and_b32_e32 v10, s25, v7
	v_or_b32_e32 v10, 0x80000000, v10
	v_and_b32_e32 v11, s24, v6
	v_ffbl_b32_e32 v10, v10
	v_add_u32_e32 v10, 32, v10
	v_ffbl_b32_e32 v11, v11
	v_min_u32_e32 v10, v11, v10
	v_cmp_lt_u32_e32 vcc, v15, v10
	s_waitcnt lgkmcnt(0)
	s_nop 0
	v_cndmask_b32_e32 v11, 0, v73, vcc
	v_add_u32_e32 v8, v11, v8
	ds_bpermute_b32 v11, v17, v8
	v_cmp_le_u32_e32 vcc, v32, v10
	s_waitcnt lgkmcnt(0)
	s_nop 0
	v_cndmask_b32_e32 v11, 0, v11, vcc
	v_add_u32_e32 v8, v8, v11
	ds_bpermute_b32 v11, v33, v8
	v_cmp_le_u32_e32 vcc, v34, v10
	;; [unrolled: 6-line block ×5, first 2 shown]
	s_waitcnt lgkmcnt(0)
	s_nop 0
	v_cndmask_b32_e32 v10, 0, v11, vcc
	v_add3_u32 v8, v10, v3, v8
.LBB634_76:                             ; =>This Loop Header: Depth=1
                                        ;     Child Loop BB634_79 Depth 2
                                        ;       Child Loop BB634_80 Depth 3
	v_cmp_ne_u16_sdwa s[24:25], v9, v14 src0_sel:BYTE_0 src1_sel:DWORD
	s_nop 1
	v_cndmask_b32_e64 v3, 0, 1, s[24:25]
	;;#ASMSTART
	;;#ASMEND
	s_nop 0
	v_cmp_ne_u32_e32 vcc, 0, v3
	s_cmp_lg_u64 vcc, exec
	v_mov_b32_e32 v3, v8
	s_cbranch_scc1 .LBB634_83
; %bb.77:                               ;   in Loop: Header=BB634_76 Depth=1
	v_lshl_add_u64 v[10:11], v[4:5], 3, s[20:21]
	global_load_dwordx2 v[8:9], v[10:11], off sc1
	s_waitcnt vmcnt(0)
	v_cmp_eq_u16_sdwa s[26:27], v9, v5 src0_sel:BYTE_0 src1_sel:DWORD
	s_and_saveexec_b64 s[24:25], s[26:27]
	s_cbranch_execz .LBB634_75
; %bb.78:                               ;   in Loop: Header=BB634_76 Depth=1
	s_mov_b32 s3, 1
	s_mov_b64 s[26:27], 0
.LBB634_79:                             ;   Parent Loop BB634_76 Depth=1
                                        ; =>  This Loop Header: Depth=2
                                        ;       Child Loop BB634_80 Depth 3
	s_max_u32 s28, s3, 1
.LBB634_80:                             ;   Parent Loop BB634_76 Depth=1
                                        ;     Parent Loop BB634_79 Depth=2
                                        ; =>    This Inner Loop Header: Depth=3
	s_add_i32 s28, s28, -1
	s_cmp_eq_u32 s28, 0
	s_sleep 1
	s_cbranch_scc0 .LBB634_80
; %bb.81:                               ;   in Loop: Header=BB634_79 Depth=2
	global_load_dwordx2 v[8:9], v[10:11], off sc1
	s_cmp_lt_u32 s3, 32
	s_cselect_b64 s[28:29], -1, 0
	s_cmp_lg_u64 s[28:29], 0
	s_addc_u32 s3, s3, 0
	s_waitcnt vmcnt(0)
	v_cmp_ne_u16_sdwa s[28:29], v9, v5 src0_sel:BYTE_0 src1_sel:DWORD
	s_or_b64 s[26:27], s[28:29], s[26:27]
	s_andn2_b64 exec, exec, s[26:27]
	s_cbranch_execnz .LBB634_79
; %bb.82:                               ;   in Loop: Header=BB634_76 Depth=1
	s_or_b64 exec, exec, s[26:27]
	s_branch .LBB634_75
.LBB634_83:                             ;   in Loop: Header=BB634_76 Depth=1
                                        ; implicit-def: $vgpr8
                                        ; implicit-def: $vgpr9
	s_cbranch_execz .LBB634_76
; %bb.84:
	s_and_saveexec_b64 s[24:25], s[16:17]
	s_cbranch_execz .LBB634_86
; %bb.85:
	s_add_i32 s2, s2, 64
	s_mov_b32 s3, 0
	s_lshl_b64 s[2:3], s[2:3], 3
	s_add_u32 s2, s20, s2
	v_add_u32_e32 v4, v3, v2
	v_mov_b32_e32 v5, 2
	s_addc_u32 s3, s21, s3
	v_mov_b32_e32 v6, 0
	global_store_dwordx2 v6, v[4:5], s[2:3] sc1
	ds_write_b64 v6, v[2:3] offset:30720
.LBB634_86:
	s_or_b64 exec, exec, s[24:25]
	v_cmp_eq_u32_e32 vcc, 0, v0
	s_and_b64 exec, exec, vcc
	s_cbranch_execz .LBB634_88
; %bb.87:
	v_mov_b32_e32 v2, 0
	ds_write_b32 v2, v3 offset:28
.LBB634_88:
	s_or_b64 exec, exec, s[22:23]
	v_mov_b32_e32 v14, 0
	s_waitcnt lgkmcnt(0)
	s_barrier
	ds_read_b32 v2, v14 offset:28
	v_cndmask_b32_e64 v3, v13, v12, s[16:17]
	v_cmp_ne_u32_e32 vcc, 0, v0
	s_waitcnt lgkmcnt(0)
	s_barrier
	v_cndmask_b32_e32 v3, 0, v3, vcc
	v_add_u32_e32 v2, v2, v3
	v_add_u32_e32 v3, v2, v50
	v_add_u32_e32 v4, v3, v51
	v_add_u32_e32 v5, v4, v52
	v_add_u32_e32 v6, v5, v53
	v_add_u32_e32 v7, v6, v54
	v_add_u32_e32 v8, v7, v55
	v_add_u32_e32 v9, v8, v56
	v_add_u32_e32 v10, v9, v57
	v_add_u32_e32 v11, v10, v58
	ds_read_b64 v[32:33], v14 offset:30720
	v_add_u32_e32 v12, v11, v59
	v_add_u32_e32 v13, v12, v60
	;; [unrolled: 1-line block ×5, first 2 shown]
	s_waitcnt lgkmcnt(0)
	v_mov_b32_e32 v34, v33
	s_load_dwordx2 s[2:3], s[0:1], 0x28
	s_branch .LBB634_99
.LBB634_89:
                                        ; implicit-def: $vgpr34
                                        ; implicit-def: $vgpr32
                                        ; implicit-def: $vgpr2_vgpr3_vgpr4_vgpr5_vgpr6_vgpr7_vgpr8_vgpr9_vgpr10_vgpr11_vgpr12_vgpr13_vgpr14_vgpr15_vgpr16_vgpr17
	s_load_dwordx2 s[2:3], s[0:1], 0x28
	s_cbranch_execz .LBB634_99
; %bb.90:
	v_mov_b32_dpp v2, v66 row_shr:1 row_mask:0xf bank_mask:0xf
	v_cndmask_b32_e64 v2, v2, 0, s[14:15]
	v_add_u32_e32 v2, v2, v66
	s_nop 1
	v_mov_b32_dpp v3, v2 row_shr:2 row_mask:0xf bank_mask:0xf
	v_cndmask_b32_e64 v3, 0, v3, s[12:13]
	v_add_u32_e32 v2, v2, v3
	s_nop 1
	;; [unrolled: 4-line block ×4, first 2 shown]
	v_mov_b32_dpp v3, v2 row_bcast:15 row_mask:0xf bank_mask:0xf
	v_cndmask_b32_e64 v3, v3, 0, s[6:7]
	v_add_u32_e32 v2, v2, v3
	s_nop 1
	v_mov_b32_dpp v3, v2 row_bcast:31 row_mask:0xf bank_mask:0xf
	v_cndmask_b32_e64 v3, 0, v3, s[18:19]
	v_add_u32_e32 v2, v2, v3
	s_and_saveexec_b64 s[0:1], s[4:5]
	s_cbranch_execz .LBB634_92
; %bb.91:
	v_lshlrev_b32_e32 v3, 2, v65
	ds_write_b32 v3, v2
.LBB634_92:
	s_or_b64 exec, exec, s[0:1]
	v_cmp_gt_u32_e32 vcc, 8, v0
	s_waitcnt lgkmcnt(0)
	s_barrier
	s_and_saveexec_b64 s[0:1], vcc
	s_cbranch_execz .LBB634_94
; %bb.93:
	v_lshlrev_b32_e32 v3, 2, v0
	ds_read_b32 v4, v3
	v_and_b32_e32 v5, 7, v64
	v_cmp_ne_u32_e32 vcc, 0, v5
	s_waitcnt lgkmcnt(0)
	v_mov_b32_dpp v6, v4 row_shr:1 row_mask:0xf bank_mask:0xf
	v_cndmask_b32_e32 v6, 0, v6, vcc
	v_add_u32_e32 v4, v6, v4
	v_cmp_lt_u32_e32 vcc, 1, v5
	s_nop 0
	v_mov_b32_dpp v6, v4 row_shr:2 row_mask:0xf bank_mask:0xf
	v_cndmask_b32_e32 v6, 0, v6, vcc
	v_add_u32_e32 v4, v4, v6
	v_cmp_lt_u32_e32 vcc, 3, v5
	s_nop 0
	v_mov_b32_dpp v6, v4 row_shr:4 row_mask:0xf bank_mask:0xf
	v_cndmask_b32_e32 v5, 0, v6, vcc
	v_add_u32_e32 v4, v4, v5
	ds_write_b32 v3, v4
.LBB634_94:
	s_or_b64 exec, exec, s[0:1]
	v_cmp_lt_u32_e32 vcc, 63, v0
	v_mov_b32_e32 v4, 0
	v_mov_b32_e32 v3, 0
	s_waitcnt lgkmcnt(0)
	s_barrier
	s_and_saveexec_b64 s[0:1], vcc
	s_cbranch_execz .LBB634_96
; %bb.95:
	v_lshl_add_u32 v3, v65, 2, -4
	ds_read_b32 v3, v3
.LBB634_96:
	s_or_b64 exec, exec, s[0:1]
	v_add_u32_e32 v5, -1, v64
	v_and_b32_e32 v6, 64, v64
	v_cmp_lt_i32_e32 vcc, v5, v6
	s_waitcnt lgkmcnt(0)
	v_add_u32_e32 v2, v3, v2
	ds_read_b32 v32, v4 offset:28
	v_cndmask_b32_e32 v5, v5, v64, vcc
	v_lshlrev_b32_e32 v5, 2, v5
	ds_bpermute_b32 v2, v5, v2
	v_cmp_eq_u32_e32 vcc, 0, v0
	s_and_saveexec_b64 s[0:1], vcc
	s_cbranch_execz .LBB634_98
; %bb.97:
	v_mov_b32_e32 v4, 0
	v_mov_b32_e32 v33, 2
	s_waitcnt lgkmcnt(1)
	global_store_dwordx2 v4, v[32:33], s[20:21] offset:512 sc1
.LBB634_98:
	s_or_b64 exec, exec, s[0:1]
	v_cmp_eq_u32_e64 s[0:1], 0, v64
	v_mov_b32_e32 v34, 0
	s_waitcnt lgkmcnt(0)
	v_cndmask_b32_e64 v2, v2, v3, s[0:1]
	v_cndmask_b32_e64 v2, v2, 0, vcc
	v_add_u32_e32 v3, v2, v50
	v_add_u32_e32 v4, v3, v51
	v_add_u32_e32 v5, v4, v52
	v_add_u32_e32 v6, v5, v53
	v_add_u32_e32 v7, v6, v54
	v_add_u32_e32 v8, v7, v55
	v_add_u32_e32 v9, v8, v56
	v_add_u32_e32 v10, v9, v57
	v_add_u32_e32 v11, v10, v58
	v_add_u32_e32 v12, v11, v59
	v_add_u32_e32 v13, v12, v60
	v_add_u32_e32 v14, v13, v61
	v_add_u32_e32 v15, v14, v62
	v_add_u32_e32 v16, v15, v63
	s_barrier
.LBB634_99:
	s_movk_i32 s0, 0x201
	v_cmp_gt_u32_e32 vcc, s0, v32
	s_mov_b64 s[0:1], -1
	s_cbranch_vccnz .LBB634_103
; %bb.100:
	s_and_b64 vcc, exec, s[0:1]
	s_cbranch_vccnz .LBB634_149
.LBB634_101:
	v_cmp_eq_u32_e32 vcc, 0, v0
	s_and_b64 s[0:1], vcc, s[38:39]
	s_waitcnt lgkmcnt(0)
	s_and_saveexec_b64 s[2:3], s[0:1]
	s_cbranch_execnz .LBB634_193
.LBB634_102:
	s_endpgm
.LBB634_103:
	v_add_u32_e32 v17, v34, v32
	s_lshl_b64 s[0:1], s[34:35], 2
	s_waitcnt lgkmcnt(0)
	s_add_u32 s0, s2, s0
	v_cmp_lt_u32_e32 vcc, v2, v17
	s_addc_u32 s1, s3, s1
	s_or_b64 s[6:7], s[40:41], vcc
	s_and_saveexec_b64 s[4:5], s[6:7]
	s_cbranch_execz .LBB634_106
; %bb.104:
	v_and_b32_e32 v33, 1, v49
	v_cmp_eq_u32_e32 vcc, 1, v33
	s_and_b64 exec, exec, vcc
	s_cbranch_execz .LBB634_106
; %bb.105:
	v_mov_b32_e32 v51, 0
	v_mov_b32_e32 v50, v2
	v_lshl_add_u64 v[50:51], v[50:51], 2, s[0:1]
	global_store_dword v[50:51], v30, off
.LBB634_106:
	s_or_b64 exec, exec, s[4:5]
	v_cmp_lt_u32_e32 vcc, v3, v17
	s_or_b64 s[6:7], s[40:41], vcc
	s_and_saveexec_b64 s[4:5], s[6:7]
	s_cbranch_execz .LBB634_109
; %bb.107:
	v_and_b32_e32 v33, 1, v48
	v_cmp_eq_u32_e32 vcc, 1, v33
	s_and_b64 exec, exec, vcc
	s_cbranch_execz .LBB634_109
; %bb.108:
	v_mov_b32_e32 v51, 0
	v_mov_b32_e32 v50, v3
	v_lshl_add_u64 v[50:51], v[50:51], 2, s[0:1]
	global_store_dword v[50:51], v31, off
.LBB634_109:
	s_or_b64 exec, exec, s[4:5]
	v_cmp_lt_u32_e32 vcc, v4, v17
	;; [unrolled: 16-line block ×14, first 2 shown]
	s_or_b64 s[6:7], s[40:41], vcc
	s_and_saveexec_b64 s[4:5], s[6:7]
	s_cbranch_execz .LBB634_148
; %bb.146:
	v_and_b32_e32 v17, 1, v35
	v_cmp_eq_u32_e32 vcc, 1, v17
	s_and_b64 exec, exec, vcc
	s_cbranch_execz .LBB634_148
; %bb.147:
	v_mov_b32_e32 v17, 0
	v_lshl_add_u64 v[50:51], v[16:17], 2, s[0:1]
	global_store_dword v[50:51], v1, off
.LBB634_148:
	s_or_b64 exec, exec, s[4:5]
	s_branch .LBB634_101
.LBB634_149:
	v_and_b32_e32 v17, 1, v49
	v_cmp_eq_u32_e32 vcc, 1, v17
	s_and_saveexec_b64 s[0:1], vcc
	s_cbranch_execz .LBB634_151
; %bb.150:
	v_sub_u32_e32 v2, v2, v34
	v_lshlrev_b32_e32 v2, 2, v2
	ds_write_b32 v2, v30
.LBB634_151:
	s_or_b64 exec, exec, s[0:1]
	v_and_b32_e32 v2, 1, v48
	v_cmp_eq_u32_e32 vcc, 1, v2
	s_and_saveexec_b64 s[0:1], vcc
	s_cbranch_execz .LBB634_153
; %bb.152:
	v_sub_u32_e32 v2, v3, v34
	v_lshlrev_b32_e32 v2, 2, v2
	ds_write_b32 v2, v31
.LBB634_153:
	s_or_b64 exec, exec, s[0:1]
	;; [unrolled: 10-line block ×15, first 2 shown]
	v_cmp_lt_u32_e32 vcc, v0, v32
	s_waitcnt lgkmcnt(0)
	s_barrier
	s_and_saveexec_b64 s[0:1], vcc
	s_cbranch_execz .LBB634_192
; %bb.180:
	s_lshl_b64 s[4:5], s[34:35], 2
	v_mov_b32_e32 v35, 0
	s_add_u32 s2, s2, s4
	s_addc_u32 s3, s3, s5
	v_lshlrev_b64 v[2:3], 2, v[34:35]
	v_lshl_add_u64 v[2:3], s[2:3], 0, v[2:3]
	v_xad_u32 v1, v0, -1, v32
	s_movk_i32 s2, 0x1ff
	v_cmp_lt_u32_e32 vcc, s2, v1
	s_mov_b64 s[4:5], -1
	v_mov_b32_e32 v4, v0
	s_and_saveexec_b64 s[2:3], vcc
	s_cbranch_execz .LBB634_189
; %bb.181:
	v_lshrrev_b32_e32 v8, 9, v1
	v_add_u32_e32 v4, -1, v8
	v_or_b32_e32 v1, 0x200, v0
	v_lshrrev_b32_e32 v5, 1, v4
	v_add_u32_e32 v10, 1, v5
	v_cmp_lt_u32_e32 vcc, 13, v4
	v_lshlrev_b32_e32 v9, 2, v0
	v_mov_b64_e32 v[4:5], v[0:1]
	s_and_saveexec_b64 s[4:5], vcc
	s_cbranch_execz .LBB634_185
; %bb.182:
	v_and_b32_e32 v11, -8, v10
	s_mov_b32 s8, 0
	s_mov_b64 s[6:7], 0
	v_mov_b32_e32 v7, 0
	v_mov_b32_e32 v12, v9
	v_mov_b64_e32 v[4:5], v[0:1]
.LBB634_183:                            ; =>This Inner Loop Header: Depth=1
	ds_read2st64_b32 v[14:15], v12 offset1:8
	v_mov_b32_e32 v6, v4
	ds_read2st64_b32 v[26:27], v12 offset0:48 offset1:56
	v_lshl_add_u64 v[48:49], v[6:7], 2, v[2:3]
	v_mov_b32_e32 v6, v5
	ds_read2st64_b32 v[18:19], v12 offset0:16 offset1:24
	ds_read2st64_b32 v[30:31], v12 offset0:64 offset1:72
	v_lshl_add_u64 v[50:51], v[6:7], 2, v[2:3]
	v_add_u32_e32 v6, 0x400, v4
	ds_read2st64_b32 v[38:39], v12 offset0:80 offset1:88
	v_lshl_add_u64 v[52:53], v[6:7], 2, v[2:3]
	v_add_u32_e32 v6, 0x800, v4
	v_add_u32_e32 v16, 0x400, v5
	v_mov_b32_e32 v17, v7
	v_add_u32_e32 v20, 0x800, v5
	ds_read2st64_b32 v[22:23], v12 offset0:32 offset1:40
	v_mov_b32_e32 v21, v7
	ds_read2st64_b32 v[42:43], v12 offset0:96 offset1:104
	v_lshl_add_u64 v[54:55], v[6:7], 2, v[2:3]
	v_add_u32_e32 v6, 0xc00, v4
	v_add_u32_e32 v24, 0xc00, v5
	v_mov_b32_e32 v25, v7
	ds_read2st64_b32 v[46:47], v12 offset0:112 offset1:120
	v_lshl_add_u64 v[16:17], v[16:17], 2, v[2:3]
	v_lshl_add_u64 v[20:21], v[20:21], 2, v[2:3]
	s_waitcnt lgkmcnt(7)
	global_store_dword v[48:49], v14, off
	global_store_dword v[50:51], v15, off
	s_waitcnt lgkmcnt(5)
	global_store_dword v[52:53], v18, off
	global_store_dword v[16:17], v19, off
	;; [unrolled: 3-line block ×3, first 2 shown]
	v_lshl_add_u64 v[14:15], v[6:7], 2, v[2:3]
	v_add_u32_e32 v6, 0x1000, v4
	v_add_u32_e32 v28, 0x1000, v5
	v_mov_b32_e32 v29, v7
	v_lshl_add_u64 v[24:25], v[24:25], 2, v[2:3]
	global_store_dword v[14:15], v26, off
	global_store_dword v[24:25], v27, off
	v_lshl_add_u64 v[14:15], v[6:7], 2, v[2:3]
	v_add_u32_e32 v6, 0x1400, v4
	v_add_u32_e32 v36, 0x1400, v5
	v_mov_b32_e32 v37, v7
	v_add_u32_e32 v11, -8, v11
	v_lshl_add_u64 v[28:29], v[28:29], 2, v[2:3]
	global_store_dword v[14:15], v30, off
	global_store_dword v[28:29], v31, off
	v_lshl_add_u64 v[14:15], v[6:7], 2, v[2:3]
	v_add_u32_e32 v6, 0x1800, v4
	v_add_u32_e32 v40, 0x1800, v5
	v_mov_b32_e32 v41, v7
	s_add_i32 s8, s8, 16
	v_lshl_add_u64 v[36:37], v[36:37], 2, v[2:3]
	v_cmp_eq_u32_e32 vcc, 0, v11
	global_store_dword v[14:15], v38, off
	global_store_dword v[36:37], v39, off
	v_lshl_add_u64 v[14:15], v[6:7], 2, v[2:3]
	v_add_u32_e32 v6, 0x1c00, v4
	v_add_u32_e32 v44, 0x1c00, v5
	v_mov_b32_e32 v45, v7
	v_add_u32_e32 v12, 0x8000, v12
	v_lshl_add_u64 v[40:41], v[40:41], 2, v[2:3]
	v_add_u32_e32 v5, 0x2000, v5
	v_mov_b32_e32 v35, s8
	s_or_b64 s[6:7], vcc, s[6:7]
	v_add_u32_e32 v4, 0x2000, v4
	s_waitcnt lgkmcnt(1)
	global_store_dword v[14:15], v42, off
	global_store_dword v[40:41], v43, off
	v_lshl_add_u64 v[14:15], v[6:7], 2, v[2:3]
	v_lshl_add_u64 v[44:45], v[44:45], 2, v[2:3]
	s_waitcnt lgkmcnt(0)
	global_store_dword v[14:15], v46, off
	global_store_dword v[44:45], v47, off
	s_andn2_b64 exec, exec, s[6:7]
	s_cbranch_execnz .LBB634_183
; %bb.184:
	s_or_b64 exec, exec, s[6:7]
.LBB634_185:
	s_or_b64 exec, exec, s[4:5]
	v_and_b32_e32 v1, 7, v10
	v_cmp_ne_u32_e32 vcc, 0, v1
	s_and_saveexec_b64 s[4:5], vcc
	s_cbranch_execz .LBB634_188
; %bb.186:
	v_lshl_or_b32 v9, v35, 11, v9
	s_mov_b64 s[6:7], 0
	v_mov_b32_e32 v7, 0
.LBB634_187:                            ; =>This Inner Loop Header: Depth=1
	ds_read2st64_b32 v[10:11], v9 offset1:8
	v_add_u32_e32 v1, -1, v1
	v_mov_b32_e32 v6, v4
	v_cmp_eq_u32_e32 vcc, 0, v1
	v_add_u32_e32 v4, 0x400, v4
	v_add_u32_e32 v9, 0x1000, v9
	v_lshl_add_u64 v[12:13], v[6:7], 2, v[2:3]
	v_mov_b32_e32 v6, v5
	v_add_u32_e32 v5, 0x400, v5
	s_or_b64 s[6:7], vcc, s[6:7]
	v_lshl_add_u64 v[14:15], v[6:7], 2, v[2:3]
	s_waitcnt lgkmcnt(0)
	global_store_dword v[12:13], v10, off
	global_store_dword v[14:15], v11, off
	s_andn2_b64 exec, exec, s[6:7]
	s_cbranch_execnz .LBB634_187
.LBB634_188:
	s_or_b64 exec, exec, s[4:5]
	v_add_u32_e32 v1, 1, v8
	v_and_b32_e32 v5, 0xfffffe, v1
	v_cmp_ne_u32_e32 vcc, v1, v5
	v_lshl_or_b32 v4, v5, 9, v0
	s_orn2_b64 s[4:5], vcc, exec
.LBB634_189:
	s_or_b64 exec, exec, s[2:3]
	s_and_b64 exec, exec, s[4:5]
	s_cbranch_execz .LBB634_192
; %bb.190:
	v_lshlrev_b32_e32 v1, 2, v4
	s_mov_b64 s[2:3], 0
	v_mov_b32_e32 v5, 0
.LBB634_191:                            ; =>This Inner Loop Header: Depth=1
	ds_read_b32 v8, v1
	v_lshl_add_u64 v[6:7], v[4:5], 2, v[2:3]
	v_add_u32_e32 v4, 0x200, v4
	v_cmp_ge_u32_e32 vcc, v4, v32
	v_add_u32_e32 v1, 0x800, v1
	s_or_b64 s[2:3], vcc, s[2:3]
	s_waitcnt lgkmcnt(0)
	global_store_dword v[6:7], v8, off
	s_andn2_b64 exec, exec, s[2:3]
	s_cbranch_execnz .LBB634_191
.LBB634_192:
	s_or_b64 exec, exec, s[0:1]
	v_cmp_eq_u32_e32 vcc, 0, v0
	s_and_b64 s[0:1], vcc, s[38:39]
	s_and_saveexec_b64 s[2:3], s[0:1]
	s_cbranch_execz .LBB634_102
.LBB634_193:
	v_mov_b32_e32 v33, 0
	v_lshl_add_u64 v[0:1], s[34:35], 0, v[32:33]
	v_mov_b32_e32 v35, v33
	v_lshl_add_u64 v[0:1], v[0:1], 0, v[34:35]
	global_store_dwordx2 v33, v[0:1], s[36:37]
	s_endpgm
	.section	.rodata,"a",@progbits
	.p2align	6, 0x0
	.amdhsa_kernel _ZN7rocprim17ROCPRIM_400000_NS6detail17trampoline_kernelINS0_14default_configENS1_25partition_config_selectorILNS1_17partition_subalgoE8EjNS0_10empty_typeEbEEZZNS1_14partition_implILS5_8ELb0ES3_jPKjPS6_PKS6_NS0_5tupleIJPjS6_EEENSE_IJSB_SB_EEENS0_18inequality_wrapperIN6hipcub16HIPCUB_304000_NS8EqualityEEEPlJS6_EEE10hipError_tPvRmT3_T4_T5_T6_T7_T9_mT8_P12ihipStream_tbDpT10_ENKUlT_T0_E_clISt17integral_constantIbLb1EES16_IbLb0EEEEDaS12_S13_EUlS12_E_NS1_11comp_targetILNS1_3genE5ELNS1_11target_archE942ELNS1_3gpuE9ELNS1_3repE0EEENS1_30default_config_static_selectorELNS0_4arch9wavefront6targetE1EEEvT1_
		.amdhsa_group_segment_fixed_size 30728
		.amdhsa_private_segment_fixed_size 0
		.amdhsa_kernarg_size 112
		.amdhsa_user_sgpr_count 2
		.amdhsa_user_sgpr_dispatch_ptr 0
		.amdhsa_user_sgpr_queue_ptr 0
		.amdhsa_user_sgpr_kernarg_segment_ptr 1
		.amdhsa_user_sgpr_dispatch_id 0
		.amdhsa_user_sgpr_kernarg_preload_length 0
		.amdhsa_user_sgpr_kernarg_preload_offset 0
		.amdhsa_user_sgpr_private_segment_size 0
		.amdhsa_uses_dynamic_stack 0
		.amdhsa_enable_private_segment 0
		.amdhsa_system_sgpr_workgroup_id_x 1
		.amdhsa_system_sgpr_workgroup_id_y 0
		.amdhsa_system_sgpr_workgroup_id_z 0
		.amdhsa_system_sgpr_workgroup_info 0
		.amdhsa_system_vgpr_workitem_id 0
		.amdhsa_next_free_vgpr 74
		.amdhsa_next_free_sgpr 48
		.amdhsa_accum_offset 76
		.amdhsa_reserve_vcc 1
		.amdhsa_float_round_mode_32 0
		.amdhsa_float_round_mode_16_64 0
		.amdhsa_float_denorm_mode_32 3
		.amdhsa_float_denorm_mode_16_64 3
		.amdhsa_dx10_clamp 1
		.amdhsa_ieee_mode 1
		.amdhsa_fp16_overflow 0
		.amdhsa_tg_split 0
		.amdhsa_exception_fp_ieee_invalid_op 0
		.amdhsa_exception_fp_denorm_src 0
		.amdhsa_exception_fp_ieee_div_zero 0
		.amdhsa_exception_fp_ieee_overflow 0
		.amdhsa_exception_fp_ieee_underflow 0
		.amdhsa_exception_fp_ieee_inexact 0
		.amdhsa_exception_int_div_zero 0
	.end_amdhsa_kernel
	.section	.text._ZN7rocprim17ROCPRIM_400000_NS6detail17trampoline_kernelINS0_14default_configENS1_25partition_config_selectorILNS1_17partition_subalgoE8EjNS0_10empty_typeEbEEZZNS1_14partition_implILS5_8ELb0ES3_jPKjPS6_PKS6_NS0_5tupleIJPjS6_EEENSE_IJSB_SB_EEENS0_18inequality_wrapperIN6hipcub16HIPCUB_304000_NS8EqualityEEEPlJS6_EEE10hipError_tPvRmT3_T4_T5_T6_T7_T9_mT8_P12ihipStream_tbDpT10_ENKUlT_T0_E_clISt17integral_constantIbLb1EES16_IbLb0EEEEDaS12_S13_EUlS12_E_NS1_11comp_targetILNS1_3genE5ELNS1_11target_archE942ELNS1_3gpuE9ELNS1_3repE0EEENS1_30default_config_static_selectorELNS0_4arch9wavefront6targetE1EEEvT1_,"axG",@progbits,_ZN7rocprim17ROCPRIM_400000_NS6detail17trampoline_kernelINS0_14default_configENS1_25partition_config_selectorILNS1_17partition_subalgoE8EjNS0_10empty_typeEbEEZZNS1_14partition_implILS5_8ELb0ES3_jPKjPS6_PKS6_NS0_5tupleIJPjS6_EEENSE_IJSB_SB_EEENS0_18inequality_wrapperIN6hipcub16HIPCUB_304000_NS8EqualityEEEPlJS6_EEE10hipError_tPvRmT3_T4_T5_T6_T7_T9_mT8_P12ihipStream_tbDpT10_ENKUlT_T0_E_clISt17integral_constantIbLb1EES16_IbLb0EEEEDaS12_S13_EUlS12_E_NS1_11comp_targetILNS1_3genE5ELNS1_11target_archE942ELNS1_3gpuE9ELNS1_3repE0EEENS1_30default_config_static_selectorELNS0_4arch9wavefront6targetE1EEEvT1_,comdat
.Lfunc_end634:
	.size	_ZN7rocprim17ROCPRIM_400000_NS6detail17trampoline_kernelINS0_14default_configENS1_25partition_config_selectorILNS1_17partition_subalgoE8EjNS0_10empty_typeEbEEZZNS1_14partition_implILS5_8ELb0ES3_jPKjPS6_PKS6_NS0_5tupleIJPjS6_EEENSE_IJSB_SB_EEENS0_18inequality_wrapperIN6hipcub16HIPCUB_304000_NS8EqualityEEEPlJS6_EEE10hipError_tPvRmT3_T4_T5_T6_T7_T9_mT8_P12ihipStream_tbDpT10_ENKUlT_T0_E_clISt17integral_constantIbLb1EES16_IbLb0EEEEDaS12_S13_EUlS12_E_NS1_11comp_targetILNS1_3genE5ELNS1_11target_archE942ELNS1_3gpuE9ELNS1_3repE0EEENS1_30default_config_static_selectorELNS0_4arch9wavefront6targetE1EEEvT1_, .Lfunc_end634-_ZN7rocprim17ROCPRIM_400000_NS6detail17trampoline_kernelINS0_14default_configENS1_25partition_config_selectorILNS1_17partition_subalgoE8EjNS0_10empty_typeEbEEZZNS1_14partition_implILS5_8ELb0ES3_jPKjPS6_PKS6_NS0_5tupleIJPjS6_EEENSE_IJSB_SB_EEENS0_18inequality_wrapperIN6hipcub16HIPCUB_304000_NS8EqualityEEEPlJS6_EEE10hipError_tPvRmT3_T4_T5_T6_T7_T9_mT8_P12ihipStream_tbDpT10_ENKUlT_T0_E_clISt17integral_constantIbLb1EES16_IbLb0EEEEDaS12_S13_EUlS12_E_NS1_11comp_targetILNS1_3genE5ELNS1_11target_archE942ELNS1_3gpuE9ELNS1_3repE0EEENS1_30default_config_static_selectorELNS0_4arch9wavefront6targetE1EEEvT1_
                                        ; -- End function
	.section	.AMDGPU.csdata,"",@progbits
; Kernel info:
; codeLenInByte = 7932
; NumSgprs: 54
; NumVgprs: 74
; NumAgprs: 0
; TotalNumVgprs: 74
; ScratchSize: 0
; MemoryBound: 0
; FloatMode: 240
; IeeeMode: 1
; LDSByteSize: 30728 bytes/workgroup (compile time only)
; SGPRBlocks: 6
; VGPRBlocks: 9
; NumSGPRsForWavesPerEU: 54
; NumVGPRsForWavesPerEU: 74
; AccumOffset: 76
; Occupancy: 4
; WaveLimiterHint : 1
; COMPUTE_PGM_RSRC2:SCRATCH_EN: 0
; COMPUTE_PGM_RSRC2:USER_SGPR: 2
; COMPUTE_PGM_RSRC2:TRAP_HANDLER: 0
; COMPUTE_PGM_RSRC2:TGID_X_EN: 1
; COMPUTE_PGM_RSRC2:TGID_Y_EN: 0
; COMPUTE_PGM_RSRC2:TGID_Z_EN: 0
; COMPUTE_PGM_RSRC2:TIDIG_COMP_CNT: 0
; COMPUTE_PGM_RSRC3_GFX90A:ACCUM_OFFSET: 18
; COMPUTE_PGM_RSRC3_GFX90A:TG_SPLIT: 0
	.section	.text._ZN7rocprim17ROCPRIM_400000_NS6detail17trampoline_kernelINS0_14default_configENS1_25partition_config_selectorILNS1_17partition_subalgoE8EjNS0_10empty_typeEbEEZZNS1_14partition_implILS5_8ELb0ES3_jPKjPS6_PKS6_NS0_5tupleIJPjS6_EEENSE_IJSB_SB_EEENS0_18inequality_wrapperIN6hipcub16HIPCUB_304000_NS8EqualityEEEPlJS6_EEE10hipError_tPvRmT3_T4_T5_T6_T7_T9_mT8_P12ihipStream_tbDpT10_ENKUlT_T0_E_clISt17integral_constantIbLb1EES16_IbLb0EEEEDaS12_S13_EUlS12_E_NS1_11comp_targetILNS1_3genE4ELNS1_11target_archE910ELNS1_3gpuE8ELNS1_3repE0EEENS1_30default_config_static_selectorELNS0_4arch9wavefront6targetE1EEEvT1_,"axG",@progbits,_ZN7rocprim17ROCPRIM_400000_NS6detail17trampoline_kernelINS0_14default_configENS1_25partition_config_selectorILNS1_17partition_subalgoE8EjNS0_10empty_typeEbEEZZNS1_14partition_implILS5_8ELb0ES3_jPKjPS6_PKS6_NS0_5tupleIJPjS6_EEENSE_IJSB_SB_EEENS0_18inequality_wrapperIN6hipcub16HIPCUB_304000_NS8EqualityEEEPlJS6_EEE10hipError_tPvRmT3_T4_T5_T6_T7_T9_mT8_P12ihipStream_tbDpT10_ENKUlT_T0_E_clISt17integral_constantIbLb1EES16_IbLb0EEEEDaS12_S13_EUlS12_E_NS1_11comp_targetILNS1_3genE4ELNS1_11target_archE910ELNS1_3gpuE8ELNS1_3repE0EEENS1_30default_config_static_selectorELNS0_4arch9wavefront6targetE1EEEvT1_,comdat
	.protected	_ZN7rocprim17ROCPRIM_400000_NS6detail17trampoline_kernelINS0_14default_configENS1_25partition_config_selectorILNS1_17partition_subalgoE8EjNS0_10empty_typeEbEEZZNS1_14partition_implILS5_8ELb0ES3_jPKjPS6_PKS6_NS0_5tupleIJPjS6_EEENSE_IJSB_SB_EEENS0_18inequality_wrapperIN6hipcub16HIPCUB_304000_NS8EqualityEEEPlJS6_EEE10hipError_tPvRmT3_T4_T5_T6_T7_T9_mT8_P12ihipStream_tbDpT10_ENKUlT_T0_E_clISt17integral_constantIbLb1EES16_IbLb0EEEEDaS12_S13_EUlS12_E_NS1_11comp_targetILNS1_3genE4ELNS1_11target_archE910ELNS1_3gpuE8ELNS1_3repE0EEENS1_30default_config_static_selectorELNS0_4arch9wavefront6targetE1EEEvT1_ ; -- Begin function _ZN7rocprim17ROCPRIM_400000_NS6detail17trampoline_kernelINS0_14default_configENS1_25partition_config_selectorILNS1_17partition_subalgoE8EjNS0_10empty_typeEbEEZZNS1_14partition_implILS5_8ELb0ES3_jPKjPS6_PKS6_NS0_5tupleIJPjS6_EEENSE_IJSB_SB_EEENS0_18inequality_wrapperIN6hipcub16HIPCUB_304000_NS8EqualityEEEPlJS6_EEE10hipError_tPvRmT3_T4_T5_T6_T7_T9_mT8_P12ihipStream_tbDpT10_ENKUlT_T0_E_clISt17integral_constantIbLb1EES16_IbLb0EEEEDaS12_S13_EUlS12_E_NS1_11comp_targetILNS1_3genE4ELNS1_11target_archE910ELNS1_3gpuE8ELNS1_3repE0EEENS1_30default_config_static_selectorELNS0_4arch9wavefront6targetE1EEEvT1_
	.globl	_ZN7rocprim17ROCPRIM_400000_NS6detail17trampoline_kernelINS0_14default_configENS1_25partition_config_selectorILNS1_17partition_subalgoE8EjNS0_10empty_typeEbEEZZNS1_14partition_implILS5_8ELb0ES3_jPKjPS6_PKS6_NS0_5tupleIJPjS6_EEENSE_IJSB_SB_EEENS0_18inequality_wrapperIN6hipcub16HIPCUB_304000_NS8EqualityEEEPlJS6_EEE10hipError_tPvRmT3_T4_T5_T6_T7_T9_mT8_P12ihipStream_tbDpT10_ENKUlT_T0_E_clISt17integral_constantIbLb1EES16_IbLb0EEEEDaS12_S13_EUlS12_E_NS1_11comp_targetILNS1_3genE4ELNS1_11target_archE910ELNS1_3gpuE8ELNS1_3repE0EEENS1_30default_config_static_selectorELNS0_4arch9wavefront6targetE1EEEvT1_
	.p2align	8
	.type	_ZN7rocprim17ROCPRIM_400000_NS6detail17trampoline_kernelINS0_14default_configENS1_25partition_config_selectorILNS1_17partition_subalgoE8EjNS0_10empty_typeEbEEZZNS1_14partition_implILS5_8ELb0ES3_jPKjPS6_PKS6_NS0_5tupleIJPjS6_EEENSE_IJSB_SB_EEENS0_18inequality_wrapperIN6hipcub16HIPCUB_304000_NS8EqualityEEEPlJS6_EEE10hipError_tPvRmT3_T4_T5_T6_T7_T9_mT8_P12ihipStream_tbDpT10_ENKUlT_T0_E_clISt17integral_constantIbLb1EES16_IbLb0EEEEDaS12_S13_EUlS12_E_NS1_11comp_targetILNS1_3genE4ELNS1_11target_archE910ELNS1_3gpuE8ELNS1_3repE0EEENS1_30default_config_static_selectorELNS0_4arch9wavefront6targetE1EEEvT1_,@function
_ZN7rocprim17ROCPRIM_400000_NS6detail17trampoline_kernelINS0_14default_configENS1_25partition_config_selectorILNS1_17partition_subalgoE8EjNS0_10empty_typeEbEEZZNS1_14partition_implILS5_8ELb0ES3_jPKjPS6_PKS6_NS0_5tupleIJPjS6_EEENSE_IJSB_SB_EEENS0_18inequality_wrapperIN6hipcub16HIPCUB_304000_NS8EqualityEEEPlJS6_EEE10hipError_tPvRmT3_T4_T5_T6_T7_T9_mT8_P12ihipStream_tbDpT10_ENKUlT_T0_E_clISt17integral_constantIbLb1EES16_IbLb0EEEEDaS12_S13_EUlS12_E_NS1_11comp_targetILNS1_3genE4ELNS1_11target_archE910ELNS1_3gpuE8ELNS1_3repE0EEENS1_30default_config_static_selectorELNS0_4arch9wavefront6targetE1EEEvT1_: ; @_ZN7rocprim17ROCPRIM_400000_NS6detail17trampoline_kernelINS0_14default_configENS1_25partition_config_selectorILNS1_17partition_subalgoE8EjNS0_10empty_typeEbEEZZNS1_14partition_implILS5_8ELb0ES3_jPKjPS6_PKS6_NS0_5tupleIJPjS6_EEENSE_IJSB_SB_EEENS0_18inequality_wrapperIN6hipcub16HIPCUB_304000_NS8EqualityEEEPlJS6_EEE10hipError_tPvRmT3_T4_T5_T6_T7_T9_mT8_P12ihipStream_tbDpT10_ENKUlT_T0_E_clISt17integral_constantIbLb1EES16_IbLb0EEEEDaS12_S13_EUlS12_E_NS1_11comp_targetILNS1_3genE4ELNS1_11target_archE910ELNS1_3gpuE8ELNS1_3repE0EEENS1_30default_config_static_selectorELNS0_4arch9wavefront6targetE1EEEvT1_
; %bb.0:
	.section	.rodata,"a",@progbits
	.p2align	6, 0x0
	.amdhsa_kernel _ZN7rocprim17ROCPRIM_400000_NS6detail17trampoline_kernelINS0_14default_configENS1_25partition_config_selectorILNS1_17partition_subalgoE8EjNS0_10empty_typeEbEEZZNS1_14partition_implILS5_8ELb0ES3_jPKjPS6_PKS6_NS0_5tupleIJPjS6_EEENSE_IJSB_SB_EEENS0_18inequality_wrapperIN6hipcub16HIPCUB_304000_NS8EqualityEEEPlJS6_EEE10hipError_tPvRmT3_T4_T5_T6_T7_T9_mT8_P12ihipStream_tbDpT10_ENKUlT_T0_E_clISt17integral_constantIbLb1EES16_IbLb0EEEEDaS12_S13_EUlS12_E_NS1_11comp_targetILNS1_3genE4ELNS1_11target_archE910ELNS1_3gpuE8ELNS1_3repE0EEENS1_30default_config_static_selectorELNS0_4arch9wavefront6targetE1EEEvT1_
		.amdhsa_group_segment_fixed_size 0
		.amdhsa_private_segment_fixed_size 0
		.amdhsa_kernarg_size 112
		.amdhsa_user_sgpr_count 2
		.amdhsa_user_sgpr_dispatch_ptr 0
		.amdhsa_user_sgpr_queue_ptr 0
		.amdhsa_user_sgpr_kernarg_segment_ptr 1
		.amdhsa_user_sgpr_dispatch_id 0
		.amdhsa_user_sgpr_kernarg_preload_length 0
		.amdhsa_user_sgpr_kernarg_preload_offset 0
		.amdhsa_user_sgpr_private_segment_size 0
		.amdhsa_uses_dynamic_stack 0
		.amdhsa_enable_private_segment 0
		.amdhsa_system_sgpr_workgroup_id_x 1
		.amdhsa_system_sgpr_workgroup_id_y 0
		.amdhsa_system_sgpr_workgroup_id_z 0
		.amdhsa_system_sgpr_workgroup_info 0
		.amdhsa_system_vgpr_workitem_id 0
		.amdhsa_next_free_vgpr 1
		.amdhsa_next_free_sgpr 0
		.amdhsa_accum_offset 4
		.amdhsa_reserve_vcc 0
		.amdhsa_float_round_mode_32 0
		.amdhsa_float_round_mode_16_64 0
		.amdhsa_float_denorm_mode_32 3
		.amdhsa_float_denorm_mode_16_64 3
		.amdhsa_dx10_clamp 1
		.amdhsa_ieee_mode 1
		.amdhsa_fp16_overflow 0
		.amdhsa_tg_split 0
		.amdhsa_exception_fp_ieee_invalid_op 0
		.amdhsa_exception_fp_denorm_src 0
		.amdhsa_exception_fp_ieee_div_zero 0
		.amdhsa_exception_fp_ieee_overflow 0
		.amdhsa_exception_fp_ieee_underflow 0
		.amdhsa_exception_fp_ieee_inexact 0
		.amdhsa_exception_int_div_zero 0
	.end_amdhsa_kernel
	.section	.text._ZN7rocprim17ROCPRIM_400000_NS6detail17trampoline_kernelINS0_14default_configENS1_25partition_config_selectorILNS1_17partition_subalgoE8EjNS0_10empty_typeEbEEZZNS1_14partition_implILS5_8ELb0ES3_jPKjPS6_PKS6_NS0_5tupleIJPjS6_EEENSE_IJSB_SB_EEENS0_18inequality_wrapperIN6hipcub16HIPCUB_304000_NS8EqualityEEEPlJS6_EEE10hipError_tPvRmT3_T4_T5_T6_T7_T9_mT8_P12ihipStream_tbDpT10_ENKUlT_T0_E_clISt17integral_constantIbLb1EES16_IbLb0EEEEDaS12_S13_EUlS12_E_NS1_11comp_targetILNS1_3genE4ELNS1_11target_archE910ELNS1_3gpuE8ELNS1_3repE0EEENS1_30default_config_static_selectorELNS0_4arch9wavefront6targetE1EEEvT1_,"axG",@progbits,_ZN7rocprim17ROCPRIM_400000_NS6detail17trampoline_kernelINS0_14default_configENS1_25partition_config_selectorILNS1_17partition_subalgoE8EjNS0_10empty_typeEbEEZZNS1_14partition_implILS5_8ELb0ES3_jPKjPS6_PKS6_NS0_5tupleIJPjS6_EEENSE_IJSB_SB_EEENS0_18inequality_wrapperIN6hipcub16HIPCUB_304000_NS8EqualityEEEPlJS6_EEE10hipError_tPvRmT3_T4_T5_T6_T7_T9_mT8_P12ihipStream_tbDpT10_ENKUlT_T0_E_clISt17integral_constantIbLb1EES16_IbLb0EEEEDaS12_S13_EUlS12_E_NS1_11comp_targetILNS1_3genE4ELNS1_11target_archE910ELNS1_3gpuE8ELNS1_3repE0EEENS1_30default_config_static_selectorELNS0_4arch9wavefront6targetE1EEEvT1_,comdat
.Lfunc_end635:
	.size	_ZN7rocprim17ROCPRIM_400000_NS6detail17trampoline_kernelINS0_14default_configENS1_25partition_config_selectorILNS1_17partition_subalgoE8EjNS0_10empty_typeEbEEZZNS1_14partition_implILS5_8ELb0ES3_jPKjPS6_PKS6_NS0_5tupleIJPjS6_EEENSE_IJSB_SB_EEENS0_18inequality_wrapperIN6hipcub16HIPCUB_304000_NS8EqualityEEEPlJS6_EEE10hipError_tPvRmT3_T4_T5_T6_T7_T9_mT8_P12ihipStream_tbDpT10_ENKUlT_T0_E_clISt17integral_constantIbLb1EES16_IbLb0EEEEDaS12_S13_EUlS12_E_NS1_11comp_targetILNS1_3genE4ELNS1_11target_archE910ELNS1_3gpuE8ELNS1_3repE0EEENS1_30default_config_static_selectorELNS0_4arch9wavefront6targetE1EEEvT1_, .Lfunc_end635-_ZN7rocprim17ROCPRIM_400000_NS6detail17trampoline_kernelINS0_14default_configENS1_25partition_config_selectorILNS1_17partition_subalgoE8EjNS0_10empty_typeEbEEZZNS1_14partition_implILS5_8ELb0ES3_jPKjPS6_PKS6_NS0_5tupleIJPjS6_EEENSE_IJSB_SB_EEENS0_18inequality_wrapperIN6hipcub16HIPCUB_304000_NS8EqualityEEEPlJS6_EEE10hipError_tPvRmT3_T4_T5_T6_T7_T9_mT8_P12ihipStream_tbDpT10_ENKUlT_T0_E_clISt17integral_constantIbLb1EES16_IbLb0EEEEDaS12_S13_EUlS12_E_NS1_11comp_targetILNS1_3genE4ELNS1_11target_archE910ELNS1_3gpuE8ELNS1_3repE0EEENS1_30default_config_static_selectorELNS0_4arch9wavefront6targetE1EEEvT1_
                                        ; -- End function
	.section	.AMDGPU.csdata,"",@progbits
; Kernel info:
; codeLenInByte = 0
; NumSgprs: 6
; NumVgprs: 0
; NumAgprs: 0
; TotalNumVgprs: 0
; ScratchSize: 0
; MemoryBound: 0
; FloatMode: 240
; IeeeMode: 1
; LDSByteSize: 0 bytes/workgroup (compile time only)
; SGPRBlocks: 0
; VGPRBlocks: 0
; NumSGPRsForWavesPerEU: 6
; NumVGPRsForWavesPerEU: 1
; AccumOffset: 4
; Occupancy: 8
; WaveLimiterHint : 0
; COMPUTE_PGM_RSRC2:SCRATCH_EN: 0
; COMPUTE_PGM_RSRC2:USER_SGPR: 2
; COMPUTE_PGM_RSRC2:TRAP_HANDLER: 0
; COMPUTE_PGM_RSRC2:TGID_X_EN: 1
; COMPUTE_PGM_RSRC2:TGID_Y_EN: 0
; COMPUTE_PGM_RSRC2:TGID_Z_EN: 0
; COMPUTE_PGM_RSRC2:TIDIG_COMP_CNT: 0
; COMPUTE_PGM_RSRC3_GFX90A:ACCUM_OFFSET: 0
; COMPUTE_PGM_RSRC3_GFX90A:TG_SPLIT: 0
	.section	.text._ZN7rocprim17ROCPRIM_400000_NS6detail17trampoline_kernelINS0_14default_configENS1_25partition_config_selectorILNS1_17partition_subalgoE8EjNS0_10empty_typeEbEEZZNS1_14partition_implILS5_8ELb0ES3_jPKjPS6_PKS6_NS0_5tupleIJPjS6_EEENSE_IJSB_SB_EEENS0_18inequality_wrapperIN6hipcub16HIPCUB_304000_NS8EqualityEEEPlJS6_EEE10hipError_tPvRmT3_T4_T5_T6_T7_T9_mT8_P12ihipStream_tbDpT10_ENKUlT_T0_E_clISt17integral_constantIbLb1EES16_IbLb0EEEEDaS12_S13_EUlS12_E_NS1_11comp_targetILNS1_3genE3ELNS1_11target_archE908ELNS1_3gpuE7ELNS1_3repE0EEENS1_30default_config_static_selectorELNS0_4arch9wavefront6targetE1EEEvT1_,"axG",@progbits,_ZN7rocprim17ROCPRIM_400000_NS6detail17trampoline_kernelINS0_14default_configENS1_25partition_config_selectorILNS1_17partition_subalgoE8EjNS0_10empty_typeEbEEZZNS1_14partition_implILS5_8ELb0ES3_jPKjPS6_PKS6_NS0_5tupleIJPjS6_EEENSE_IJSB_SB_EEENS0_18inequality_wrapperIN6hipcub16HIPCUB_304000_NS8EqualityEEEPlJS6_EEE10hipError_tPvRmT3_T4_T5_T6_T7_T9_mT8_P12ihipStream_tbDpT10_ENKUlT_T0_E_clISt17integral_constantIbLb1EES16_IbLb0EEEEDaS12_S13_EUlS12_E_NS1_11comp_targetILNS1_3genE3ELNS1_11target_archE908ELNS1_3gpuE7ELNS1_3repE0EEENS1_30default_config_static_selectorELNS0_4arch9wavefront6targetE1EEEvT1_,comdat
	.protected	_ZN7rocprim17ROCPRIM_400000_NS6detail17trampoline_kernelINS0_14default_configENS1_25partition_config_selectorILNS1_17partition_subalgoE8EjNS0_10empty_typeEbEEZZNS1_14partition_implILS5_8ELb0ES3_jPKjPS6_PKS6_NS0_5tupleIJPjS6_EEENSE_IJSB_SB_EEENS0_18inequality_wrapperIN6hipcub16HIPCUB_304000_NS8EqualityEEEPlJS6_EEE10hipError_tPvRmT3_T4_T5_T6_T7_T9_mT8_P12ihipStream_tbDpT10_ENKUlT_T0_E_clISt17integral_constantIbLb1EES16_IbLb0EEEEDaS12_S13_EUlS12_E_NS1_11comp_targetILNS1_3genE3ELNS1_11target_archE908ELNS1_3gpuE7ELNS1_3repE0EEENS1_30default_config_static_selectorELNS0_4arch9wavefront6targetE1EEEvT1_ ; -- Begin function _ZN7rocprim17ROCPRIM_400000_NS6detail17trampoline_kernelINS0_14default_configENS1_25partition_config_selectorILNS1_17partition_subalgoE8EjNS0_10empty_typeEbEEZZNS1_14partition_implILS5_8ELb0ES3_jPKjPS6_PKS6_NS0_5tupleIJPjS6_EEENSE_IJSB_SB_EEENS0_18inequality_wrapperIN6hipcub16HIPCUB_304000_NS8EqualityEEEPlJS6_EEE10hipError_tPvRmT3_T4_T5_T6_T7_T9_mT8_P12ihipStream_tbDpT10_ENKUlT_T0_E_clISt17integral_constantIbLb1EES16_IbLb0EEEEDaS12_S13_EUlS12_E_NS1_11comp_targetILNS1_3genE3ELNS1_11target_archE908ELNS1_3gpuE7ELNS1_3repE0EEENS1_30default_config_static_selectorELNS0_4arch9wavefront6targetE1EEEvT1_
	.globl	_ZN7rocprim17ROCPRIM_400000_NS6detail17trampoline_kernelINS0_14default_configENS1_25partition_config_selectorILNS1_17partition_subalgoE8EjNS0_10empty_typeEbEEZZNS1_14partition_implILS5_8ELb0ES3_jPKjPS6_PKS6_NS0_5tupleIJPjS6_EEENSE_IJSB_SB_EEENS0_18inequality_wrapperIN6hipcub16HIPCUB_304000_NS8EqualityEEEPlJS6_EEE10hipError_tPvRmT3_T4_T5_T6_T7_T9_mT8_P12ihipStream_tbDpT10_ENKUlT_T0_E_clISt17integral_constantIbLb1EES16_IbLb0EEEEDaS12_S13_EUlS12_E_NS1_11comp_targetILNS1_3genE3ELNS1_11target_archE908ELNS1_3gpuE7ELNS1_3repE0EEENS1_30default_config_static_selectorELNS0_4arch9wavefront6targetE1EEEvT1_
	.p2align	8
	.type	_ZN7rocprim17ROCPRIM_400000_NS6detail17trampoline_kernelINS0_14default_configENS1_25partition_config_selectorILNS1_17partition_subalgoE8EjNS0_10empty_typeEbEEZZNS1_14partition_implILS5_8ELb0ES3_jPKjPS6_PKS6_NS0_5tupleIJPjS6_EEENSE_IJSB_SB_EEENS0_18inequality_wrapperIN6hipcub16HIPCUB_304000_NS8EqualityEEEPlJS6_EEE10hipError_tPvRmT3_T4_T5_T6_T7_T9_mT8_P12ihipStream_tbDpT10_ENKUlT_T0_E_clISt17integral_constantIbLb1EES16_IbLb0EEEEDaS12_S13_EUlS12_E_NS1_11comp_targetILNS1_3genE3ELNS1_11target_archE908ELNS1_3gpuE7ELNS1_3repE0EEENS1_30default_config_static_selectorELNS0_4arch9wavefront6targetE1EEEvT1_,@function
_ZN7rocprim17ROCPRIM_400000_NS6detail17trampoline_kernelINS0_14default_configENS1_25partition_config_selectorILNS1_17partition_subalgoE8EjNS0_10empty_typeEbEEZZNS1_14partition_implILS5_8ELb0ES3_jPKjPS6_PKS6_NS0_5tupleIJPjS6_EEENSE_IJSB_SB_EEENS0_18inequality_wrapperIN6hipcub16HIPCUB_304000_NS8EqualityEEEPlJS6_EEE10hipError_tPvRmT3_T4_T5_T6_T7_T9_mT8_P12ihipStream_tbDpT10_ENKUlT_T0_E_clISt17integral_constantIbLb1EES16_IbLb0EEEEDaS12_S13_EUlS12_E_NS1_11comp_targetILNS1_3genE3ELNS1_11target_archE908ELNS1_3gpuE7ELNS1_3repE0EEENS1_30default_config_static_selectorELNS0_4arch9wavefront6targetE1EEEvT1_: ; @_ZN7rocprim17ROCPRIM_400000_NS6detail17trampoline_kernelINS0_14default_configENS1_25partition_config_selectorILNS1_17partition_subalgoE8EjNS0_10empty_typeEbEEZZNS1_14partition_implILS5_8ELb0ES3_jPKjPS6_PKS6_NS0_5tupleIJPjS6_EEENSE_IJSB_SB_EEENS0_18inequality_wrapperIN6hipcub16HIPCUB_304000_NS8EqualityEEEPlJS6_EEE10hipError_tPvRmT3_T4_T5_T6_T7_T9_mT8_P12ihipStream_tbDpT10_ENKUlT_T0_E_clISt17integral_constantIbLb1EES16_IbLb0EEEEDaS12_S13_EUlS12_E_NS1_11comp_targetILNS1_3genE3ELNS1_11target_archE908ELNS1_3gpuE7ELNS1_3repE0EEENS1_30default_config_static_selectorELNS0_4arch9wavefront6targetE1EEEvT1_
; %bb.0:
	.section	.rodata,"a",@progbits
	.p2align	6, 0x0
	.amdhsa_kernel _ZN7rocprim17ROCPRIM_400000_NS6detail17trampoline_kernelINS0_14default_configENS1_25partition_config_selectorILNS1_17partition_subalgoE8EjNS0_10empty_typeEbEEZZNS1_14partition_implILS5_8ELb0ES3_jPKjPS6_PKS6_NS0_5tupleIJPjS6_EEENSE_IJSB_SB_EEENS0_18inequality_wrapperIN6hipcub16HIPCUB_304000_NS8EqualityEEEPlJS6_EEE10hipError_tPvRmT3_T4_T5_T6_T7_T9_mT8_P12ihipStream_tbDpT10_ENKUlT_T0_E_clISt17integral_constantIbLb1EES16_IbLb0EEEEDaS12_S13_EUlS12_E_NS1_11comp_targetILNS1_3genE3ELNS1_11target_archE908ELNS1_3gpuE7ELNS1_3repE0EEENS1_30default_config_static_selectorELNS0_4arch9wavefront6targetE1EEEvT1_
		.amdhsa_group_segment_fixed_size 0
		.amdhsa_private_segment_fixed_size 0
		.amdhsa_kernarg_size 112
		.amdhsa_user_sgpr_count 2
		.amdhsa_user_sgpr_dispatch_ptr 0
		.amdhsa_user_sgpr_queue_ptr 0
		.amdhsa_user_sgpr_kernarg_segment_ptr 1
		.amdhsa_user_sgpr_dispatch_id 0
		.amdhsa_user_sgpr_kernarg_preload_length 0
		.amdhsa_user_sgpr_kernarg_preload_offset 0
		.amdhsa_user_sgpr_private_segment_size 0
		.amdhsa_uses_dynamic_stack 0
		.amdhsa_enable_private_segment 0
		.amdhsa_system_sgpr_workgroup_id_x 1
		.amdhsa_system_sgpr_workgroup_id_y 0
		.amdhsa_system_sgpr_workgroup_id_z 0
		.amdhsa_system_sgpr_workgroup_info 0
		.amdhsa_system_vgpr_workitem_id 0
		.amdhsa_next_free_vgpr 1
		.amdhsa_next_free_sgpr 0
		.amdhsa_accum_offset 4
		.amdhsa_reserve_vcc 0
		.amdhsa_float_round_mode_32 0
		.amdhsa_float_round_mode_16_64 0
		.amdhsa_float_denorm_mode_32 3
		.amdhsa_float_denorm_mode_16_64 3
		.amdhsa_dx10_clamp 1
		.amdhsa_ieee_mode 1
		.amdhsa_fp16_overflow 0
		.amdhsa_tg_split 0
		.amdhsa_exception_fp_ieee_invalid_op 0
		.amdhsa_exception_fp_denorm_src 0
		.amdhsa_exception_fp_ieee_div_zero 0
		.amdhsa_exception_fp_ieee_overflow 0
		.amdhsa_exception_fp_ieee_underflow 0
		.amdhsa_exception_fp_ieee_inexact 0
		.amdhsa_exception_int_div_zero 0
	.end_amdhsa_kernel
	.section	.text._ZN7rocprim17ROCPRIM_400000_NS6detail17trampoline_kernelINS0_14default_configENS1_25partition_config_selectorILNS1_17partition_subalgoE8EjNS0_10empty_typeEbEEZZNS1_14partition_implILS5_8ELb0ES3_jPKjPS6_PKS6_NS0_5tupleIJPjS6_EEENSE_IJSB_SB_EEENS0_18inequality_wrapperIN6hipcub16HIPCUB_304000_NS8EqualityEEEPlJS6_EEE10hipError_tPvRmT3_T4_T5_T6_T7_T9_mT8_P12ihipStream_tbDpT10_ENKUlT_T0_E_clISt17integral_constantIbLb1EES16_IbLb0EEEEDaS12_S13_EUlS12_E_NS1_11comp_targetILNS1_3genE3ELNS1_11target_archE908ELNS1_3gpuE7ELNS1_3repE0EEENS1_30default_config_static_selectorELNS0_4arch9wavefront6targetE1EEEvT1_,"axG",@progbits,_ZN7rocprim17ROCPRIM_400000_NS6detail17trampoline_kernelINS0_14default_configENS1_25partition_config_selectorILNS1_17partition_subalgoE8EjNS0_10empty_typeEbEEZZNS1_14partition_implILS5_8ELb0ES3_jPKjPS6_PKS6_NS0_5tupleIJPjS6_EEENSE_IJSB_SB_EEENS0_18inequality_wrapperIN6hipcub16HIPCUB_304000_NS8EqualityEEEPlJS6_EEE10hipError_tPvRmT3_T4_T5_T6_T7_T9_mT8_P12ihipStream_tbDpT10_ENKUlT_T0_E_clISt17integral_constantIbLb1EES16_IbLb0EEEEDaS12_S13_EUlS12_E_NS1_11comp_targetILNS1_3genE3ELNS1_11target_archE908ELNS1_3gpuE7ELNS1_3repE0EEENS1_30default_config_static_selectorELNS0_4arch9wavefront6targetE1EEEvT1_,comdat
.Lfunc_end636:
	.size	_ZN7rocprim17ROCPRIM_400000_NS6detail17trampoline_kernelINS0_14default_configENS1_25partition_config_selectorILNS1_17partition_subalgoE8EjNS0_10empty_typeEbEEZZNS1_14partition_implILS5_8ELb0ES3_jPKjPS6_PKS6_NS0_5tupleIJPjS6_EEENSE_IJSB_SB_EEENS0_18inequality_wrapperIN6hipcub16HIPCUB_304000_NS8EqualityEEEPlJS6_EEE10hipError_tPvRmT3_T4_T5_T6_T7_T9_mT8_P12ihipStream_tbDpT10_ENKUlT_T0_E_clISt17integral_constantIbLb1EES16_IbLb0EEEEDaS12_S13_EUlS12_E_NS1_11comp_targetILNS1_3genE3ELNS1_11target_archE908ELNS1_3gpuE7ELNS1_3repE0EEENS1_30default_config_static_selectorELNS0_4arch9wavefront6targetE1EEEvT1_, .Lfunc_end636-_ZN7rocprim17ROCPRIM_400000_NS6detail17trampoline_kernelINS0_14default_configENS1_25partition_config_selectorILNS1_17partition_subalgoE8EjNS0_10empty_typeEbEEZZNS1_14partition_implILS5_8ELb0ES3_jPKjPS6_PKS6_NS0_5tupleIJPjS6_EEENSE_IJSB_SB_EEENS0_18inequality_wrapperIN6hipcub16HIPCUB_304000_NS8EqualityEEEPlJS6_EEE10hipError_tPvRmT3_T4_T5_T6_T7_T9_mT8_P12ihipStream_tbDpT10_ENKUlT_T0_E_clISt17integral_constantIbLb1EES16_IbLb0EEEEDaS12_S13_EUlS12_E_NS1_11comp_targetILNS1_3genE3ELNS1_11target_archE908ELNS1_3gpuE7ELNS1_3repE0EEENS1_30default_config_static_selectorELNS0_4arch9wavefront6targetE1EEEvT1_
                                        ; -- End function
	.section	.AMDGPU.csdata,"",@progbits
; Kernel info:
; codeLenInByte = 0
; NumSgprs: 6
; NumVgprs: 0
; NumAgprs: 0
; TotalNumVgprs: 0
; ScratchSize: 0
; MemoryBound: 0
; FloatMode: 240
; IeeeMode: 1
; LDSByteSize: 0 bytes/workgroup (compile time only)
; SGPRBlocks: 0
; VGPRBlocks: 0
; NumSGPRsForWavesPerEU: 6
; NumVGPRsForWavesPerEU: 1
; AccumOffset: 4
; Occupancy: 8
; WaveLimiterHint : 0
; COMPUTE_PGM_RSRC2:SCRATCH_EN: 0
; COMPUTE_PGM_RSRC2:USER_SGPR: 2
; COMPUTE_PGM_RSRC2:TRAP_HANDLER: 0
; COMPUTE_PGM_RSRC2:TGID_X_EN: 1
; COMPUTE_PGM_RSRC2:TGID_Y_EN: 0
; COMPUTE_PGM_RSRC2:TGID_Z_EN: 0
; COMPUTE_PGM_RSRC2:TIDIG_COMP_CNT: 0
; COMPUTE_PGM_RSRC3_GFX90A:ACCUM_OFFSET: 0
; COMPUTE_PGM_RSRC3_GFX90A:TG_SPLIT: 0
	.section	.text._ZN7rocprim17ROCPRIM_400000_NS6detail17trampoline_kernelINS0_14default_configENS1_25partition_config_selectorILNS1_17partition_subalgoE8EjNS0_10empty_typeEbEEZZNS1_14partition_implILS5_8ELb0ES3_jPKjPS6_PKS6_NS0_5tupleIJPjS6_EEENSE_IJSB_SB_EEENS0_18inequality_wrapperIN6hipcub16HIPCUB_304000_NS8EqualityEEEPlJS6_EEE10hipError_tPvRmT3_T4_T5_T6_T7_T9_mT8_P12ihipStream_tbDpT10_ENKUlT_T0_E_clISt17integral_constantIbLb1EES16_IbLb0EEEEDaS12_S13_EUlS12_E_NS1_11comp_targetILNS1_3genE2ELNS1_11target_archE906ELNS1_3gpuE6ELNS1_3repE0EEENS1_30default_config_static_selectorELNS0_4arch9wavefront6targetE1EEEvT1_,"axG",@progbits,_ZN7rocprim17ROCPRIM_400000_NS6detail17trampoline_kernelINS0_14default_configENS1_25partition_config_selectorILNS1_17partition_subalgoE8EjNS0_10empty_typeEbEEZZNS1_14partition_implILS5_8ELb0ES3_jPKjPS6_PKS6_NS0_5tupleIJPjS6_EEENSE_IJSB_SB_EEENS0_18inequality_wrapperIN6hipcub16HIPCUB_304000_NS8EqualityEEEPlJS6_EEE10hipError_tPvRmT3_T4_T5_T6_T7_T9_mT8_P12ihipStream_tbDpT10_ENKUlT_T0_E_clISt17integral_constantIbLb1EES16_IbLb0EEEEDaS12_S13_EUlS12_E_NS1_11comp_targetILNS1_3genE2ELNS1_11target_archE906ELNS1_3gpuE6ELNS1_3repE0EEENS1_30default_config_static_selectorELNS0_4arch9wavefront6targetE1EEEvT1_,comdat
	.protected	_ZN7rocprim17ROCPRIM_400000_NS6detail17trampoline_kernelINS0_14default_configENS1_25partition_config_selectorILNS1_17partition_subalgoE8EjNS0_10empty_typeEbEEZZNS1_14partition_implILS5_8ELb0ES3_jPKjPS6_PKS6_NS0_5tupleIJPjS6_EEENSE_IJSB_SB_EEENS0_18inequality_wrapperIN6hipcub16HIPCUB_304000_NS8EqualityEEEPlJS6_EEE10hipError_tPvRmT3_T4_T5_T6_T7_T9_mT8_P12ihipStream_tbDpT10_ENKUlT_T0_E_clISt17integral_constantIbLb1EES16_IbLb0EEEEDaS12_S13_EUlS12_E_NS1_11comp_targetILNS1_3genE2ELNS1_11target_archE906ELNS1_3gpuE6ELNS1_3repE0EEENS1_30default_config_static_selectorELNS0_4arch9wavefront6targetE1EEEvT1_ ; -- Begin function _ZN7rocprim17ROCPRIM_400000_NS6detail17trampoline_kernelINS0_14default_configENS1_25partition_config_selectorILNS1_17partition_subalgoE8EjNS0_10empty_typeEbEEZZNS1_14partition_implILS5_8ELb0ES3_jPKjPS6_PKS6_NS0_5tupleIJPjS6_EEENSE_IJSB_SB_EEENS0_18inequality_wrapperIN6hipcub16HIPCUB_304000_NS8EqualityEEEPlJS6_EEE10hipError_tPvRmT3_T4_T5_T6_T7_T9_mT8_P12ihipStream_tbDpT10_ENKUlT_T0_E_clISt17integral_constantIbLb1EES16_IbLb0EEEEDaS12_S13_EUlS12_E_NS1_11comp_targetILNS1_3genE2ELNS1_11target_archE906ELNS1_3gpuE6ELNS1_3repE0EEENS1_30default_config_static_selectorELNS0_4arch9wavefront6targetE1EEEvT1_
	.globl	_ZN7rocprim17ROCPRIM_400000_NS6detail17trampoline_kernelINS0_14default_configENS1_25partition_config_selectorILNS1_17partition_subalgoE8EjNS0_10empty_typeEbEEZZNS1_14partition_implILS5_8ELb0ES3_jPKjPS6_PKS6_NS0_5tupleIJPjS6_EEENSE_IJSB_SB_EEENS0_18inequality_wrapperIN6hipcub16HIPCUB_304000_NS8EqualityEEEPlJS6_EEE10hipError_tPvRmT3_T4_T5_T6_T7_T9_mT8_P12ihipStream_tbDpT10_ENKUlT_T0_E_clISt17integral_constantIbLb1EES16_IbLb0EEEEDaS12_S13_EUlS12_E_NS1_11comp_targetILNS1_3genE2ELNS1_11target_archE906ELNS1_3gpuE6ELNS1_3repE0EEENS1_30default_config_static_selectorELNS0_4arch9wavefront6targetE1EEEvT1_
	.p2align	8
	.type	_ZN7rocprim17ROCPRIM_400000_NS6detail17trampoline_kernelINS0_14default_configENS1_25partition_config_selectorILNS1_17partition_subalgoE8EjNS0_10empty_typeEbEEZZNS1_14partition_implILS5_8ELb0ES3_jPKjPS6_PKS6_NS0_5tupleIJPjS6_EEENSE_IJSB_SB_EEENS0_18inequality_wrapperIN6hipcub16HIPCUB_304000_NS8EqualityEEEPlJS6_EEE10hipError_tPvRmT3_T4_T5_T6_T7_T9_mT8_P12ihipStream_tbDpT10_ENKUlT_T0_E_clISt17integral_constantIbLb1EES16_IbLb0EEEEDaS12_S13_EUlS12_E_NS1_11comp_targetILNS1_3genE2ELNS1_11target_archE906ELNS1_3gpuE6ELNS1_3repE0EEENS1_30default_config_static_selectorELNS0_4arch9wavefront6targetE1EEEvT1_,@function
_ZN7rocprim17ROCPRIM_400000_NS6detail17trampoline_kernelINS0_14default_configENS1_25partition_config_selectorILNS1_17partition_subalgoE8EjNS0_10empty_typeEbEEZZNS1_14partition_implILS5_8ELb0ES3_jPKjPS6_PKS6_NS0_5tupleIJPjS6_EEENSE_IJSB_SB_EEENS0_18inequality_wrapperIN6hipcub16HIPCUB_304000_NS8EqualityEEEPlJS6_EEE10hipError_tPvRmT3_T4_T5_T6_T7_T9_mT8_P12ihipStream_tbDpT10_ENKUlT_T0_E_clISt17integral_constantIbLb1EES16_IbLb0EEEEDaS12_S13_EUlS12_E_NS1_11comp_targetILNS1_3genE2ELNS1_11target_archE906ELNS1_3gpuE6ELNS1_3repE0EEENS1_30default_config_static_selectorELNS0_4arch9wavefront6targetE1EEEvT1_: ; @_ZN7rocprim17ROCPRIM_400000_NS6detail17trampoline_kernelINS0_14default_configENS1_25partition_config_selectorILNS1_17partition_subalgoE8EjNS0_10empty_typeEbEEZZNS1_14partition_implILS5_8ELb0ES3_jPKjPS6_PKS6_NS0_5tupleIJPjS6_EEENSE_IJSB_SB_EEENS0_18inequality_wrapperIN6hipcub16HIPCUB_304000_NS8EqualityEEEPlJS6_EEE10hipError_tPvRmT3_T4_T5_T6_T7_T9_mT8_P12ihipStream_tbDpT10_ENKUlT_T0_E_clISt17integral_constantIbLb1EES16_IbLb0EEEEDaS12_S13_EUlS12_E_NS1_11comp_targetILNS1_3genE2ELNS1_11target_archE906ELNS1_3gpuE6ELNS1_3repE0EEENS1_30default_config_static_selectorELNS0_4arch9wavefront6targetE1EEEvT1_
; %bb.0:
	.section	.rodata,"a",@progbits
	.p2align	6, 0x0
	.amdhsa_kernel _ZN7rocprim17ROCPRIM_400000_NS6detail17trampoline_kernelINS0_14default_configENS1_25partition_config_selectorILNS1_17partition_subalgoE8EjNS0_10empty_typeEbEEZZNS1_14partition_implILS5_8ELb0ES3_jPKjPS6_PKS6_NS0_5tupleIJPjS6_EEENSE_IJSB_SB_EEENS0_18inequality_wrapperIN6hipcub16HIPCUB_304000_NS8EqualityEEEPlJS6_EEE10hipError_tPvRmT3_T4_T5_T6_T7_T9_mT8_P12ihipStream_tbDpT10_ENKUlT_T0_E_clISt17integral_constantIbLb1EES16_IbLb0EEEEDaS12_S13_EUlS12_E_NS1_11comp_targetILNS1_3genE2ELNS1_11target_archE906ELNS1_3gpuE6ELNS1_3repE0EEENS1_30default_config_static_selectorELNS0_4arch9wavefront6targetE1EEEvT1_
		.amdhsa_group_segment_fixed_size 0
		.amdhsa_private_segment_fixed_size 0
		.amdhsa_kernarg_size 112
		.amdhsa_user_sgpr_count 2
		.amdhsa_user_sgpr_dispatch_ptr 0
		.amdhsa_user_sgpr_queue_ptr 0
		.amdhsa_user_sgpr_kernarg_segment_ptr 1
		.amdhsa_user_sgpr_dispatch_id 0
		.amdhsa_user_sgpr_kernarg_preload_length 0
		.amdhsa_user_sgpr_kernarg_preload_offset 0
		.amdhsa_user_sgpr_private_segment_size 0
		.amdhsa_uses_dynamic_stack 0
		.amdhsa_enable_private_segment 0
		.amdhsa_system_sgpr_workgroup_id_x 1
		.amdhsa_system_sgpr_workgroup_id_y 0
		.amdhsa_system_sgpr_workgroup_id_z 0
		.amdhsa_system_sgpr_workgroup_info 0
		.amdhsa_system_vgpr_workitem_id 0
		.amdhsa_next_free_vgpr 1
		.amdhsa_next_free_sgpr 0
		.amdhsa_accum_offset 4
		.amdhsa_reserve_vcc 0
		.amdhsa_float_round_mode_32 0
		.amdhsa_float_round_mode_16_64 0
		.amdhsa_float_denorm_mode_32 3
		.amdhsa_float_denorm_mode_16_64 3
		.amdhsa_dx10_clamp 1
		.amdhsa_ieee_mode 1
		.amdhsa_fp16_overflow 0
		.amdhsa_tg_split 0
		.amdhsa_exception_fp_ieee_invalid_op 0
		.amdhsa_exception_fp_denorm_src 0
		.amdhsa_exception_fp_ieee_div_zero 0
		.amdhsa_exception_fp_ieee_overflow 0
		.amdhsa_exception_fp_ieee_underflow 0
		.amdhsa_exception_fp_ieee_inexact 0
		.amdhsa_exception_int_div_zero 0
	.end_amdhsa_kernel
	.section	.text._ZN7rocprim17ROCPRIM_400000_NS6detail17trampoline_kernelINS0_14default_configENS1_25partition_config_selectorILNS1_17partition_subalgoE8EjNS0_10empty_typeEbEEZZNS1_14partition_implILS5_8ELb0ES3_jPKjPS6_PKS6_NS0_5tupleIJPjS6_EEENSE_IJSB_SB_EEENS0_18inequality_wrapperIN6hipcub16HIPCUB_304000_NS8EqualityEEEPlJS6_EEE10hipError_tPvRmT3_T4_T5_T6_T7_T9_mT8_P12ihipStream_tbDpT10_ENKUlT_T0_E_clISt17integral_constantIbLb1EES16_IbLb0EEEEDaS12_S13_EUlS12_E_NS1_11comp_targetILNS1_3genE2ELNS1_11target_archE906ELNS1_3gpuE6ELNS1_3repE0EEENS1_30default_config_static_selectorELNS0_4arch9wavefront6targetE1EEEvT1_,"axG",@progbits,_ZN7rocprim17ROCPRIM_400000_NS6detail17trampoline_kernelINS0_14default_configENS1_25partition_config_selectorILNS1_17partition_subalgoE8EjNS0_10empty_typeEbEEZZNS1_14partition_implILS5_8ELb0ES3_jPKjPS6_PKS6_NS0_5tupleIJPjS6_EEENSE_IJSB_SB_EEENS0_18inequality_wrapperIN6hipcub16HIPCUB_304000_NS8EqualityEEEPlJS6_EEE10hipError_tPvRmT3_T4_T5_T6_T7_T9_mT8_P12ihipStream_tbDpT10_ENKUlT_T0_E_clISt17integral_constantIbLb1EES16_IbLb0EEEEDaS12_S13_EUlS12_E_NS1_11comp_targetILNS1_3genE2ELNS1_11target_archE906ELNS1_3gpuE6ELNS1_3repE0EEENS1_30default_config_static_selectorELNS0_4arch9wavefront6targetE1EEEvT1_,comdat
.Lfunc_end637:
	.size	_ZN7rocprim17ROCPRIM_400000_NS6detail17trampoline_kernelINS0_14default_configENS1_25partition_config_selectorILNS1_17partition_subalgoE8EjNS0_10empty_typeEbEEZZNS1_14partition_implILS5_8ELb0ES3_jPKjPS6_PKS6_NS0_5tupleIJPjS6_EEENSE_IJSB_SB_EEENS0_18inequality_wrapperIN6hipcub16HIPCUB_304000_NS8EqualityEEEPlJS6_EEE10hipError_tPvRmT3_T4_T5_T6_T7_T9_mT8_P12ihipStream_tbDpT10_ENKUlT_T0_E_clISt17integral_constantIbLb1EES16_IbLb0EEEEDaS12_S13_EUlS12_E_NS1_11comp_targetILNS1_3genE2ELNS1_11target_archE906ELNS1_3gpuE6ELNS1_3repE0EEENS1_30default_config_static_selectorELNS0_4arch9wavefront6targetE1EEEvT1_, .Lfunc_end637-_ZN7rocprim17ROCPRIM_400000_NS6detail17trampoline_kernelINS0_14default_configENS1_25partition_config_selectorILNS1_17partition_subalgoE8EjNS0_10empty_typeEbEEZZNS1_14partition_implILS5_8ELb0ES3_jPKjPS6_PKS6_NS0_5tupleIJPjS6_EEENSE_IJSB_SB_EEENS0_18inequality_wrapperIN6hipcub16HIPCUB_304000_NS8EqualityEEEPlJS6_EEE10hipError_tPvRmT3_T4_T5_T6_T7_T9_mT8_P12ihipStream_tbDpT10_ENKUlT_T0_E_clISt17integral_constantIbLb1EES16_IbLb0EEEEDaS12_S13_EUlS12_E_NS1_11comp_targetILNS1_3genE2ELNS1_11target_archE906ELNS1_3gpuE6ELNS1_3repE0EEENS1_30default_config_static_selectorELNS0_4arch9wavefront6targetE1EEEvT1_
                                        ; -- End function
	.section	.AMDGPU.csdata,"",@progbits
; Kernel info:
; codeLenInByte = 0
; NumSgprs: 6
; NumVgprs: 0
; NumAgprs: 0
; TotalNumVgprs: 0
; ScratchSize: 0
; MemoryBound: 0
; FloatMode: 240
; IeeeMode: 1
; LDSByteSize: 0 bytes/workgroup (compile time only)
; SGPRBlocks: 0
; VGPRBlocks: 0
; NumSGPRsForWavesPerEU: 6
; NumVGPRsForWavesPerEU: 1
; AccumOffset: 4
; Occupancy: 8
; WaveLimiterHint : 0
; COMPUTE_PGM_RSRC2:SCRATCH_EN: 0
; COMPUTE_PGM_RSRC2:USER_SGPR: 2
; COMPUTE_PGM_RSRC2:TRAP_HANDLER: 0
; COMPUTE_PGM_RSRC2:TGID_X_EN: 1
; COMPUTE_PGM_RSRC2:TGID_Y_EN: 0
; COMPUTE_PGM_RSRC2:TGID_Z_EN: 0
; COMPUTE_PGM_RSRC2:TIDIG_COMP_CNT: 0
; COMPUTE_PGM_RSRC3_GFX90A:ACCUM_OFFSET: 0
; COMPUTE_PGM_RSRC3_GFX90A:TG_SPLIT: 0
	.section	.text._ZN7rocprim17ROCPRIM_400000_NS6detail17trampoline_kernelINS0_14default_configENS1_25partition_config_selectorILNS1_17partition_subalgoE8EjNS0_10empty_typeEbEEZZNS1_14partition_implILS5_8ELb0ES3_jPKjPS6_PKS6_NS0_5tupleIJPjS6_EEENSE_IJSB_SB_EEENS0_18inequality_wrapperIN6hipcub16HIPCUB_304000_NS8EqualityEEEPlJS6_EEE10hipError_tPvRmT3_T4_T5_T6_T7_T9_mT8_P12ihipStream_tbDpT10_ENKUlT_T0_E_clISt17integral_constantIbLb1EES16_IbLb0EEEEDaS12_S13_EUlS12_E_NS1_11comp_targetILNS1_3genE10ELNS1_11target_archE1200ELNS1_3gpuE4ELNS1_3repE0EEENS1_30default_config_static_selectorELNS0_4arch9wavefront6targetE1EEEvT1_,"axG",@progbits,_ZN7rocprim17ROCPRIM_400000_NS6detail17trampoline_kernelINS0_14default_configENS1_25partition_config_selectorILNS1_17partition_subalgoE8EjNS0_10empty_typeEbEEZZNS1_14partition_implILS5_8ELb0ES3_jPKjPS6_PKS6_NS0_5tupleIJPjS6_EEENSE_IJSB_SB_EEENS0_18inequality_wrapperIN6hipcub16HIPCUB_304000_NS8EqualityEEEPlJS6_EEE10hipError_tPvRmT3_T4_T5_T6_T7_T9_mT8_P12ihipStream_tbDpT10_ENKUlT_T0_E_clISt17integral_constantIbLb1EES16_IbLb0EEEEDaS12_S13_EUlS12_E_NS1_11comp_targetILNS1_3genE10ELNS1_11target_archE1200ELNS1_3gpuE4ELNS1_3repE0EEENS1_30default_config_static_selectorELNS0_4arch9wavefront6targetE1EEEvT1_,comdat
	.protected	_ZN7rocprim17ROCPRIM_400000_NS6detail17trampoline_kernelINS0_14default_configENS1_25partition_config_selectorILNS1_17partition_subalgoE8EjNS0_10empty_typeEbEEZZNS1_14partition_implILS5_8ELb0ES3_jPKjPS6_PKS6_NS0_5tupleIJPjS6_EEENSE_IJSB_SB_EEENS0_18inequality_wrapperIN6hipcub16HIPCUB_304000_NS8EqualityEEEPlJS6_EEE10hipError_tPvRmT3_T4_T5_T6_T7_T9_mT8_P12ihipStream_tbDpT10_ENKUlT_T0_E_clISt17integral_constantIbLb1EES16_IbLb0EEEEDaS12_S13_EUlS12_E_NS1_11comp_targetILNS1_3genE10ELNS1_11target_archE1200ELNS1_3gpuE4ELNS1_3repE0EEENS1_30default_config_static_selectorELNS0_4arch9wavefront6targetE1EEEvT1_ ; -- Begin function _ZN7rocprim17ROCPRIM_400000_NS6detail17trampoline_kernelINS0_14default_configENS1_25partition_config_selectorILNS1_17partition_subalgoE8EjNS0_10empty_typeEbEEZZNS1_14partition_implILS5_8ELb0ES3_jPKjPS6_PKS6_NS0_5tupleIJPjS6_EEENSE_IJSB_SB_EEENS0_18inequality_wrapperIN6hipcub16HIPCUB_304000_NS8EqualityEEEPlJS6_EEE10hipError_tPvRmT3_T4_T5_T6_T7_T9_mT8_P12ihipStream_tbDpT10_ENKUlT_T0_E_clISt17integral_constantIbLb1EES16_IbLb0EEEEDaS12_S13_EUlS12_E_NS1_11comp_targetILNS1_3genE10ELNS1_11target_archE1200ELNS1_3gpuE4ELNS1_3repE0EEENS1_30default_config_static_selectorELNS0_4arch9wavefront6targetE1EEEvT1_
	.globl	_ZN7rocprim17ROCPRIM_400000_NS6detail17trampoline_kernelINS0_14default_configENS1_25partition_config_selectorILNS1_17partition_subalgoE8EjNS0_10empty_typeEbEEZZNS1_14partition_implILS5_8ELb0ES3_jPKjPS6_PKS6_NS0_5tupleIJPjS6_EEENSE_IJSB_SB_EEENS0_18inequality_wrapperIN6hipcub16HIPCUB_304000_NS8EqualityEEEPlJS6_EEE10hipError_tPvRmT3_T4_T5_T6_T7_T9_mT8_P12ihipStream_tbDpT10_ENKUlT_T0_E_clISt17integral_constantIbLb1EES16_IbLb0EEEEDaS12_S13_EUlS12_E_NS1_11comp_targetILNS1_3genE10ELNS1_11target_archE1200ELNS1_3gpuE4ELNS1_3repE0EEENS1_30default_config_static_selectorELNS0_4arch9wavefront6targetE1EEEvT1_
	.p2align	8
	.type	_ZN7rocprim17ROCPRIM_400000_NS6detail17trampoline_kernelINS0_14default_configENS1_25partition_config_selectorILNS1_17partition_subalgoE8EjNS0_10empty_typeEbEEZZNS1_14partition_implILS5_8ELb0ES3_jPKjPS6_PKS6_NS0_5tupleIJPjS6_EEENSE_IJSB_SB_EEENS0_18inequality_wrapperIN6hipcub16HIPCUB_304000_NS8EqualityEEEPlJS6_EEE10hipError_tPvRmT3_T4_T5_T6_T7_T9_mT8_P12ihipStream_tbDpT10_ENKUlT_T0_E_clISt17integral_constantIbLb1EES16_IbLb0EEEEDaS12_S13_EUlS12_E_NS1_11comp_targetILNS1_3genE10ELNS1_11target_archE1200ELNS1_3gpuE4ELNS1_3repE0EEENS1_30default_config_static_selectorELNS0_4arch9wavefront6targetE1EEEvT1_,@function
_ZN7rocprim17ROCPRIM_400000_NS6detail17trampoline_kernelINS0_14default_configENS1_25partition_config_selectorILNS1_17partition_subalgoE8EjNS0_10empty_typeEbEEZZNS1_14partition_implILS5_8ELb0ES3_jPKjPS6_PKS6_NS0_5tupleIJPjS6_EEENSE_IJSB_SB_EEENS0_18inequality_wrapperIN6hipcub16HIPCUB_304000_NS8EqualityEEEPlJS6_EEE10hipError_tPvRmT3_T4_T5_T6_T7_T9_mT8_P12ihipStream_tbDpT10_ENKUlT_T0_E_clISt17integral_constantIbLb1EES16_IbLb0EEEEDaS12_S13_EUlS12_E_NS1_11comp_targetILNS1_3genE10ELNS1_11target_archE1200ELNS1_3gpuE4ELNS1_3repE0EEENS1_30default_config_static_selectorELNS0_4arch9wavefront6targetE1EEEvT1_: ; @_ZN7rocprim17ROCPRIM_400000_NS6detail17trampoline_kernelINS0_14default_configENS1_25partition_config_selectorILNS1_17partition_subalgoE8EjNS0_10empty_typeEbEEZZNS1_14partition_implILS5_8ELb0ES3_jPKjPS6_PKS6_NS0_5tupleIJPjS6_EEENSE_IJSB_SB_EEENS0_18inequality_wrapperIN6hipcub16HIPCUB_304000_NS8EqualityEEEPlJS6_EEE10hipError_tPvRmT3_T4_T5_T6_T7_T9_mT8_P12ihipStream_tbDpT10_ENKUlT_T0_E_clISt17integral_constantIbLb1EES16_IbLb0EEEEDaS12_S13_EUlS12_E_NS1_11comp_targetILNS1_3genE10ELNS1_11target_archE1200ELNS1_3gpuE4ELNS1_3repE0EEENS1_30default_config_static_selectorELNS0_4arch9wavefront6targetE1EEEvT1_
; %bb.0:
	.section	.rodata,"a",@progbits
	.p2align	6, 0x0
	.amdhsa_kernel _ZN7rocprim17ROCPRIM_400000_NS6detail17trampoline_kernelINS0_14default_configENS1_25partition_config_selectorILNS1_17partition_subalgoE8EjNS0_10empty_typeEbEEZZNS1_14partition_implILS5_8ELb0ES3_jPKjPS6_PKS6_NS0_5tupleIJPjS6_EEENSE_IJSB_SB_EEENS0_18inequality_wrapperIN6hipcub16HIPCUB_304000_NS8EqualityEEEPlJS6_EEE10hipError_tPvRmT3_T4_T5_T6_T7_T9_mT8_P12ihipStream_tbDpT10_ENKUlT_T0_E_clISt17integral_constantIbLb1EES16_IbLb0EEEEDaS12_S13_EUlS12_E_NS1_11comp_targetILNS1_3genE10ELNS1_11target_archE1200ELNS1_3gpuE4ELNS1_3repE0EEENS1_30default_config_static_selectorELNS0_4arch9wavefront6targetE1EEEvT1_
		.amdhsa_group_segment_fixed_size 0
		.amdhsa_private_segment_fixed_size 0
		.amdhsa_kernarg_size 112
		.amdhsa_user_sgpr_count 2
		.amdhsa_user_sgpr_dispatch_ptr 0
		.amdhsa_user_sgpr_queue_ptr 0
		.amdhsa_user_sgpr_kernarg_segment_ptr 1
		.amdhsa_user_sgpr_dispatch_id 0
		.amdhsa_user_sgpr_kernarg_preload_length 0
		.amdhsa_user_sgpr_kernarg_preload_offset 0
		.amdhsa_user_sgpr_private_segment_size 0
		.amdhsa_uses_dynamic_stack 0
		.amdhsa_enable_private_segment 0
		.amdhsa_system_sgpr_workgroup_id_x 1
		.amdhsa_system_sgpr_workgroup_id_y 0
		.amdhsa_system_sgpr_workgroup_id_z 0
		.amdhsa_system_sgpr_workgroup_info 0
		.amdhsa_system_vgpr_workitem_id 0
		.amdhsa_next_free_vgpr 1
		.amdhsa_next_free_sgpr 0
		.amdhsa_accum_offset 4
		.amdhsa_reserve_vcc 0
		.amdhsa_float_round_mode_32 0
		.amdhsa_float_round_mode_16_64 0
		.amdhsa_float_denorm_mode_32 3
		.amdhsa_float_denorm_mode_16_64 3
		.amdhsa_dx10_clamp 1
		.amdhsa_ieee_mode 1
		.amdhsa_fp16_overflow 0
		.amdhsa_tg_split 0
		.amdhsa_exception_fp_ieee_invalid_op 0
		.amdhsa_exception_fp_denorm_src 0
		.amdhsa_exception_fp_ieee_div_zero 0
		.amdhsa_exception_fp_ieee_overflow 0
		.amdhsa_exception_fp_ieee_underflow 0
		.amdhsa_exception_fp_ieee_inexact 0
		.amdhsa_exception_int_div_zero 0
	.end_amdhsa_kernel
	.section	.text._ZN7rocprim17ROCPRIM_400000_NS6detail17trampoline_kernelINS0_14default_configENS1_25partition_config_selectorILNS1_17partition_subalgoE8EjNS0_10empty_typeEbEEZZNS1_14partition_implILS5_8ELb0ES3_jPKjPS6_PKS6_NS0_5tupleIJPjS6_EEENSE_IJSB_SB_EEENS0_18inequality_wrapperIN6hipcub16HIPCUB_304000_NS8EqualityEEEPlJS6_EEE10hipError_tPvRmT3_T4_T5_T6_T7_T9_mT8_P12ihipStream_tbDpT10_ENKUlT_T0_E_clISt17integral_constantIbLb1EES16_IbLb0EEEEDaS12_S13_EUlS12_E_NS1_11comp_targetILNS1_3genE10ELNS1_11target_archE1200ELNS1_3gpuE4ELNS1_3repE0EEENS1_30default_config_static_selectorELNS0_4arch9wavefront6targetE1EEEvT1_,"axG",@progbits,_ZN7rocprim17ROCPRIM_400000_NS6detail17trampoline_kernelINS0_14default_configENS1_25partition_config_selectorILNS1_17partition_subalgoE8EjNS0_10empty_typeEbEEZZNS1_14partition_implILS5_8ELb0ES3_jPKjPS6_PKS6_NS0_5tupleIJPjS6_EEENSE_IJSB_SB_EEENS0_18inequality_wrapperIN6hipcub16HIPCUB_304000_NS8EqualityEEEPlJS6_EEE10hipError_tPvRmT3_T4_T5_T6_T7_T9_mT8_P12ihipStream_tbDpT10_ENKUlT_T0_E_clISt17integral_constantIbLb1EES16_IbLb0EEEEDaS12_S13_EUlS12_E_NS1_11comp_targetILNS1_3genE10ELNS1_11target_archE1200ELNS1_3gpuE4ELNS1_3repE0EEENS1_30default_config_static_selectorELNS0_4arch9wavefront6targetE1EEEvT1_,comdat
.Lfunc_end638:
	.size	_ZN7rocprim17ROCPRIM_400000_NS6detail17trampoline_kernelINS0_14default_configENS1_25partition_config_selectorILNS1_17partition_subalgoE8EjNS0_10empty_typeEbEEZZNS1_14partition_implILS5_8ELb0ES3_jPKjPS6_PKS6_NS0_5tupleIJPjS6_EEENSE_IJSB_SB_EEENS0_18inequality_wrapperIN6hipcub16HIPCUB_304000_NS8EqualityEEEPlJS6_EEE10hipError_tPvRmT3_T4_T5_T6_T7_T9_mT8_P12ihipStream_tbDpT10_ENKUlT_T0_E_clISt17integral_constantIbLb1EES16_IbLb0EEEEDaS12_S13_EUlS12_E_NS1_11comp_targetILNS1_3genE10ELNS1_11target_archE1200ELNS1_3gpuE4ELNS1_3repE0EEENS1_30default_config_static_selectorELNS0_4arch9wavefront6targetE1EEEvT1_, .Lfunc_end638-_ZN7rocprim17ROCPRIM_400000_NS6detail17trampoline_kernelINS0_14default_configENS1_25partition_config_selectorILNS1_17partition_subalgoE8EjNS0_10empty_typeEbEEZZNS1_14partition_implILS5_8ELb0ES3_jPKjPS6_PKS6_NS0_5tupleIJPjS6_EEENSE_IJSB_SB_EEENS0_18inequality_wrapperIN6hipcub16HIPCUB_304000_NS8EqualityEEEPlJS6_EEE10hipError_tPvRmT3_T4_T5_T6_T7_T9_mT8_P12ihipStream_tbDpT10_ENKUlT_T0_E_clISt17integral_constantIbLb1EES16_IbLb0EEEEDaS12_S13_EUlS12_E_NS1_11comp_targetILNS1_3genE10ELNS1_11target_archE1200ELNS1_3gpuE4ELNS1_3repE0EEENS1_30default_config_static_selectorELNS0_4arch9wavefront6targetE1EEEvT1_
                                        ; -- End function
	.section	.AMDGPU.csdata,"",@progbits
; Kernel info:
; codeLenInByte = 0
; NumSgprs: 6
; NumVgprs: 0
; NumAgprs: 0
; TotalNumVgprs: 0
; ScratchSize: 0
; MemoryBound: 0
; FloatMode: 240
; IeeeMode: 1
; LDSByteSize: 0 bytes/workgroup (compile time only)
; SGPRBlocks: 0
; VGPRBlocks: 0
; NumSGPRsForWavesPerEU: 6
; NumVGPRsForWavesPerEU: 1
; AccumOffset: 4
; Occupancy: 8
; WaveLimiterHint : 0
; COMPUTE_PGM_RSRC2:SCRATCH_EN: 0
; COMPUTE_PGM_RSRC2:USER_SGPR: 2
; COMPUTE_PGM_RSRC2:TRAP_HANDLER: 0
; COMPUTE_PGM_RSRC2:TGID_X_EN: 1
; COMPUTE_PGM_RSRC2:TGID_Y_EN: 0
; COMPUTE_PGM_RSRC2:TGID_Z_EN: 0
; COMPUTE_PGM_RSRC2:TIDIG_COMP_CNT: 0
; COMPUTE_PGM_RSRC3_GFX90A:ACCUM_OFFSET: 0
; COMPUTE_PGM_RSRC3_GFX90A:TG_SPLIT: 0
	.section	.text._ZN7rocprim17ROCPRIM_400000_NS6detail17trampoline_kernelINS0_14default_configENS1_25partition_config_selectorILNS1_17partition_subalgoE8EjNS0_10empty_typeEbEEZZNS1_14partition_implILS5_8ELb0ES3_jPKjPS6_PKS6_NS0_5tupleIJPjS6_EEENSE_IJSB_SB_EEENS0_18inequality_wrapperIN6hipcub16HIPCUB_304000_NS8EqualityEEEPlJS6_EEE10hipError_tPvRmT3_T4_T5_T6_T7_T9_mT8_P12ihipStream_tbDpT10_ENKUlT_T0_E_clISt17integral_constantIbLb1EES16_IbLb0EEEEDaS12_S13_EUlS12_E_NS1_11comp_targetILNS1_3genE9ELNS1_11target_archE1100ELNS1_3gpuE3ELNS1_3repE0EEENS1_30default_config_static_selectorELNS0_4arch9wavefront6targetE1EEEvT1_,"axG",@progbits,_ZN7rocprim17ROCPRIM_400000_NS6detail17trampoline_kernelINS0_14default_configENS1_25partition_config_selectorILNS1_17partition_subalgoE8EjNS0_10empty_typeEbEEZZNS1_14partition_implILS5_8ELb0ES3_jPKjPS6_PKS6_NS0_5tupleIJPjS6_EEENSE_IJSB_SB_EEENS0_18inequality_wrapperIN6hipcub16HIPCUB_304000_NS8EqualityEEEPlJS6_EEE10hipError_tPvRmT3_T4_T5_T6_T7_T9_mT8_P12ihipStream_tbDpT10_ENKUlT_T0_E_clISt17integral_constantIbLb1EES16_IbLb0EEEEDaS12_S13_EUlS12_E_NS1_11comp_targetILNS1_3genE9ELNS1_11target_archE1100ELNS1_3gpuE3ELNS1_3repE0EEENS1_30default_config_static_selectorELNS0_4arch9wavefront6targetE1EEEvT1_,comdat
	.protected	_ZN7rocprim17ROCPRIM_400000_NS6detail17trampoline_kernelINS0_14default_configENS1_25partition_config_selectorILNS1_17partition_subalgoE8EjNS0_10empty_typeEbEEZZNS1_14partition_implILS5_8ELb0ES3_jPKjPS6_PKS6_NS0_5tupleIJPjS6_EEENSE_IJSB_SB_EEENS0_18inequality_wrapperIN6hipcub16HIPCUB_304000_NS8EqualityEEEPlJS6_EEE10hipError_tPvRmT3_T4_T5_T6_T7_T9_mT8_P12ihipStream_tbDpT10_ENKUlT_T0_E_clISt17integral_constantIbLb1EES16_IbLb0EEEEDaS12_S13_EUlS12_E_NS1_11comp_targetILNS1_3genE9ELNS1_11target_archE1100ELNS1_3gpuE3ELNS1_3repE0EEENS1_30default_config_static_selectorELNS0_4arch9wavefront6targetE1EEEvT1_ ; -- Begin function _ZN7rocprim17ROCPRIM_400000_NS6detail17trampoline_kernelINS0_14default_configENS1_25partition_config_selectorILNS1_17partition_subalgoE8EjNS0_10empty_typeEbEEZZNS1_14partition_implILS5_8ELb0ES3_jPKjPS6_PKS6_NS0_5tupleIJPjS6_EEENSE_IJSB_SB_EEENS0_18inequality_wrapperIN6hipcub16HIPCUB_304000_NS8EqualityEEEPlJS6_EEE10hipError_tPvRmT3_T4_T5_T6_T7_T9_mT8_P12ihipStream_tbDpT10_ENKUlT_T0_E_clISt17integral_constantIbLb1EES16_IbLb0EEEEDaS12_S13_EUlS12_E_NS1_11comp_targetILNS1_3genE9ELNS1_11target_archE1100ELNS1_3gpuE3ELNS1_3repE0EEENS1_30default_config_static_selectorELNS0_4arch9wavefront6targetE1EEEvT1_
	.globl	_ZN7rocprim17ROCPRIM_400000_NS6detail17trampoline_kernelINS0_14default_configENS1_25partition_config_selectorILNS1_17partition_subalgoE8EjNS0_10empty_typeEbEEZZNS1_14partition_implILS5_8ELb0ES3_jPKjPS6_PKS6_NS0_5tupleIJPjS6_EEENSE_IJSB_SB_EEENS0_18inequality_wrapperIN6hipcub16HIPCUB_304000_NS8EqualityEEEPlJS6_EEE10hipError_tPvRmT3_T4_T5_T6_T7_T9_mT8_P12ihipStream_tbDpT10_ENKUlT_T0_E_clISt17integral_constantIbLb1EES16_IbLb0EEEEDaS12_S13_EUlS12_E_NS1_11comp_targetILNS1_3genE9ELNS1_11target_archE1100ELNS1_3gpuE3ELNS1_3repE0EEENS1_30default_config_static_selectorELNS0_4arch9wavefront6targetE1EEEvT1_
	.p2align	8
	.type	_ZN7rocprim17ROCPRIM_400000_NS6detail17trampoline_kernelINS0_14default_configENS1_25partition_config_selectorILNS1_17partition_subalgoE8EjNS0_10empty_typeEbEEZZNS1_14partition_implILS5_8ELb0ES3_jPKjPS6_PKS6_NS0_5tupleIJPjS6_EEENSE_IJSB_SB_EEENS0_18inequality_wrapperIN6hipcub16HIPCUB_304000_NS8EqualityEEEPlJS6_EEE10hipError_tPvRmT3_T4_T5_T6_T7_T9_mT8_P12ihipStream_tbDpT10_ENKUlT_T0_E_clISt17integral_constantIbLb1EES16_IbLb0EEEEDaS12_S13_EUlS12_E_NS1_11comp_targetILNS1_3genE9ELNS1_11target_archE1100ELNS1_3gpuE3ELNS1_3repE0EEENS1_30default_config_static_selectorELNS0_4arch9wavefront6targetE1EEEvT1_,@function
_ZN7rocprim17ROCPRIM_400000_NS6detail17trampoline_kernelINS0_14default_configENS1_25partition_config_selectorILNS1_17partition_subalgoE8EjNS0_10empty_typeEbEEZZNS1_14partition_implILS5_8ELb0ES3_jPKjPS6_PKS6_NS0_5tupleIJPjS6_EEENSE_IJSB_SB_EEENS0_18inequality_wrapperIN6hipcub16HIPCUB_304000_NS8EqualityEEEPlJS6_EEE10hipError_tPvRmT3_T4_T5_T6_T7_T9_mT8_P12ihipStream_tbDpT10_ENKUlT_T0_E_clISt17integral_constantIbLb1EES16_IbLb0EEEEDaS12_S13_EUlS12_E_NS1_11comp_targetILNS1_3genE9ELNS1_11target_archE1100ELNS1_3gpuE3ELNS1_3repE0EEENS1_30default_config_static_selectorELNS0_4arch9wavefront6targetE1EEEvT1_: ; @_ZN7rocprim17ROCPRIM_400000_NS6detail17trampoline_kernelINS0_14default_configENS1_25partition_config_selectorILNS1_17partition_subalgoE8EjNS0_10empty_typeEbEEZZNS1_14partition_implILS5_8ELb0ES3_jPKjPS6_PKS6_NS0_5tupleIJPjS6_EEENSE_IJSB_SB_EEENS0_18inequality_wrapperIN6hipcub16HIPCUB_304000_NS8EqualityEEEPlJS6_EEE10hipError_tPvRmT3_T4_T5_T6_T7_T9_mT8_P12ihipStream_tbDpT10_ENKUlT_T0_E_clISt17integral_constantIbLb1EES16_IbLb0EEEEDaS12_S13_EUlS12_E_NS1_11comp_targetILNS1_3genE9ELNS1_11target_archE1100ELNS1_3gpuE3ELNS1_3repE0EEENS1_30default_config_static_selectorELNS0_4arch9wavefront6targetE1EEEvT1_
; %bb.0:
	.section	.rodata,"a",@progbits
	.p2align	6, 0x0
	.amdhsa_kernel _ZN7rocprim17ROCPRIM_400000_NS6detail17trampoline_kernelINS0_14default_configENS1_25partition_config_selectorILNS1_17partition_subalgoE8EjNS0_10empty_typeEbEEZZNS1_14partition_implILS5_8ELb0ES3_jPKjPS6_PKS6_NS0_5tupleIJPjS6_EEENSE_IJSB_SB_EEENS0_18inequality_wrapperIN6hipcub16HIPCUB_304000_NS8EqualityEEEPlJS6_EEE10hipError_tPvRmT3_T4_T5_T6_T7_T9_mT8_P12ihipStream_tbDpT10_ENKUlT_T0_E_clISt17integral_constantIbLb1EES16_IbLb0EEEEDaS12_S13_EUlS12_E_NS1_11comp_targetILNS1_3genE9ELNS1_11target_archE1100ELNS1_3gpuE3ELNS1_3repE0EEENS1_30default_config_static_selectorELNS0_4arch9wavefront6targetE1EEEvT1_
		.amdhsa_group_segment_fixed_size 0
		.amdhsa_private_segment_fixed_size 0
		.amdhsa_kernarg_size 112
		.amdhsa_user_sgpr_count 2
		.amdhsa_user_sgpr_dispatch_ptr 0
		.amdhsa_user_sgpr_queue_ptr 0
		.amdhsa_user_sgpr_kernarg_segment_ptr 1
		.amdhsa_user_sgpr_dispatch_id 0
		.amdhsa_user_sgpr_kernarg_preload_length 0
		.amdhsa_user_sgpr_kernarg_preload_offset 0
		.amdhsa_user_sgpr_private_segment_size 0
		.amdhsa_uses_dynamic_stack 0
		.amdhsa_enable_private_segment 0
		.amdhsa_system_sgpr_workgroup_id_x 1
		.amdhsa_system_sgpr_workgroup_id_y 0
		.amdhsa_system_sgpr_workgroup_id_z 0
		.amdhsa_system_sgpr_workgroup_info 0
		.amdhsa_system_vgpr_workitem_id 0
		.amdhsa_next_free_vgpr 1
		.amdhsa_next_free_sgpr 0
		.amdhsa_accum_offset 4
		.amdhsa_reserve_vcc 0
		.amdhsa_float_round_mode_32 0
		.amdhsa_float_round_mode_16_64 0
		.amdhsa_float_denorm_mode_32 3
		.amdhsa_float_denorm_mode_16_64 3
		.amdhsa_dx10_clamp 1
		.amdhsa_ieee_mode 1
		.amdhsa_fp16_overflow 0
		.amdhsa_tg_split 0
		.amdhsa_exception_fp_ieee_invalid_op 0
		.amdhsa_exception_fp_denorm_src 0
		.amdhsa_exception_fp_ieee_div_zero 0
		.amdhsa_exception_fp_ieee_overflow 0
		.amdhsa_exception_fp_ieee_underflow 0
		.amdhsa_exception_fp_ieee_inexact 0
		.amdhsa_exception_int_div_zero 0
	.end_amdhsa_kernel
	.section	.text._ZN7rocprim17ROCPRIM_400000_NS6detail17trampoline_kernelINS0_14default_configENS1_25partition_config_selectorILNS1_17partition_subalgoE8EjNS0_10empty_typeEbEEZZNS1_14partition_implILS5_8ELb0ES3_jPKjPS6_PKS6_NS0_5tupleIJPjS6_EEENSE_IJSB_SB_EEENS0_18inequality_wrapperIN6hipcub16HIPCUB_304000_NS8EqualityEEEPlJS6_EEE10hipError_tPvRmT3_T4_T5_T6_T7_T9_mT8_P12ihipStream_tbDpT10_ENKUlT_T0_E_clISt17integral_constantIbLb1EES16_IbLb0EEEEDaS12_S13_EUlS12_E_NS1_11comp_targetILNS1_3genE9ELNS1_11target_archE1100ELNS1_3gpuE3ELNS1_3repE0EEENS1_30default_config_static_selectorELNS0_4arch9wavefront6targetE1EEEvT1_,"axG",@progbits,_ZN7rocprim17ROCPRIM_400000_NS6detail17trampoline_kernelINS0_14default_configENS1_25partition_config_selectorILNS1_17partition_subalgoE8EjNS0_10empty_typeEbEEZZNS1_14partition_implILS5_8ELb0ES3_jPKjPS6_PKS6_NS0_5tupleIJPjS6_EEENSE_IJSB_SB_EEENS0_18inequality_wrapperIN6hipcub16HIPCUB_304000_NS8EqualityEEEPlJS6_EEE10hipError_tPvRmT3_T4_T5_T6_T7_T9_mT8_P12ihipStream_tbDpT10_ENKUlT_T0_E_clISt17integral_constantIbLb1EES16_IbLb0EEEEDaS12_S13_EUlS12_E_NS1_11comp_targetILNS1_3genE9ELNS1_11target_archE1100ELNS1_3gpuE3ELNS1_3repE0EEENS1_30default_config_static_selectorELNS0_4arch9wavefront6targetE1EEEvT1_,comdat
.Lfunc_end639:
	.size	_ZN7rocprim17ROCPRIM_400000_NS6detail17trampoline_kernelINS0_14default_configENS1_25partition_config_selectorILNS1_17partition_subalgoE8EjNS0_10empty_typeEbEEZZNS1_14partition_implILS5_8ELb0ES3_jPKjPS6_PKS6_NS0_5tupleIJPjS6_EEENSE_IJSB_SB_EEENS0_18inequality_wrapperIN6hipcub16HIPCUB_304000_NS8EqualityEEEPlJS6_EEE10hipError_tPvRmT3_T4_T5_T6_T7_T9_mT8_P12ihipStream_tbDpT10_ENKUlT_T0_E_clISt17integral_constantIbLb1EES16_IbLb0EEEEDaS12_S13_EUlS12_E_NS1_11comp_targetILNS1_3genE9ELNS1_11target_archE1100ELNS1_3gpuE3ELNS1_3repE0EEENS1_30default_config_static_selectorELNS0_4arch9wavefront6targetE1EEEvT1_, .Lfunc_end639-_ZN7rocprim17ROCPRIM_400000_NS6detail17trampoline_kernelINS0_14default_configENS1_25partition_config_selectorILNS1_17partition_subalgoE8EjNS0_10empty_typeEbEEZZNS1_14partition_implILS5_8ELb0ES3_jPKjPS6_PKS6_NS0_5tupleIJPjS6_EEENSE_IJSB_SB_EEENS0_18inequality_wrapperIN6hipcub16HIPCUB_304000_NS8EqualityEEEPlJS6_EEE10hipError_tPvRmT3_T4_T5_T6_T7_T9_mT8_P12ihipStream_tbDpT10_ENKUlT_T0_E_clISt17integral_constantIbLb1EES16_IbLb0EEEEDaS12_S13_EUlS12_E_NS1_11comp_targetILNS1_3genE9ELNS1_11target_archE1100ELNS1_3gpuE3ELNS1_3repE0EEENS1_30default_config_static_selectorELNS0_4arch9wavefront6targetE1EEEvT1_
                                        ; -- End function
	.section	.AMDGPU.csdata,"",@progbits
; Kernel info:
; codeLenInByte = 0
; NumSgprs: 6
; NumVgprs: 0
; NumAgprs: 0
; TotalNumVgprs: 0
; ScratchSize: 0
; MemoryBound: 0
; FloatMode: 240
; IeeeMode: 1
; LDSByteSize: 0 bytes/workgroup (compile time only)
; SGPRBlocks: 0
; VGPRBlocks: 0
; NumSGPRsForWavesPerEU: 6
; NumVGPRsForWavesPerEU: 1
; AccumOffset: 4
; Occupancy: 8
; WaveLimiterHint : 0
; COMPUTE_PGM_RSRC2:SCRATCH_EN: 0
; COMPUTE_PGM_RSRC2:USER_SGPR: 2
; COMPUTE_PGM_RSRC2:TRAP_HANDLER: 0
; COMPUTE_PGM_RSRC2:TGID_X_EN: 1
; COMPUTE_PGM_RSRC2:TGID_Y_EN: 0
; COMPUTE_PGM_RSRC2:TGID_Z_EN: 0
; COMPUTE_PGM_RSRC2:TIDIG_COMP_CNT: 0
; COMPUTE_PGM_RSRC3_GFX90A:ACCUM_OFFSET: 0
; COMPUTE_PGM_RSRC3_GFX90A:TG_SPLIT: 0
	.section	.text._ZN7rocprim17ROCPRIM_400000_NS6detail17trampoline_kernelINS0_14default_configENS1_25partition_config_selectorILNS1_17partition_subalgoE8EjNS0_10empty_typeEbEEZZNS1_14partition_implILS5_8ELb0ES3_jPKjPS6_PKS6_NS0_5tupleIJPjS6_EEENSE_IJSB_SB_EEENS0_18inequality_wrapperIN6hipcub16HIPCUB_304000_NS8EqualityEEEPlJS6_EEE10hipError_tPvRmT3_T4_T5_T6_T7_T9_mT8_P12ihipStream_tbDpT10_ENKUlT_T0_E_clISt17integral_constantIbLb1EES16_IbLb0EEEEDaS12_S13_EUlS12_E_NS1_11comp_targetILNS1_3genE8ELNS1_11target_archE1030ELNS1_3gpuE2ELNS1_3repE0EEENS1_30default_config_static_selectorELNS0_4arch9wavefront6targetE1EEEvT1_,"axG",@progbits,_ZN7rocprim17ROCPRIM_400000_NS6detail17trampoline_kernelINS0_14default_configENS1_25partition_config_selectorILNS1_17partition_subalgoE8EjNS0_10empty_typeEbEEZZNS1_14partition_implILS5_8ELb0ES3_jPKjPS6_PKS6_NS0_5tupleIJPjS6_EEENSE_IJSB_SB_EEENS0_18inequality_wrapperIN6hipcub16HIPCUB_304000_NS8EqualityEEEPlJS6_EEE10hipError_tPvRmT3_T4_T5_T6_T7_T9_mT8_P12ihipStream_tbDpT10_ENKUlT_T0_E_clISt17integral_constantIbLb1EES16_IbLb0EEEEDaS12_S13_EUlS12_E_NS1_11comp_targetILNS1_3genE8ELNS1_11target_archE1030ELNS1_3gpuE2ELNS1_3repE0EEENS1_30default_config_static_selectorELNS0_4arch9wavefront6targetE1EEEvT1_,comdat
	.protected	_ZN7rocprim17ROCPRIM_400000_NS6detail17trampoline_kernelINS0_14default_configENS1_25partition_config_selectorILNS1_17partition_subalgoE8EjNS0_10empty_typeEbEEZZNS1_14partition_implILS5_8ELb0ES3_jPKjPS6_PKS6_NS0_5tupleIJPjS6_EEENSE_IJSB_SB_EEENS0_18inequality_wrapperIN6hipcub16HIPCUB_304000_NS8EqualityEEEPlJS6_EEE10hipError_tPvRmT3_T4_T5_T6_T7_T9_mT8_P12ihipStream_tbDpT10_ENKUlT_T0_E_clISt17integral_constantIbLb1EES16_IbLb0EEEEDaS12_S13_EUlS12_E_NS1_11comp_targetILNS1_3genE8ELNS1_11target_archE1030ELNS1_3gpuE2ELNS1_3repE0EEENS1_30default_config_static_selectorELNS0_4arch9wavefront6targetE1EEEvT1_ ; -- Begin function _ZN7rocprim17ROCPRIM_400000_NS6detail17trampoline_kernelINS0_14default_configENS1_25partition_config_selectorILNS1_17partition_subalgoE8EjNS0_10empty_typeEbEEZZNS1_14partition_implILS5_8ELb0ES3_jPKjPS6_PKS6_NS0_5tupleIJPjS6_EEENSE_IJSB_SB_EEENS0_18inequality_wrapperIN6hipcub16HIPCUB_304000_NS8EqualityEEEPlJS6_EEE10hipError_tPvRmT3_T4_T5_T6_T7_T9_mT8_P12ihipStream_tbDpT10_ENKUlT_T0_E_clISt17integral_constantIbLb1EES16_IbLb0EEEEDaS12_S13_EUlS12_E_NS1_11comp_targetILNS1_3genE8ELNS1_11target_archE1030ELNS1_3gpuE2ELNS1_3repE0EEENS1_30default_config_static_selectorELNS0_4arch9wavefront6targetE1EEEvT1_
	.globl	_ZN7rocprim17ROCPRIM_400000_NS6detail17trampoline_kernelINS0_14default_configENS1_25partition_config_selectorILNS1_17partition_subalgoE8EjNS0_10empty_typeEbEEZZNS1_14partition_implILS5_8ELb0ES3_jPKjPS6_PKS6_NS0_5tupleIJPjS6_EEENSE_IJSB_SB_EEENS0_18inequality_wrapperIN6hipcub16HIPCUB_304000_NS8EqualityEEEPlJS6_EEE10hipError_tPvRmT3_T4_T5_T6_T7_T9_mT8_P12ihipStream_tbDpT10_ENKUlT_T0_E_clISt17integral_constantIbLb1EES16_IbLb0EEEEDaS12_S13_EUlS12_E_NS1_11comp_targetILNS1_3genE8ELNS1_11target_archE1030ELNS1_3gpuE2ELNS1_3repE0EEENS1_30default_config_static_selectorELNS0_4arch9wavefront6targetE1EEEvT1_
	.p2align	8
	.type	_ZN7rocprim17ROCPRIM_400000_NS6detail17trampoline_kernelINS0_14default_configENS1_25partition_config_selectorILNS1_17partition_subalgoE8EjNS0_10empty_typeEbEEZZNS1_14partition_implILS5_8ELb0ES3_jPKjPS6_PKS6_NS0_5tupleIJPjS6_EEENSE_IJSB_SB_EEENS0_18inequality_wrapperIN6hipcub16HIPCUB_304000_NS8EqualityEEEPlJS6_EEE10hipError_tPvRmT3_T4_T5_T6_T7_T9_mT8_P12ihipStream_tbDpT10_ENKUlT_T0_E_clISt17integral_constantIbLb1EES16_IbLb0EEEEDaS12_S13_EUlS12_E_NS1_11comp_targetILNS1_3genE8ELNS1_11target_archE1030ELNS1_3gpuE2ELNS1_3repE0EEENS1_30default_config_static_selectorELNS0_4arch9wavefront6targetE1EEEvT1_,@function
_ZN7rocprim17ROCPRIM_400000_NS6detail17trampoline_kernelINS0_14default_configENS1_25partition_config_selectorILNS1_17partition_subalgoE8EjNS0_10empty_typeEbEEZZNS1_14partition_implILS5_8ELb0ES3_jPKjPS6_PKS6_NS0_5tupleIJPjS6_EEENSE_IJSB_SB_EEENS0_18inequality_wrapperIN6hipcub16HIPCUB_304000_NS8EqualityEEEPlJS6_EEE10hipError_tPvRmT3_T4_T5_T6_T7_T9_mT8_P12ihipStream_tbDpT10_ENKUlT_T0_E_clISt17integral_constantIbLb1EES16_IbLb0EEEEDaS12_S13_EUlS12_E_NS1_11comp_targetILNS1_3genE8ELNS1_11target_archE1030ELNS1_3gpuE2ELNS1_3repE0EEENS1_30default_config_static_selectorELNS0_4arch9wavefront6targetE1EEEvT1_: ; @_ZN7rocprim17ROCPRIM_400000_NS6detail17trampoline_kernelINS0_14default_configENS1_25partition_config_selectorILNS1_17partition_subalgoE8EjNS0_10empty_typeEbEEZZNS1_14partition_implILS5_8ELb0ES3_jPKjPS6_PKS6_NS0_5tupleIJPjS6_EEENSE_IJSB_SB_EEENS0_18inequality_wrapperIN6hipcub16HIPCUB_304000_NS8EqualityEEEPlJS6_EEE10hipError_tPvRmT3_T4_T5_T6_T7_T9_mT8_P12ihipStream_tbDpT10_ENKUlT_T0_E_clISt17integral_constantIbLb1EES16_IbLb0EEEEDaS12_S13_EUlS12_E_NS1_11comp_targetILNS1_3genE8ELNS1_11target_archE1030ELNS1_3gpuE2ELNS1_3repE0EEENS1_30default_config_static_selectorELNS0_4arch9wavefront6targetE1EEEvT1_
; %bb.0:
	.section	.rodata,"a",@progbits
	.p2align	6, 0x0
	.amdhsa_kernel _ZN7rocprim17ROCPRIM_400000_NS6detail17trampoline_kernelINS0_14default_configENS1_25partition_config_selectorILNS1_17partition_subalgoE8EjNS0_10empty_typeEbEEZZNS1_14partition_implILS5_8ELb0ES3_jPKjPS6_PKS6_NS0_5tupleIJPjS6_EEENSE_IJSB_SB_EEENS0_18inequality_wrapperIN6hipcub16HIPCUB_304000_NS8EqualityEEEPlJS6_EEE10hipError_tPvRmT3_T4_T5_T6_T7_T9_mT8_P12ihipStream_tbDpT10_ENKUlT_T0_E_clISt17integral_constantIbLb1EES16_IbLb0EEEEDaS12_S13_EUlS12_E_NS1_11comp_targetILNS1_3genE8ELNS1_11target_archE1030ELNS1_3gpuE2ELNS1_3repE0EEENS1_30default_config_static_selectorELNS0_4arch9wavefront6targetE1EEEvT1_
		.amdhsa_group_segment_fixed_size 0
		.amdhsa_private_segment_fixed_size 0
		.amdhsa_kernarg_size 112
		.amdhsa_user_sgpr_count 2
		.amdhsa_user_sgpr_dispatch_ptr 0
		.amdhsa_user_sgpr_queue_ptr 0
		.amdhsa_user_sgpr_kernarg_segment_ptr 1
		.amdhsa_user_sgpr_dispatch_id 0
		.amdhsa_user_sgpr_kernarg_preload_length 0
		.amdhsa_user_sgpr_kernarg_preload_offset 0
		.amdhsa_user_sgpr_private_segment_size 0
		.amdhsa_uses_dynamic_stack 0
		.amdhsa_enable_private_segment 0
		.amdhsa_system_sgpr_workgroup_id_x 1
		.amdhsa_system_sgpr_workgroup_id_y 0
		.amdhsa_system_sgpr_workgroup_id_z 0
		.amdhsa_system_sgpr_workgroup_info 0
		.amdhsa_system_vgpr_workitem_id 0
		.amdhsa_next_free_vgpr 1
		.amdhsa_next_free_sgpr 0
		.amdhsa_accum_offset 4
		.amdhsa_reserve_vcc 0
		.amdhsa_float_round_mode_32 0
		.amdhsa_float_round_mode_16_64 0
		.amdhsa_float_denorm_mode_32 3
		.amdhsa_float_denorm_mode_16_64 3
		.amdhsa_dx10_clamp 1
		.amdhsa_ieee_mode 1
		.amdhsa_fp16_overflow 0
		.amdhsa_tg_split 0
		.amdhsa_exception_fp_ieee_invalid_op 0
		.amdhsa_exception_fp_denorm_src 0
		.amdhsa_exception_fp_ieee_div_zero 0
		.amdhsa_exception_fp_ieee_overflow 0
		.amdhsa_exception_fp_ieee_underflow 0
		.amdhsa_exception_fp_ieee_inexact 0
		.amdhsa_exception_int_div_zero 0
	.end_amdhsa_kernel
	.section	.text._ZN7rocprim17ROCPRIM_400000_NS6detail17trampoline_kernelINS0_14default_configENS1_25partition_config_selectorILNS1_17partition_subalgoE8EjNS0_10empty_typeEbEEZZNS1_14partition_implILS5_8ELb0ES3_jPKjPS6_PKS6_NS0_5tupleIJPjS6_EEENSE_IJSB_SB_EEENS0_18inequality_wrapperIN6hipcub16HIPCUB_304000_NS8EqualityEEEPlJS6_EEE10hipError_tPvRmT3_T4_T5_T6_T7_T9_mT8_P12ihipStream_tbDpT10_ENKUlT_T0_E_clISt17integral_constantIbLb1EES16_IbLb0EEEEDaS12_S13_EUlS12_E_NS1_11comp_targetILNS1_3genE8ELNS1_11target_archE1030ELNS1_3gpuE2ELNS1_3repE0EEENS1_30default_config_static_selectorELNS0_4arch9wavefront6targetE1EEEvT1_,"axG",@progbits,_ZN7rocprim17ROCPRIM_400000_NS6detail17trampoline_kernelINS0_14default_configENS1_25partition_config_selectorILNS1_17partition_subalgoE8EjNS0_10empty_typeEbEEZZNS1_14partition_implILS5_8ELb0ES3_jPKjPS6_PKS6_NS0_5tupleIJPjS6_EEENSE_IJSB_SB_EEENS0_18inequality_wrapperIN6hipcub16HIPCUB_304000_NS8EqualityEEEPlJS6_EEE10hipError_tPvRmT3_T4_T5_T6_T7_T9_mT8_P12ihipStream_tbDpT10_ENKUlT_T0_E_clISt17integral_constantIbLb1EES16_IbLb0EEEEDaS12_S13_EUlS12_E_NS1_11comp_targetILNS1_3genE8ELNS1_11target_archE1030ELNS1_3gpuE2ELNS1_3repE0EEENS1_30default_config_static_selectorELNS0_4arch9wavefront6targetE1EEEvT1_,comdat
.Lfunc_end640:
	.size	_ZN7rocprim17ROCPRIM_400000_NS6detail17trampoline_kernelINS0_14default_configENS1_25partition_config_selectorILNS1_17partition_subalgoE8EjNS0_10empty_typeEbEEZZNS1_14partition_implILS5_8ELb0ES3_jPKjPS6_PKS6_NS0_5tupleIJPjS6_EEENSE_IJSB_SB_EEENS0_18inequality_wrapperIN6hipcub16HIPCUB_304000_NS8EqualityEEEPlJS6_EEE10hipError_tPvRmT3_T4_T5_T6_T7_T9_mT8_P12ihipStream_tbDpT10_ENKUlT_T0_E_clISt17integral_constantIbLb1EES16_IbLb0EEEEDaS12_S13_EUlS12_E_NS1_11comp_targetILNS1_3genE8ELNS1_11target_archE1030ELNS1_3gpuE2ELNS1_3repE0EEENS1_30default_config_static_selectorELNS0_4arch9wavefront6targetE1EEEvT1_, .Lfunc_end640-_ZN7rocprim17ROCPRIM_400000_NS6detail17trampoline_kernelINS0_14default_configENS1_25partition_config_selectorILNS1_17partition_subalgoE8EjNS0_10empty_typeEbEEZZNS1_14partition_implILS5_8ELb0ES3_jPKjPS6_PKS6_NS0_5tupleIJPjS6_EEENSE_IJSB_SB_EEENS0_18inequality_wrapperIN6hipcub16HIPCUB_304000_NS8EqualityEEEPlJS6_EEE10hipError_tPvRmT3_T4_T5_T6_T7_T9_mT8_P12ihipStream_tbDpT10_ENKUlT_T0_E_clISt17integral_constantIbLb1EES16_IbLb0EEEEDaS12_S13_EUlS12_E_NS1_11comp_targetILNS1_3genE8ELNS1_11target_archE1030ELNS1_3gpuE2ELNS1_3repE0EEENS1_30default_config_static_selectorELNS0_4arch9wavefront6targetE1EEEvT1_
                                        ; -- End function
	.section	.AMDGPU.csdata,"",@progbits
; Kernel info:
; codeLenInByte = 0
; NumSgprs: 6
; NumVgprs: 0
; NumAgprs: 0
; TotalNumVgprs: 0
; ScratchSize: 0
; MemoryBound: 0
; FloatMode: 240
; IeeeMode: 1
; LDSByteSize: 0 bytes/workgroup (compile time only)
; SGPRBlocks: 0
; VGPRBlocks: 0
; NumSGPRsForWavesPerEU: 6
; NumVGPRsForWavesPerEU: 1
; AccumOffset: 4
; Occupancy: 8
; WaveLimiterHint : 0
; COMPUTE_PGM_RSRC2:SCRATCH_EN: 0
; COMPUTE_PGM_RSRC2:USER_SGPR: 2
; COMPUTE_PGM_RSRC2:TRAP_HANDLER: 0
; COMPUTE_PGM_RSRC2:TGID_X_EN: 1
; COMPUTE_PGM_RSRC2:TGID_Y_EN: 0
; COMPUTE_PGM_RSRC2:TGID_Z_EN: 0
; COMPUTE_PGM_RSRC2:TIDIG_COMP_CNT: 0
; COMPUTE_PGM_RSRC3_GFX90A:ACCUM_OFFSET: 0
; COMPUTE_PGM_RSRC3_GFX90A:TG_SPLIT: 0
	.section	.text._ZN7rocprim17ROCPRIM_400000_NS6detail17trampoline_kernelINS0_14default_configENS1_25partition_config_selectorILNS1_17partition_subalgoE8EjNS0_10empty_typeEbEEZZNS1_14partition_implILS5_8ELb0ES3_jPKjPS6_PKS6_NS0_5tupleIJPjS6_EEENSE_IJSB_SB_EEENS0_18inequality_wrapperIN6hipcub16HIPCUB_304000_NS8EqualityEEEPlJS6_EEE10hipError_tPvRmT3_T4_T5_T6_T7_T9_mT8_P12ihipStream_tbDpT10_ENKUlT_T0_E_clISt17integral_constantIbLb0EES16_IbLb1EEEEDaS12_S13_EUlS12_E_NS1_11comp_targetILNS1_3genE0ELNS1_11target_archE4294967295ELNS1_3gpuE0ELNS1_3repE0EEENS1_30default_config_static_selectorELNS0_4arch9wavefront6targetE1EEEvT1_,"axG",@progbits,_ZN7rocprim17ROCPRIM_400000_NS6detail17trampoline_kernelINS0_14default_configENS1_25partition_config_selectorILNS1_17partition_subalgoE8EjNS0_10empty_typeEbEEZZNS1_14partition_implILS5_8ELb0ES3_jPKjPS6_PKS6_NS0_5tupleIJPjS6_EEENSE_IJSB_SB_EEENS0_18inequality_wrapperIN6hipcub16HIPCUB_304000_NS8EqualityEEEPlJS6_EEE10hipError_tPvRmT3_T4_T5_T6_T7_T9_mT8_P12ihipStream_tbDpT10_ENKUlT_T0_E_clISt17integral_constantIbLb0EES16_IbLb1EEEEDaS12_S13_EUlS12_E_NS1_11comp_targetILNS1_3genE0ELNS1_11target_archE4294967295ELNS1_3gpuE0ELNS1_3repE0EEENS1_30default_config_static_selectorELNS0_4arch9wavefront6targetE1EEEvT1_,comdat
	.protected	_ZN7rocprim17ROCPRIM_400000_NS6detail17trampoline_kernelINS0_14default_configENS1_25partition_config_selectorILNS1_17partition_subalgoE8EjNS0_10empty_typeEbEEZZNS1_14partition_implILS5_8ELb0ES3_jPKjPS6_PKS6_NS0_5tupleIJPjS6_EEENSE_IJSB_SB_EEENS0_18inequality_wrapperIN6hipcub16HIPCUB_304000_NS8EqualityEEEPlJS6_EEE10hipError_tPvRmT3_T4_T5_T6_T7_T9_mT8_P12ihipStream_tbDpT10_ENKUlT_T0_E_clISt17integral_constantIbLb0EES16_IbLb1EEEEDaS12_S13_EUlS12_E_NS1_11comp_targetILNS1_3genE0ELNS1_11target_archE4294967295ELNS1_3gpuE0ELNS1_3repE0EEENS1_30default_config_static_selectorELNS0_4arch9wavefront6targetE1EEEvT1_ ; -- Begin function _ZN7rocprim17ROCPRIM_400000_NS6detail17trampoline_kernelINS0_14default_configENS1_25partition_config_selectorILNS1_17partition_subalgoE8EjNS0_10empty_typeEbEEZZNS1_14partition_implILS5_8ELb0ES3_jPKjPS6_PKS6_NS0_5tupleIJPjS6_EEENSE_IJSB_SB_EEENS0_18inequality_wrapperIN6hipcub16HIPCUB_304000_NS8EqualityEEEPlJS6_EEE10hipError_tPvRmT3_T4_T5_T6_T7_T9_mT8_P12ihipStream_tbDpT10_ENKUlT_T0_E_clISt17integral_constantIbLb0EES16_IbLb1EEEEDaS12_S13_EUlS12_E_NS1_11comp_targetILNS1_3genE0ELNS1_11target_archE4294967295ELNS1_3gpuE0ELNS1_3repE0EEENS1_30default_config_static_selectorELNS0_4arch9wavefront6targetE1EEEvT1_
	.globl	_ZN7rocprim17ROCPRIM_400000_NS6detail17trampoline_kernelINS0_14default_configENS1_25partition_config_selectorILNS1_17partition_subalgoE8EjNS0_10empty_typeEbEEZZNS1_14partition_implILS5_8ELb0ES3_jPKjPS6_PKS6_NS0_5tupleIJPjS6_EEENSE_IJSB_SB_EEENS0_18inequality_wrapperIN6hipcub16HIPCUB_304000_NS8EqualityEEEPlJS6_EEE10hipError_tPvRmT3_T4_T5_T6_T7_T9_mT8_P12ihipStream_tbDpT10_ENKUlT_T0_E_clISt17integral_constantIbLb0EES16_IbLb1EEEEDaS12_S13_EUlS12_E_NS1_11comp_targetILNS1_3genE0ELNS1_11target_archE4294967295ELNS1_3gpuE0ELNS1_3repE0EEENS1_30default_config_static_selectorELNS0_4arch9wavefront6targetE1EEEvT1_
	.p2align	8
	.type	_ZN7rocprim17ROCPRIM_400000_NS6detail17trampoline_kernelINS0_14default_configENS1_25partition_config_selectorILNS1_17partition_subalgoE8EjNS0_10empty_typeEbEEZZNS1_14partition_implILS5_8ELb0ES3_jPKjPS6_PKS6_NS0_5tupleIJPjS6_EEENSE_IJSB_SB_EEENS0_18inequality_wrapperIN6hipcub16HIPCUB_304000_NS8EqualityEEEPlJS6_EEE10hipError_tPvRmT3_T4_T5_T6_T7_T9_mT8_P12ihipStream_tbDpT10_ENKUlT_T0_E_clISt17integral_constantIbLb0EES16_IbLb1EEEEDaS12_S13_EUlS12_E_NS1_11comp_targetILNS1_3genE0ELNS1_11target_archE4294967295ELNS1_3gpuE0ELNS1_3repE0EEENS1_30default_config_static_selectorELNS0_4arch9wavefront6targetE1EEEvT1_,@function
_ZN7rocprim17ROCPRIM_400000_NS6detail17trampoline_kernelINS0_14default_configENS1_25partition_config_selectorILNS1_17partition_subalgoE8EjNS0_10empty_typeEbEEZZNS1_14partition_implILS5_8ELb0ES3_jPKjPS6_PKS6_NS0_5tupleIJPjS6_EEENSE_IJSB_SB_EEENS0_18inequality_wrapperIN6hipcub16HIPCUB_304000_NS8EqualityEEEPlJS6_EEE10hipError_tPvRmT3_T4_T5_T6_T7_T9_mT8_P12ihipStream_tbDpT10_ENKUlT_T0_E_clISt17integral_constantIbLb0EES16_IbLb1EEEEDaS12_S13_EUlS12_E_NS1_11comp_targetILNS1_3genE0ELNS1_11target_archE4294967295ELNS1_3gpuE0ELNS1_3repE0EEENS1_30default_config_static_selectorELNS0_4arch9wavefront6targetE1EEEvT1_: ; @_ZN7rocprim17ROCPRIM_400000_NS6detail17trampoline_kernelINS0_14default_configENS1_25partition_config_selectorILNS1_17partition_subalgoE8EjNS0_10empty_typeEbEEZZNS1_14partition_implILS5_8ELb0ES3_jPKjPS6_PKS6_NS0_5tupleIJPjS6_EEENSE_IJSB_SB_EEENS0_18inequality_wrapperIN6hipcub16HIPCUB_304000_NS8EqualityEEEPlJS6_EEE10hipError_tPvRmT3_T4_T5_T6_T7_T9_mT8_P12ihipStream_tbDpT10_ENKUlT_T0_E_clISt17integral_constantIbLb0EES16_IbLb1EEEEDaS12_S13_EUlS12_E_NS1_11comp_targetILNS1_3genE0ELNS1_11target_archE4294967295ELNS1_3gpuE0ELNS1_3repE0EEENS1_30default_config_static_selectorELNS0_4arch9wavefront6targetE1EEEvT1_
; %bb.0:
	.section	.rodata,"a",@progbits
	.p2align	6, 0x0
	.amdhsa_kernel _ZN7rocprim17ROCPRIM_400000_NS6detail17trampoline_kernelINS0_14default_configENS1_25partition_config_selectorILNS1_17partition_subalgoE8EjNS0_10empty_typeEbEEZZNS1_14partition_implILS5_8ELb0ES3_jPKjPS6_PKS6_NS0_5tupleIJPjS6_EEENSE_IJSB_SB_EEENS0_18inequality_wrapperIN6hipcub16HIPCUB_304000_NS8EqualityEEEPlJS6_EEE10hipError_tPvRmT3_T4_T5_T6_T7_T9_mT8_P12ihipStream_tbDpT10_ENKUlT_T0_E_clISt17integral_constantIbLb0EES16_IbLb1EEEEDaS12_S13_EUlS12_E_NS1_11comp_targetILNS1_3genE0ELNS1_11target_archE4294967295ELNS1_3gpuE0ELNS1_3repE0EEENS1_30default_config_static_selectorELNS0_4arch9wavefront6targetE1EEEvT1_
		.amdhsa_group_segment_fixed_size 0
		.amdhsa_private_segment_fixed_size 0
		.amdhsa_kernarg_size 128
		.amdhsa_user_sgpr_count 2
		.amdhsa_user_sgpr_dispatch_ptr 0
		.amdhsa_user_sgpr_queue_ptr 0
		.amdhsa_user_sgpr_kernarg_segment_ptr 1
		.amdhsa_user_sgpr_dispatch_id 0
		.amdhsa_user_sgpr_kernarg_preload_length 0
		.amdhsa_user_sgpr_kernarg_preload_offset 0
		.amdhsa_user_sgpr_private_segment_size 0
		.amdhsa_uses_dynamic_stack 0
		.amdhsa_enable_private_segment 0
		.amdhsa_system_sgpr_workgroup_id_x 1
		.amdhsa_system_sgpr_workgroup_id_y 0
		.amdhsa_system_sgpr_workgroup_id_z 0
		.amdhsa_system_sgpr_workgroup_info 0
		.amdhsa_system_vgpr_workitem_id 0
		.amdhsa_next_free_vgpr 1
		.amdhsa_next_free_sgpr 0
		.amdhsa_accum_offset 4
		.amdhsa_reserve_vcc 0
		.amdhsa_float_round_mode_32 0
		.amdhsa_float_round_mode_16_64 0
		.amdhsa_float_denorm_mode_32 3
		.amdhsa_float_denorm_mode_16_64 3
		.amdhsa_dx10_clamp 1
		.amdhsa_ieee_mode 1
		.amdhsa_fp16_overflow 0
		.amdhsa_tg_split 0
		.amdhsa_exception_fp_ieee_invalid_op 0
		.amdhsa_exception_fp_denorm_src 0
		.amdhsa_exception_fp_ieee_div_zero 0
		.amdhsa_exception_fp_ieee_overflow 0
		.amdhsa_exception_fp_ieee_underflow 0
		.amdhsa_exception_fp_ieee_inexact 0
		.amdhsa_exception_int_div_zero 0
	.end_amdhsa_kernel
	.section	.text._ZN7rocprim17ROCPRIM_400000_NS6detail17trampoline_kernelINS0_14default_configENS1_25partition_config_selectorILNS1_17partition_subalgoE8EjNS0_10empty_typeEbEEZZNS1_14partition_implILS5_8ELb0ES3_jPKjPS6_PKS6_NS0_5tupleIJPjS6_EEENSE_IJSB_SB_EEENS0_18inequality_wrapperIN6hipcub16HIPCUB_304000_NS8EqualityEEEPlJS6_EEE10hipError_tPvRmT3_T4_T5_T6_T7_T9_mT8_P12ihipStream_tbDpT10_ENKUlT_T0_E_clISt17integral_constantIbLb0EES16_IbLb1EEEEDaS12_S13_EUlS12_E_NS1_11comp_targetILNS1_3genE0ELNS1_11target_archE4294967295ELNS1_3gpuE0ELNS1_3repE0EEENS1_30default_config_static_selectorELNS0_4arch9wavefront6targetE1EEEvT1_,"axG",@progbits,_ZN7rocprim17ROCPRIM_400000_NS6detail17trampoline_kernelINS0_14default_configENS1_25partition_config_selectorILNS1_17partition_subalgoE8EjNS0_10empty_typeEbEEZZNS1_14partition_implILS5_8ELb0ES3_jPKjPS6_PKS6_NS0_5tupleIJPjS6_EEENSE_IJSB_SB_EEENS0_18inequality_wrapperIN6hipcub16HIPCUB_304000_NS8EqualityEEEPlJS6_EEE10hipError_tPvRmT3_T4_T5_T6_T7_T9_mT8_P12ihipStream_tbDpT10_ENKUlT_T0_E_clISt17integral_constantIbLb0EES16_IbLb1EEEEDaS12_S13_EUlS12_E_NS1_11comp_targetILNS1_3genE0ELNS1_11target_archE4294967295ELNS1_3gpuE0ELNS1_3repE0EEENS1_30default_config_static_selectorELNS0_4arch9wavefront6targetE1EEEvT1_,comdat
.Lfunc_end641:
	.size	_ZN7rocprim17ROCPRIM_400000_NS6detail17trampoline_kernelINS0_14default_configENS1_25partition_config_selectorILNS1_17partition_subalgoE8EjNS0_10empty_typeEbEEZZNS1_14partition_implILS5_8ELb0ES3_jPKjPS6_PKS6_NS0_5tupleIJPjS6_EEENSE_IJSB_SB_EEENS0_18inequality_wrapperIN6hipcub16HIPCUB_304000_NS8EqualityEEEPlJS6_EEE10hipError_tPvRmT3_T4_T5_T6_T7_T9_mT8_P12ihipStream_tbDpT10_ENKUlT_T0_E_clISt17integral_constantIbLb0EES16_IbLb1EEEEDaS12_S13_EUlS12_E_NS1_11comp_targetILNS1_3genE0ELNS1_11target_archE4294967295ELNS1_3gpuE0ELNS1_3repE0EEENS1_30default_config_static_selectorELNS0_4arch9wavefront6targetE1EEEvT1_, .Lfunc_end641-_ZN7rocprim17ROCPRIM_400000_NS6detail17trampoline_kernelINS0_14default_configENS1_25partition_config_selectorILNS1_17partition_subalgoE8EjNS0_10empty_typeEbEEZZNS1_14partition_implILS5_8ELb0ES3_jPKjPS6_PKS6_NS0_5tupleIJPjS6_EEENSE_IJSB_SB_EEENS0_18inequality_wrapperIN6hipcub16HIPCUB_304000_NS8EqualityEEEPlJS6_EEE10hipError_tPvRmT3_T4_T5_T6_T7_T9_mT8_P12ihipStream_tbDpT10_ENKUlT_T0_E_clISt17integral_constantIbLb0EES16_IbLb1EEEEDaS12_S13_EUlS12_E_NS1_11comp_targetILNS1_3genE0ELNS1_11target_archE4294967295ELNS1_3gpuE0ELNS1_3repE0EEENS1_30default_config_static_selectorELNS0_4arch9wavefront6targetE1EEEvT1_
                                        ; -- End function
	.section	.AMDGPU.csdata,"",@progbits
; Kernel info:
; codeLenInByte = 0
; NumSgprs: 6
; NumVgprs: 0
; NumAgprs: 0
; TotalNumVgprs: 0
; ScratchSize: 0
; MemoryBound: 0
; FloatMode: 240
; IeeeMode: 1
; LDSByteSize: 0 bytes/workgroup (compile time only)
; SGPRBlocks: 0
; VGPRBlocks: 0
; NumSGPRsForWavesPerEU: 6
; NumVGPRsForWavesPerEU: 1
; AccumOffset: 4
; Occupancy: 8
; WaveLimiterHint : 0
; COMPUTE_PGM_RSRC2:SCRATCH_EN: 0
; COMPUTE_PGM_RSRC2:USER_SGPR: 2
; COMPUTE_PGM_RSRC2:TRAP_HANDLER: 0
; COMPUTE_PGM_RSRC2:TGID_X_EN: 1
; COMPUTE_PGM_RSRC2:TGID_Y_EN: 0
; COMPUTE_PGM_RSRC2:TGID_Z_EN: 0
; COMPUTE_PGM_RSRC2:TIDIG_COMP_CNT: 0
; COMPUTE_PGM_RSRC3_GFX90A:ACCUM_OFFSET: 0
; COMPUTE_PGM_RSRC3_GFX90A:TG_SPLIT: 0
	.section	.text._ZN7rocprim17ROCPRIM_400000_NS6detail17trampoline_kernelINS0_14default_configENS1_25partition_config_selectorILNS1_17partition_subalgoE8EjNS0_10empty_typeEbEEZZNS1_14partition_implILS5_8ELb0ES3_jPKjPS6_PKS6_NS0_5tupleIJPjS6_EEENSE_IJSB_SB_EEENS0_18inequality_wrapperIN6hipcub16HIPCUB_304000_NS8EqualityEEEPlJS6_EEE10hipError_tPvRmT3_T4_T5_T6_T7_T9_mT8_P12ihipStream_tbDpT10_ENKUlT_T0_E_clISt17integral_constantIbLb0EES16_IbLb1EEEEDaS12_S13_EUlS12_E_NS1_11comp_targetILNS1_3genE5ELNS1_11target_archE942ELNS1_3gpuE9ELNS1_3repE0EEENS1_30default_config_static_selectorELNS0_4arch9wavefront6targetE1EEEvT1_,"axG",@progbits,_ZN7rocprim17ROCPRIM_400000_NS6detail17trampoline_kernelINS0_14default_configENS1_25partition_config_selectorILNS1_17partition_subalgoE8EjNS0_10empty_typeEbEEZZNS1_14partition_implILS5_8ELb0ES3_jPKjPS6_PKS6_NS0_5tupleIJPjS6_EEENSE_IJSB_SB_EEENS0_18inequality_wrapperIN6hipcub16HIPCUB_304000_NS8EqualityEEEPlJS6_EEE10hipError_tPvRmT3_T4_T5_T6_T7_T9_mT8_P12ihipStream_tbDpT10_ENKUlT_T0_E_clISt17integral_constantIbLb0EES16_IbLb1EEEEDaS12_S13_EUlS12_E_NS1_11comp_targetILNS1_3genE5ELNS1_11target_archE942ELNS1_3gpuE9ELNS1_3repE0EEENS1_30default_config_static_selectorELNS0_4arch9wavefront6targetE1EEEvT1_,comdat
	.protected	_ZN7rocprim17ROCPRIM_400000_NS6detail17trampoline_kernelINS0_14default_configENS1_25partition_config_selectorILNS1_17partition_subalgoE8EjNS0_10empty_typeEbEEZZNS1_14partition_implILS5_8ELb0ES3_jPKjPS6_PKS6_NS0_5tupleIJPjS6_EEENSE_IJSB_SB_EEENS0_18inequality_wrapperIN6hipcub16HIPCUB_304000_NS8EqualityEEEPlJS6_EEE10hipError_tPvRmT3_T4_T5_T6_T7_T9_mT8_P12ihipStream_tbDpT10_ENKUlT_T0_E_clISt17integral_constantIbLb0EES16_IbLb1EEEEDaS12_S13_EUlS12_E_NS1_11comp_targetILNS1_3genE5ELNS1_11target_archE942ELNS1_3gpuE9ELNS1_3repE0EEENS1_30default_config_static_selectorELNS0_4arch9wavefront6targetE1EEEvT1_ ; -- Begin function _ZN7rocprim17ROCPRIM_400000_NS6detail17trampoline_kernelINS0_14default_configENS1_25partition_config_selectorILNS1_17partition_subalgoE8EjNS0_10empty_typeEbEEZZNS1_14partition_implILS5_8ELb0ES3_jPKjPS6_PKS6_NS0_5tupleIJPjS6_EEENSE_IJSB_SB_EEENS0_18inequality_wrapperIN6hipcub16HIPCUB_304000_NS8EqualityEEEPlJS6_EEE10hipError_tPvRmT3_T4_T5_T6_T7_T9_mT8_P12ihipStream_tbDpT10_ENKUlT_T0_E_clISt17integral_constantIbLb0EES16_IbLb1EEEEDaS12_S13_EUlS12_E_NS1_11comp_targetILNS1_3genE5ELNS1_11target_archE942ELNS1_3gpuE9ELNS1_3repE0EEENS1_30default_config_static_selectorELNS0_4arch9wavefront6targetE1EEEvT1_
	.globl	_ZN7rocprim17ROCPRIM_400000_NS6detail17trampoline_kernelINS0_14default_configENS1_25partition_config_selectorILNS1_17partition_subalgoE8EjNS0_10empty_typeEbEEZZNS1_14partition_implILS5_8ELb0ES3_jPKjPS6_PKS6_NS0_5tupleIJPjS6_EEENSE_IJSB_SB_EEENS0_18inequality_wrapperIN6hipcub16HIPCUB_304000_NS8EqualityEEEPlJS6_EEE10hipError_tPvRmT3_T4_T5_T6_T7_T9_mT8_P12ihipStream_tbDpT10_ENKUlT_T0_E_clISt17integral_constantIbLb0EES16_IbLb1EEEEDaS12_S13_EUlS12_E_NS1_11comp_targetILNS1_3genE5ELNS1_11target_archE942ELNS1_3gpuE9ELNS1_3repE0EEENS1_30default_config_static_selectorELNS0_4arch9wavefront6targetE1EEEvT1_
	.p2align	8
	.type	_ZN7rocprim17ROCPRIM_400000_NS6detail17trampoline_kernelINS0_14default_configENS1_25partition_config_selectorILNS1_17partition_subalgoE8EjNS0_10empty_typeEbEEZZNS1_14partition_implILS5_8ELb0ES3_jPKjPS6_PKS6_NS0_5tupleIJPjS6_EEENSE_IJSB_SB_EEENS0_18inequality_wrapperIN6hipcub16HIPCUB_304000_NS8EqualityEEEPlJS6_EEE10hipError_tPvRmT3_T4_T5_T6_T7_T9_mT8_P12ihipStream_tbDpT10_ENKUlT_T0_E_clISt17integral_constantIbLb0EES16_IbLb1EEEEDaS12_S13_EUlS12_E_NS1_11comp_targetILNS1_3genE5ELNS1_11target_archE942ELNS1_3gpuE9ELNS1_3repE0EEENS1_30default_config_static_selectorELNS0_4arch9wavefront6targetE1EEEvT1_,@function
_ZN7rocprim17ROCPRIM_400000_NS6detail17trampoline_kernelINS0_14default_configENS1_25partition_config_selectorILNS1_17partition_subalgoE8EjNS0_10empty_typeEbEEZZNS1_14partition_implILS5_8ELb0ES3_jPKjPS6_PKS6_NS0_5tupleIJPjS6_EEENSE_IJSB_SB_EEENS0_18inequality_wrapperIN6hipcub16HIPCUB_304000_NS8EqualityEEEPlJS6_EEE10hipError_tPvRmT3_T4_T5_T6_T7_T9_mT8_P12ihipStream_tbDpT10_ENKUlT_T0_E_clISt17integral_constantIbLb0EES16_IbLb1EEEEDaS12_S13_EUlS12_E_NS1_11comp_targetILNS1_3genE5ELNS1_11target_archE942ELNS1_3gpuE9ELNS1_3repE0EEENS1_30default_config_static_selectorELNS0_4arch9wavefront6targetE1EEEvT1_: ; @_ZN7rocprim17ROCPRIM_400000_NS6detail17trampoline_kernelINS0_14default_configENS1_25partition_config_selectorILNS1_17partition_subalgoE8EjNS0_10empty_typeEbEEZZNS1_14partition_implILS5_8ELb0ES3_jPKjPS6_PKS6_NS0_5tupleIJPjS6_EEENSE_IJSB_SB_EEENS0_18inequality_wrapperIN6hipcub16HIPCUB_304000_NS8EqualityEEEPlJS6_EEE10hipError_tPvRmT3_T4_T5_T6_T7_T9_mT8_P12ihipStream_tbDpT10_ENKUlT_T0_E_clISt17integral_constantIbLb0EES16_IbLb1EEEEDaS12_S13_EUlS12_E_NS1_11comp_targetILNS1_3genE5ELNS1_11target_archE942ELNS1_3gpuE9ELNS1_3repE0EEENS1_30default_config_static_selectorELNS0_4arch9wavefront6targetE1EEEvT1_
; %bb.0:
	s_load_dwordx4 s[36:39], s[0:1], 0x40
	s_load_dwordx2 s[8:9], s[0:1], 0x50
	s_load_dwordx2 s[42:43], s[0:1], 0x60
	v_cmp_ne_u32_e64 s[2:3], 0, v0
	v_cmp_eq_u32_e64 s[18:19], 0, v0
	s_and_saveexec_b64 s[4:5], s[18:19]
	s_cbranch_execz .LBB642_4
; %bb.1:
	s_mov_b64 s[10:11], exec
	v_mbcnt_lo_u32_b32 v1, s10, 0
	v_mbcnt_hi_u32_b32 v1, s11, v1
	v_cmp_eq_u32_e32 vcc, 0, v1
                                        ; implicit-def: $vgpr2
	s_and_saveexec_b64 s[6:7], vcc
	s_cbranch_execz .LBB642_3
; %bb.2:
	s_load_dwordx2 s[12:13], s[0:1], 0x70
	s_bcnt1_i32_b64 s10, s[10:11]
	v_mov_b32_e32 v2, 0
	v_mov_b32_e32 v3, s10
	s_waitcnt lgkmcnt(0)
	global_atomic_add v2, v2, v3, s[12:13] sc0
.LBB642_3:
	s_or_b64 exec, exec, s[6:7]
	s_waitcnt vmcnt(0)
	v_readfirstlane_b32 s6, v2
	v_mov_b32_e32 v2, 0
	s_nop 0
	v_add_u32_e32 v1, s6, v1
	ds_write_b32 v2, v1
.LBB642_4:
	s_or_b64 exec, exec, s[4:5]
	v_mov_b32_e32 v3, 0
	s_load_dwordx4 s[4:7], s[0:1], 0x8
	s_load_dwordx2 s[40:41], s[0:1], 0x28
	s_load_dword s10, s[0:1], 0x68
	s_waitcnt lgkmcnt(0)
	s_barrier
	ds_read_b32 v1, v3
	s_waitcnt lgkmcnt(0)
	s_barrier
	global_load_dwordx2 v[18:19], v3, s[38:39]
	s_lshl_b64 s[0:1], s[6:7], 2
	s_add_u32 s4, s4, s0
	s_movk_i32 s0, 0x1e00
	v_mul_lo_u32 v2, v1, s0
	s_mul_i32 s0, s10, 0x1e00
	s_addc_u32 s5, s5, s1
	s_add_i32 s1, s0, s6
	v_mov_b32_e32 v5, s9
	s_add_i32 s9, s10, -1
	s_sub_i32 s50, s8, s1
	s_add_u32 s0, s6, s0
	v_readfirstlane_b32 s33, v1
	s_addc_u32 s1, s7, 0
	v_mov_b32_e32 v4, s8
	s_cmp_eq_u32 s33, s9
	v_cmp_ge_u64_e32 vcc, s[0:1], v[4:5]
	s_cselect_b64 s[34:35], -1, 0
	s_and_b64 s[44:45], vcc, s[34:35]
	s_xor_b64 s[38:39], s[44:45], -1
	v_lshlrev_b64 v[4:5], 2, v[2:3]
	s_mov_b64 s[0:1], -1
	v_lshl_add_u64 v[34:35], s[4:5], 0, v[4:5]
	s_and_b64 vcc, exec, s[38:39]
	s_cbranch_vccz .LBB642_6
; %bb.5:
	v_lshlrev_b32_e32 v2, 2, v0
	v_lshl_add_u64 v[4:5], v[34:35], 0, v[2:3]
	v_add_co_u32_e32 v6, vcc, 0x1000, v4
	v_readfirstlane_b32 s0, v34
	s_nop 0
	v_addc_co_u32_e32 v7, vcc, 0, v5, vcc
	v_add_co_u32_e32 v8, vcc, 0x2000, v4
	v_readfirstlane_b32 s1, v35
	s_nop 0
	v_addc_co_u32_e32 v9, vcc, 0, v5, vcc
	v_add_co_u32_e32 v10, vcc, 0x3000, v4
	s_nop 1
	global_load_dword v1, v2, s[0:1]
	global_load_dword v3, v2, s[0:1] offset:2048
	v_addc_co_u32_e32 v11, vcc, 0, v5, vcc
	v_add_co_u32_e32 v12, vcc, 0x4000, v4
	s_mov_b64 s[0:1], 0
	s_nop 0
	v_addc_co_u32_e32 v13, vcc, 0, v5, vcc
	global_load_dword v14, v[6:7], off
	global_load_dword v15, v[6:7], off offset:2048
	global_load_dword v16, v[8:9], off
	global_load_dword v17, v[8:9], off offset:2048
	;; [unrolled: 2-line block ×4, first 2 shown]
	v_add_co_u32_e32 v6, vcc, 0x5000, v4
	s_nop 1
	v_addc_co_u32_e32 v7, vcc, 0, v5, vcc
	v_add_co_u32_e32 v8, vcc, 0x6000, v4
	s_nop 1
	v_addc_co_u32_e32 v9, vcc, 0, v5, vcc
	global_load_dword v10, v[6:7], off
	global_load_dword v11, v[6:7], off offset:2048
	global_load_dword v12, v[8:9], off
	global_load_dword v13, v[8:9], off offset:2048
	v_add_co_u32_e32 v4, vcc, 0x7000, v4
	s_nop 1
	v_addc_co_u32_e32 v5, vcc, 0, v5, vcc
	global_load_dword v4, v[4:5], off
	s_waitcnt vmcnt(13)
	ds_write2st64_b32 v2, v1, v3 offset1:8
	s_waitcnt vmcnt(11)
	ds_write2st64_b32 v2, v14, v15 offset0:16 offset1:24
	s_waitcnt vmcnt(9)
	ds_write2st64_b32 v2, v16, v17 offset0:32 offset1:40
	;; [unrolled: 2-line block ×6, first 2 shown]
	s_waitcnt vmcnt(0)
	ds_write_b32 v2, v4 offset:28672
	s_waitcnt lgkmcnt(0)
	s_barrier
.LBB642_6:
	s_andn2_b64 vcc, exec, s[0:1]
	s_addk_i32 s50, 0x1e00
	s_cbranch_vccnz .LBB642_38
; %bb.7:
	v_cmp_gt_u32_e32 vcc, s50, v0
                                        ; implicit-def: $vgpr2_vgpr3_vgpr4_vgpr5_vgpr6_vgpr7_vgpr8_vgpr9_vgpr10_vgpr11_vgpr12_vgpr13_vgpr14_vgpr15_vgpr16_vgpr17
	s_and_saveexec_b64 s[0:1], vcc
	s_cbranch_execz .LBB642_9
; %bb.8:
	v_lshlrev_b32_e32 v1, 2, v0
	v_readfirstlane_b32 s4, v34
	v_readfirstlane_b32 s5, v35
	s_nop 4
	global_load_dword v2, v1, s[4:5]
.LBB642_9:
	s_or_b64 exec, exec, s[0:1]
	v_or_b32_e32 v1, 0x200, v0
	v_cmp_gt_u32_e32 vcc, s50, v1
	s_and_saveexec_b64 s[0:1], vcc
	s_cbranch_execz .LBB642_11
; %bb.10:
	v_lshlrev_b32_e32 v1, 2, v0
	v_readfirstlane_b32 s4, v34
	v_readfirstlane_b32 s5, v35
	s_nop 4
	global_load_dword v3, v1, s[4:5] offset:2048
.LBB642_11:
	s_or_b64 exec, exec, s[0:1]
	v_or_b32_e32 v1, 0x400, v0
	v_cmp_gt_u32_e32 vcc, s50, v1
	s_and_saveexec_b64 s[0:1], vcc
	s_cbranch_execz .LBB642_13
; %bb.12:
	v_lshlrev_b32_e32 v1, 2, v1
	v_readfirstlane_b32 s4, v34
	v_readfirstlane_b32 s5, v35
	s_nop 4
	global_load_dword v4, v1, s[4:5]
.LBB642_13:
	s_or_b64 exec, exec, s[0:1]
	v_or_b32_e32 v1, 0x600, v0
	v_cmp_gt_u32_e32 vcc, s50, v1
	s_and_saveexec_b64 s[0:1], vcc
	s_cbranch_execz .LBB642_15
; %bb.14:
	v_lshlrev_b32_e32 v1, 2, v1
	v_readfirstlane_b32 s4, v34
	v_readfirstlane_b32 s5, v35
	s_nop 4
	global_load_dword v5, v1, s[4:5]
.LBB642_15:
	;; [unrolled: 12-line block ×13, first 2 shown]
	s_or_b64 exec, exec, s[0:1]
	v_lshlrev_b32_e32 v1, 2, v0
	s_waitcnt vmcnt(0)
	ds_write2st64_b32 v1, v2, v3 offset1:8
	ds_write2st64_b32 v1, v4, v5 offset0:16 offset1:24
	ds_write2st64_b32 v1, v6, v7 offset0:32 offset1:40
	;; [unrolled: 1-line block ×6, first 2 shown]
	ds_write_b32 v1, v16 offset:28672
	s_waitcnt lgkmcnt(0)
	s_barrier
.LBB642_38:
	v_mul_u32_u24_e32 v10, 15, v0
	v_lshlrev_b32_e32 v17, 2, v10
	ds_read2_b32 v[32:33], v17 offset1:1
	ds_read2_b32 v[30:31], v17 offset0:2 offset1:3
	ds_read2_b32 v[28:29], v17 offset0:4 offset1:5
	;; [unrolled: 1-line block ×6, first 2 shown]
	ds_read_b32 v1, v17 offset:56
	s_cmp_lg_u32 s33, 0
	s_cselect_b64 s[46:47], -1, 0
	s_cmp_lg_u64 s[6:7], 0
	s_cselect_b64 s[0:1], -1, 0
	s_or_b64 s[0:1], s[0:1], s[46:47]
	v_mad_u32_u24 v15, v0, 15, 1
	v_mad_u32_u24 v11, v0, 15, 2
	v_mad_u32_u24 v12, v0, 15, 3
	v_mad_u32_u24 v6, v0, 15, 4
	v_mad_u32_u24 v7, v0, 15, 5
	v_mad_u32_u24 v3, v0, 15, 6
	v_mad_u32_u24 v16, v0, 15, 7
	v_mad_u32_u24 v13, v0, 15, 8
	v_mad_u32_u24 v14, v0, 15, 9
	v_mad_u32_u24 v8, v0, 15, 10
	v_mad_u32_u24 v9, v0, 15, 11
	v_mad_u32_u24 v4, v0, 15, 12
	v_mad_u32_u24 v5, v0, 15, 13
	v_mad_u32_u24 v2, v0, 15, 14
	s_mov_b64 s[48:49], 0
	s_and_b64 vcc, exec, s[0:1]
	s_waitcnt lgkmcnt(0)
	s_barrier
	s_cbranch_vccz .LBB642_43
; %bb.39:
	global_load_dword v34, v[34:35], off offset:-4
	v_lshlrev_b32_e32 v35, 2, v0
	s_and_b64 vcc, exec, s[38:39]
	ds_write_b32 v35, v1
	s_cbranch_vccz .LBB642_45
; %bb.40:
	s_waitcnt vmcnt(0)
	v_mov_b32_e32 v36, v34
	s_waitcnt lgkmcnt(0)
	s_barrier
	s_and_saveexec_b64 s[0:1], s[2:3]
	s_cbranch_execz .LBB642_42
; %bb.41:
	v_add_u32_e32 v36, -4, v35
	ds_read_b32 v36, v36
.LBB642_42:
	s_or_b64 exec, exec, s[0:1]
	v_cmp_ne_u32_e32 vcc, v21, v1
	s_waitcnt lgkmcnt(0)
	v_cmp_ne_u32_e64 s[0:1], v36, v32
	v_cndmask_b32_e64 v37, 0, 1, vcc
	v_cmp_ne_u32_e32 vcc, v20, v21
	s_nop 1
	v_cndmask_b32_e64 v40, 0, 1, vcc
	v_cmp_ne_u32_e32 vcc, v23, v20
	s_nop 1
	;; [unrolled: 3-line block ×13, first 2 shown]
	v_cndmask_b32_e64 v52, 0, 1, vcc
	s_branch .LBB642_49
.LBB642_43:
                                        ; implicit-def: $sgpr0_sgpr1
                                        ; implicit-def: $vgpr37
                                        ; implicit-def: $vgpr40
                                        ; implicit-def: $vgpr41
                                        ; implicit-def: $vgpr42
                                        ; implicit-def: $vgpr43
                                        ; implicit-def: $vgpr44
                                        ; implicit-def: $vgpr45
                                        ; implicit-def: $vgpr46
                                        ; implicit-def: $vgpr52
                                        ; implicit-def: $vgpr51
                                        ; implicit-def: $vgpr50
                                        ; implicit-def: $vgpr49
                                        ; implicit-def: $vgpr48
                                        ; implicit-def: $vgpr47
	s_branch .LBB642_50
.LBB642_44:
                                        ; implicit-def: $sgpr6
	s_branch .LBB642_58
.LBB642_45:
                                        ; implicit-def: $sgpr0_sgpr1
                                        ; implicit-def: $vgpr37
                                        ; implicit-def: $vgpr40
                                        ; implicit-def: $vgpr41
                                        ; implicit-def: $vgpr42
                                        ; implicit-def: $vgpr43
                                        ; implicit-def: $vgpr44
                                        ; implicit-def: $vgpr45
                                        ; implicit-def: $vgpr46
                                        ; implicit-def: $vgpr52
                                        ; implicit-def: $vgpr51
                                        ; implicit-def: $vgpr50
                                        ; implicit-def: $vgpr49
                                        ; implicit-def: $vgpr48
                                        ; implicit-def: $vgpr47
	s_cbranch_execz .LBB642_49
; %bb.46:
	s_waitcnt lgkmcnt(0)
	s_barrier
	s_and_saveexec_b64 s[0:1], s[2:3]
	s_cbranch_execz .LBB642_48
; %bb.47:
	s_waitcnt vmcnt(0)
	v_add_u32_e32 v34, -4, v35
	ds_read_b32 v34, v34
.LBB642_48:
	s_or_b64 exec, exec, s[0:1]
	v_cmp_gt_u32_e32 vcc, s50, v2
	v_cmp_ne_u32_e64 s[0:1], v21, v1
	s_and_b64 s[0:1], vcc, s[0:1]
	v_cmp_gt_u32_e32 vcc, s50, v5
	v_cndmask_b32_e64 v37, 0, 1, s[0:1]
	v_cmp_ne_u32_e64 s[0:1], v20, v21
	s_and_b64 s[0:1], vcc, s[0:1]
	v_cmp_gt_u32_e32 vcc, s50, v4
	v_cndmask_b32_e64 v40, 0, 1, s[0:1]
	;; [unrolled: 4-line block ×14, first 2 shown]
	s_waitcnt vmcnt(0) lgkmcnt(0)
	v_cmp_ne_u32_e64 s[0:1], v34, v32
	s_and_b64 s[0:1], vcc, s[0:1]
.LBB642_49:
	s_mov_b64 s[48:49], -1
	s_cbranch_execnz .LBB642_44
.LBB642_50:
	s_movk_i32 s0, 0xffc8
	v_mad_i32_i24 v17, v0, s0, v17
	s_and_b64 vcc, exec, s[38:39]
	v_cmp_ne_u32_e64 s[0:1], v21, v1
	v_cmp_ne_u32_e64 s[4:5], v20, v21
	;; [unrolled: 1-line block ×14, first 2 shown]
	ds_write_b32 v17, v1
	s_cbranch_vccz .LBB642_54
; %bb.51:
	v_cndmask_b32_e64 v37, 0, 1, s[0:1]
	v_cndmask_b32_e64 v40, 0, 1, s[4:5]
	;; [unrolled: 1-line block ×14, first 2 shown]
	s_waitcnt lgkmcnt(0)
	s_barrier
	s_waitcnt lgkmcnt(0)
                                        ; implicit-def: $sgpr0_sgpr1
	s_and_saveexec_b64 s[4:5], s[2:3]
	s_xor_b64 s[4:5], exec, s[4:5]
	s_cbranch_execz .LBB642_53
; %bb.52:
	s_waitcnt vmcnt(0)
	v_add_u32_e32 v34, -4, v17
	ds_read_b32 v34, v34
	s_or_b64 s[48:49], s[48:49], exec
	s_waitcnt lgkmcnt(0)
	v_cmp_ne_u32_e32 vcc, v34, v32
	s_and_b64 s[0:1], vcc, exec
.LBB642_53:
	s_or_b64 exec, exec, s[4:5]
	s_mov_b32 s6, 1
	s_branch .LBB642_58
.LBB642_54:
                                        ; implicit-def: $sgpr0_sgpr1
                                        ; implicit-def: $vgpr37
                                        ; implicit-def: $vgpr40
                                        ; implicit-def: $vgpr41
                                        ; implicit-def: $vgpr42
                                        ; implicit-def: $vgpr43
                                        ; implicit-def: $vgpr44
                                        ; implicit-def: $vgpr45
                                        ; implicit-def: $vgpr46
                                        ; implicit-def: $vgpr52
                                        ; implicit-def: $vgpr51
                                        ; implicit-def: $vgpr50
                                        ; implicit-def: $vgpr49
                                        ; implicit-def: $vgpr48
                                        ; implicit-def: $vgpr47
                                        ; implicit-def: $sgpr6
	s_cbranch_execz .LBB642_58
; %bb.55:
	v_cmp_gt_u32_e32 vcc, s50, v2
	v_cmp_ne_u32_e64 s[0:1], v21, v1
	s_and_b64 s[0:1], vcc, s[0:1]
	v_cmp_gt_u32_e32 vcc, s50, v5
	v_cndmask_b32_e64 v37, 0, 1, s[0:1]
	v_cmp_ne_u32_e64 s[0:1], v20, v21
	s_and_b64 s[0:1], vcc, s[0:1]
	v_cmp_gt_u32_e32 vcc, s50, v4
	v_cndmask_b32_e64 v40, 0, 1, s[0:1]
	;; [unrolled: 4-line block ×13, first 2 shown]
	v_cmp_ne_u32_e64 s[0:1], v32, v33
	s_and_b64 s[0:1], vcc, s[0:1]
	s_waitcnt lgkmcnt(0)
	v_cndmask_b32_e64 v52, 0, 1, s[0:1]
	s_barrier
	s_waitcnt lgkmcnt(0)
                                        ; implicit-def: $sgpr0_sgpr1
	s_and_saveexec_b64 s[4:5], s[2:3]
	s_cbranch_execz .LBB642_57
; %bb.56:
	v_add_u32_e32 v17, -4, v17
	ds_read_b32 v17, v17
	v_cmp_gt_u32_e32 vcc, s50, v10
	s_or_b64 s[48:49], s[48:49], exec
	s_waitcnt lgkmcnt(0)
	v_cmp_ne_u32_e64 s[0:1], v17, v32
	s_and_b64 s[0:1], vcc, s[0:1]
	s_and_b64 s[0:1], s[0:1], exec
.LBB642_57:
	s_or_b64 exec, exec, s[4:5]
	s_mov_b32 s6, 1
.LBB642_58:
	v_mov_b32_e32 v53, s6
	s_and_saveexec_b64 s[2:3], s[48:49]
; %bb.59:
	v_cndmask_b32_e64 v53, 0, 1, s[0:1]
; %bb.60:
	s_or_b64 exec, exec, s[2:3]
	s_andn2_b64 vcc, exec, s[44:45]
	s_cbranch_vccnz .LBB642_62
; %bb.61:
	v_cmp_gt_u32_e32 vcc, s50, v10
	s_nop 1
	v_cndmask_b32_e32 v53, 0, v53, vcc
	v_cmp_gt_u32_e32 vcc, s50, v15
	s_nop 1
	v_cndmask_b32_e32 v52, 0, v52, vcc
	;; [unrolled: 3-line block ×15, first 2 shown]
.LBB642_62:
	v_and_b32_e32 v56, 0xff, v49
	v_and_b32_e32 v57, 0xff, v48
	;; [unrolled: 1-line block ×5, first 2 shown]
	v_add3_u32 v3, v57, v58, v56
	v_and_b32_e32 v38, 0xff, v53
	v_and_b32_e32 v39, 0xff, v52
	v_add3_u32 v3, v3, v55, v54
	v_and_b32_e32 v59, 0xff, v46
	v_and_b32_e32 v60, 0xff, v45
	;; [unrolled: 3-line block ×5, first 2 shown]
	v_add3_u32 v3, v3, v63, v64
	v_add3_u32 v68, v3, v65, v2
	v_mbcnt_lo_u32_b32 v2, -1, 0
	v_mbcnt_hi_u32_b32 v66, -1, v2
	v_and_b32_e32 v2, 15, v66
	v_cmp_eq_u32_e64 s[14:15], 0, v2
	v_cmp_lt_u32_e64 s[12:13], 1, v2
	v_cmp_lt_u32_e64 s[10:11], 3, v2
	;; [unrolled: 1-line block ×3, first 2 shown]
	v_and_b32_e32 v2, 16, v66
	v_cmp_eq_u32_e64 s[6:7], 0, v2
	v_or_b32_e32 v2, 63, v0
	v_cmp_lt_u32_e64 s[2:3], 31, v66
	v_lshrrev_b32_e32 v67, 6, v0
	v_cmp_eq_u32_e64 s[4:5], v2, v0
	s_and_b64 vcc, exec, s[46:47]
	s_waitcnt lgkmcnt(0)
	s_barrier
	s_cbranch_vccz .LBB642_89
; %bb.63:
	v_mov_b32_dpp v2, v68 row_shr:1 row_mask:0xf bank_mask:0xf
	v_cndmask_b32_e64 v2, v2, 0, s[14:15]
	v_add_u32_e32 v2, v2, v68
	s_nop 1
	v_mov_b32_dpp v3, v2 row_shr:2 row_mask:0xf bank_mask:0xf
	v_cndmask_b32_e64 v3, 0, v3, s[12:13]
	v_add_u32_e32 v2, v2, v3
	s_nop 1
	v_mov_b32_dpp v3, v2 row_shr:4 row_mask:0xf bank_mask:0xf
	v_cndmask_b32_e64 v3, 0, v3, s[10:11]
	v_add_u32_e32 v2, v2, v3
	s_nop 1
	v_mov_b32_dpp v3, v2 row_shr:8 row_mask:0xf bank_mask:0xf
	v_cndmask_b32_e64 v3, 0, v3, s[8:9]
	v_add_u32_e32 v2, v2, v3
	s_nop 1
	v_mov_b32_dpp v3, v2 row_bcast:15 row_mask:0xf bank_mask:0xf
	v_cndmask_b32_e64 v3, v3, 0, s[6:7]
	v_add_u32_e32 v2, v2, v3
	s_nop 1
	v_mov_b32_dpp v3, v2 row_bcast:31 row_mask:0xf bank_mask:0xf
	v_cndmask_b32_e64 v3, 0, v3, s[2:3]
	v_add_u32_e32 v2, v2, v3
	s_and_saveexec_b64 s[0:1], s[4:5]
	s_cbranch_execz .LBB642_65
; %bb.64:
	v_lshlrev_b32_e32 v3, 2, v67
	ds_write_b32 v3, v2
.LBB642_65:
	s_or_b64 exec, exec, s[0:1]
	v_cmp_gt_u32_e32 vcc, 8, v0
	s_waitcnt lgkmcnt(0)
	s_barrier
	s_and_saveexec_b64 s[0:1], vcc
	s_cbranch_execz .LBB642_67
; %bb.66:
	v_lshlrev_b32_e32 v3, 2, v0
	ds_read_b32 v4, v3
	v_and_b32_e32 v5, 7, v66
	v_cmp_ne_u32_e32 vcc, 0, v5
	s_waitcnt lgkmcnt(0)
	v_mov_b32_dpp v6, v4 row_shr:1 row_mask:0xf bank_mask:0xf
	v_cndmask_b32_e32 v6, 0, v6, vcc
	v_add_u32_e32 v4, v6, v4
	v_cmp_lt_u32_e32 vcc, 1, v5
	s_nop 0
	v_mov_b32_dpp v6, v4 row_shr:2 row_mask:0xf bank_mask:0xf
	v_cndmask_b32_e32 v6, 0, v6, vcc
	v_add_u32_e32 v4, v4, v6
	v_cmp_lt_u32_e32 vcc, 3, v5
	s_nop 0
	v_mov_b32_dpp v6, v4 row_shr:4 row_mask:0xf bank_mask:0xf
	v_cndmask_b32_e32 v5, 0, v6, vcc
	v_add_u32_e32 v4, v4, v5
	ds_write_b32 v3, v4
.LBB642_67:
	s_or_b64 exec, exec, s[0:1]
	v_cmp_gt_u32_e32 vcc, 64, v0
	v_cmp_lt_u32_e64 s[0:1], 63, v0
	s_waitcnt lgkmcnt(0)
	s_barrier
	s_waitcnt lgkmcnt(0)
                                        ; implicit-def: $vgpr12
	s_and_saveexec_b64 s[16:17], s[0:1]
	s_cbranch_execz .LBB642_69
; %bb.68:
	v_lshl_add_u32 v3, v67, 2, -4
	ds_read_b32 v12, v3
	s_waitcnt lgkmcnt(0)
	v_add_u32_e32 v2, v12, v2
.LBB642_69:
	s_or_b64 exec, exec, s[16:17]
	v_add_u32_e32 v3, -1, v66
	v_and_b32_e32 v4, 64, v66
	v_cmp_lt_i32_e64 s[0:1], v3, v4
	v_cmp_eq_u32_e64 s[16:17], 0, v66
	s_nop 0
	v_cndmask_b32_e64 v3, v3, v66, s[0:1]
	v_lshlrev_b32_e32 v3, 2, v3
	ds_bpermute_b32 v13, v3, v2
	s_and_saveexec_b64 s[0:1], vcc
	s_cbranch_execz .LBB642_88
; %bb.70:
	v_mov_b32_e32 v9, 0
	ds_read_b32 v2, v9 offset:28
	s_and_saveexec_b64 s[20:21], s[16:17]
	s_cbranch_execz .LBB642_72
; %bb.71:
	s_add_i32 s22, s33, 64
	s_mov_b32 s23, 0
	s_lshl_b64 s[22:23], s[22:23], 3
	s_add_u32 s22, s42, s22
	v_mov_b32_e32 v3, 1
	s_addc_u32 s23, s43, s23
	s_waitcnt lgkmcnt(0)
	global_store_dwordx2 v9, v[2:3], s[22:23] sc1
.LBB642_72:
	s_or_b64 exec, exec, s[20:21]
	v_xad_u32 v4, v66, -1, s33
	v_add_u32_e32 v8, 64, v4
	v_lshl_add_u64 v[10:11], v[8:9], 3, s[42:43]
	global_load_dwordx2 v[6:7], v[10:11], off sc1
	s_waitcnt vmcnt(0)
	v_cmp_eq_u16_sdwa s[22:23], v7, v9 src0_sel:BYTE_0 src1_sel:DWORD
	s_and_saveexec_b64 s[20:21], s[22:23]
	s_cbranch_execz .LBB642_76
; %bb.73:
	s_mov_b64 s[22:23], 0
	v_mov_b32_e32 v3, 0
.LBB642_74:                             ; =>This Inner Loop Header: Depth=1
	global_load_dwordx2 v[6:7], v[10:11], off sc1
	s_waitcnt vmcnt(0)
	v_cmp_ne_u16_sdwa s[24:25], v7, v3 src0_sel:BYTE_0 src1_sel:DWORD
	s_or_b64 s[22:23], s[24:25], s[22:23]
	s_andn2_b64 exec, exec, s[22:23]
	s_cbranch_execnz .LBB642_74
; %bb.75:
	s_or_b64 exec, exec, s[22:23]
.LBB642_76:
	s_or_b64 exec, exec, s[20:21]
	v_and_b32_e32 v15, 63, v66
	v_mov_b32_e32 v14, 2
	v_cmp_ne_u32_e32 vcc, 63, v15
	v_cmp_eq_u16_sdwa s[20:21], v7, v14 src0_sel:BYTE_0 src1_sel:DWORD
	v_lshlrev_b64 v[8:9], v66, -1
	v_addc_co_u32_e32 v10, vcc, 0, v66, vcc
	v_and_b32_e32 v3, s21, v9
	v_lshlrev_b32_e32 v16, 2, v10
	v_or_b32_e32 v3, 0x80000000, v3
	ds_bpermute_b32 v10, v16, v6
	v_and_b32_e32 v5, s20, v8
	v_ffbl_b32_e32 v3, v3
	v_add_u32_e32 v3, 32, v3
	v_ffbl_b32_e32 v5, v5
	v_min_u32_e32 v3, v5, v3
	v_cmp_lt_u32_e32 vcc, v15, v3
	v_add_u32_e32 v34, 2, v15
	v_add_u32_e32 v36, 4, v15
	s_waitcnt lgkmcnt(0)
	v_cndmask_b32_e32 v5, 0, v10, vcc
	v_cmp_gt_u32_e32 vcc, 62, v15
	v_add_u32_e32 v5, v5, v6
	v_add_u32_e32 v70, 8, v15
	v_cndmask_b32_e64 v6, 0, 1, vcc
	v_lshlrev_b32_e32 v6, 1, v6
	v_add_lshl_u32 v17, v6, v66, 2
	ds_bpermute_b32 v6, v17, v5
	v_cmp_le_u32_e32 vcc, v34, v3
	v_add_u32_e32 v72, 16, v15
	v_add_u32_e32 v74, 32, v15
	s_waitcnt lgkmcnt(0)
	v_cndmask_b32_e32 v6, 0, v6, vcc
	v_cmp_gt_u32_e32 vcc, 60, v15
	v_add_u32_e32 v5, v5, v6
	s_nop 0
	v_cndmask_b32_e64 v6, 0, 1, vcc
	v_lshlrev_b32_e32 v6, 2, v6
	v_add_lshl_u32 v35, v6, v66, 2
	ds_bpermute_b32 v6, v35, v5
	v_cmp_le_u32_e32 vcc, v36, v3
	s_waitcnt lgkmcnt(0)
	s_nop 0
	v_cndmask_b32_e32 v6, 0, v6, vcc
	v_cmp_gt_u32_e32 vcc, 56, v15
	v_add_u32_e32 v5, v5, v6
	s_nop 0
	v_cndmask_b32_e64 v6, 0, 1, vcc
	v_lshlrev_b32_e32 v6, 3, v6
	v_add_lshl_u32 v69, v6, v66, 2
	ds_bpermute_b32 v6, v69, v5
	v_cmp_le_u32_e32 vcc, v70, v3
	s_waitcnt lgkmcnt(0)
	s_nop 0
	;; [unrolled: 11-line block ×4, first 2 shown]
	v_cndmask_b32_e32 v3, 0, v6, vcc
	v_add_u32_e32 v6, v5, v3
	v_mov_b32_e32 v5, 0
	s_branch .LBB642_78
.LBB642_77:                             ;   in Loop: Header=BB642_78 Depth=1
	s_or_b64 exec, exec, s[20:21]
	v_cmp_eq_u16_sdwa s[20:21], v7, v14 src0_sel:BYTE_0 src1_sel:DWORD
	ds_bpermute_b32 v75, v16, v6
	v_subrev_u32_e32 v4, 64, v4
	v_and_b32_e32 v10, s21, v9
	v_or_b32_e32 v10, 0x80000000, v10
	v_and_b32_e32 v11, s20, v8
	v_ffbl_b32_e32 v10, v10
	v_add_u32_e32 v10, 32, v10
	v_ffbl_b32_e32 v11, v11
	v_min_u32_e32 v10, v11, v10
	v_cmp_lt_u32_e32 vcc, v15, v10
	s_waitcnt lgkmcnt(0)
	s_nop 0
	v_cndmask_b32_e32 v11, 0, v75, vcc
	v_add_u32_e32 v6, v11, v6
	ds_bpermute_b32 v11, v17, v6
	v_cmp_le_u32_e32 vcc, v34, v10
	s_waitcnt lgkmcnt(0)
	s_nop 0
	v_cndmask_b32_e32 v11, 0, v11, vcc
	v_add_u32_e32 v6, v6, v11
	ds_bpermute_b32 v11, v35, v6
	v_cmp_le_u32_e32 vcc, v36, v10
	;; [unrolled: 6-line block ×5, first 2 shown]
	s_waitcnt lgkmcnt(0)
	s_nop 0
	v_cndmask_b32_e32 v10, 0, v11, vcc
	v_add3_u32 v6, v10, v3, v6
.LBB642_78:                             ; =>This Loop Header: Depth=1
                                        ;     Child Loop BB642_81 Depth 2
	v_cmp_ne_u16_sdwa s[20:21], v7, v14 src0_sel:BYTE_0 src1_sel:DWORD
	s_nop 1
	v_cndmask_b32_e64 v3, 0, 1, s[20:21]
	;;#ASMSTART
	;;#ASMEND
	s_nop 0
	v_cmp_ne_u32_e32 vcc, 0, v3
	s_cmp_lg_u64 vcc, exec
	v_mov_b32_e32 v3, v6
	s_cbranch_scc1 .LBB642_83
; %bb.79:                               ;   in Loop: Header=BB642_78 Depth=1
	v_lshl_add_u64 v[10:11], v[4:5], 3, s[42:43]
	global_load_dwordx2 v[6:7], v[10:11], off sc1
	s_waitcnt vmcnt(0)
	v_cmp_eq_u16_sdwa s[22:23], v7, v5 src0_sel:BYTE_0 src1_sel:DWORD
	s_and_saveexec_b64 s[20:21], s[22:23]
	s_cbranch_execz .LBB642_77
; %bb.80:                               ;   in Loop: Header=BB642_78 Depth=1
	s_mov_b64 s[22:23], 0
.LBB642_81:                             ;   Parent Loop BB642_78 Depth=1
                                        ; =>  This Inner Loop Header: Depth=2
	global_load_dwordx2 v[6:7], v[10:11], off sc1
	s_waitcnt vmcnt(0)
	v_cmp_ne_u16_sdwa s[24:25], v7, v5 src0_sel:BYTE_0 src1_sel:DWORD
	s_or_b64 s[22:23], s[24:25], s[22:23]
	s_andn2_b64 exec, exec, s[22:23]
	s_cbranch_execnz .LBB642_81
; %bb.82:                               ;   in Loop: Header=BB642_78 Depth=1
	s_or_b64 exec, exec, s[22:23]
	s_branch .LBB642_77
.LBB642_83:                             ;   in Loop: Header=BB642_78 Depth=1
                                        ; implicit-def: $vgpr6
                                        ; implicit-def: $vgpr7
	s_cbranch_execz .LBB642_78
; %bb.84:
	s_and_saveexec_b64 s[20:21], s[16:17]
	s_cbranch_execz .LBB642_86
; %bb.85:
	s_add_i32 s22, s33, 64
	s_mov_b32 s23, 0
	s_lshl_b64 s[22:23], s[22:23], 3
	s_add_u32 s22, s42, s22
	v_add_u32_e32 v4, v3, v2
	v_mov_b32_e32 v5, 2
	s_addc_u32 s23, s43, s23
	v_mov_b32_e32 v6, 0
	global_store_dwordx2 v6, v[4:5], s[22:23] sc1
	ds_write_b64 v6, v[2:3] offset:30720
.LBB642_86:
	s_or_b64 exec, exec, s[20:21]
	s_and_b64 exec, exec, s[18:19]
	s_cbranch_execz .LBB642_88
; %bb.87:
	v_mov_b32_e32 v2, 0
	ds_write_b32 v2, v3 offset:28
.LBB642_88:
	s_or_b64 exec, exec, s[0:1]
	v_mov_b32_e32 v14, 0
	s_waitcnt lgkmcnt(0)
	s_barrier
	ds_read_b32 v2, v14 offset:28
	v_cndmask_b32_e64 v3, v13, v12, s[16:17]
	v_cndmask_b32_e64 v3, v3, 0, s[18:19]
	s_waitcnt lgkmcnt(0)
	s_barrier
	v_add_u32_e32 v2, v2, v3
	v_add_u32_e32 v3, v2, v38
	v_add_u32_e32 v4, v3, v39
	v_add_u32_e32 v5, v4, v54
	v_add_u32_e32 v6, v5, v55
	v_add_u32_e32 v7, v6, v56
	v_add_u32_e32 v8, v7, v57
	v_add_u32_e32 v9, v8, v58
	v_add_u32_e32 v10, v9, v59
	v_add_u32_e32 v11, v10, v60
	s_waitcnt vmcnt(0)
	ds_read_b64 v[34:35], v14 offset:30720
	v_add_u32_e32 v12, v11, v61
	v_add_u32_e32 v13, v12, v62
	;; [unrolled: 1-line block ×5, first 2 shown]
	s_waitcnt lgkmcnt(0)
	v_mov_b32_e32 v36, v35
	s_branch .LBB642_99
.LBB642_89:
                                        ; implicit-def: $vgpr36
                                        ; implicit-def: $vgpr34
                                        ; implicit-def: $vgpr2_vgpr3_vgpr4_vgpr5_vgpr6_vgpr7_vgpr8_vgpr9_vgpr10_vgpr11_vgpr12_vgpr13_vgpr14_vgpr15_vgpr16_vgpr17
	s_cbranch_execz .LBB642_99
; %bb.90:
	s_nop 0
	v_mov_b32_dpp v2, v68 row_shr:1 row_mask:0xf bank_mask:0xf
	v_cndmask_b32_e64 v2, v2, 0, s[14:15]
	v_add_u32_e32 v2, v2, v68
	s_nop 1
	v_mov_b32_dpp v3, v2 row_shr:2 row_mask:0xf bank_mask:0xf
	v_cndmask_b32_e64 v3, 0, v3, s[12:13]
	v_add_u32_e32 v2, v2, v3
	;; [unrolled: 4-line block ×4, first 2 shown]
	s_nop 1
	v_mov_b32_dpp v3, v2 row_bcast:15 row_mask:0xf bank_mask:0xf
	v_cndmask_b32_e64 v3, v3, 0, s[6:7]
	v_add_u32_e32 v2, v2, v3
	s_nop 1
	v_mov_b32_dpp v3, v2 row_bcast:31 row_mask:0xf bank_mask:0xf
	v_cndmask_b32_e64 v3, 0, v3, s[2:3]
	v_add_u32_e32 v2, v2, v3
	s_and_saveexec_b64 s[0:1], s[4:5]
	s_cbranch_execz .LBB642_92
; %bb.91:
	v_lshlrev_b32_e32 v3, 2, v67
	ds_write_b32 v3, v2
.LBB642_92:
	s_or_b64 exec, exec, s[0:1]
	v_cmp_gt_u32_e32 vcc, 8, v0
	s_waitcnt lgkmcnt(0)
	s_barrier
	s_and_saveexec_b64 s[0:1], vcc
	s_cbranch_execz .LBB642_94
; %bb.93:
	v_lshlrev_b32_e32 v3, 2, v0
	ds_read_b32 v4, v3
	v_and_b32_e32 v5, 7, v66
	v_cmp_ne_u32_e32 vcc, 0, v5
	s_waitcnt lgkmcnt(0)
	v_mov_b32_dpp v6, v4 row_shr:1 row_mask:0xf bank_mask:0xf
	v_cndmask_b32_e32 v6, 0, v6, vcc
	v_add_u32_e32 v4, v6, v4
	v_cmp_lt_u32_e32 vcc, 1, v5
	s_nop 0
	v_mov_b32_dpp v6, v4 row_shr:2 row_mask:0xf bank_mask:0xf
	v_cndmask_b32_e32 v6, 0, v6, vcc
	v_add_u32_e32 v4, v4, v6
	v_cmp_lt_u32_e32 vcc, 3, v5
	s_nop 0
	v_mov_b32_dpp v6, v4 row_shr:4 row_mask:0xf bank_mask:0xf
	v_cndmask_b32_e32 v5, 0, v6, vcc
	v_add_u32_e32 v4, v4, v5
	ds_write_b32 v3, v4
.LBB642_94:
	s_or_b64 exec, exec, s[0:1]
	v_cmp_lt_u32_e32 vcc, 63, v0
	v_mov_b32_e32 v4, 0
	v_mov_b32_e32 v3, 0
	s_waitcnt lgkmcnt(0)
	s_barrier
	s_and_saveexec_b64 s[0:1], vcc
	s_cbranch_execz .LBB642_96
; %bb.95:
	v_lshl_add_u32 v3, v67, 2, -4
	ds_read_b32 v3, v3
.LBB642_96:
	s_or_b64 exec, exec, s[0:1]
	v_add_u32_e32 v5, -1, v66
	v_and_b32_e32 v6, 64, v66
	v_cmp_lt_i32_e32 vcc, v5, v6
	s_waitcnt lgkmcnt(0)
	v_add_u32_e32 v2, v3, v2
	s_waitcnt vmcnt(0)
	ds_read_b32 v34, v4 offset:28
	v_cndmask_b32_e32 v5, v5, v66, vcc
	v_lshlrev_b32_e32 v5, 2, v5
	ds_bpermute_b32 v2, v5, v2
	s_and_saveexec_b64 s[0:1], s[18:19]
	s_cbranch_execz .LBB642_98
; %bb.97:
	v_mov_b32_e32 v4, 0
	v_mov_b32_e32 v35, 2
	s_waitcnt lgkmcnt(1)
	global_store_dwordx2 v4, v[34:35], s[42:43] offset:512 sc1
.LBB642_98:
	s_or_b64 exec, exec, s[0:1]
	v_cmp_eq_u32_e32 vcc, 0, v66
	v_mov_b32_e32 v36, 0
	s_waitcnt lgkmcnt(0)
	v_cndmask_b32_e32 v2, v2, v3, vcc
	v_cndmask_b32_e64 v2, v2, 0, s[18:19]
	v_add_u32_e32 v3, v2, v38
	v_add_u32_e32 v4, v3, v39
	;; [unrolled: 1-line block ×14, first 2 shown]
	s_barrier
.LBB642_99:
	s_movk_i32 s0, 0x201
	s_waitcnt vmcnt(0)
	v_cmp_gt_u32_e32 vcc, s0, v34
	s_mov_b64 s[0:1], -1
	s_cbranch_vccnz .LBB642_103
; %bb.100:
	s_and_b64 vcc, exec, s[0:1]
	s_cbranch_vccnz .LBB642_149
.LBB642_101:
	s_and_b64 s[0:1], s[18:19], s[34:35]
	s_and_saveexec_b64 s[2:3], s[0:1]
	s_cbranch_execnz .LBB642_193
.LBB642_102:
	s_endpgm
.LBB642_103:
	v_add_u32_e32 v17, v36, v34
	v_lshlrev_b64 v[38:39], 2, v[18:19]
	v_cmp_lt_u32_e32 vcc, v2, v17
	v_lshl_add_u64 v[38:39], s[40:41], 0, v[38:39]
	s_or_b64 s[2:3], s[38:39], vcc
	s_and_saveexec_b64 s[0:1], s[2:3]
	s_cbranch_execz .LBB642_106
; %bb.104:
	v_and_b32_e32 v35, 1, v53
	v_cmp_eq_u32_e32 vcc, 1, v35
	s_and_b64 exec, exec, vcc
	s_cbranch_execz .LBB642_106
; %bb.105:
	v_mov_b32_e32 v55, 0
	v_mov_b32_e32 v54, v2
	v_lshl_add_u64 v[54:55], v[54:55], 2, v[38:39]
	global_store_dword v[54:55], v32, off
.LBB642_106:
	s_or_b64 exec, exec, s[0:1]
	v_cmp_lt_u32_e32 vcc, v3, v17
	s_or_b64 s[2:3], s[38:39], vcc
	s_and_saveexec_b64 s[0:1], s[2:3]
	s_cbranch_execz .LBB642_109
; %bb.107:
	v_and_b32_e32 v35, 1, v52
	v_cmp_eq_u32_e32 vcc, 1, v35
	s_and_b64 exec, exec, vcc
	s_cbranch_execz .LBB642_109
; %bb.108:
	v_mov_b32_e32 v55, 0
	v_mov_b32_e32 v54, v3
	v_lshl_add_u64 v[54:55], v[54:55], 2, v[38:39]
	global_store_dword v[54:55], v33, off
.LBB642_109:
	s_or_b64 exec, exec, s[0:1]
	v_cmp_lt_u32_e32 vcc, v4, v17
	;; [unrolled: 16-line block ×14, first 2 shown]
	s_or_b64 s[2:3], s[38:39], vcc
	s_and_saveexec_b64 s[0:1], s[2:3]
	s_cbranch_execz .LBB642_148
; %bb.146:
	v_and_b32_e32 v17, 1, v37
	v_cmp_eq_u32_e32 vcc, 1, v17
	s_and_b64 exec, exec, vcc
	s_cbranch_execz .LBB642_148
; %bb.147:
	v_mov_b32_e32 v17, 0
	v_lshl_add_u64 v[38:39], v[16:17], 2, v[38:39]
	global_store_dword v[38:39], v1, off
.LBB642_148:
	s_or_b64 exec, exec, s[0:1]
	s_branch .LBB642_101
.LBB642_149:
	v_and_b32_e32 v17, 1, v53
	v_cmp_eq_u32_e32 vcc, 1, v17
	s_and_saveexec_b64 s[0:1], vcc
	s_cbranch_execz .LBB642_151
; %bb.150:
	v_sub_u32_e32 v2, v2, v36
	v_lshlrev_b32_e32 v2, 2, v2
	ds_write_b32 v2, v32
.LBB642_151:
	s_or_b64 exec, exec, s[0:1]
	v_and_b32_e32 v2, 1, v52
	v_cmp_eq_u32_e32 vcc, 1, v2
	s_and_saveexec_b64 s[0:1], vcc
	s_cbranch_execz .LBB642_153
; %bb.152:
	v_sub_u32_e32 v2, v3, v36
	v_lshlrev_b32_e32 v2, 2, v2
	ds_write_b32 v2, v33
.LBB642_153:
	s_or_b64 exec, exec, s[0:1]
	;; [unrolled: 10-line block ×15, first 2 shown]
	v_cmp_lt_u32_e32 vcc, v0, v34
	s_waitcnt lgkmcnt(0)
	s_barrier
	s_and_saveexec_b64 s[0:1], vcc
	s_cbranch_execz .LBB642_192
; %bb.180:
	v_mov_b32_e32 v37, 0
	v_lshlrev_b64 v[2:3], 2, v[18:19]
	v_lshl_add_u64 v[2:3], s[40:41], 0, v[2:3]
	v_lshlrev_b64 v[4:5], 2, v[36:37]
	v_xad_u32 v1, v0, -1, v34
	s_movk_i32 s2, 0x1ff
	v_lshl_add_u64 v[2:3], v[2:3], 0, v[4:5]
	v_cmp_lt_u32_e32 vcc, s2, v1
	s_mov_b64 s[4:5], -1
	s_and_saveexec_b64 s[2:3], vcc
	s_cbranch_execz .LBB642_189
; %bb.181:
	v_lshrrev_b32_e32 v8, 9, v1
	v_add_u32_e32 v4, -1, v8
	v_or_b32_e32 v1, 0x200, v0
	v_lshrrev_b32_e32 v5, 1, v4
	v_add_u32_e32 v10, 1, v5
	v_cmp_lt_u32_e32 vcc, 13, v4
	v_lshlrev_b32_e32 v9, 2, v0
	v_mov_b64_e32 v[4:5], v[0:1]
	s_and_saveexec_b64 s[4:5], vcc
	s_cbranch_execz .LBB642_185
; %bb.182:
	v_and_b32_e32 v11, -8, v10
	s_mov_b32 s8, 0
	s_mov_b64 s[6:7], 0
	v_mov_b32_e32 v7, 0
	v_mov_b32_e32 v12, v9
	v_mov_b64_e32 v[4:5], v[0:1]
.LBB642_183:                            ; =>This Inner Loop Header: Depth=1
	ds_read2st64_b32 v[14:15], v12 offset1:8
	v_mov_b32_e32 v6, v4
	ds_read2st64_b32 v[28:29], v12 offset0:48 offset1:56
	v_lshl_add_u64 v[50:51], v[6:7], 2, v[2:3]
	v_mov_b32_e32 v6, v5
	ds_read2st64_b32 v[20:21], v12 offset0:16 offset1:24
	ds_read2st64_b32 v[32:33], v12 offset0:64 offset1:72
	v_lshl_add_u64 v[52:53], v[6:7], 2, v[2:3]
	v_add_u32_e32 v6, 0x400, v4
	ds_read2st64_b32 v[40:41], v12 offset0:80 offset1:88
	v_lshl_add_u64 v[54:55], v[6:7], 2, v[2:3]
	v_add_u32_e32 v6, 0x800, v4
	v_add_u32_e32 v16, 0x400, v5
	v_mov_b32_e32 v17, v7
	v_add_u32_e32 v22, 0x800, v5
	ds_read2st64_b32 v[24:25], v12 offset0:32 offset1:40
	v_mov_b32_e32 v23, v7
	ds_read2st64_b32 v[44:45], v12 offset0:96 offset1:104
	v_lshl_add_u64 v[56:57], v[6:7], 2, v[2:3]
	v_add_u32_e32 v6, 0xc00, v4
	v_add_u32_e32 v26, 0xc00, v5
	v_mov_b32_e32 v27, v7
	ds_read2st64_b32 v[48:49], v12 offset0:112 offset1:120
	v_lshl_add_u64 v[16:17], v[16:17], 2, v[2:3]
	v_lshl_add_u64 v[22:23], v[22:23], 2, v[2:3]
	s_waitcnt lgkmcnt(7)
	global_store_dword v[50:51], v14, off
	global_store_dword v[52:53], v15, off
	s_waitcnt lgkmcnt(5)
	global_store_dword v[54:55], v20, off
	global_store_dword v[16:17], v21, off
	;; [unrolled: 3-line block ×3, first 2 shown]
	v_lshl_add_u64 v[14:15], v[6:7], 2, v[2:3]
	v_add_u32_e32 v6, 0x1000, v4
	v_add_u32_e32 v30, 0x1000, v5
	v_mov_b32_e32 v31, v7
	v_lshl_add_u64 v[26:27], v[26:27], 2, v[2:3]
	global_store_dword v[14:15], v28, off
	global_store_dword v[26:27], v29, off
	v_lshl_add_u64 v[14:15], v[6:7], 2, v[2:3]
	v_add_u32_e32 v6, 0x1400, v4
	v_add_u32_e32 v38, 0x1400, v5
	v_mov_b32_e32 v39, v7
	v_add_u32_e32 v11, -8, v11
	v_lshl_add_u64 v[30:31], v[30:31], 2, v[2:3]
	global_store_dword v[14:15], v32, off
	global_store_dword v[30:31], v33, off
	v_lshl_add_u64 v[14:15], v[6:7], 2, v[2:3]
	v_add_u32_e32 v6, 0x1800, v4
	v_add_u32_e32 v42, 0x1800, v5
	v_mov_b32_e32 v43, v7
	s_add_i32 s8, s8, 16
	v_lshl_add_u64 v[38:39], v[38:39], 2, v[2:3]
	v_cmp_eq_u32_e32 vcc, 0, v11
	global_store_dword v[14:15], v40, off
	global_store_dword v[38:39], v41, off
	v_lshl_add_u64 v[14:15], v[6:7], 2, v[2:3]
	v_add_u32_e32 v6, 0x1c00, v4
	v_add_u32_e32 v46, 0x1c00, v5
	v_mov_b32_e32 v47, v7
	v_add_u32_e32 v12, 0x8000, v12
	v_lshl_add_u64 v[42:43], v[42:43], 2, v[2:3]
	v_add_u32_e32 v5, 0x2000, v5
	v_mov_b32_e32 v37, s8
	s_or_b64 s[6:7], vcc, s[6:7]
	v_add_u32_e32 v4, 0x2000, v4
	s_waitcnt lgkmcnt(1)
	global_store_dword v[14:15], v44, off
	global_store_dword v[42:43], v45, off
	v_lshl_add_u64 v[14:15], v[6:7], 2, v[2:3]
	v_lshl_add_u64 v[46:47], v[46:47], 2, v[2:3]
	s_waitcnt lgkmcnt(0)
	global_store_dword v[14:15], v48, off
	global_store_dword v[46:47], v49, off
	s_andn2_b64 exec, exec, s[6:7]
	s_cbranch_execnz .LBB642_183
; %bb.184:
	s_or_b64 exec, exec, s[6:7]
.LBB642_185:
	s_or_b64 exec, exec, s[4:5]
	v_and_b32_e32 v1, 7, v10
	v_cmp_ne_u32_e32 vcc, 0, v1
	s_and_saveexec_b64 s[4:5], vcc
	s_cbranch_execz .LBB642_188
; %bb.186:
	v_lshl_or_b32 v9, v37, 11, v9
	s_mov_b64 s[6:7], 0
	v_mov_b32_e32 v7, 0
.LBB642_187:                            ; =>This Inner Loop Header: Depth=1
	ds_read2st64_b32 v[10:11], v9 offset1:8
	v_add_u32_e32 v1, -1, v1
	v_mov_b32_e32 v6, v4
	v_cmp_eq_u32_e32 vcc, 0, v1
	v_add_u32_e32 v4, 0x400, v4
	v_add_u32_e32 v9, 0x1000, v9
	v_lshl_add_u64 v[12:13], v[6:7], 2, v[2:3]
	v_mov_b32_e32 v6, v5
	v_add_u32_e32 v5, 0x400, v5
	s_or_b64 s[6:7], vcc, s[6:7]
	v_lshl_add_u64 v[14:15], v[6:7], 2, v[2:3]
	s_waitcnt lgkmcnt(0)
	global_store_dword v[12:13], v10, off
	global_store_dword v[14:15], v11, off
	s_andn2_b64 exec, exec, s[6:7]
	s_cbranch_execnz .LBB642_187
.LBB642_188:
	s_or_b64 exec, exec, s[4:5]
	v_add_u32_e32 v1, 1, v8
	v_and_b32_e32 v4, 0xfffffe, v1
	v_cmp_ne_u32_e32 vcc, v1, v4
	v_lshl_or_b32 v0, v4, 9, v0
	s_orn2_b64 s[4:5], vcc, exec
.LBB642_189:
	s_or_b64 exec, exec, s[2:3]
	s_and_b64 exec, exec, s[4:5]
	s_cbranch_execz .LBB642_192
; %bb.190:
	v_lshlrev_b32_e32 v4, 2, v0
	s_mov_b64 s[2:3], 0
	v_mov_b32_e32 v1, 0
.LBB642_191:                            ; =>This Inner Loop Header: Depth=1
	ds_read_b32 v5, v4
	v_lshl_add_u64 v[6:7], v[0:1], 2, v[2:3]
	v_add_u32_e32 v0, 0x200, v0
	v_cmp_ge_u32_e32 vcc, v0, v34
	v_add_u32_e32 v4, 0x800, v4
	s_or_b64 s[2:3], vcc, s[2:3]
	s_waitcnt lgkmcnt(0)
	global_store_dword v[6:7], v5, off
	s_andn2_b64 exec, exec, s[2:3]
	s_cbranch_execnz .LBB642_191
.LBB642_192:
	s_or_b64 exec, exec, s[0:1]
	s_and_b64 s[0:1], s[18:19], s[34:35]
	s_and_saveexec_b64 s[2:3], s[0:1]
	s_cbranch_execz .LBB642_102
.LBB642_193:
	v_mov_b32_e32 v35, 0
	v_lshl_add_u64 v[0:1], v[18:19], 0, v[34:35]
	v_mov_b32_e32 v37, v35
	v_lshl_add_u64 v[0:1], v[0:1], 0, v[36:37]
	global_store_dwordx2 v35, v[0:1], s[36:37]
	s_endpgm
	.section	.rodata,"a",@progbits
	.p2align	6, 0x0
	.amdhsa_kernel _ZN7rocprim17ROCPRIM_400000_NS6detail17trampoline_kernelINS0_14default_configENS1_25partition_config_selectorILNS1_17partition_subalgoE8EjNS0_10empty_typeEbEEZZNS1_14partition_implILS5_8ELb0ES3_jPKjPS6_PKS6_NS0_5tupleIJPjS6_EEENSE_IJSB_SB_EEENS0_18inequality_wrapperIN6hipcub16HIPCUB_304000_NS8EqualityEEEPlJS6_EEE10hipError_tPvRmT3_T4_T5_T6_T7_T9_mT8_P12ihipStream_tbDpT10_ENKUlT_T0_E_clISt17integral_constantIbLb0EES16_IbLb1EEEEDaS12_S13_EUlS12_E_NS1_11comp_targetILNS1_3genE5ELNS1_11target_archE942ELNS1_3gpuE9ELNS1_3repE0EEENS1_30default_config_static_selectorELNS0_4arch9wavefront6targetE1EEEvT1_
		.amdhsa_group_segment_fixed_size 30728
		.amdhsa_private_segment_fixed_size 0
		.amdhsa_kernarg_size 128
		.amdhsa_user_sgpr_count 2
		.amdhsa_user_sgpr_dispatch_ptr 0
		.amdhsa_user_sgpr_queue_ptr 0
		.amdhsa_user_sgpr_kernarg_segment_ptr 1
		.amdhsa_user_sgpr_dispatch_id 0
		.amdhsa_user_sgpr_kernarg_preload_length 0
		.amdhsa_user_sgpr_kernarg_preload_offset 0
		.amdhsa_user_sgpr_private_segment_size 0
		.amdhsa_uses_dynamic_stack 0
		.amdhsa_enable_private_segment 0
		.amdhsa_system_sgpr_workgroup_id_x 1
		.amdhsa_system_sgpr_workgroup_id_y 0
		.amdhsa_system_sgpr_workgroup_id_z 0
		.amdhsa_system_sgpr_workgroup_info 0
		.amdhsa_system_vgpr_workitem_id 0
		.amdhsa_next_free_vgpr 76
		.amdhsa_next_free_sgpr 51
		.amdhsa_accum_offset 76
		.amdhsa_reserve_vcc 1
		.amdhsa_float_round_mode_32 0
		.amdhsa_float_round_mode_16_64 0
		.amdhsa_float_denorm_mode_32 3
		.amdhsa_float_denorm_mode_16_64 3
		.amdhsa_dx10_clamp 1
		.amdhsa_ieee_mode 1
		.amdhsa_fp16_overflow 0
		.amdhsa_tg_split 0
		.amdhsa_exception_fp_ieee_invalid_op 0
		.amdhsa_exception_fp_denorm_src 0
		.amdhsa_exception_fp_ieee_div_zero 0
		.amdhsa_exception_fp_ieee_overflow 0
		.amdhsa_exception_fp_ieee_underflow 0
		.amdhsa_exception_fp_ieee_inexact 0
		.amdhsa_exception_int_div_zero 0
	.end_amdhsa_kernel
	.section	.text._ZN7rocprim17ROCPRIM_400000_NS6detail17trampoline_kernelINS0_14default_configENS1_25partition_config_selectorILNS1_17partition_subalgoE8EjNS0_10empty_typeEbEEZZNS1_14partition_implILS5_8ELb0ES3_jPKjPS6_PKS6_NS0_5tupleIJPjS6_EEENSE_IJSB_SB_EEENS0_18inequality_wrapperIN6hipcub16HIPCUB_304000_NS8EqualityEEEPlJS6_EEE10hipError_tPvRmT3_T4_T5_T6_T7_T9_mT8_P12ihipStream_tbDpT10_ENKUlT_T0_E_clISt17integral_constantIbLb0EES16_IbLb1EEEEDaS12_S13_EUlS12_E_NS1_11comp_targetILNS1_3genE5ELNS1_11target_archE942ELNS1_3gpuE9ELNS1_3repE0EEENS1_30default_config_static_selectorELNS0_4arch9wavefront6targetE1EEEvT1_,"axG",@progbits,_ZN7rocprim17ROCPRIM_400000_NS6detail17trampoline_kernelINS0_14default_configENS1_25partition_config_selectorILNS1_17partition_subalgoE8EjNS0_10empty_typeEbEEZZNS1_14partition_implILS5_8ELb0ES3_jPKjPS6_PKS6_NS0_5tupleIJPjS6_EEENSE_IJSB_SB_EEENS0_18inequality_wrapperIN6hipcub16HIPCUB_304000_NS8EqualityEEEPlJS6_EEE10hipError_tPvRmT3_T4_T5_T6_T7_T9_mT8_P12ihipStream_tbDpT10_ENKUlT_T0_E_clISt17integral_constantIbLb0EES16_IbLb1EEEEDaS12_S13_EUlS12_E_NS1_11comp_targetILNS1_3genE5ELNS1_11target_archE942ELNS1_3gpuE9ELNS1_3repE0EEENS1_30default_config_static_selectorELNS0_4arch9wavefront6targetE1EEEvT1_,comdat
.Lfunc_end642:
	.size	_ZN7rocprim17ROCPRIM_400000_NS6detail17trampoline_kernelINS0_14default_configENS1_25partition_config_selectorILNS1_17partition_subalgoE8EjNS0_10empty_typeEbEEZZNS1_14partition_implILS5_8ELb0ES3_jPKjPS6_PKS6_NS0_5tupleIJPjS6_EEENSE_IJSB_SB_EEENS0_18inequality_wrapperIN6hipcub16HIPCUB_304000_NS8EqualityEEEPlJS6_EEE10hipError_tPvRmT3_T4_T5_T6_T7_T9_mT8_P12ihipStream_tbDpT10_ENKUlT_T0_E_clISt17integral_constantIbLb0EES16_IbLb1EEEEDaS12_S13_EUlS12_E_NS1_11comp_targetILNS1_3genE5ELNS1_11target_archE942ELNS1_3gpuE9ELNS1_3repE0EEENS1_30default_config_static_selectorELNS0_4arch9wavefront6targetE1EEEvT1_, .Lfunc_end642-_ZN7rocprim17ROCPRIM_400000_NS6detail17trampoline_kernelINS0_14default_configENS1_25partition_config_selectorILNS1_17partition_subalgoE8EjNS0_10empty_typeEbEEZZNS1_14partition_implILS5_8ELb0ES3_jPKjPS6_PKS6_NS0_5tupleIJPjS6_EEENSE_IJSB_SB_EEENS0_18inequality_wrapperIN6hipcub16HIPCUB_304000_NS8EqualityEEEPlJS6_EEE10hipError_tPvRmT3_T4_T5_T6_T7_T9_mT8_P12ihipStream_tbDpT10_ENKUlT_T0_E_clISt17integral_constantIbLb0EES16_IbLb1EEEEDaS12_S13_EUlS12_E_NS1_11comp_targetILNS1_3genE5ELNS1_11target_archE942ELNS1_3gpuE9ELNS1_3repE0EEENS1_30default_config_static_selectorELNS0_4arch9wavefront6targetE1EEEvT1_
                                        ; -- End function
	.section	.AMDGPU.csdata,"",@progbits
; Kernel info:
; codeLenInByte = 8148
; NumSgprs: 57
; NumVgprs: 76
; NumAgprs: 0
; TotalNumVgprs: 76
; ScratchSize: 0
; MemoryBound: 0
; FloatMode: 240
; IeeeMode: 1
; LDSByteSize: 30728 bytes/workgroup (compile time only)
; SGPRBlocks: 7
; VGPRBlocks: 9
; NumSGPRsForWavesPerEU: 57
; NumVGPRsForWavesPerEU: 76
; AccumOffset: 76
; Occupancy: 4
; WaveLimiterHint : 1
; COMPUTE_PGM_RSRC2:SCRATCH_EN: 0
; COMPUTE_PGM_RSRC2:USER_SGPR: 2
; COMPUTE_PGM_RSRC2:TRAP_HANDLER: 0
; COMPUTE_PGM_RSRC2:TGID_X_EN: 1
; COMPUTE_PGM_RSRC2:TGID_Y_EN: 0
; COMPUTE_PGM_RSRC2:TGID_Z_EN: 0
; COMPUTE_PGM_RSRC2:TIDIG_COMP_CNT: 0
; COMPUTE_PGM_RSRC3_GFX90A:ACCUM_OFFSET: 18
; COMPUTE_PGM_RSRC3_GFX90A:TG_SPLIT: 0
	.section	.text._ZN7rocprim17ROCPRIM_400000_NS6detail17trampoline_kernelINS0_14default_configENS1_25partition_config_selectorILNS1_17partition_subalgoE8EjNS0_10empty_typeEbEEZZNS1_14partition_implILS5_8ELb0ES3_jPKjPS6_PKS6_NS0_5tupleIJPjS6_EEENSE_IJSB_SB_EEENS0_18inequality_wrapperIN6hipcub16HIPCUB_304000_NS8EqualityEEEPlJS6_EEE10hipError_tPvRmT3_T4_T5_T6_T7_T9_mT8_P12ihipStream_tbDpT10_ENKUlT_T0_E_clISt17integral_constantIbLb0EES16_IbLb1EEEEDaS12_S13_EUlS12_E_NS1_11comp_targetILNS1_3genE4ELNS1_11target_archE910ELNS1_3gpuE8ELNS1_3repE0EEENS1_30default_config_static_selectorELNS0_4arch9wavefront6targetE1EEEvT1_,"axG",@progbits,_ZN7rocprim17ROCPRIM_400000_NS6detail17trampoline_kernelINS0_14default_configENS1_25partition_config_selectorILNS1_17partition_subalgoE8EjNS0_10empty_typeEbEEZZNS1_14partition_implILS5_8ELb0ES3_jPKjPS6_PKS6_NS0_5tupleIJPjS6_EEENSE_IJSB_SB_EEENS0_18inequality_wrapperIN6hipcub16HIPCUB_304000_NS8EqualityEEEPlJS6_EEE10hipError_tPvRmT3_T4_T5_T6_T7_T9_mT8_P12ihipStream_tbDpT10_ENKUlT_T0_E_clISt17integral_constantIbLb0EES16_IbLb1EEEEDaS12_S13_EUlS12_E_NS1_11comp_targetILNS1_3genE4ELNS1_11target_archE910ELNS1_3gpuE8ELNS1_3repE0EEENS1_30default_config_static_selectorELNS0_4arch9wavefront6targetE1EEEvT1_,comdat
	.protected	_ZN7rocprim17ROCPRIM_400000_NS6detail17trampoline_kernelINS0_14default_configENS1_25partition_config_selectorILNS1_17partition_subalgoE8EjNS0_10empty_typeEbEEZZNS1_14partition_implILS5_8ELb0ES3_jPKjPS6_PKS6_NS0_5tupleIJPjS6_EEENSE_IJSB_SB_EEENS0_18inequality_wrapperIN6hipcub16HIPCUB_304000_NS8EqualityEEEPlJS6_EEE10hipError_tPvRmT3_T4_T5_T6_T7_T9_mT8_P12ihipStream_tbDpT10_ENKUlT_T0_E_clISt17integral_constantIbLb0EES16_IbLb1EEEEDaS12_S13_EUlS12_E_NS1_11comp_targetILNS1_3genE4ELNS1_11target_archE910ELNS1_3gpuE8ELNS1_3repE0EEENS1_30default_config_static_selectorELNS0_4arch9wavefront6targetE1EEEvT1_ ; -- Begin function _ZN7rocprim17ROCPRIM_400000_NS6detail17trampoline_kernelINS0_14default_configENS1_25partition_config_selectorILNS1_17partition_subalgoE8EjNS0_10empty_typeEbEEZZNS1_14partition_implILS5_8ELb0ES3_jPKjPS6_PKS6_NS0_5tupleIJPjS6_EEENSE_IJSB_SB_EEENS0_18inequality_wrapperIN6hipcub16HIPCUB_304000_NS8EqualityEEEPlJS6_EEE10hipError_tPvRmT3_T4_T5_T6_T7_T9_mT8_P12ihipStream_tbDpT10_ENKUlT_T0_E_clISt17integral_constantIbLb0EES16_IbLb1EEEEDaS12_S13_EUlS12_E_NS1_11comp_targetILNS1_3genE4ELNS1_11target_archE910ELNS1_3gpuE8ELNS1_3repE0EEENS1_30default_config_static_selectorELNS0_4arch9wavefront6targetE1EEEvT1_
	.globl	_ZN7rocprim17ROCPRIM_400000_NS6detail17trampoline_kernelINS0_14default_configENS1_25partition_config_selectorILNS1_17partition_subalgoE8EjNS0_10empty_typeEbEEZZNS1_14partition_implILS5_8ELb0ES3_jPKjPS6_PKS6_NS0_5tupleIJPjS6_EEENSE_IJSB_SB_EEENS0_18inequality_wrapperIN6hipcub16HIPCUB_304000_NS8EqualityEEEPlJS6_EEE10hipError_tPvRmT3_T4_T5_T6_T7_T9_mT8_P12ihipStream_tbDpT10_ENKUlT_T0_E_clISt17integral_constantIbLb0EES16_IbLb1EEEEDaS12_S13_EUlS12_E_NS1_11comp_targetILNS1_3genE4ELNS1_11target_archE910ELNS1_3gpuE8ELNS1_3repE0EEENS1_30default_config_static_selectorELNS0_4arch9wavefront6targetE1EEEvT1_
	.p2align	8
	.type	_ZN7rocprim17ROCPRIM_400000_NS6detail17trampoline_kernelINS0_14default_configENS1_25partition_config_selectorILNS1_17partition_subalgoE8EjNS0_10empty_typeEbEEZZNS1_14partition_implILS5_8ELb0ES3_jPKjPS6_PKS6_NS0_5tupleIJPjS6_EEENSE_IJSB_SB_EEENS0_18inequality_wrapperIN6hipcub16HIPCUB_304000_NS8EqualityEEEPlJS6_EEE10hipError_tPvRmT3_T4_T5_T6_T7_T9_mT8_P12ihipStream_tbDpT10_ENKUlT_T0_E_clISt17integral_constantIbLb0EES16_IbLb1EEEEDaS12_S13_EUlS12_E_NS1_11comp_targetILNS1_3genE4ELNS1_11target_archE910ELNS1_3gpuE8ELNS1_3repE0EEENS1_30default_config_static_selectorELNS0_4arch9wavefront6targetE1EEEvT1_,@function
_ZN7rocprim17ROCPRIM_400000_NS6detail17trampoline_kernelINS0_14default_configENS1_25partition_config_selectorILNS1_17partition_subalgoE8EjNS0_10empty_typeEbEEZZNS1_14partition_implILS5_8ELb0ES3_jPKjPS6_PKS6_NS0_5tupleIJPjS6_EEENSE_IJSB_SB_EEENS0_18inequality_wrapperIN6hipcub16HIPCUB_304000_NS8EqualityEEEPlJS6_EEE10hipError_tPvRmT3_T4_T5_T6_T7_T9_mT8_P12ihipStream_tbDpT10_ENKUlT_T0_E_clISt17integral_constantIbLb0EES16_IbLb1EEEEDaS12_S13_EUlS12_E_NS1_11comp_targetILNS1_3genE4ELNS1_11target_archE910ELNS1_3gpuE8ELNS1_3repE0EEENS1_30default_config_static_selectorELNS0_4arch9wavefront6targetE1EEEvT1_: ; @_ZN7rocprim17ROCPRIM_400000_NS6detail17trampoline_kernelINS0_14default_configENS1_25partition_config_selectorILNS1_17partition_subalgoE8EjNS0_10empty_typeEbEEZZNS1_14partition_implILS5_8ELb0ES3_jPKjPS6_PKS6_NS0_5tupleIJPjS6_EEENSE_IJSB_SB_EEENS0_18inequality_wrapperIN6hipcub16HIPCUB_304000_NS8EqualityEEEPlJS6_EEE10hipError_tPvRmT3_T4_T5_T6_T7_T9_mT8_P12ihipStream_tbDpT10_ENKUlT_T0_E_clISt17integral_constantIbLb0EES16_IbLb1EEEEDaS12_S13_EUlS12_E_NS1_11comp_targetILNS1_3genE4ELNS1_11target_archE910ELNS1_3gpuE8ELNS1_3repE0EEENS1_30default_config_static_selectorELNS0_4arch9wavefront6targetE1EEEvT1_
; %bb.0:
	.section	.rodata,"a",@progbits
	.p2align	6, 0x0
	.amdhsa_kernel _ZN7rocprim17ROCPRIM_400000_NS6detail17trampoline_kernelINS0_14default_configENS1_25partition_config_selectorILNS1_17partition_subalgoE8EjNS0_10empty_typeEbEEZZNS1_14partition_implILS5_8ELb0ES3_jPKjPS6_PKS6_NS0_5tupleIJPjS6_EEENSE_IJSB_SB_EEENS0_18inequality_wrapperIN6hipcub16HIPCUB_304000_NS8EqualityEEEPlJS6_EEE10hipError_tPvRmT3_T4_T5_T6_T7_T9_mT8_P12ihipStream_tbDpT10_ENKUlT_T0_E_clISt17integral_constantIbLb0EES16_IbLb1EEEEDaS12_S13_EUlS12_E_NS1_11comp_targetILNS1_3genE4ELNS1_11target_archE910ELNS1_3gpuE8ELNS1_3repE0EEENS1_30default_config_static_selectorELNS0_4arch9wavefront6targetE1EEEvT1_
		.amdhsa_group_segment_fixed_size 0
		.amdhsa_private_segment_fixed_size 0
		.amdhsa_kernarg_size 128
		.amdhsa_user_sgpr_count 2
		.amdhsa_user_sgpr_dispatch_ptr 0
		.amdhsa_user_sgpr_queue_ptr 0
		.amdhsa_user_sgpr_kernarg_segment_ptr 1
		.amdhsa_user_sgpr_dispatch_id 0
		.amdhsa_user_sgpr_kernarg_preload_length 0
		.amdhsa_user_sgpr_kernarg_preload_offset 0
		.amdhsa_user_sgpr_private_segment_size 0
		.amdhsa_uses_dynamic_stack 0
		.amdhsa_enable_private_segment 0
		.amdhsa_system_sgpr_workgroup_id_x 1
		.amdhsa_system_sgpr_workgroup_id_y 0
		.amdhsa_system_sgpr_workgroup_id_z 0
		.amdhsa_system_sgpr_workgroup_info 0
		.amdhsa_system_vgpr_workitem_id 0
		.amdhsa_next_free_vgpr 1
		.amdhsa_next_free_sgpr 0
		.amdhsa_accum_offset 4
		.amdhsa_reserve_vcc 0
		.amdhsa_float_round_mode_32 0
		.amdhsa_float_round_mode_16_64 0
		.amdhsa_float_denorm_mode_32 3
		.amdhsa_float_denorm_mode_16_64 3
		.amdhsa_dx10_clamp 1
		.amdhsa_ieee_mode 1
		.amdhsa_fp16_overflow 0
		.amdhsa_tg_split 0
		.amdhsa_exception_fp_ieee_invalid_op 0
		.amdhsa_exception_fp_denorm_src 0
		.amdhsa_exception_fp_ieee_div_zero 0
		.amdhsa_exception_fp_ieee_overflow 0
		.amdhsa_exception_fp_ieee_underflow 0
		.amdhsa_exception_fp_ieee_inexact 0
		.amdhsa_exception_int_div_zero 0
	.end_amdhsa_kernel
	.section	.text._ZN7rocprim17ROCPRIM_400000_NS6detail17trampoline_kernelINS0_14default_configENS1_25partition_config_selectorILNS1_17partition_subalgoE8EjNS0_10empty_typeEbEEZZNS1_14partition_implILS5_8ELb0ES3_jPKjPS6_PKS6_NS0_5tupleIJPjS6_EEENSE_IJSB_SB_EEENS0_18inequality_wrapperIN6hipcub16HIPCUB_304000_NS8EqualityEEEPlJS6_EEE10hipError_tPvRmT3_T4_T5_T6_T7_T9_mT8_P12ihipStream_tbDpT10_ENKUlT_T0_E_clISt17integral_constantIbLb0EES16_IbLb1EEEEDaS12_S13_EUlS12_E_NS1_11comp_targetILNS1_3genE4ELNS1_11target_archE910ELNS1_3gpuE8ELNS1_3repE0EEENS1_30default_config_static_selectorELNS0_4arch9wavefront6targetE1EEEvT1_,"axG",@progbits,_ZN7rocprim17ROCPRIM_400000_NS6detail17trampoline_kernelINS0_14default_configENS1_25partition_config_selectorILNS1_17partition_subalgoE8EjNS0_10empty_typeEbEEZZNS1_14partition_implILS5_8ELb0ES3_jPKjPS6_PKS6_NS0_5tupleIJPjS6_EEENSE_IJSB_SB_EEENS0_18inequality_wrapperIN6hipcub16HIPCUB_304000_NS8EqualityEEEPlJS6_EEE10hipError_tPvRmT3_T4_T5_T6_T7_T9_mT8_P12ihipStream_tbDpT10_ENKUlT_T0_E_clISt17integral_constantIbLb0EES16_IbLb1EEEEDaS12_S13_EUlS12_E_NS1_11comp_targetILNS1_3genE4ELNS1_11target_archE910ELNS1_3gpuE8ELNS1_3repE0EEENS1_30default_config_static_selectorELNS0_4arch9wavefront6targetE1EEEvT1_,comdat
.Lfunc_end643:
	.size	_ZN7rocprim17ROCPRIM_400000_NS6detail17trampoline_kernelINS0_14default_configENS1_25partition_config_selectorILNS1_17partition_subalgoE8EjNS0_10empty_typeEbEEZZNS1_14partition_implILS5_8ELb0ES3_jPKjPS6_PKS6_NS0_5tupleIJPjS6_EEENSE_IJSB_SB_EEENS0_18inequality_wrapperIN6hipcub16HIPCUB_304000_NS8EqualityEEEPlJS6_EEE10hipError_tPvRmT3_T4_T5_T6_T7_T9_mT8_P12ihipStream_tbDpT10_ENKUlT_T0_E_clISt17integral_constantIbLb0EES16_IbLb1EEEEDaS12_S13_EUlS12_E_NS1_11comp_targetILNS1_3genE4ELNS1_11target_archE910ELNS1_3gpuE8ELNS1_3repE0EEENS1_30default_config_static_selectorELNS0_4arch9wavefront6targetE1EEEvT1_, .Lfunc_end643-_ZN7rocprim17ROCPRIM_400000_NS6detail17trampoline_kernelINS0_14default_configENS1_25partition_config_selectorILNS1_17partition_subalgoE8EjNS0_10empty_typeEbEEZZNS1_14partition_implILS5_8ELb0ES3_jPKjPS6_PKS6_NS0_5tupleIJPjS6_EEENSE_IJSB_SB_EEENS0_18inequality_wrapperIN6hipcub16HIPCUB_304000_NS8EqualityEEEPlJS6_EEE10hipError_tPvRmT3_T4_T5_T6_T7_T9_mT8_P12ihipStream_tbDpT10_ENKUlT_T0_E_clISt17integral_constantIbLb0EES16_IbLb1EEEEDaS12_S13_EUlS12_E_NS1_11comp_targetILNS1_3genE4ELNS1_11target_archE910ELNS1_3gpuE8ELNS1_3repE0EEENS1_30default_config_static_selectorELNS0_4arch9wavefront6targetE1EEEvT1_
                                        ; -- End function
	.section	.AMDGPU.csdata,"",@progbits
; Kernel info:
; codeLenInByte = 0
; NumSgprs: 6
; NumVgprs: 0
; NumAgprs: 0
; TotalNumVgprs: 0
; ScratchSize: 0
; MemoryBound: 0
; FloatMode: 240
; IeeeMode: 1
; LDSByteSize: 0 bytes/workgroup (compile time only)
; SGPRBlocks: 0
; VGPRBlocks: 0
; NumSGPRsForWavesPerEU: 6
; NumVGPRsForWavesPerEU: 1
; AccumOffset: 4
; Occupancy: 8
; WaveLimiterHint : 0
; COMPUTE_PGM_RSRC2:SCRATCH_EN: 0
; COMPUTE_PGM_RSRC2:USER_SGPR: 2
; COMPUTE_PGM_RSRC2:TRAP_HANDLER: 0
; COMPUTE_PGM_RSRC2:TGID_X_EN: 1
; COMPUTE_PGM_RSRC2:TGID_Y_EN: 0
; COMPUTE_PGM_RSRC2:TGID_Z_EN: 0
; COMPUTE_PGM_RSRC2:TIDIG_COMP_CNT: 0
; COMPUTE_PGM_RSRC3_GFX90A:ACCUM_OFFSET: 0
; COMPUTE_PGM_RSRC3_GFX90A:TG_SPLIT: 0
	.section	.text._ZN7rocprim17ROCPRIM_400000_NS6detail17trampoline_kernelINS0_14default_configENS1_25partition_config_selectorILNS1_17partition_subalgoE8EjNS0_10empty_typeEbEEZZNS1_14partition_implILS5_8ELb0ES3_jPKjPS6_PKS6_NS0_5tupleIJPjS6_EEENSE_IJSB_SB_EEENS0_18inequality_wrapperIN6hipcub16HIPCUB_304000_NS8EqualityEEEPlJS6_EEE10hipError_tPvRmT3_T4_T5_T6_T7_T9_mT8_P12ihipStream_tbDpT10_ENKUlT_T0_E_clISt17integral_constantIbLb0EES16_IbLb1EEEEDaS12_S13_EUlS12_E_NS1_11comp_targetILNS1_3genE3ELNS1_11target_archE908ELNS1_3gpuE7ELNS1_3repE0EEENS1_30default_config_static_selectorELNS0_4arch9wavefront6targetE1EEEvT1_,"axG",@progbits,_ZN7rocprim17ROCPRIM_400000_NS6detail17trampoline_kernelINS0_14default_configENS1_25partition_config_selectorILNS1_17partition_subalgoE8EjNS0_10empty_typeEbEEZZNS1_14partition_implILS5_8ELb0ES3_jPKjPS6_PKS6_NS0_5tupleIJPjS6_EEENSE_IJSB_SB_EEENS0_18inequality_wrapperIN6hipcub16HIPCUB_304000_NS8EqualityEEEPlJS6_EEE10hipError_tPvRmT3_T4_T5_T6_T7_T9_mT8_P12ihipStream_tbDpT10_ENKUlT_T0_E_clISt17integral_constantIbLb0EES16_IbLb1EEEEDaS12_S13_EUlS12_E_NS1_11comp_targetILNS1_3genE3ELNS1_11target_archE908ELNS1_3gpuE7ELNS1_3repE0EEENS1_30default_config_static_selectorELNS0_4arch9wavefront6targetE1EEEvT1_,comdat
	.protected	_ZN7rocprim17ROCPRIM_400000_NS6detail17trampoline_kernelINS0_14default_configENS1_25partition_config_selectorILNS1_17partition_subalgoE8EjNS0_10empty_typeEbEEZZNS1_14partition_implILS5_8ELb0ES3_jPKjPS6_PKS6_NS0_5tupleIJPjS6_EEENSE_IJSB_SB_EEENS0_18inequality_wrapperIN6hipcub16HIPCUB_304000_NS8EqualityEEEPlJS6_EEE10hipError_tPvRmT3_T4_T5_T6_T7_T9_mT8_P12ihipStream_tbDpT10_ENKUlT_T0_E_clISt17integral_constantIbLb0EES16_IbLb1EEEEDaS12_S13_EUlS12_E_NS1_11comp_targetILNS1_3genE3ELNS1_11target_archE908ELNS1_3gpuE7ELNS1_3repE0EEENS1_30default_config_static_selectorELNS0_4arch9wavefront6targetE1EEEvT1_ ; -- Begin function _ZN7rocprim17ROCPRIM_400000_NS6detail17trampoline_kernelINS0_14default_configENS1_25partition_config_selectorILNS1_17partition_subalgoE8EjNS0_10empty_typeEbEEZZNS1_14partition_implILS5_8ELb0ES3_jPKjPS6_PKS6_NS0_5tupleIJPjS6_EEENSE_IJSB_SB_EEENS0_18inequality_wrapperIN6hipcub16HIPCUB_304000_NS8EqualityEEEPlJS6_EEE10hipError_tPvRmT3_T4_T5_T6_T7_T9_mT8_P12ihipStream_tbDpT10_ENKUlT_T0_E_clISt17integral_constantIbLb0EES16_IbLb1EEEEDaS12_S13_EUlS12_E_NS1_11comp_targetILNS1_3genE3ELNS1_11target_archE908ELNS1_3gpuE7ELNS1_3repE0EEENS1_30default_config_static_selectorELNS0_4arch9wavefront6targetE1EEEvT1_
	.globl	_ZN7rocprim17ROCPRIM_400000_NS6detail17trampoline_kernelINS0_14default_configENS1_25partition_config_selectorILNS1_17partition_subalgoE8EjNS0_10empty_typeEbEEZZNS1_14partition_implILS5_8ELb0ES3_jPKjPS6_PKS6_NS0_5tupleIJPjS6_EEENSE_IJSB_SB_EEENS0_18inequality_wrapperIN6hipcub16HIPCUB_304000_NS8EqualityEEEPlJS6_EEE10hipError_tPvRmT3_T4_T5_T6_T7_T9_mT8_P12ihipStream_tbDpT10_ENKUlT_T0_E_clISt17integral_constantIbLb0EES16_IbLb1EEEEDaS12_S13_EUlS12_E_NS1_11comp_targetILNS1_3genE3ELNS1_11target_archE908ELNS1_3gpuE7ELNS1_3repE0EEENS1_30default_config_static_selectorELNS0_4arch9wavefront6targetE1EEEvT1_
	.p2align	8
	.type	_ZN7rocprim17ROCPRIM_400000_NS6detail17trampoline_kernelINS0_14default_configENS1_25partition_config_selectorILNS1_17partition_subalgoE8EjNS0_10empty_typeEbEEZZNS1_14partition_implILS5_8ELb0ES3_jPKjPS6_PKS6_NS0_5tupleIJPjS6_EEENSE_IJSB_SB_EEENS0_18inequality_wrapperIN6hipcub16HIPCUB_304000_NS8EqualityEEEPlJS6_EEE10hipError_tPvRmT3_T4_T5_T6_T7_T9_mT8_P12ihipStream_tbDpT10_ENKUlT_T0_E_clISt17integral_constantIbLb0EES16_IbLb1EEEEDaS12_S13_EUlS12_E_NS1_11comp_targetILNS1_3genE3ELNS1_11target_archE908ELNS1_3gpuE7ELNS1_3repE0EEENS1_30default_config_static_selectorELNS0_4arch9wavefront6targetE1EEEvT1_,@function
_ZN7rocprim17ROCPRIM_400000_NS6detail17trampoline_kernelINS0_14default_configENS1_25partition_config_selectorILNS1_17partition_subalgoE8EjNS0_10empty_typeEbEEZZNS1_14partition_implILS5_8ELb0ES3_jPKjPS6_PKS6_NS0_5tupleIJPjS6_EEENSE_IJSB_SB_EEENS0_18inequality_wrapperIN6hipcub16HIPCUB_304000_NS8EqualityEEEPlJS6_EEE10hipError_tPvRmT3_T4_T5_T6_T7_T9_mT8_P12ihipStream_tbDpT10_ENKUlT_T0_E_clISt17integral_constantIbLb0EES16_IbLb1EEEEDaS12_S13_EUlS12_E_NS1_11comp_targetILNS1_3genE3ELNS1_11target_archE908ELNS1_3gpuE7ELNS1_3repE0EEENS1_30default_config_static_selectorELNS0_4arch9wavefront6targetE1EEEvT1_: ; @_ZN7rocprim17ROCPRIM_400000_NS6detail17trampoline_kernelINS0_14default_configENS1_25partition_config_selectorILNS1_17partition_subalgoE8EjNS0_10empty_typeEbEEZZNS1_14partition_implILS5_8ELb0ES3_jPKjPS6_PKS6_NS0_5tupleIJPjS6_EEENSE_IJSB_SB_EEENS0_18inequality_wrapperIN6hipcub16HIPCUB_304000_NS8EqualityEEEPlJS6_EEE10hipError_tPvRmT3_T4_T5_T6_T7_T9_mT8_P12ihipStream_tbDpT10_ENKUlT_T0_E_clISt17integral_constantIbLb0EES16_IbLb1EEEEDaS12_S13_EUlS12_E_NS1_11comp_targetILNS1_3genE3ELNS1_11target_archE908ELNS1_3gpuE7ELNS1_3repE0EEENS1_30default_config_static_selectorELNS0_4arch9wavefront6targetE1EEEvT1_
; %bb.0:
	.section	.rodata,"a",@progbits
	.p2align	6, 0x0
	.amdhsa_kernel _ZN7rocprim17ROCPRIM_400000_NS6detail17trampoline_kernelINS0_14default_configENS1_25partition_config_selectorILNS1_17partition_subalgoE8EjNS0_10empty_typeEbEEZZNS1_14partition_implILS5_8ELb0ES3_jPKjPS6_PKS6_NS0_5tupleIJPjS6_EEENSE_IJSB_SB_EEENS0_18inequality_wrapperIN6hipcub16HIPCUB_304000_NS8EqualityEEEPlJS6_EEE10hipError_tPvRmT3_T4_T5_T6_T7_T9_mT8_P12ihipStream_tbDpT10_ENKUlT_T0_E_clISt17integral_constantIbLb0EES16_IbLb1EEEEDaS12_S13_EUlS12_E_NS1_11comp_targetILNS1_3genE3ELNS1_11target_archE908ELNS1_3gpuE7ELNS1_3repE0EEENS1_30default_config_static_selectorELNS0_4arch9wavefront6targetE1EEEvT1_
		.amdhsa_group_segment_fixed_size 0
		.amdhsa_private_segment_fixed_size 0
		.amdhsa_kernarg_size 128
		.amdhsa_user_sgpr_count 2
		.amdhsa_user_sgpr_dispatch_ptr 0
		.amdhsa_user_sgpr_queue_ptr 0
		.amdhsa_user_sgpr_kernarg_segment_ptr 1
		.amdhsa_user_sgpr_dispatch_id 0
		.amdhsa_user_sgpr_kernarg_preload_length 0
		.amdhsa_user_sgpr_kernarg_preload_offset 0
		.amdhsa_user_sgpr_private_segment_size 0
		.amdhsa_uses_dynamic_stack 0
		.amdhsa_enable_private_segment 0
		.amdhsa_system_sgpr_workgroup_id_x 1
		.amdhsa_system_sgpr_workgroup_id_y 0
		.amdhsa_system_sgpr_workgroup_id_z 0
		.amdhsa_system_sgpr_workgroup_info 0
		.amdhsa_system_vgpr_workitem_id 0
		.amdhsa_next_free_vgpr 1
		.amdhsa_next_free_sgpr 0
		.amdhsa_accum_offset 4
		.amdhsa_reserve_vcc 0
		.amdhsa_float_round_mode_32 0
		.amdhsa_float_round_mode_16_64 0
		.amdhsa_float_denorm_mode_32 3
		.amdhsa_float_denorm_mode_16_64 3
		.amdhsa_dx10_clamp 1
		.amdhsa_ieee_mode 1
		.amdhsa_fp16_overflow 0
		.amdhsa_tg_split 0
		.amdhsa_exception_fp_ieee_invalid_op 0
		.amdhsa_exception_fp_denorm_src 0
		.amdhsa_exception_fp_ieee_div_zero 0
		.amdhsa_exception_fp_ieee_overflow 0
		.amdhsa_exception_fp_ieee_underflow 0
		.amdhsa_exception_fp_ieee_inexact 0
		.amdhsa_exception_int_div_zero 0
	.end_amdhsa_kernel
	.section	.text._ZN7rocprim17ROCPRIM_400000_NS6detail17trampoline_kernelINS0_14default_configENS1_25partition_config_selectorILNS1_17partition_subalgoE8EjNS0_10empty_typeEbEEZZNS1_14partition_implILS5_8ELb0ES3_jPKjPS6_PKS6_NS0_5tupleIJPjS6_EEENSE_IJSB_SB_EEENS0_18inequality_wrapperIN6hipcub16HIPCUB_304000_NS8EqualityEEEPlJS6_EEE10hipError_tPvRmT3_T4_T5_T6_T7_T9_mT8_P12ihipStream_tbDpT10_ENKUlT_T0_E_clISt17integral_constantIbLb0EES16_IbLb1EEEEDaS12_S13_EUlS12_E_NS1_11comp_targetILNS1_3genE3ELNS1_11target_archE908ELNS1_3gpuE7ELNS1_3repE0EEENS1_30default_config_static_selectorELNS0_4arch9wavefront6targetE1EEEvT1_,"axG",@progbits,_ZN7rocprim17ROCPRIM_400000_NS6detail17trampoline_kernelINS0_14default_configENS1_25partition_config_selectorILNS1_17partition_subalgoE8EjNS0_10empty_typeEbEEZZNS1_14partition_implILS5_8ELb0ES3_jPKjPS6_PKS6_NS0_5tupleIJPjS6_EEENSE_IJSB_SB_EEENS0_18inequality_wrapperIN6hipcub16HIPCUB_304000_NS8EqualityEEEPlJS6_EEE10hipError_tPvRmT3_T4_T5_T6_T7_T9_mT8_P12ihipStream_tbDpT10_ENKUlT_T0_E_clISt17integral_constantIbLb0EES16_IbLb1EEEEDaS12_S13_EUlS12_E_NS1_11comp_targetILNS1_3genE3ELNS1_11target_archE908ELNS1_3gpuE7ELNS1_3repE0EEENS1_30default_config_static_selectorELNS0_4arch9wavefront6targetE1EEEvT1_,comdat
.Lfunc_end644:
	.size	_ZN7rocprim17ROCPRIM_400000_NS6detail17trampoline_kernelINS0_14default_configENS1_25partition_config_selectorILNS1_17partition_subalgoE8EjNS0_10empty_typeEbEEZZNS1_14partition_implILS5_8ELb0ES3_jPKjPS6_PKS6_NS0_5tupleIJPjS6_EEENSE_IJSB_SB_EEENS0_18inequality_wrapperIN6hipcub16HIPCUB_304000_NS8EqualityEEEPlJS6_EEE10hipError_tPvRmT3_T4_T5_T6_T7_T9_mT8_P12ihipStream_tbDpT10_ENKUlT_T0_E_clISt17integral_constantIbLb0EES16_IbLb1EEEEDaS12_S13_EUlS12_E_NS1_11comp_targetILNS1_3genE3ELNS1_11target_archE908ELNS1_3gpuE7ELNS1_3repE0EEENS1_30default_config_static_selectorELNS0_4arch9wavefront6targetE1EEEvT1_, .Lfunc_end644-_ZN7rocprim17ROCPRIM_400000_NS6detail17trampoline_kernelINS0_14default_configENS1_25partition_config_selectorILNS1_17partition_subalgoE8EjNS0_10empty_typeEbEEZZNS1_14partition_implILS5_8ELb0ES3_jPKjPS6_PKS6_NS0_5tupleIJPjS6_EEENSE_IJSB_SB_EEENS0_18inequality_wrapperIN6hipcub16HIPCUB_304000_NS8EqualityEEEPlJS6_EEE10hipError_tPvRmT3_T4_T5_T6_T7_T9_mT8_P12ihipStream_tbDpT10_ENKUlT_T0_E_clISt17integral_constantIbLb0EES16_IbLb1EEEEDaS12_S13_EUlS12_E_NS1_11comp_targetILNS1_3genE3ELNS1_11target_archE908ELNS1_3gpuE7ELNS1_3repE0EEENS1_30default_config_static_selectorELNS0_4arch9wavefront6targetE1EEEvT1_
                                        ; -- End function
	.section	.AMDGPU.csdata,"",@progbits
; Kernel info:
; codeLenInByte = 0
; NumSgprs: 6
; NumVgprs: 0
; NumAgprs: 0
; TotalNumVgprs: 0
; ScratchSize: 0
; MemoryBound: 0
; FloatMode: 240
; IeeeMode: 1
; LDSByteSize: 0 bytes/workgroup (compile time only)
; SGPRBlocks: 0
; VGPRBlocks: 0
; NumSGPRsForWavesPerEU: 6
; NumVGPRsForWavesPerEU: 1
; AccumOffset: 4
; Occupancy: 8
; WaveLimiterHint : 0
; COMPUTE_PGM_RSRC2:SCRATCH_EN: 0
; COMPUTE_PGM_RSRC2:USER_SGPR: 2
; COMPUTE_PGM_RSRC2:TRAP_HANDLER: 0
; COMPUTE_PGM_RSRC2:TGID_X_EN: 1
; COMPUTE_PGM_RSRC2:TGID_Y_EN: 0
; COMPUTE_PGM_RSRC2:TGID_Z_EN: 0
; COMPUTE_PGM_RSRC2:TIDIG_COMP_CNT: 0
; COMPUTE_PGM_RSRC3_GFX90A:ACCUM_OFFSET: 0
; COMPUTE_PGM_RSRC3_GFX90A:TG_SPLIT: 0
	.section	.text._ZN7rocprim17ROCPRIM_400000_NS6detail17trampoline_kernelINS0_14default_configENS1_25partition_config_selectorILNS1_17partition_subalgoE8EjNS0_10empty_typeEbEEZZNS1_14partition_implILS5_8ELb0ES3_jPKjPS6_PKS6_NS0_5tupleIJPjS6_EEENSE_IJSB_SB_EEENS0_18inequality_wrapperIN6hipcub16HIPCUB_304000_NS8EqualityEEEPlJS6_EEE10hipError_tPvRmT3_T4_T5_T6_T7_T9_mT8_P12ihipStream_tbDpT10_ENKUlT_T0_E_clISt17integral_constantIbLb0EES16_IbLb1EEEEDaS12_S13_EUlS12_E_NS1_11comp_targetILNS1_3genE2ELNS1_11target_archE906ELNS1_3gpuE6ELNS1_3repE0EEENS1_30default_config_static_selectorELNS0_4arch9wavefront6targetE1EEEvT1_,"axG",@progbits,_ZN7rocprim17ROCPRIM_400000_NS6detail17trampoline_kernelINS0_14default_configENS1_25partition_config_selectorILNS1_17partition_subalgoE8EjNS0_10empty_typeEbEEZZNS1_14partition_implILS5_8ELb0ES3_jPKjPS6_PKS6_NS0_5tupleIJPjS6_EEENSE_IJSB_SB_EEENS0_18inequality_wrapperIN6hipcub16HIPCUB_304000_NS8EqualityEEEPlJS6_EEE10hipError_tPvRmT3_T4_T5_T6_T7_T9_mT8_P12ihipStream_tbDpT10_ENKUlT_T0_E_clISt17integral_constantIbLb0EES16_IbLb1EEEEDaS12_S13_EUlS12_E_NS1_11comp_targetILNS1_3genE2ELNS1_11target_archE906ELNS1_3gpuE6ELNS1_3repE0EEENS1_30default_config_static_selectorELNS0_4arch9wavefront6targetE1EEEvT1_,comdat
	.protected	_ZN7rocprim17ROCPRIM_400000_NS6detail17trampoline_kernelINS0_14default_configENS1_25partition_config_selectorILNS1_17partition_subalgoE8EjNS0_10empty_typeEbEEZZNS1_14partition_implILS5_8ELb0ES3_jPKjPS6_PKS6_NS0_5tupleIJPjS6_EEENSE_IJSB_SB_EEENS0_18inequality_wrapperIN6hipcub16HIPCUB_304000_NS8EqualityEEEPlJS6_EEE10hipError_tPvRmT3_T4_T5_T6_T7_T9_mT8_P12ihipStream_tbDpT10_ENKUlT_T0_E_clISt17integral_constantIbLb0EES16_IbLb1EEEEDaS12_S13_EUlS12_E_NS1_11comp_targetILNS1_3genE2ELNS1_11target_archE906ELNS1_3gpuE6ELNS1_3repE0EEENS1_30default_config_static_selectorELNS0_4arch9wavefront6targetE1EEEvT1_ ; -- Begin function _ZN7rocprim17ROCPRIM_400000_NS6detail17trampoline_kernelINS0_14default_configENS1_25partition_config_selectorILNS1_17partition_subalgoE8EjNS0_10empty_typeEbEEZZNS1_14partition_implILS5_8ELb0ES3_jPKjPS6_PKS6_NS0_5tupleIJPjS6_EEENSE_IJSB_SB_EEENS0_18inequality_wrapperIN6hipcub16HIPCUB_304000_NS8EqualityEEEPlJS6_EEE10hipError_tPvRmT3_T4_T5_T6_T7_T9_mT8_P12ihipStream_tbDpT10_ENKUlT_T0_E_clISt17integral_constantIbLb0EES16_IbLb1EEEEDaS12_S13_EUlS12_E_NS1_11comp_targetILNS1_3genE2ELNS1_11target_archE906ELNS1_3gpuE6ELNS1_3repE0EEENS1_30default_config_static_selectorELNS0_4arch9wavefront6targetE1EEEvT1_
	.globl	_ZN7rocprim17ROCPRIM_400000_NS6detail17trampoline_kernelINS0_14default_configENS1_25partition_config_selectorILNS1_17partition_subalgoE8EjNS0_10empty_typeEbEEZZNS1_14partition_implILS5_8ELb0ES3_jPKjPS6_PKS6_NS0_5tupleIJPjS6_EEENSE_IJSB_SB_EEENS0_18inequality_wrapperIN6hipcub16HIPCUB_304000_NS8EqualityEEEPlJS6_EEE10hipError_tPvRmT3_T4_T5_T6_T7_T9_mT8_P12ihipStream_tbDpT10_ENKUlT_T0_E_clISt17integral_constantIbLb0EES16_IbLb1EEEEDaS12_S13_EUlS12_E_NS1_11comp_targetILNS1_3genE2ELNS1_11target_archE906ELNS1_3gpuE6ELNS1_3repE0EEENS1_30default_config_static_selectorELNS0_4arch9wavefront6targetE1EEEvT1_
	.p2align	8
	.type	_ZN7rocprim17ROCPRIM_400000_NS6detail17trampoline_kernelINS0_14default_configENS1_25partition_config_selectorILNS1_17partition_subalgoE8EjNS0_10empty_typeEbEEZZNS1_14partition_implILS5_8ELb0ES3_jPKjPS6_PKS6_NS0_5tupleIJPjS6_EEENSE_IJSB_SB_EEENS0_18inequality_wrapperIN6hipcub16HIPCUB_304000_NS8EqualityEEEPlJS6_EEE10hipError_tPvRmT3_T4_T5_T6_T7_T9_mT8_P12ihipStream_tbDpT10_ENKUlT_T0_E_clISt17integral_constantIbLb0EES16_IbLb1EEEEDaS12_S13_EUlS12_E_NS1_11comp_targetILNS1_3genE2ELNS1_11target_archE906ELNS1_3gpuE6ELNS1_3repE0EEENS1_30default_config_static_selectorELNS0_4arch9wavefront6targetE1EEEvT1_,@function
_ZN7rocprim17ROCPRIM_400000_NS6detail17trampoline_kernelINS0_14default_configENS1_25partition_config_selectorILNS1_17partition_subalgoE8EjNS0_10empty_typeEbEEZZNS1_14partition_implILS5_8ELb0ES3_jPKjPS6_PKS6_NS0_5tupleIJPjS6_EEENSE_IJSB_SB_EEENS0_18inequality_wrapperIN6hipcub16HIPCUB_304000_NS8EqualityEEEPlJS6_EEE10hipError_tPvRmT3_T4_T5_T6_T7_T9_mT8_P12ihipStream_tbDpT10_ENKUlT_T0_E_clISt17integral_constantIbLb0EES16_IbLb1EEEEDaS12_S13_EUlS12_E_NS1_11comp_targetILNS1_3genE2ELNS1_11target_archE906ELNS1_3gpuE6ELNS1_3repE0EEENS1_30default_config_static_selectorELNS0_4arch9wavefront6targetE1EEEvT1_: ; @_ZN7rocprim17ROCPRIM_400000_NS6detail17trampoline_kernelINS0_14default_configENS1_25partition_config_selectorILNS1_17partition_subalgoE8EjNS0_10empty_typeEbEEZZNS1_14partition_implILS5_8ELb0ES3_jPKjPS6_PKS6_NS0_5tupleIJPjS6_EEENSE_IJSB_SB_EEENS0_18inequality_wrapperIN6hipcub16HIPCUB_304000_NS8EqualityEEEPlJS6_EEE10hipError_tPvRmT3_T4_T5_T6_T7_T9_mT8_P12ihipStream_tbDpT10_ENKUlT_T0_E_clISt17integral_constantIbLb0EES16_IbLb1EEEEDaS12_S13_EUlS12_E_NS1_11comp_targetILNS1_3genE2ELNS1_11target_archE906ELNS1_3gpuE6ELNS1_3repE0EEENS1_30default_config_static_selectorELNS0_4arch9wavefront6targetE1EEEvT1_
; %bb.0:
	.section	.rodata,"a",@progbits
	.p2align	6, 0x0
	.amdhsa_kernel _ZN7rocprim17ROCPRIM_400000_NS6detail17trampoline_kernelINS0_14default_configENS1_25partition_config_selectorILNS1_17partition_subalgoE8EjNS0_10empty_typeEbEEZZNS1_14partition_implILS5_8ELb0ES3_jPKjPS6_PKS6_NS0_5tupleIJPjS6_EEENSE_IJSB_SB_EEENS0_18inequality_wrapperIN6hipcub16HIPCUB_304000_NS8EqualityEEEPlJS6_EEE10hipError_tPvRmT3_T4_T5_T6_T7_T9_mT8_P12ihipStream_tbDpT10_ENKUlT_T0_E_clISt17integral_constantIbLb0EES16_IbLb1EEEEDaS12_S13_EUlS12_E_NS1_11comp_targetILNS1_3genE2ELNS1_11target_archE906ELNS1_3gpuE6ELNS1_3repE0EEENS1_30default_config_static_selectorELNS0_4arch9wavefront6targetE1EEEvT1_
		.amdhsa_group_segment_fixed_size 0
		.amdhsa_private_segment_fixed_size 0
		.amdhsa_kernarg_size 128
		.amdhsa_user_sgpr_count 2
		.amdhsa_user_sgpr_dispatch_ptr 0
		.amdhsa_user_sgpr_queue_ptr 0
		.amdhsa_user_sgpr_kernarg_segment_ptr 1
		.amdhsa_user_sgpr_dispatch_id 0
		.amdhsa_user_sgpr_kernarg_preload_length 0
		.amdhsa_user_sgpr_kernarg_preload_offset 0
		.amdhsa_user_sgpr_private_segment_size 0
		.amdhsa_uses_dynamic_stack 0
		.amdhsa_enable_private_segment 0
		.amdhsa_system_sgpr_workgroup_id_x 1
		.amdhsa_system_sgpr_workgroup_id_y 0
		.amdhsa_system_sgpr_workgroup_id_z 0
		.amdhsa_system_sgpr_workgroup_info 0
		.amdhsa_system_vgpr_workitem_id 0
		.amdhsa_next_free_vgpr 1
		.amdhsa_next_free_sgpr 0
		.amdhsa_accum_offset 4
		.amdhsa_reserve_vcc 0
		.amdhsa_float_round_mode_32 0
		.amdhsa_float_round_mode_16_64 0
		.amdhsa_float_denorm_mode_32 3
		.amdhsa_float_denorm_mode_16_64 3
		.amdhsa_dx10_clamp 1
		.amdhsa_ieee_mode 1
		.amdhsa_fp16_overflow 0
		.amdhsa_tg_split 0
		.amdhsa_exception_fp_ieee_invalid_op 0
		.amdhsa_exception_fp_denorm_src 0
		.amdhsa_exception_fp_ieee_div_zero 0
		.amdhsa_exception_fp_ieee_overflow 0
		.amdhsa_exception_fp_ieee_underflow 0
		.amdhsa_exception_fp_ieee_inexact 0
		.amdhsa_exception_int_div_zero 0
	.end_amdhsa_kernel
	.section	.text._ZN7rocprim17ROCPRIM_400000_NS6detail17trampoline_kernelINS0_14default_configENS1_25partition_config_selectorILNS1_17partition_subalgoE8EjNS0_10empty_typeEbEEZZNS1_14partition_implILS5_8ELb0ES3_jPKjPS6_PKS6_NS0_5tupleIJPjS6_EEENSE_IJSB_SB_EEENS0_18inequality_wrapperIN6hipcub16HIPCUB_304000_NS8EqualityEEEPlJS6_EEE10hipError_tPvRmT3_T4_T5_T6_T7_T9_mT8_P12ihipStream_tbDpT10_ENKUlT_T0_E_clISt17integral_constantIbLb0EES16_IbLb1EEEEDaS12_S13_EUlS12_E_NS1_11comp_targetILNS1_3genE2ELNS1_11target_archE906ELNS1_3gpuE6ELNS1_3repE0EEENS1_30default_config_static_selectorELNS0_4arch9wavefront6targetE1EEEvT1_,"axG",@progbits,_ZN7rocprim17ROCPRIM_400000_NS6detail17trampoline_kernelINS0_14default_configENS1_25partition_config_selectorILNS1_17partition_subalgoE8EjNS0_10empty_typeEbEEZZNS1_14partition_implILS5_8ELb0ES3_jPKjPS6_PKS6_NS0_5tupleIJPjS6_EEENSE_IJSB_SB_EEENS0_18inequality_wrapperIN6hipcub16HIPCUB_304000_NS8EqualityEEEPlJS6_EEE10hipError_tPvRmT3_T4_T5_T6_T7_T9_mT8_P12ihipStream_tbDpT10_ENKUlT_T0_E_clISt17integral_constantIbLb0EES16_IbLb1EEEEDaS12_S13_EUlS12_E_NS1_11comp_targetILNS1_3genE2ELNS1_11target_archE906ELNS1_3gpuE6ELNS1_3repE0EEENS1_30default_config_static_selectorELNS0_4arch9wavefront6targetE1EEEvT1_,comdat
.Lfunc_end645:
	.size	_ZN7rocprim17ROCPRIM_400000_NS6detail17trampoline_kernelINS0_14default_configENS1_25partition_config_selectorILNS1_17partition_subalgoE8EjNS0_10empty_typeEbEEZZNS1_14partition_implILS5_8ELb0ES3_jPKjPS6_PKS6_NS0_5tupleIJPjS6_EEENSE_IJSB_SB_EEENS0_18inequality_wrapperIN6hipcub16HIPCUB_304000_NS8EqualityEEEPlJS6_EEE10hipError_tPvRmT3_T4_T5_T6_T7_T9_mT8_P12ihipStream_tbDpT10_ENKUlT_T0_E_clISt17integral_constantIbLb0EES16_IbLb1EEEEDaS12_S13_EUlS12_E_NS1_11comp_targetILNS1_3genE2ELNS1_11target_archE906ELNS1_3gpuE6ELNS1_3repE0EEENS1_30default_config_static_selectorELNS0_4arch9wavefront6targetE1EEEvT1_, .Lfunc_end645-_ZN7rocprim17ROCPRIM_400000_NS6detail17trampoline_kernelINS0_14default_configENS1_25partition_config_selectorILNS1_17partition_subalgoE8EjNS0_10empty_typeEbEEZZNS1_14partition_implILS5_8ELb0ES3_jPKjPS6_PKS6_NS0_5tupleIJPjS6_EEENSE_IJSB_SB_EEENS0_18inequality_wrapperIN6hipcub16HIPCUB_304000_NS8EqualityEEEPlJS6_EEE10hipError_tPvRmT3_T4_T5_T6_T7_T9_mT8_P12ihipStream_tbDpT10_ENKUlT_T0_E_clISt17integral_constantIbLb0EES16_IbLb1EEEEDaS12_S13_EUlS12_E_NS1_11comp_targetILNS1_3genE2ELNS1_11target_archE906ELNS1_3gpuE6ELNS1_3repE0EEENS1_30default_config_static_selectorELNS0_4arch9wavefront6targetE1EEEvT1_
                                        ; -- End function
	.section	.AMDGPU.csdata,"",@progbits
; Kernel info:
; codeLenInByte = 0
; NumSgprs: 6
; NumVgprs: 0
; NumAgprs: 0
; TotalNumVgprs: 0
; ScratchSize: 0
; MemoryBound: 0
; FloatMode: 240
; IeeeMode: 1
; LDSByteSize: 0 bytes/workgroup (compile time only)
; SGPRBlocks: 0
; VGPRBlocks: 0
; NumSGPRsForWavesPerEU: 6
; NumVGPRsForWavesPerEU: 1
; AccumOffset: 4
; Occupancy: 8
; WaveLimiterHint : 0
; COMPUTE_PGM_RSRC2:SCRATCH_EN: 0
; COMPUTE_PGM_RSRC2:USER_SGPR: 2
; COMPUTE_PGM_RSRC2:TRAP_HANDLER: 0
; COMPUTE_PGM_RSRC2:TGID_X_EN: 1
; COMPUTE_PGM_RSRC2:TGID_Y_EN: 0
; COMPUTE_PGM_RSRC2:TGID_Z_EN: 0
; COMPUTE_PGM_RSRC2:TIDIG_COMP_CNT: 0
; COMPUTE_PGM_RSRC3_GFX90A:ACCUM_OFFSET: 0
; COMPUTE_PGM_RSRC3_GFX90A:TG_SPLIT: 0
	.section	.text._ZN7rocprim17ROCPRIM_400000_NS6detail17trampoline_kernelINS0_14default_configENS1_25partition_config_selectorILNS1_17partition_subalgoE8EjNS0_10empty_typeEbEEZZNS1_14partition_implILS5_8ELb0ES3_jPKjPS6_PKS6_NS0_5tupleIJPjS6_EEENSE_IJSB_SB_EEENS0_18inequality_wrapperIN6hipcub16HIPCUB_304000_NS8EqualityEEEPlJS6_EEE10hipError_tPvRmT3_T4_T5_T6_T7_T9_mT8_P12ihipStream_tbDpT10_ENKUlT_T0_E_clISt17integral_constantIbLb0EES16_IbLb1EEEEDaS12_S13_EUlS12_E_NS1_11comp_targetILNS1_3genE10ELNS1_11target_archE1200ELNS1_3gpuE4ELNS1_3repE0EEENS1_30default_config_static_selectorELNS0_4arch9wavefront6targetE1EEEvT1_,"axG",@progbits,_ZN7rocprim17ROCPRIM_400000_NS6detail17trampoline_kernelINS0_14default_configENS1_25partition_config_selectorILNS1_17partition_subalgoE8EjNS0_10empty_typeEbEEZZNS1_14partition_implILS5_8ELb0ES3_jPKjPS6_PKS6_NS0_5tupleIJPjS6_EEENSE_IJSB_SB_EEENS0_18inequality_wrapperIN6hipcub16HIPCUB_304000_NS8EqualityEEEPlJS6_EEE10hipError_tPvRmT3_T4_T5_T6_T7_T9_mT8_P12ihipStream_tbDpT10_ENKUlT_T0_E_clISt17integral_constantIbLb0EES16_IbLb1EEEEDaS12_S13_EUlS12_E_NS1_11comp_targetILNS1_3genE10ELNS1_11target_archE1200ELNS1_3gpuE4ELNS1_3repE0EEENS1_30default_config_static_selectorELNS0_4arch9wavefront6targetE1EEEvT1_,comdat
	.protected	_ZN7rocprim17ROCPRIM_400000_NS6detail17trampoline_kernelINS0_14default_configENS1_25partition_config_selectorILNS1_17partition_subalgoE8EjNS0_10empty_typeEbEEZZNS1_14partition_implILS5_8ELb0ES3_jPKjPS6_PKS6_NS0_5tupleIJPjS6_EEENSE_IJSB_SB_EEENS0_18inequality_wrapperIN6hipcub16HIPCUB_304000_NS8EqualityEEEPlJS6_EEE10hipError_tPvRmT3_T4_T5_T6_T7_T9_mT8_P12ihipStream_tbDpT10_ENKUlT_T0_E_clISt17integral_constantIbLb0EES16_IbLb1EEEEDaS12_S13_EUlS12_E_NS1_11comp_targetILNS1_3genE10ELNS1_11target_archE1200ELNS1_3gpuE4ELNS1_3repE0EEENS1_30default_config_static_selectorELNS0_4arch9wavefront6targetE1EEEvT1_ ; -- Begin function _ZN7rocprim17ROCPRIM_400000_NS6detail17trampoline_kernelINS0_14default_configENS1_25partition_config_selectorILNS1_17partition_subalgoE8EjNS0_10empty_typeEbEEZZNS1_14partition_implILS5_8ELb0ES3_jPKjPS6_PKS6_NS0_5tupleIJPjS6_EEENSE_IJSB_SB_EEENS0_18inequality_wrapperIN6hipcub16HIPCUB_304000_NS8EqualityEEEPlJS6_EEE10hipError_tPvRmT3_T4_T5_T6_T7_T9_mT8_P12ihipStream_tbDpT10_ENKUlT_T0_E_clISt17integral_constantIbLb0EES16_IbLb1EEEEDaS12_S13_EUlS12_E_NS1_11comp_targetILNS1_3genE10ELNS1_11target_archE1200ELNS1_3gpuE4ELNS1_3repE0EEENS1_30default_config_static_selectorELNS0_4arch9wavefront6targetE1EEEvT1_
	.globl	_ZN7rocprim17ROCPRIM_400000_NS6detail17trampoline_kernelINS0_14default_configENS1_25partition_config_selectorILNS1_17partition_subalgoE8EjNS0_10empty_typeEbEEZZNS1_14partition_implILS5_8ELb0ES3_jPKjPS6_PKS6_NS0_5tupleIJPjS6_EEENSE_IJSB_SB_EEENS0_18inequality_wrapperIN6hipcub16HIPCUB_304000_NS8EqualityEEEPlJS6_EEE10hipError_tPvRmT3_T4_T5_T6_T7_T9_mT8_P12ihipStream_tbDpT10_ENKUlT_T0_E_clISt17integral_constantIbLb0EES16_IbLb1EEEEDaS12_S13_EUlS12_E_NS1_11comp_targetILNS1_3genE10ELNS1_11target_archE1200ELNS1_3gpuE4ELNS1_3repE0EEENS1_30default_config_static_selectorELNS0_4arch9wavefront6targetE1EEEvT1_
	.p2align	8
	.type	_ZN7rocprim17ROCPRIM_400000_NS6detail17trampoline_kernelINS0_14default_configENS1_25partition_config_selectorILNS1_17partition_subalgoE8EjNS0_10empty_typeEbEEZZNS1_14partition_implILS5_8ELb0ES3_jPKjPS6_PKS6_NS0_5tupleIJPjS6_EEENSE_IJSB_SB_EEENS0_18inequality_wrapperIN6hipcub16HIPCUB_304000_NS8EqualityEEEPlJS6_EEE10hipError_tPvRmT3_T4_T5_T6_T7_T9_mT8_P12ihipStream_tbDpT10_ENKUlT_T0_E_clISt17integral_constantIbLb0EES16_IbLb1EEEEDaS12_S13_EUlS12_E_NS1_11comp_targetILNS1_3genE10ELNS1_11target_archE1200ELNS1_3gpuE4ELNS1_3repE0EEENS1_30default_config_static_selectorELNS0_4arch9wavefront6targetE1EEEvT1_,@function
_ZN7rocprim17ROCPRIM_400000_NS6detail17trampoline_kernelINS0_14default_configENS1_25partition_config_selectorILNS1_17partition_subalgoE8EjNS0_10empty_typeEbEEZZNS1_14partition_implILS5_8ELb0ES3_jPKjPS6_PKS6_NS0_5tupleIJPjS6_EEENSE_IJSB_SB_EEENS0_18inequality_wrapperIN6hipcub16HIPCUB_304000_NS8EqualityEEEPlJS6_EEE10hipError_tPvRmT3_T4_T5_T6_T7_T9_mT8_P12ihipStream_tbDpT10_ENKUlT_T0_E_clISt17integral_constantIbLb0EES16_IbLb1EEEEDaS12_S13_EUlS12_E_NS1_11comp_targetILNS1_3genE10ELNS1_11target_archE1200ELNS1_3gpuE4ELNS1_3repE0EEENS1_30default_config_static_selectorELNS0_4arch9wavefront6targetE1EEEvT1_: ; @_ZN7rocprim17ROCPRIM_400000_NS6detail17trampoline_kernelINS0_14default_configENS1_25partition_config_selectorILNS1_17partition_subalgoE8EjNS0_10empty_typeEbEEZZNS1_14partition_implILS5_8ELb0ES3_jPKjPS6_PKS6_NS0_5tupleIJPjS6_EEENSE_IJSB_SB_EEENS0_18inequality_wrapperIN6hipcub16HIPCUB_304000_NS8EqualityEEEPlJS6_EEE10hipError_tPvRmT3_T4_T5_T6_T7_T9_mT8_P12ihipStream_tbDpT10_ENKUlT_T0_E_clISt17integral_constantIbLb0EES16_IbLb1EEEEDaS12_S13_EUlS12_E_NS1_11comp_targetILNS1_3genE10ELNS1_11target_archE1200ELNS1_3gpuE4ELNS1_3repE0EEENS1_30default_config_static_selectorELNS0_4arch9wavefront6targetE1EEEvT1_
; %bb.0:
	.section	.rodata,"a",@progbits
	.p2align	6, 0x0
	.amdhsa_kernel _ZN7rocprim17ROCPRIM_400000_NS6detail17trampoline_kernelINS0_14default_configENS1_25partition_config_selectorILNS1_17partition_subalgoE8EjNS0_10empty_typeEbEEZZNS1_14partition_implILS5_8ELb0ES3_jPKjPS6_PKS6_NS0_5tupleIJPjS6_EEENSE_IJSB_SB_EEENS0_18inequality_wrapperIN6hipcub16HIPCUB_304000_NS8EqualityEEEPlJS6_EEE10hipError_tPvRmT3_T4_T5_T6_T7_T9_mT8_P12ihipStream_tbDpT10_ENKUlT_T0_E_clISt17integral_constantIbLb0EES16_IbLb1EEEEDaS12_S13_EUlS12_E_NS1_11comp_targetILNS1_3genE10ELNS1_11target_archE1200ELNS1_3gpuE4ELNS1_3repE0EEENS1_30default_config_static_selectorELNS0_4arch9wavefront6targetE1EEEvT1_
		.amdhsa_group_segment_fixed_size 0
		.amdhsa_private_segment_fixed_size 0
		.amdhsa_kernarg_size 128
		.amdhsa_user_sgpr_count 2
		.amdhsa_user_sgpr_dispatch_ptr 0
		.amdhsa_user_sgpr_queue_ptr 0
		.amdhsa_user_sgpr_kernarg_segment_ptr 1
		.amdhsa_user_sgpr_dispatch_id 0
		.amdhsa_user_sgpr_kernarg_preload_length 0
		.amdhsa_user_sgpr_kernarg_preload_offset 0
		.amdhsa_user_sgpr_private_segment_size 0
		.amdhsa_uses_dynamic_stack 0
		.amdhsa_enable_private_segment 0
		.amdhsa_system_sgpr_workgroup_id_x 1
		.amdhsa_system_sgpr_workgroup_id_y 0
		.amdhsa_system_sgpr_workgroup_id_z 0
		.amdhsa_system_sgpr_workgroup_info 0
		.amdhsa_system_vgpr_workitem_id 0
		.amdhsa_next_free_vgpr 1
		.amdhsa_next_free_sgpr 0
		.amdhsa_accum_offset 4
		.amdhsa_reserve_vcc 0
		.amdhsa_float_round_mode_32 0
		.amdhsa_float_round_mode_16_64 0
		.amdhsa_float_denorm_mode_32 3
		.amdhsa_float_denorm_mode_16_64 3
		.amdhsa_dx10_clamp 1
		.amdhsa_ieee_mode 1
		.amdhsa_fp16_overflow 0
		.amdhsa_tg_split 0
		.amdhsa_exception_fp_ieee_invalid_op 0
		.amdhsa_exception_fp_denorm_src 0
		.amdhsa_exception_fp_ieee_div_zero 0
		.amdhsa_exception_fp_ieee_overflow 0
		.amdhsa_exception_fp_ieee_underflow 0
		.amdhsa_exception_fp_ieee_inexact 0
		.amdhsa_exception_int_div_zero 0
	.end_amdhsa_kernel
	.section	.text._ZN7rocprim17ROCPRIM_400000_NS6detail17trampoline_kernelINS0_14default_configENS1_25partition_config_selectorILNS1_17partition_subalgoE8EjNS0_10empty_typeEbEEZZNS1_14partition_implILS5_8ELb0ES3_jPKjPS6_PKS6_NS0_5tupleIJPjS6_EEENSE_IJSB_SB_EEENS0_18inequality_wrapperIN6hipcub16HIPCUB_304000_NS8EqualityEEEPlJS6_EEE10hipError_tPvRmT3_T4_T5_T6_T7_T9_mT8_P12ihipStream_tbDpT10_ENKUlT_T0_E_clISt17integral_constantIbLb0EES16_IbLb1EEEEDaS12_S13_EUlS12_E_NS1_11comp_targetILNS1_3genE10ELNS1_11target_archE1200ELNS1_3gpuE4ELNS1_3repE0EEENS1_30default_config_static_selectorELNS0_4arch9wavefront6targetE1EEEvT1_,"axG",@progbits,_ZN7rocprim17ROCPRIM_400000_NS6detail17trampoline_kernelINS0_14default_configENS1_25partition_config_selectorILNS1_17partition_subalgoE8EjNS0_10empty_typeEbEEZZNS1_14partition_implILS5_8ELb0ES3_jPKjPS6_PKS6_NS0_5tupleIJPjS6_EEENSE_IJSB_SB_EEENS0_18inequality_wrapperIN6hipcub16HIPCUB_304000_NS8EqualityEEEPlJS6_EEE10hipError_tPvRmT3_T4_T5_T6_T7_T9_mT8_P12ihipStream_tbDpT10_ENKUlT_T0_E_clISt17integral_constantIbLb0EES16_IbLb1EEEEDaS12_S13_EUlS12_E_NS1_11comp_targetILNS1_3genE10ELNS1_11target_archE1200ELNS1_3gpuE4ELNS1_3repE0EEENS1_30default_config_static_selectorELNS0_4arch9wavefront6targetE1EEEvT1_,comdat
.Lfunc_end646:
	.size	_ZN7rocprim17ROCPRIM_400000_NS6detail17trampoline_kernelINS0_14default_configENS1_25partition_config_selectorILNS1_17partition_subalgoE8EjNS0_10empty_typeEbEEZZNS1_14partition_implILS5_8ELb0ES3_jPKjPS6_PKS6_NS0_5tupleIJPjS6_EEENSE_IJSB_SB_EEENS0_18inequality_wrapperIN6hipcub16HIPCUB_304000_NS8EqualityEEEPlJS6_EEE10hipError_tPvRmT3_T4_T5_T6_T7_T9_mT8_P12ihipStream_tbDpT10_ENKUlT_T0_E_clISt17integral_constantIbLb0EES16_IbLb1EEEEDaS12_S13_EUlS12_E_NS1_11comp_targetILNS1_3genE10ELNS1_11target_archE1200ELNS1_3gpuE4ELNS1_3repE0EEENS1_30default_config_static_selectorELNS0_4arch9wavefront6targetE1EEEvT1_, .Lfunc_end646-_ZN7rocprim17ROCPRIM_400000_NS6detail17trampoline_kernelINS0_14default_configENS1_25partition_config_selectorILNS1_17partition_subalgoE8EjNS0_10empty_typeEbEEZZNS1_14partition_implILS5_8ELb0ES3_jPKjPS6_PKS6_NS0_5tupleIJPjS6_EEENSE_IJSB_SB_EEENS0_18inequality_wrapperIN6hipcub16HIPCUB_304000_NS8EqualityEEEPlJS6_EEE10hipError_tPvRmT3_T4_T5_T6_T7_T9_mT8_P12ihipStream_tbDpT10_ENKUlT_T0_E_clISt17integral_constantIbLb0EES16_IbLb1EEEEDaS12_S13_EUlS12_E_NS1_11comp_targetILNS1_3genE10ELNS1_11target_archE1200ELNS1_3gpuE4ELNS1_3repE0EEENS1_30default_config_static_selectorELNS0_4arch9wavefront6targetE1EEEvT1_
                                        ; -- End function
	.section	.AMDGPU.csdata,"",@progbits
; Kernel info:
; codeLenInByte = 0
; NumSgprs: 6
; NumVgprs: 0
; NumAgprs: 0
; TotalNumVgprs: 0
; ScratchSize: 0
; MemoryBound: 0
; FloatMode: 240
; IeeeMode: 1
; LDSByteSize: 0 bytes/workgroup (compile time only)
; SGPRBlocks: 0
; VGPRBlocks: 0
; NumSGPRsForWavesPerEU: 6
; NumVGPRsForWavesPerEU: 1
; AccumOffset: 4
; Occupancy: 8
; WaveLimiterHint : 0
; COMPUTE_PGM_RSRC2:SCRATCH_EN: 0
; COMPUTE_PGM_RSRC2:USER_SGPR: 2
; COMPUTE_PGM_RSRC2:TRAP_HANDLER: 0
; COMPUTE_PGM_RSRC2:TGID_X_EN: 1
; COMPUTE_PGM_RSRC2:TGID_Y_EN: 0
; COMPUTE_PGM_RSRC2:TGID_Z_EN: 0
; COMPUTE_PGM_RSRC2:TIDIG_COMP_CNT: 0
; COMPUTE_PGM_RSRC3_GFX90A:ACCUM_OFFSET: 0
; COMPUTE_PGM_RSRC3_GFX90A:TG_SPLIT: 0
	.section	.text._ZN7rocprim17ROCPRIM_400000_NS6detail17trampoline_kernelINS0_14default_configENS1_25partition_config_selectorILNS1_17partition_subalgoE8EjNS0_10empty_typeEbEEZZNS1_14partition_implILS5_8ELb0ES3_jPKjPS6_PKS6_NS0_5tupleIJPjS6_EEENSE_IJSB_SB_EEENS0_18inequality_wrapperIN6hipcub16HIPCUB_304000_NS8EqualityEEEPlJS6_EEE10hipError_tPvRmT3_T4_T5_T6_T7_T9_mT8_P12ihipStream_tbDpT10_ENKUlT_T0_E_clISt17integral_constantIbLb0EES16_IbLb1EEEEDaS12_S13_EUlS12_E_NS1_11comp_targetILNS1_3genE9ELNS1_11target_archE1100ELNS1_3gpuE3ELNS1_3repE0EEENS1_30default_config_static_selectorELNS0_4arch9wavefront6targetE1EEEvT1_,"axG",@progbits,_ZN7rocprim17ROCPRIM_400000_NS6detail17trampoline_kernelINS0_14default_configENS1_25partition_config_selectorILNS1_17partition_subalgoE8EjNS0_10empty_typeEbEEZZNS1_14partition_implILS5_8ELb0ES3_jPKjPS6_PKS6_NS0_5tupleIJPjS6_EEENSE_IJSB_SB_EEENS0_18inequality_wrapperIN6hipcub16HIPCUB_304000_NS8EqualityEEEPlJS6_EEE10hipError_tPvRmT3_T4_T5_T6_T7_T9_mT8_P12ihipStream_tbDpT10_ENKUlT_T0_E_clISt17integral_constantIbLb0EES16_IbLb1EEEEDaS12_S13_EUlS12_E_NS1_11comp_targetILNS1_3genE9ELNS1_11target_archE1100ELNS1_3gpuE3ELNS1_3repE0EEENS1_30default_config_static_selectorELNS0_4arch9wavefront6targetE1EEEvT1_,comdat
	.protected	_ZN7rocprim17ROCPRIM_400000_NS6detail17trampoline_kernelINS0_14default_configENS1_25partition_config_selectorILNS1_17partition_subalgoE8EjNS0_10empty_typeEbEEZZNS1_14partition_implILS5_8ELb0ES3_jPKjPS6_PKS6_NS0_5tupleIJPjS6_EEENSE_IJSB_SB_EEENS0_18inequality_wrapperIN6hipcub16HIPCUB_304000_NS8EqualityEEEPlJS6_EEE10hipError_tPvRmT3_T4_T5_T6_T7_T9_mT8_P12ihipStream_tbDpT10_ENKUlT_T0_E_clISt17integral_constantIbLb0EES16_IbLb1EEEEDaS12_S13_EUlS12_E_NS1_11comp_targetILNS1_3genE9ELNS1_11target_archE1100ELNS1_3gpuE3ELNS1_3repE0EEENS1_30default_config_static_selectorELNS0_4arch9wavefront6targetE1EEEvT1_ ; -- Begin function _ZN7rocprim17ROCPRIM_400000_NS6detail17trampoline_kernelINS0_14default_configENS1_25partition_config_selectorILNS1_17partition_subalgoE8EjNS0_10empty_typeEbEEZZNS1_14partition_implILS5_8ELb0ES3_jPKjPS6_PKS6_NS0_5tupleIJPjS6_EEENSE_IJSB_SB_EEENS0_18inequality_wrapperIN6hipcub16HIPCUB_304000_NS8EqualityEEEPlJS6_EEE10hipError_tPvRmT3_T4_T5_T6_T7_T9_mT8_P12ihipStream_tbDpT10_ENKUlT_T0_E_clISt17integral_constantIbLb0EES16_IbLb1EEEEDaS12_S13_EUlS12_E_NS1_11comp_targetILNS1_3genE9ELNS1_11target_archE1100ELNS1_3gpuE3ELNS1_3repE0EEENS1_30default_config_static_selectorELNS0_4arch9wavefront6targetE1EEEvT1_
	.globl	_ZN7rocprim17ROCPRIM_400000_NS6detail17trampoline_kernelINS0_14default_configENS1_25partition_config_selectorILNS1_17partition_subalgoE8EjNS0_10empty_typeEbEEZZNS1_14partition_implILS5_8ELb0ES3_jPKjPS6_PKS6_NS0_5tupleIJPjS6_EEENSE_IJSB_SB_EEENS0_18inequality_wrapperIN6hipcub16HIPCUB_304000_NS8EqualityEEEPlJS6_EEE10hipError_tPvRmT3_T4_T5_T6_T7_T9_mT8_P12ihipStream_tbDpT10_ENKUlT_T0_E_clISt17integral_constantIbLb0EES16_IbLb1EEEEDaS12_S13_EUlS12_E_NS1_11comp_targetILNS1_3genE9ELNS1_11target_archE1100ELNS1_3gpuE3ELNS1_3repE0EEENS1_30default_config_static_selectorELNS0_4arch9wavefront6targetE1EEEvT1_
	.p2align	8
	.type	_ZN7rocprim17ROCPRIM_400000_NS6detail17trampoline_kernelINS0_14default_configENS1_25partition_config_selectorILNS1_17partition_subalgoE8EjNS0_10empty_typeEbEEZZNS1_14partition_implILS5_8ELb0ES3_jPKjPS6_PKS6_NS0_5tupleIJPjS6_EEENSE_IJSB_SB_EEENS0_18inequality_wrapperIN6hipcub16HIPCUB_304000_NS8EqualityEEEPlJS6_EEE10hipError_tPvRmT3_T4_T5_T6_T7_T9_mT8_P12ihipStream_tbDpT10_ENKUlT_T0_E_clISt17integral_constantIbLb0EES16_IbLb1EEEEDaS12_S13_EUlS12_E_NS1_11comp_targetILNS1_3genE9ELNS1_11target_archE1100ELNS1_3gpuE3ELNS1_3repE0EEENS1_30default_config_static_selectorELNS0_4arch9wavefront6targetE1EEEvT1_,@function
_ZN7rocprim17ROCPRIM_400000_NS6detail17trampoline_kernelINS0_14default_configENS1_25partition_config_selectorILNS1_17partition_subalgoE8EjNS0_10empty_typeEbEEZZNS1_14partition_implILS5_8ELb0ES3_jPKjPS6_PKS6_NS0_5tupleIJPjS6_EEENSE_IJSB_SB_EEENS0_18inequality_wrapperIN6hipcub16HIPCUB_304000_NS8EqualityEEEPlJS6_EEE10hipError_tPvRmT3_T4_T5_T6_T7_T9_mT8_P12ihipStream_tbDpT10_ENKUlT_T0_E_clISt17integral_constantIbLb0EES16_IbLb1EEEEDaS12_S13_EUlS12_E_NS1_11comp_targetILNS1_3genE9ELNS1_11target_archE1100ELNS1_3gpuE3ELNS1_3repE0EEENS1_30default_config_static_selectorELNS0_4arch9wavefront6targetE1EEEvT1_: ; @_ZN7rocprim17ROCPRIM_400000_NS6detail17trampoline_kernelINS0_14default_configENS1_25partition_config_selectorILNS1_17partition_subalgoE8EjNS0_10empty_typeEbEEZZNS1_14partition_implILS5_8ELb0ES3_jPKjPS6_PKS6_NS0_5tupleIJPjS6_EEENSE_IJSB_SB_EEENS0_18inequality_wrapperIN6hipcub16HIPCUB_304000_NS8EqualityEEEPlJS6_EEE10hipError_tPvRmT3_T4_T5_T6_T7_T9_mT8_P12ihipStream_tbDpT10_ENKUlT_T0_E_clISt17integral_constantIbLb0EES16_IbLb1EEEEDaS12_S13_EUlS12_E_NS1_11comp_targetILNS1_3genE9ELNS1_11target_archE1100ELNS1_3gpuE3ELNS1_3repE0EEENS1_30default_config_static_selectorELNS0_4arch9wavefront6targetE1EEEvT1_
; %bb.0:
	.section	.rodata,"a",@progbits
	.p2align	6, 0x0
	.amdhsa_kernel _ZN7rocprim17ROCPRIM_400000_NS6detail17trampoline_kernelINS0_14default_configENS1_25partition_config_selectorILNS1_17partition_subalgoE8EjNS0_10empty_typeEbEEZZNS1_14partition_implILS5_8ELb0ES3_jPKjPS6_PKS6_NS0_5tupleIJPjS6_EEENSE_IJSB_SB_EEENS0_18inequality_wrapperIN6hipcub16HIPCUB_304000_NS8EqualityEEEPlJS6_EEE10hipError_tPvRmT3_T4_T5_T6_T7_T9_mT8_P12ihipStream_tbDpT10_ENKUlT_T0_E_clISt17integral_constantIbLb0EES16_IbLb1EEEEDaS12_S13_EUlS12_E_NS1_11comp_targetILNS1_3genE9ELNS1_11target_archE1100ELNS1_3gpuE3ELNS1_3repE0EEENS1_30default_config_static_selectorELNS0_4arch9wavefront6targetE1EEEvT1_
		.amdhsa_group_segment_fixed_size 0
		.amdhsa_private_segment_fixed_size 0
		.amdhsa_kernarg_size 128
		.amdhsa_user_sgpr_count 2
		.amdhsa_user_sgpr_dispatch_ptr 0
		.amdhsa_user_sgpr_queue_ptr 0
		.amdhsa_user_sgpr_kernarg_segment_ptr 1
		.amdhsa_user_sgpr_dispatch_id 0
		.amdhsa_user_sgpr_kernarg_preload_length 0
		.amdhsa_user_sgpr_kernarg_preload_offset 0
		.amdhsa_user_sgpr_private_segment_size 0
		.amdhsa_uses_dynamic_stack 0
		.amdhsa_enable_private_segment 0
		.amdhsa_system_sgpr_workgroup_id_x 1
		.amdhsa_system_sgpr_workgroup_id_y 0
		.amdhsa_system_sgpr_workgroup_id_z 0
		.amdhsa_system_sgpr_workgroup_info 0
		.amdhsa_system_vgpr_workitem_id 0
		.amdhsa_next_free_vgpr 1
		.amdhsa_next_free_sgpr 0
		.amdhsa_accum_offset 4
		.amdhsa_reserve_vcc 0
		.amdhsa_float_round_mode_32 0
		.amdhsa_float_round_mode_16_64 0
		.amdhsa_float_denorm_mode_32 3
		.amdhsa_float_denorm_mode_16_64 3
		.amdhsa_dx10_clamp 1
		.amdhsa_ieee_mode 1
		.amdhsa_fp16_overflow 0
		.amdhsa_tg_split 0
		.amdhsa_exception_fp_ieee_invalid_op 0
		.amdhsa_exception_fp_denorm_src 0
		.amdhsa_exception_fp_ieee_div_zero 0
		.amdhsa_exception_fp_ieee_overflow 0
		.amdhsa_exception_fp_ieee_underflow 0
		.amdhsa_exception_fp_ieee_inexact 0
		.amdhsa_exception_int_div_zero 0
	.end_amdhsa_kernel
	.section	.text._ZN7rocprim17ROCPRIM_400000_NS6detail17trampoline_kernelINS0_14default_configENS1_25partition_config_selectorILNS1_17partition_subalgoE8EjNS0_10empty_typeEbEEZZNS1_14partition_implILS5_8ELb0ES3_jPKjPS6_PKS6_NS0_5tupleIJPjS6_EEENSE_IJSB_SB_EEENS0_18inequality_wrapperIN6hipcub16HIPCUB_304000_NS8EqualityEEEPlJS6_EEE10hipError_tPvRmT3_T4_T5_T6_T7_T9_mT8_P12ihipStream_tbDpT10_ENKUlT_T0_E_clISt17integral_constantIbLb0EES16_IbLb1EEEEDaS12_S13_EUlS12_E_NS1_11comp_targetILNS1_3genE9ELNS1_11target_archE1100ELNS1_3gpuE3ELNS1_3repE0EEENS1_30default_config_static_selectorELNS0_4arch9wavefront6targetE1EEEvT1_,"axG",@progbits,_ZN7rocprim17ROCPRIM_400000_NS6detail17trampoline_kernelINS0_14default_configENS1_25partition_config_selectorILNS1_17partition_subalgoE8EjNS0_10empty_typeEbEEZZNS1_14partition_implILS5_8ELb0ES3_jPKjPS6_PKS6_NS0_5tupleIJPjS6_EEENSE_IJSB_SB_EEENS0_18inequality_wrapperIN6hipcub16HIPCUB_304000_NS8EqualityEEEPlJS6_EEE10hipError_tPvRmT3_T4_T5_T6_T7_T9_mT8_P12ihipStream_tbDpT10_ENKUlT_T0_E_clISt17integral_constantIbLb0EES16_IbLb1EEEEDaS12_S13_EUlS12_E_NS1_11comp_targetILNS1_3genE9ELNS1_11target_archE1100ELNS1_3gpuE3ELNS1_3repE0EEENS1_30default_config_static_selectorELNS0_4arch9wavefront6targetE1EEEvT1_,comdat
.Lfunc_end647:
	.size	_ZN7rocprim17ROCPRIM_400000_NS6detail17trampoline_kernelINS0_14default_configENS1_25partition_config_selectorILNS1_17partition_subalgoE8EjNS0_10empty_typeEbEEZZNS1_14partition_implILS5_8ELb0ES3_jPKjPS6_PKS6_NS0_5tupleIJPjS6_EEENSE_IJSB_SB_EEENS0_18inequality_wrapperIN6hipcub16HIPCUB_304000_NS8EqualityEEEPlJS6_EEE10hipError_tPvRmT3_T4_T5_T6_T7_T9_mT8_P12ihipStream_tbDpT10_ENKUlT_T0_E_clISt17integral_constantIbLb0EES16_IbLb1EEEEDaS12_S13_EUlS12_E_NS1_11comp_targetILNS1_3genE9ELNS1_11target_archE1100ELNS1_3gpuE3ELNS1_3repE0EEENS1_30default_config_static_selectorELNS0_4arch9wavefront6targetE1EEEvT1_, .Lfunc_end647-_ZN7rocprim17ROCPRIM_400000_NS6detail17trampoline_kernelINS0_14default_configENS1_25partition_config_selectorILNS1_17partition_subalgoE8EjNS0_10empty_typeEbEEZZNS1_14partition_implILS5_8ELb0ES3_jPKjPS6_PKS6_NS0_5tupleIJPjS6_EEENSE_IJSB_SB_EEENS0_18inequality_wrapperIN6hipcub16HIPCUB_304000_NS8EqualityEEEPlJS6_EEE10hipError_tPvRmT3_T4_T5_T6_T7_T9_mT8_P12ihipStream_tbDpT10_ENKUlT_T0_E_clISt17integral_constantIbLb0EES16_IbLb1EEEEDaS12_S13_EUlS12_E_NS1_11comp_targetILNS1_3genE9ELNS1_11target_archE1100ELNS1_3gpuE3ELNS1_3repE0EEENS1_30default_config_static_selectorELNS0_4arch9wavefront6targetE1EEEvT1_
                                        ; -- End function
	.section	.AMDGPU.csdata,"",@progbits
; Kernel info:
; codeLenInByte = 0
; NumSgprs: 6
; NumVgprs: 0
; NumAgprs: 0
; TotalNumVgprs: 0
; ScratchSize: 0
; MemoryBound: 0
; FloatMode: 240
; IeeeMode: 1
; LDSByteSize: 0 bytes/workgroup (compile time only)
; SGPRBlocks: 0
; VGPRBlocks: 0
; NumSGPRsForWavesPerEU: 6
; NumVGPRsForWavesPerEU: 1
; AccumOffset: 4
; Occupancy: 8
; WaveLimiterHint : 0
; COMPUTE_PGM_RSRC2:SCRATCH_EN: 0
; COMPUTE_PGM_RSRC2:USER_SGPR: 2
; COMPUTE_PGM_RSRC2:TRAP_HANDLER: 0
; COMPUTE_PGM_RSRC2:TGID_X_EN: 1
; COMPUTE_PGM_RSRC2:TGID_Y_EN: 0
; COMPUTE_PGM_RSRC2:TGID_Z_EN: 0
; COMPUTE_PGM_RSRC2:TIDIG_COMP_CNT: 0
; COMPUTE_PGM_RSRC3_GFX90A:ACCUM_OFFSET: 0
; COMPUTE_PGM_RSRC3_GFX90A:TG_SPLIT: 0
	.section	.text._ZN7rocprim17ROCPRIM_400000_NS6detail17trampoline_kernelINS0_14default_configENS1_25partition_config_selectorILNS1_17partition_subalgoE8EjNS0_10empty_typeEbEEZZNS1_14partition_implILS5_8ELb0ES3_jPKjPS6_PKS6_NS0_5tupleIJPjS6_EEENSE_IJSB_SB_EEENS0_18inequality_wrapperIN6hipcub16HIPCUB_304000_NS8EqualityEEEPlJS6_EEE10hipError_tPvRmT3_T4_T5_T6_T7_T9_mT8_P12ihipStream_tbDpT10_ENKUlT_T0_E_clISt17integral_constantIbLb0EES16_IbLb1EEEEDaS12_S13_EUlS12_E_NS1_11comp_targetILNS1_3genE8ELNS1_11target_archE1030ELNS1_3gpuE2ELNS1_3repE0EEENS1_30default_config_static_selectorELNS0_4arch9wavefront6targetE1EEEvT1_,"axG",@progbits,_ZN7rocprim17ROCPRIM_400000_NS6detail17trampoline_kernelINS0_14default_configENS1_25partition_config_selectorILNS1_17partition_subalgoE8EjNS0_10empty_typeEbEEZZNS1_14partition_implILS5_8ELb0ES3_jPKjPS6_PKS6_NS0_5tupleIJPjS6_EEENSE_IJSB_SB_EEENS0_18inequality_wrapperIN6hipcub16HIPCUB_304000_NS8EqualityEEEPlJS6_EEE10hipError_tPvRmT3_T4_T5_T6_T7_T9_mT8_P12ihipStream_tbDpT10_ENKUlT_T0_E_clISt17integral_constantIbLb0EES16_IbLb1EEEEDaS12_S13_EUlS12_E_NS1_11comp_targetILNS1_3genE8ELNS1_11target_archE1030ELNS1_3gpuE2ELNS1_3repE0EEENS1_30default_config_static_selectorELNS0_4arch9wavefront6targetE1EEEvT1_,comdat
	.protected	_ZN7rocprim17ROCPRIM_400000_NS6detail17trampoline_kernelINS0_14default_configENS1_25partition_config_selectorILNS1_17partition_subalgoE8EjNS0_10empty_typeEbEEZZNS1_14partition_implILS5_8ELb0ES3_jPKjPS6_PKS6_NS0_5tupleIJPjS6_EEENSE_IJSB_SB_EEENS0_18inequality_wrapperIN6hipcub16HIPCUB_304000_NS8EqualityEEEPlJS6_EEE10hipError_tPvRmT3_T4_T5_T6_T7_T9_mT8_P12ihipStream_tbDpT10_ENKUlT_T0_E_clISt17integral_constantIbLb0EES16_IbLb1EEEEDaS12_S13_EUlS12_E_NS1_11comp_targetILNS1_3genE8ELNS1_11target_archE1030ELNS1_3gpuE2ELNS1_3repE0EEENS1_30default_config_static_selectorELNS0_4arch9wavefront6targetE1EEEvT1_ ; -- Begin function _ZN7rocprim17ROCPRIM_400000_NS6detail17trampoline_kernelINS0_14default_configENS1_25partition_config_selectorILNS1_17partition_subalgoE8EjNS0_10empty_typeEbEEZZNS1_14partition_implILS5_8ELb0ES3_jPKjPS6_PKS6_NS0_5tupleIJPjS6_EEENSE_IJSB_SB_EEENS0_18inequality_wrapperIN6hipcub16HIPCUB_304000_NS8EqualityEEEPlJS6_EEE10hipError_tPvRmT3_T4_T5_T6_T7_T9_mT8_P12ihipStream_tbDpT10_ENKUlT_T0_E_clISt17integral_constantIbLb0EES16_IbLb1EEEEDaS12_S13_EUlS12_E_NS1_11comp_targetILNS1_3genE8ELNS1_11target_archE1030ELNS1_3gpuE2ELNS1_3repE0EEENS1_30default_config_static_selectorELNS0_4arch9wavefront6targetE1EEEvT1_
	.globl	_ZN7rocprim17ROCPRIM_400000_NS6detail17trampoline_kernelINS0_14default_configENS1_25partition_config_selectorILNS1_17partition_subalgoE8EjNS0_10empty_typeEbEEZZNS1_14partition_implILS5_8ELb0ES3_jPKjPS6_PKS6_NS0_5tupleIJPjS6_EEENSE_IJSB_SB_EEENS0_18inequality_wrapperIN6hipcub16HIPCUB_304000_NS8EqualityEEEPlJS6_EEE10hipError_tPvRmT3_T4_T5_T6_T7_T9_mT8_P12ihipStream_tbDpT10_ENKUlT_T0_E_clISt17integral_constantIbLb0EES16_IbLb1EEEEDaS12_S13_EUlS12_E_NS1_11comp_targetILNS1_3genE8ELNS1_11target_archE1030ELNS1_3gpuE2ELNS1_3repE0EEENS1_30default_config_static_selectorELNS0_4arch9wavefront6targetE1EEEvT1_
	.p2align	8
	.type	_ZN7rocprim17ROCPRIM_400000_NS6detail17trampoline_kernelINS0_14default_configENS1_25partition_config_selectorILNS1_17partition_subalgoE8EjNS0_10empty_typeEbEEZZNS1_14partition_implILS5_8ELb0ES3_jPKjPS6_PKS6_NS0_5tupleIJPjS6_EEENSE_IJSB_SB_EEENS0_18inequality_wrapperIN6hipcub16HIPCUB_304000_NS8EqualityEEEPlJS6_EEE10hipError_tPvRmT3_T4_T5_T6_T7_T9_mT8_P12ihipStream_tbDpT10_ENKUlT_T0_E_clISt17integral_constantIbLb0EES16_IbLb1EEEEDaS12_S13_EUlS12_E_NS1_11comp_targetILNS1_3genE8ELNS1_11target_archE1030ELNS1_3gpuE2ELNS1_3repE0EEENS1_30default_config_static_selectorELNS0_4arch9wavefront6targetE1EEEvT1_,@function
_ZN7rocprim17ROCPRIM_400000_NS6detail17trampoline_kernelINS0_14default_configENS1_25partition_config_selectorILNS1_17partition_subalgoE8EjNS0_10empty_typeEbEEZZNS1_14partition_implILS5_8ELb0ES3_jPKjPS6_PKS6_NS0_5tupleIJPjS6_EEENSE_IJSB_SB_EEENS0_18inequality_wrapperIN6hipcub16HIPCUB_304000_NS8EqualityEEEPlJS6_EEE10hipError_tPvRmT3_T4_T5_T6_T7_T9_mT8_P12ihipStream_tbDpT10_ENKUlT_T0_E_clISt17integral_constantIbLb0EES16_IbLb1EEEEDaS12_S13_EUlS12_E_NS1_11comp_targetILNS1_3genE8ELNS1_11target_archE1030ELNS1_3gpuE2ELNS1_3repE0EEENS1_30default_config_static_selectorELNS0_4arch9wavefront6targetE1EEEvT1_: ; @_ZN7rocprim17ROCPRIM_400000_NS6detail17trampoline_kernelINS0_14default_configENS1_25partition_config_selectorILNS1_17partition_subalgoE8EjNS0_10empty_typeEbEEZZNS1_14partition_implILS5_8ELb0ES3_jPKjPS6_PKS6_NS0_5tupleIJPjS6_EEENSE_IJSB_SB_EEENS0_18inequality_wrapperIN6hipcub16HIPCUB_304000_NS8EqualityEEEPlJS6_EEE10hipError_tPvRmT3_T4_T5_T6_T7_T9_mT8_P12ihipStream_tbDpT10_ENKUlT_T0_E_clISt17integral_constantIbLb0EES16_IbLb1EEEEDaS12_S13_EUlS12_E_NS1_11comp_targetILNS1_3genE8ELNS1_11target_archE1030ELNS1_3gpuE2ELNS1_3repE0EEENS1_30default_config_static_selectorELNS0_4arch9wavefront6targetE1EEEvT1_
; %bb.0:
	.section	.rodata,"a",@progbits
	.p2align	6, 0x0
	.amdhsa_kernel _ZN7rocprim17ROCPRIM_400000_NS6detail17trampoline_kernelINS0_14default_configENS1_25partition_config_selectorILNS1_17partition_subalgoE8EjNS0_10empty_typeEbEEZZNS1_14partition_implILS5_8ELb0ES3_jPKjPS6_PKS6_NS0_5tupleIJPjS6_EEENSE_IJSB_SB_EEENS0_18inequality_wrapperIN6hipcub16HIPCUB_304000_NS8EqualityEEEPlJS6_EEE10hipError_tPvRmT3_T4_T5_T6_T7_T9_mT8_P12ihipStream_tbDpT10_ENKUlT_T0_E_clISt17integral_constantIbLb0EES16_IbLb1EEEEDaS12_S13_EUlS12_E_NS1_11comp_targetILNS1_3genE8ELNS1_11target_archE1030ELNS1_3gpuE2ELNS1_3repE0EEENS1_30default_config_static_selectorELNS0_4arch9wavefront6targetE1EEEvT1_
		.amdhsa_group_segment_fixed_size 0
		.amdhsa_private_segment_fixed_size 0
		.amdhsa_kernarg_size 128
		.amdhsa_user_sgpr_count 2
		.amdhsa_user_sgpr_dispatch_ptr 0
		.amdhsa_user_sgpr_queue_ptr 0
		.amdhsa_user_sgpr_kernarg_segment_ptr 1
		.amdhsa_user_sgpr_dispatch_id 0
		.amdhsa_user_sgpr_kernarg_preload_length 0
		.amdhsa_user_sgpr_kernarg_preload_offset 0
		.amdhsa_user_sgpr_private_segment_size 0
		.amdhsa_uses_dynamic_stack 0
		.amdhsa_enable_private_segment 0
		.amdhsa_system_sgpr_workgroup_id_x 1
		.amdhsa_system_sgpr_workgroup_id_y 0
		.amdhsa_system_sgpr_workgroup_id_z 0
		.amdhsa_system_sgpr_workgroup_info 0
		.amdhsa_system_vgpr_workitem_id 0
		.amdhsa_next_free_vgpr 1
		.amdhsa_next_free_sgpr 0
		.amdhsa_accum_offset 4
		.amdhsa_reserve_vcc 0
		.amdhsa_float_round_mode_32 0
		.amdhsa_float_round_mode_16_64 0
		.amdhsa_float_denorm_mode_32 3
		.amdhsa_float_denorm_mode_16_64 3
		.amdhsa_dx10_clamp 1
		.amdhsa_ieee_mode 1
		.amdhsa_fp16_overflow 0
		.amdhsa_tg_split 0
		.amdhsa_exception_fp_ieee_invalid_op 0
		.amdhsa_exception_fp_denorm_src 0
		.amdhsa_exception_fp_ieee_div_zero 0
		.amdhsa_exception_fp_ieee_overflow 0
		.amdhsa_exception_fp_ieee_underflow 0
		.amdhsa_exception_fp_ieee_inexact 0
		.amdhsa_exception_int_div_zero 0
	.end_amdhsa_kernel
	.section	.text._ZN7rocprim17ROCPRIM_400000_NS6detail17trampoline_kernelINS0_14default_configENS1_25partition_config_selectorILNS1_17partition_subalgoE8EjNS0_10empty_typeEbEEZZNS1_14partition_implILS5_8ELb0ES3_jPKjPS6_PKS6_NS0_5tupleIJPjS6_EEENSE_IJSB_SB_EEENS0_18inequality_wrapperIN6hipcub16HIPCUB_304000_NS8EqualityEEEPlJS6_EEE10hipError_tPvRmT3_T4_T5_T6_T7_T9_mT8_P12ihipStream_tbDpT10_ENKUlT_T0_E_clISt17integral_constantIbLb0EES16_IbLb1EEEEDaS12_S13_EUlS12_E_NS1_11comp_targetILNS1_3genE8ELNS1_11target_archE1030ELNS1_3gpuE2ELNS1_3repE0EEENS1_30default_config_static_selectorELNS0_4arch9wavefront6targetE1EEEvT1_,"axG",@progbits,_ZN7rocprim17ROCPRIM_400000_NS6detail17trampoline_kernelINS0_14default_configENS1_25partition_config_selectorILNS1_17partition_subalgoE8EjNS0_10empty_typeEbEEZZNS1_14partition_implILS5_8ELb0ES3_jPKjPS6_PKS6_NS0_5tupleIJPjS6_EEENSE_IJSB_SB_EEENS0_18inequality_wrapperIN6hipcub16HIPCUB_304000_NS8EqualityEEEPlJS6_EEE10hipError_tPvRmT3_T4_T5_T6_T7_T9_mT8_P12ihipStream_tbDpT10_ENKUlT_T0_E_clISt17integral_constantIbLb0EES16_IbLb1EEEEDaS12_S13_EUlS12_E_NS1_11comp_targetILNS1_3genE8ELNS1_11target_archE1030ELNS1_3gpuE2ELNS1_3repE0EEENS1_30default_config_static_selectorELNS0_4arch9wavefront6targetE1EEEvT1_,comdat
.Lfunc_end648:
	.size	_ZN7rocprim17ROCPRIM_400000_NS6detail17trampoline_kernelINS0_14default_configENS1_25partition_config_selectorILNS1_17partition_subalgoE8EjNS0_10empty_typeEbEEZZNS1_14partition_implILS5_8ELb0ES3_jPKjPS6_PKS6_NS0_5tupleIJPjS6_EEENSE_IJSB_SB_EEENS0_18inequality_wrapperIN6hipcub16HIPCUB_304000_NS8EqualityEEEPlJS6_EEE10hipError_tPvRmT3_T4_T5_T6_T7_T9_mT8_P12ihipStream_tbDpT10_ENKUlT_T0_E_clISt17integral_constantIbLb0EES16_IbLb1EEEEDaS12_S13_EUlS12_E_NS1_11comp_targetILNS1_3genE8ELNS1_11target_archE1030ELNS1_3gpuE2ELNS1_3repE0EEENS1_30default_config_static_selectorELNS0_4arch9wavefront6targetE1EEEvT1_, .Lfunc_end648-_ZN7rocprim17ROCPRIM_400000_NS6detail17trampoline_kernelINS0_14default_configENS1_25partition_config_selectorILNS1_17partition_subalgoE8EjNS0_10empty_typeEbEEZZNS1_14partition_implILS5_8ELb0ES3_jPKjPS6_PKS6_NS0_5tupleIJPjS6_EEENSE_IJSB_SB_EEENS0_18inequality_wrapperIN6hipcub16HIPCUB_304000_NS8EqualityEEEPlJS6_EEE10hipError_tPvRmT3_T4_T5_T6_T7_T9_mT8_P12ihipStream_tbDpT10_ENKUlT_T0_E_clISt17integral_constantIbLb0EES16_IbLb1EEEEDaS12_S13_EUlS12_E_NS1_11comp_targetILNS1_3genE8ELNS1_11target_archE1030ELNS1_3gpuE2ELNS1_3repE0EEENS1_30default_config_static_selectorELNS0_4arch9wavefront6targetE1EEEvT1_
                                        ; -- End function
	.section	.AMDGPU.csdata,"",@progbits
; Kernel info:
; codeLenInByte = 0
; NumSgprs: 6
; NumVgprs: 0
; NumAgprs: 0
; TotalNumVgprs: 0
; ScratchSize: 0
; MemoryBound: 0
; FloatMode: 240
; IeeeMode: 1
; LDSByteSize: 0 bytes/workgroup (compile time only)
; SGPRBlocks: 0
; VGPRBlocks: 0
; NumSGPRsForWavesPerEU: 6
; NumVGPRsForWavesPerEU: 1
; AccumOffset: 4
; Occupancy: 8
; WaveLimiterHint : 0
; COMPUTE_PGM_RSRC2:SCRATCH_EN: 0
; COMPUTE_PGM_RSRC2:USER_SGPR: 2
; COMPUTE_PGM_RSRC2:TRAP_HANDLER: 0
; COMPUTE_PGM_RSRC2:TGID_X_EN: 1
; COMPUTE_PGM_RSRC2:TGID_Y_EN: 0
; COMPUTE_PGM_RSRC2:TGID_Z_EN: 0
; COMPUTE_PGM_RSRC2:TIDIG_COMP_CNT: 0
; COMPUTE_PGM_RSRC3_GFX90A:ACCUM_OFFSET: 0
; COMPUTE_PGM_RSRC3_GFX90A:TG_SPLIT: 0
	.section	.text._ZN7rocprim17ROCPRIM_400000_NS6detail17trampoline_kernelINS0_14default_configENS1_33run_length_encode_config_selectorIjjNS0_4plusIjEEEEZZNS1_33reduce_by_key_impl_wrapped_configILNS1_25lookback_scan_determinismE0ES3_S7_PKjNS0_17constant_iteratorIjlEEPjPlSF_S6_NS0_8equal_toIjEEEE10hipError_tPvRmT2_T3_mT4_T5_T6_T7_T8_P12ihipStream_tbENKUlT_T0_E_clISt17integral_constantIbLb0EESZ_EEDaSU_SV_EUlSU_E_NS1_11comp_targetILNS1_3genE0ELNS1_11target_archE4294967295ELNS1_3gpuE0ELNS1_3repE0EEENS1_30default_config_static_selectorELNS0_4arch9wavefront6targetE1EEEvT1_,"axG",@progbits,_ZN7rocprim17ROCPRIM_400000_NS6detail17trampoline_kernelINS0_14default_configENS1_33run_length_encode_config_selectorIjjNS0_4plusIjEEEEZZNS1_33reduce_by_key_impl_wrapped_configILNS1_25lookback_scan_determinismE0ES3_S7_PKjNS0_17constant_iteratorIjlEEPjPlSF_S6_NS0_8equal_toIjEEEE10hipError_tPvRmT2_T3_mT4_T5_T6_T7_T8_P12ihipStream_tbENKUlT_T0_E_clISt17integral_constantIbLb0EESZ_EEDaSU_SV_EUlSU_E_NS1_11comp_targetILNS1_3genE0ELNS1_11target_archE4294967295ELNS1_3gpuE0ELNS1_3repE0EEENS1_30default_config_static_selectorELNS0_4arch9wavefront6targetE1EEEvT1_,comdat
	.protected	_ZN7rocprim17ROCPRIM_400000_NS6detail17trampoline_kernelINS0_14default_configENS1_33run_length_encode_config_selectorIjjNS0_4plusIjEEEEZZNS1_33reduce_by_key_impl_wrapped_configILNS1_25lookback_scan_determinismE0ES3_S7_PKjNS0_17constant_iteratorIjlEEPjPlSF_S6_NS0_8equal_toIjEEEE10hipError_tPvRmT2_T3_mT4_T5_T6_T7_T8_P12ihipStream_tbENKUlT_T0_E_clISt17integral_constantIbLb0EESZ_EEDaSU_SV_EUlSU_E_NS1_11comp_targetILNS1_3genE0ELNS1_11target_archE4294967295ELNS1_3gpuE0ELNS1_3repE0EEENS1_30default_config_static_selectorELNS0_4arch9wavefront6targetE1EEEvT1_ ; -- Begin function _ZN7rocprim17ROCPRIM_400000_NS6detail17trampoline_kernelINS0_14default_configENS1_33run_length_encode_config_selectorIjjNS0_4plusIjEEEEZZNS1_33reduce_by_key_impl_wrapped_configILNS1_25lookback_scan_determinismE0ES3_S7_PKjNS0_17constant_iteratorIjlEEPjPlSF_S6_NS0_8equal_toIjEEEE10hipError_tPvRmT2_T3_mT4_T5_T6_T7_T8_P12ihipStream_tbENKUlT_T0_E_clISt17integral_constantIbLb0EESZ_EEDaSU_SV_EUlSU_E_NS1_11comp_targetILNS1_3genE0ELNS1_11target_archE4294967295ELNS1_3gpuE0ELNS1_3repE0EEENS1_30default_config_static_selectorELNS0_4arch9wavefront6targetE1EEEvT1_
	.globl	_ZN7rocprim17ROCPRIM_400000_NS6detail17trampoline_kernelINS0_14default_configENS1_33run_length_encode_config_selectorIjjNS0_4plusIjEEEEZZNS1_33reduce_by_key_impl_wrapped_configILNS1_25lookback_scan_determinismE0ES3_S7_PKjNS0_17constant_iteratorIjlEEPjPlSF_S6_NS0_8equal_toIjEEEE10hipError_tPvRmT2_T3_mT4_T5_T6_T7_T8_P12ihipStream_tbENKUlT_T0_E_clISt17integral_constantIbLb0EESZ_EEDaSU_SV_EUlSU_E_NS1_11comp_targetILNS1_3genE0ELNS1_11target_archE4294967295ELNS1_3gpuE0ELNS1_3repE0EEENS1_30default_config_static_selectorELNS0_4arch9wavefront6targetE1EEEvT1_
	.p2align	8
	.type	_ZN7rocprim17ROCPRIM_400000_NS6detail17trampoline_kernelINS0_14default_configENS1_33run_length_encode_config_selectorIjjNS0_4plusIjEEEEZZNS1_33reduce_by_key_impl_wrapped_configILNS1_25lookback_scan_determinismE0ES3_S7_PKjNS0_17constant_iteratorIjlEEPjPlSF_S6_NS0_8equal_toIjEEEE10hipError_tPvRmT2_T3_mT4_T5_T6_T7_T8_P12ihipStream_tbENKUlT_T0_E_clISt17integral_constantIbLb0EESZ_EEDaSU_SV_EUlSU_E_NS1_11comp_targetILNS1_3genE0ELNS1_11target_archE4294967295ELNS1_3gpuE0ELNS1_3repE0EEENS1_30default_config_static_selectorELNS0_4arch9wavefront6targetE1EEEvT1_,@function
_ZN7rocprim17ROCPRIM_400000_NS6detail17trampoline_kernelINS0_14default_configENS1_33run_length_encode_config_selectorIjjNS0_4plusIjEEEEZZNS1_33reduce_by_key_impl_wrapped_configILNS1_25lookback_scan_determinismE0ES3_S7_PKjNS0_17constant_iteratorIjlEEPjPlSF_S6_NS0_8equal_toIjEEEE10hipError_tPvRmT2_T3_mT4_T5_T6_T7_T8_P12ihipStream_tbENKUlT_T0_E_clISt17integral_constantIbLb0EESZ_EEDaSU_SV_EUlSU_E_NS1_11comp_targetILNS1_3genE0ELNS1_11target_archE4294967295ELNS1_3gpuE0ELNS1_3repE0EEENS1_30default_config_static_selectorELNS0_4arch9wavefront6targetE1EEEvT1_: ; @_ZN7rocprim17ROCPRIM_400000_NS6detail17trampoline_kernelINS0_14default_configENS1_33run_length_encode_config_selectorIjjNS0_4plusIjEEEEZZNS1_33reduce_by_key_impl_wrapped_configILNS1_25lookback_scan_determinismE0ES3_S7_PKjNS0_17constant_iteratorIjlEEPjPlSF_S6_NS0_8equal_toIjEEEE10hipError_tPvRmT2_T3_mT4_T5_T6_T7_T8_P12ihipStream_tbENKUlT_T0_E_clISt17integral_constantIbLb0EESZ_EEDaSU_SV_EUlSU_E_NS1_11comp_targetILNS1_3genE0ELNS1_11target_archE4294967295ELNS1_3gpuE0ELNS1_3repE0EEENS1_30default_config_static_selectorELNS0_4arch9wavefront6targetE1EEEvT1_
; %bb.0:
	.section	.rodata,"a",@progbits
	.p2align	6, 0x0
	.amdhsa_kernel _ZN7rocprim17ROCPRIM_400000_NS6detail17trampoline_kernelINS0_14default_configENS1_33run_length_encode_config_selectorIjjNS0_4plusIjEEEEZZNS1_33reduce_by_key_impl_wrapped_configILNS1_25lookback_scan_determinismE0ES3_S7_PKjNS0_17constant_iteratorIjlEEPjPlSF_S6_NS0_8equal_toIjEEEE10hipError_tPvRmT2_T3_mT4_T5_T6_T7_T8_P12ihipStream_tbENKUlT_T0_E_clISt17integral_constantIbLb0EESZ_EEDaSU_SV_EUlSU_E_NS1_11comp_targetILNS1_3genE0ELNS1_11target_archE4294967295ELNS1_3gpuE0ELNS1_3repE0EEENS1_30default_config_static_selectorELNS0_4arch9wavefront6targetE1EEEvT1_
		.amdhsa_group_segment_fixed_size 0
		.amdhsa_private_segment_fixed_size 0
		.amdhsa_kernarg_size 128
		.amdhsa_user_sgpr_count 2
		.amdhsa_user_sgpr_dispatch_ptr 0
		.amdhsa_user_sgpr_queue_ptr 0
		.amdhsa_user_sgpr_kernarg_segment_ptr 1
		.amdhsa_user_sgpr_dispatch_id 0
		.amdhsa_user_sgpr_kernarg_preload_length 0
		.amdhsa_user_sgpr_kernarg_preload_offset 0
		.amdhsa_user_sgpr_private_segment_size 0
		.amdhsa_uses_dynamic_stack 0
		.amdhsa_enable_private_segment 0
		.amdhsa_system_sgpr_workgroup_id_x 1
		.amdhsa_system_sgpr_workgroup_id_y 0
		.amdhsa_system_sgpr_workgroup_id_z 0
		.amdhsa_system_sgpr_workgroup_info 0
		.amdhsa_system_vgpr_workitem_id 0
		.amdhsa_next_free_vgpr 1
		.amdhsa_next_free_sgpr 0
		.amdhsa_accum_offset 4
		.amdhsa_reserve_vcc 0
		.amdhsa_float_round_mode_32 0
		.amdhsa_float_round_mode_16_64 0
		.amdhsa_float_denorm_mode_32 3
		.amdhsa_float_denorm_mode_16_64 3
		.amdhsa_dx10_clamp 1
		.amdhsa_ieee_mode 1
		.amdhsa_fp16_overflow 0
		.amdhsa_tg_split 0
		.amdhsa_exception_fp_ieee_invalid_op 0
		.amdhsa_exception_fp_denorm_src 0
		.amdhsa_exception_fp_ieee_div_zero 0
		.amdhsa_exception_fp_ieee_overflow 0
		.amdhsa_exception_fp_ieee_underflow 0
		.amdhsa_exception_fp_ieee_inexact 0
		.amdhsa_exception_int_div_zero 0
	.end_amdhsa_kernel
	.section	.text._ZN7rocprim17ROCPRIM_400000_NS6detail17trampoline_kernelINS0_14default_configENS1_33run_length_encode_config_selectorIjjNS0_4plusIjEEEEZZNS1_33reduce_by_key_impl_wrapped_configILNS1_25lookback_scan_determinismE0ES3_S7_PKjNS0_17constant_iteratorIjlEEPjPlSF_S6_NS0_8equal_toIjEEEE10hipError_tPvRmT2_T3_mT4_T5_T6_T7_T8_P12ihipStream_tbENKUlT_T0_E_clISt17integral_constantIbLb0EESZ_EEDaSU_SV_EUlSU_E_NS1_11comp_targetILNS1_3genE0ELNS1_11target_archE4294967295ELNS1_3gpuE0ELNS1_3repE0EEENS1_30default_config_static_selectorELNS0_4arch9wavefront6targetE1EEEvT1_,"axG",@progbits,_ZN7rocprim17ROCPRIM_400000_NS6detail17trampoline_kernelINS0_14default_configENS1_33run_length_encode_config_selectorIjjNS0_4plusIjEEEEZZNS1_33reduce_by_key_impl_wrapped_configILNS1_25lookback_scan_determinismE0ES3_S7_PKjNS0_17constant_iteratorIjlEEPjPlSF_S6_NS0_8equal_toIjEEEE10hipError_tPvRmT2_T3_mT4_T5_T6_T7_T8_P12ihipStream_tbENKUlT_T0_E_clISt17integral_constantIbLb0EESZ_EEDaSU_SV_EUlSU_E_NS1_11comp_targetILNS1_3genE0ELNS1_11target_archE4294967295ELNS1_3gpuE0ELNS1_3repE0EEENS1_30default_config_static_selectorELNS0_4arch9wavefront6targetE1EEEvT1_,comdat
.Lfunc_end649:
	.size	_ZN7rocprim17ROCPRIM_400000_NS6detail17trampoline_kernelINS0_14default_configENS1_33run_length_encode_config_selectorIjjNS0_4plusIjEEEEZZNS1_33reduce_by_key_impl_wrapped_configILNS1_25lookback_scan_determinismE0ES3_S7_PKjNS0_17constant_iteratorIjlEEPjPlSF_S6_NS0_8equal_toIjEEEE10hipError_tPvRmT2_T3_mT4_T5_T6_T7_T8_P12ihipStream_tbENKUlT_T0_E_clISt17integral_constantIbLb0EESZ_EEDaSU_SV_EUlSU_E_NS1_11comp_targetILNS1_3genE0ELNS1_11target_archE4294967295ELNS1_3gpuE0ELNS1_3repE0EEENS1_30default_config_static_selectorELNS0_4arch9wavefront6targetE1EEEvT1_, .Lfunc_end649-_ZN7rocprim17ROCPRIM_400000_NS6detail17trampoline_kernelINS0_14default_configENS1_33run_length_encode_config_selectorIjjNS0_4plusIjEEEEZZNS1_33reduce_by_key_impl_wrapped_configILNS1_25lookback_scan_determinismE0ES3_S7_PKjNS0_17constant_iteratorIjlEEPjPlSF_S6_NS0_8equal_toIjEEEE10hipError_tPvRmT2_T3_mT4_T5_T6_T7_T8_P12ihipStream_tbENKUlT_T0_E_clISt17integral_constantIbLb0EESZ_EEDaSU_SV_EUlSU_E_NS1_11comp_targetILNS1_3genE0ELNS1_11target_archE4294967295ELNS1_3gpuE0ELNS1_3repE0EEENS1_30default_config_static_selectorELNS0_4arch9wavefront6targetE1EEEvT1_
                                        ; -- End function
	.section	.AMDGPU.csdata,"",@progbits
; Kernel info:
; codeLenInByte = 0
; NumSgprs: 6
; NumVgprs: 0
; NumAgprs: 0
; TotalNumVgprs: 0
; ScratchSize: 0
; MemoryBound: 0
; FloatMode: 240
; IeeeMode: 1
; LDSByteSize: 0 bytes/workgroup (compile time only)
; SGPRBlocks: 0
; VGPRBlocks: 0
; NumSGPRsForWavesPerEU: 6
; NumVGPRsForWavesPerEU: 1
; AccumOffset: 4
; Occupancy: 8
; WaveLimiterHint : 0
; COMPUTE_PGM_RSRC2:SCRATCH_EN: 0
; COMPUTE_PGM_RSRC2:USER_SGPR: 2
; COMPUTE_PGM_RSRC2:TRAP_HANDLER: 0
; COMPUTE_PGM_RSRC2:TGID_X_EN: 1
; COMPUTE_PGM_RSRC2:TGID_Y_EN: 0
; COMPUTE_PGM_RSRC2:TGID_Z_EN: 0
; COMPUTE_PGM_RSRC2:TIDIG_COMP_CNT: 0
; COMPUTE_PGM_RSRC3_GFX90A:ACCUM_OFFSET: 0
; COMPUTE_PGM_RSRC3_GFX90A:TG_SPLIT: 0
	.section	.text._ZN7rocprim17ROCPRIM_400000_NS6detail17trampoline_kernelINS0_14default_configENS1_33run_length_encode_config_selectorIjjNS0_4plusIjEEEEZZNS1_33reduce_by_key_impl_wrapped_configILNS1_25lookback_scan_determinismE0ES3_S7_PKjNS0_17constant_iteratorIjlEEPjPlSF_S6_NS0_8equal_toIjEEEE10hipError_tPvRmT2_T3_mT4_T5_T6_T7_T8_P12ihipStream_tbENKUlT_T0_E_clISt17integral_constantIbLb0EESZ_EEDaSU_SV_EUlSU_E_NS1_11comp_targetILNS1_3genE5ELNS1_11target_archE942ELNS1_3gpuE9ELNS1_3repE0EEENS1_30default_config_static_selectorELNS0_4arch9wavefront6targetE1EEEvT1_,"axG",@progbits,_ZN7rocprim17ROCPRIM_400000_NS6detail17trampoline_kernelINS0_14default_configENS1_33run_length_encode_config_selectorIjjNS0_4plusIjEEEEZZNS1_33reduce_by_key_impl_wrapped_configILNS1_25lookback_scan_determinismE0ES3_S7_PKjNS0_17constant_iteratorIjlEEPjPlSF_S6_NS0_8equal_toIjEEEE10hipError_tPvRmT2_T3_mT4_T5_T6_T7_T8_P12ihipStream_tbENKUlT_T0_E_clISt17integral_constantIbLb0EESZ_EEDaSU_SV_EUlSU_E_NS1_11comp_targetILNS1_3genE5ELNS1_11target_archE942ELNS1_3gpuE9ELNS1_3repE0EEENS1_30default_config_static_selectorELNS0_4arch9wavefront6targetE1EEEvT1_,comdat
	.protected	_ZN7rocprim17ROCPRIM_400000_NS6detail17trampoline_kernelINS0_14default_configENS1_33run_length_encode_config_selectorIjjNS0_4plusIjEEEEZZNS1_33reduce_by_key_impl_wrapped_configILNS1_25lookback_scan_determinismE0ES3_S7_PKjNS0_17constant_iteratorIjlEEPjPlSF_S6_NS0_8equal_toIjEEEE10hipError_tPvRmT2_T3_mT4_T5_T6_T7_T8_P12ihipStream_tbENKUlT_T0_E_clISt17integral_constantIbLb0EESZ_EEDaSU_SV_EUlSU_E_NS1_11comp_targetILNS1_3genE5ELNS1_11target_archE942ELNS1_3gpuE9ELNS1_3repE0EEENS1_30default_config_static_selectorELNS0_4arch9wavefront6targetE1EEEvT1_ ; -- Begin function _ZN7rocprim17ROCPRIM_400000_NS6detail17trampoline_kernelINS0_14default_configENS1_33run_length_encode_config_selectorIjjNS0_4plusIjEEEEZZNS1_33reduce_by_key_impl_wrapped_configILNS1_25lookback_scan_determinismE0ES3_S7_PKjNS0_17constant_iteratorIjlEEPjPlSF_S6_NS0_8equal_toIjEEEE10hipError_tPvRmT2_T3_mT4_T5_T6_T7_T8_P12ihipStream_tbENKUlT_T0_E_clISt17integral_constantIbLb0EESZ_EEDaSU_SV_EUlSU_E_NS1_11comp_targetILNS1_3genE5ELNS1_11target_archE942ELNS1_3gpuE9ELNS1_3repE0EEENS1_30default_config_static_selectorELNS0_4arch9wavefront6targetE1EEEvT1_
	.globl	_ZN7rocprim17ROCPRIM_400000_NS6detail17trampoline_kernelINS0_14default_configENS1_33run_length_encode_config_selectorIjjNS0_4plusIjEEEEZZNS1_33reduce_by_key_impl_wrapped_configILNS1_25lookback_scan_determinismE0ES3_S7_PKjNS0_17constant_iteratorIjlEEPjPlSF_S6_NS0_8equal_toIjEEEE10hipError_tPvRmT2_T3_mT4_T5_T6_T7_T8_P12ihipStream_tbENKUlT_T0_E_clISt17integral_constantIbLb0EESZ_EEDaSU_SV_EUlSU_E_NS1_11comp_targetILNS1_3genE5ELNS1_11target_archE942ELNS1_3gpuE9ELNS1_3repE0EEENS1_30default_config_static_selectorELNS0_4arch9wavefront6targetE1EEEvT1_
	.p2align	8
	.type	_ZN7rocprim17ROCPRIM_400000_NS6detail17trampoline_kernelINS0_14default_configENS1_33run_length_encode_config_selectorIjjNS0_4plusIjEEEEZZNS1_33reduce_by_key_impl_wrapped_configILNS1_25lookback_scan_determinismE0ES3_S7_PKjNS0_17constant_iteratorIjlEEPjPlSF_S6_NS0_8equal_toIjEEEE10hipError_tPvRmT2_T3_mT4_T5_T6_T7_T8_P12ihipStream_tbENKUlT_T0_E_clISt17integral_constantIbLb0EESZ_EEDaSU_SV_EUlSU_E_NS1_11comp_targetILNS1_3genE5ELNS1_11target_archE942ELNS1_3gpuE9ELNS1_3repE0EEENS1_30default_config_static_selectorELNS0_4arch9wavefront6targetE1EEEvT1_,@function
_ZN7rocprim17ROCPRIM_400000_NS6detail17trampoline_kernelINS0_14default_configENS1_33run_length_encode_config_selectorIjjNS0_4plusIjEEEEZZNS1_33reduce_by_key_impl_wrapped_configILNS1_25lookback_scan_determinismE0ES3_S7_PKjNS0_17constant_iteratorIjlEEPjPlSF_S6_NS0_8equal_toIjEEEE10hipError_tPvRmT2_T3_mT4_T5_T6_T7_T8_P12ihipStream_tbENKUlT_T0_E_clISt17integral_constantIbLb0EESZ_EEDaSU_SV_EUlSU_E_NS1_11comp_targetILNS1_3genE5ELNS1_11target_archE942ELNS1_3gpuE9ELNS1_3repE0EEENS1_30default_config_static_selectorELNS0_4arch9wavefront6targetE1EEEvT1_: ; @_ZN7rocprim17ROCPRIM_400000_NS6detail17trampoline_kernelINS0_14default_configENS1_33run_length_encode_config_selectorIjjNS0_4plusIjEEEEZZNS1_33reduce_by_key_impl_wrapped_configILNS1_25lookback_scan_determinismE0ES3_S7_PKjNS0_17constant_iteratorIjlEEPjPlSF_S6_NS0_8equal_toIjEEEE10hipError_tPvRmT2_T3_mT4_T5_T6_T7_T8_P12ihipStream_tbENKUlT_T0_E_clISt17integral_constantIbLb0EESZ_EEDaSU_SV_EUlSU_E_NS1_11comp_targetILNS1_3genE5ELNS1_11target_archE942ELNS1_3gpuE9ELNS1_3repE0EEENS1_30default_config_static_selectorELNS0_4arch9wavefront6targetE1EEEvT1_
; %bb.0:
	s_load_dwordx8 s[36:43], s[0:1], 0x40
	s_load_dwordx4 s[4:7], s[0:1], 0x0
	s_load_dword s3, s[0:1], 0x10
	s_load_dwordx4 s[44:47], s[0:1], 0x60
	s_mov_b64 s[10:11], -1
	s_waitcnt lgkmcnt(0)
	s_mul_i32 s8, s40, s39
	s_mul_hi_u32 s9, s40, s38
	s_add_i32 s8, s9, s8
	s_mul_i32 s9, s41, s38
	s_add_i32 s8, s8, s9
	s_lshl_b64 s[6:7], s[6:7], 2
	s_add_u32 s6, s4, s6
	s_addc_u32 s7, s5, s7
	s_mul_i32 s4, s2, 0x1e00
	s_mov_b32 s5, 0
	s_lshl_b64 s[4:5], s[4:5], 2
	s_mul_i32 s9, s40, s38
	s_add_u32 s40, s6, s4
	s_addc_u32 s41, s7, s5
	s_add_u32 s4, s9, s2
	s_addc_u32 s5, s8, 0
	s_add_u32 s8, s42, -1
	s_addc_u32 s9, s43, -1
	s_cmp_eq_u64 s[4:5], s[8:9]
	s_cselect_b64 s[48:49], -1, 0
	s_cmp_lg_u64 s[4:5], s[8:9]
	s_cselect_b64 s[6:7], -1, 0
	s_mul_i32 s33, s8, 0xffffe200
	s_and_b64 vcc, exec, s[48:49]
	s_cbranch_vccnz .LBB650_2
; %bb.1:
	v_lshlrev_b32_e32 v2, 2, v0
	v_mov_b32_e32 v3, 0
	v_lshl_add_u64 v[4:5], s[40:41], 0, v[2:3]
	v_add_co_u32_e32 v6, vcc, 0x1000, v4
	global_load_dword v1, v2, s[40:41]
	global_load_dword v3, v2, s[40:41] offset:2048
	v_addc_co_u32_e32 v7, vcc, 0, v5, vcc
	v_add_co_u32_e32 v8, vcc, 0x2000, v4
	s_nop 1
	v_addc_co_u32_e32 v9, vcc, 0, v5, vcc
	v_add_co_u32_e32 v10, vcc, 0x3000, v4
	s_mov_b64 s[8:9], -1
	s_nop 0
	v_addc_co_u32_e32 v11, vcc, 0, v5, vcc
	v_add_co_u32_e32 v12, vcc, 0x4000, v4
	s_nop 1
	v_addc_co_u32_e32 v13, vcc, 0, v5, vcc
	global_load_dword v14, v[6:7], off
	global_load_dword v15, v[6:7], off offset:2048
	global_load_dword v16, v[8:9], off
	global_load_dword v17, v[8:9], off offset:2048
	;; [unrolled: 2-line block ×4, first 2 shown]
	v_add_co_u32_e32 v6, vcc, 0x5000, v4
	s_nop 1
	v_addc_co_u32_e32 v7, vcc, 0, v5, vcc
	v_add_co_u32_e32 v8, vcc, 0x6000, v4
	s_nop 1
	v_addc_co_u32_e32 v9, vcc, 0, v5, vcc
	global_load_dword v10, v[6:7], off
	global_load_dword v11, v[6:7], off offset:2048
	global_load_dword v12, v[8:9], off
	global_load_dword v13, v[8:9], off offset:2048
	v_add_co_u32_e32 v4, vcc, 0x7000, v4
	s_nop 1
	v_addc_co_u32_e32 v5, vcc, 0, v5, vcc
	global_load_dword v4, v[4:5], off
	v_mad_u32_u24 v5, v0, 56, v2
	s_waitcnt vmcnt(13)
	ds_write2st64_b32 v2, v1, v3 offset1:8
	s_waitcnt vmcnt(11)
	ds_write2st64_b32 v2, v14, v15 offset0:16 offset1:24
	s_waitcnt vmcnt(9)
	ds_write2st64_b32 v2, v16, v17 offset0:32 offset1:40
	;; [unrolled: 2-line block ×6, first 2 shown]
	s_waitcnt vmcnt(0)
	ds_write_b32 v2, v4 offset:28672
	s_waitcnt lgkmcnt(0)
	s_barrier
	ds_read2_b32 v[20:21], v5 offset1:1
	ds_read2_b32 v[18:19], v5 offset0:2 offset1:3
	ds_read2_b32 v[16:17], v5 offset0:4 offset1:5
	;; [unrolled: 1-line block ×6, first 2 shown]
	ds_read_b32 v1, v5 offset:56
	s_waitcnt lgkmcnt(7)
	v_mov_b32_e32 v22, v20
	s_waitcnt lgkmcnt(6)
	v_mov_b32_e32 v23, v18
	;; [unrolled: 2-line block ×7, first 2 shown]
	s_add_i32 s33, s33, s44
	s_cbranch_execz .LBB650_3
	s_branch .LBB650_34
.LBB650_2:
	s_mov_b64 s[8:9], 0
                                        ; implicit-def: $vgpr1
                                        ; implicit-def: $vgpr8
                                        ; implicit-def: $vgpr10
                                        ; implicit-def: $vgpr12
                                        ; implicit-def: $vgpr14
                                        ; implicit-def: $vgpr16
                                        ; implicit-def: $vgpr18
                                        ; implicit-def: $vgpr20
                                        ; implicit-def: $vgpr2_vgpr3
                                        ; implicit-def: $vgpr4_vgpr5
                                        ; implicit-def: $vgpr22_vgpr23
                                        ; implicit-def: $vgpr6_vgpr7
	s_add_i32 s33, s33, s44
	s_andn2_b64 vcc, exec, s[10:11]
	s_cbranch_vccnz .LBB650_34
.LBB650_3:
	v_cmp_gt_u32_e32 vcc, s33, v0
                                        ; implicit-def: $vgpr1
	s_and_saveexec_b64 s[8:9], vcc
	s_cbranch_execz .LBB650_5
; %bb.4:
	s_waitcnt lgkmcnt(0)
	v_lshlrev_b32_e32 v1, 2, v0
	global_load_dword v1, v1, s[40:41]
.LBB650_5:
	s_or_b64 exec, exec, s[8:9]
	v_or_b32_e32 v2, 0x200, v0
	v_cmp_gt_u32_e32 vcc, s33, v2
                                        ; implicit-def: $vgpr2
	s_and_saveexec_b64 s[8:9], vcc
	s_cbranch_execz .LBB650_7
; %bb.6:
	v_lshlrev_b32_e32 v2, 2, v0
	global_load_dword v2, v2, s[40:41] offset:2048
.LBB650_7:
	s_or_b64 exec, exec, s[8:9]
	v_or_b32_e32 v4, 0x400, v0
	v_cmp_gt_u32_e32 vcc, s33, v4
                                        ; implicit-def: $vgpr3
	s_and_saveexec_b64 s[8:9], vcc
	s_cbranch_execz .LBB650_9
; %bb.8:
	v_lshlrev_b32_e32 v3, 2, v4
	global_load_dword v3, v3, s[40:41]
.LBB650_9:
	s_or_b64 exec, exec, s[8:9]
	v_or_b32_e32 v5, 0x600, v0
	v_cmp_gt_u32_e32 vcc, s33, v5
                                        ; implicit-def: $vgpr4
	s_and_saveexec_b64 s[8:9], vcc
	s_cbranch_execz .LBB650_11
; %bb.10:
	v_lshlrev_b32_e32 v4, 2, v5
	global_load_dword v4, v4, s[40:41]
.LBB650_11:
	s_or_b64 exec, exec, s[8:9]
	v_or_b32_e32 v6, 0x800, v0
	v_cmp_gt_u32_e32 vcc, s33, v6
                                        ; implicit-def: $vgpr5
	s_and_saveexec_b64 s[8:9], vcc
	s_cbranch_execz .LBB650_13
; %bb.12:
	v_lshlrev_b32_e32 v5, 2, v6
	global_load_dword v5, v5, s[40:41]
.LBB650_13:
	s_or_b64 exec, exec, s[8:9]
	v_or_b32_e32 v7, 0xa00, v0
	v_cmp_gt_u32_e32 vcc, s33, v7
                                        ; implicit-def: $vgpr6
	s_and_saveexec_b64 s[8:9], vcc
	s_cbranch_execz .LBB650_15
; %bb.14:
	v_lshlrev_b32_e32 v6, 2, v7
	global_load_dword v6, v6, s[40:41]
.LBB650_15:
	s_or_b64 exec, exec, s[8:9]
	v_or_b32_e32 v8, 0xc00, v0
	v_cmp_gt_u32_e32 vcc, s33, v8
                                        ; implicit-def: $vgpr7
	s_and_saveexec_b64 s[8:9], vcc
	s_cbranch_execz .LBB650_17
; %bb.16:
	v_lshlrev_b32_e32 v7, 2, v8
	global_load_dword v7, v7, s[40:41]
.LBB650_17:
	s_or_b64 exec, exec, s[8:9]
	v_or_b32_e32 v9, 0xe00, v0
	v_cmp_gt_u32_e32 vcc, s33, v9
                                        ; implicit-def: $vgpr8
	s_and_saveexec_b64 s[8:9], vcc
	s_cbranch_execz .LBB650_19
; %bb.18:
	v_lshlrev_b32_e32 v8, 2, v9
	global_load_dword v8, v8, s[40:41]
.LBB650_19:
	s_or_b64 exec, exec, s[8:9]
	v_or_b32_e32 v10, 0x1000, v0
	v_cmp_gt_u32_e32 vcc, s33, v10
                                        ; implicit-def: $vgpr9
	s_and_saveexec_b64 s[8:9], vcc
	s_cbranch_execz .LBB650_21
; %bb.20:
	v_lshlrev_b32_e32 v9, 2, v10
	global_load_dword v9, v9, s[40:41]
.LBB650_21:
	s_or_b64 exec, exec, s[8:9]
	v_or_b32_e32 v11, 0x1200, v0
	v_cmp_gt_u32_e32 vcc, s33, v11
                                        ; implicit-def: $vgpr10
	s_and_saveexec_b64 s[8:9], vcc
	s_cbranch_execz .LBB650_23
; %bb.22:
	v_lshlrev_b32_e32 v10, 2, v11
	global_load_dword v10, v10, s[40:41]
.LBB650_23:
	s_or_b64 exec, exec, s[8:9]
	v_or_b32_e32 v12, 0x1400, v0
	v_cmp_gt_u32_e32 vcc, s33, v12
                                        ; implicit-def: $vgpr11
	s_and_saveexec_b64 s[8:9], vcc
	s_cbranch_execz .LBB650_25
; %bb.24:
	v_lshlrev_b32_e32 v11, 2, v12
	global_load_dword v11, v11, s[40:41]
.LBB650_25:
	s_or_b64 exec, exec, s[8:9]
	v_or_b32_e32 v13, 0x1600, v0
	v_cmp_gt_u32_e32 vcc, s33, v13
                                        ; implicit-def: $vgpr12
	s_and_saveexec_b64 s[8:9], vcc
	s_cbranch_execz .LBB650_27
; %bb.26:
	v_lshlrev_b32_e32 v12, 2, v13
	global_load_dword v12, v12, s[40:41]
.LBB650_27:
	s_or_b64 exec, exec, s[8:9]
	v_or_b32_e32 v14, 0x1800, v0
	v_cmp_gt_u32_e32 vcc, s33, v14
                                        ; implicit-def: $vgpr13
	s_and_saveexec_b64 s[8:9], vcc
	s_cbranch_execz .LBB650_29
; %bb.28:
	v_lshlrev_b32_e32 v13, 2, v14
	global_load_dword v13, v13, s[40:41]
.LBB650_29:
	s_or_b64 exec, exec, s[8:9]
	v_or_b32_e32 v15, 0x1a00, v0
	v_cmp_gt_u32_e32 vcc, s33, v15
                                        ; implicit-def: $vgpr14
	s_and_saveexec_b64 s[8:9], vcc
	s_cbranch_execz .LBB650_31
; %bb.30:
	v_lshlrev_b32_e32 v14, 2, v15
	global_load_dword v14, v14, s[40:41]
.LBB650_31:
	s_or_b64 exec, exec, s[8:9]
	v_or_b32_e32 v16, 0x1c00, v0
	v_cmp_gt_u32_e32 vcc, s33, v16
                                        ; implicit-def: $vgpr15
	s_and_saveexec_b64 s[8:9], vcc
	s_cbranch_execz .LBB650_33
; %bb.32:
	v_lshlrev_b32_e32 v15, 2, v16
	global_load_dword v15, v15, s[40:41]
.LBB650_33:
	s_or_b64 exec, exec, s[8:9]
	v_lshlrev_b32_e32 v16, 2, v0
	s_waitcnt vmcnt(0) lgkmcnt(0)
	ds_write2st64_b32 v16, v1, v2 offset1:8
	ds_write2st64_b32 v16, v3, v4 offset0:16 offset1:24
	ds_write2st64_b32 v16, v5, v6 offset0:32 offset1:40
	;; [unrolled: 1-line block ×6, first 2 shown]
	ds_write_b32 v16, v15 offset:28672
	v_mad_u32_u24 v1, v0, 56, v16
	s_waitcnt lgkmcnt(0)
	s_barrier
	ds_read2_b32 v[20:21], v1 offset1:1
	ds_read2_b32 v[18:19], v1 offset0:2 offset1:3
	ds_read2_b32 v[16:17], v1 offset0:4 offset1:5
	;; [unrolled: 1-line block ×6, first 2 shown]
	ds_read_b32 v1, v1 offset:56
	v_mad_u32_u24 v2, v0, 15, 14
	v_cmp_gt_u32_e64 s[8:9], s33, v2
	s_waitcnt lgkmcnt(7)
	v_mov_b32_e32 v22, v20
	s_waitcnt lgkmcnt(6)
	v_mov_b32_e32 v23, v18
	;; [unrolled: 2-line block ×7, first 2 shown]
.LBB650_34:
	v_mov_b32_e32 v52, s3
                                        ; implicit-def: $vgpr53
	s_and_saveexec_b64 s[10:11], s[8:9]
; %bb.35:
	v_mov_b32_e32 v53, s3
; %bb.36:
	s_or_b64 exec, exec, s[10:11]
	s_load_dwordx2 s[52:53], s[0:1], 0x70
	s_cmp_eq_u64 s[4:5], 0
	s_cselect_b64 s[50:51], -1, 0
	s_cmp_lg_u64 s[4:5], 0
	s_mov_b64 s[42:43], 0
	s_cselect_b64 s[8:9], -1, 0
	s_and_b64 vcc, exec, s[6:7]
	s_waitcnt lgkmcnt(0)
	s_barrier
	s_cbranch_vccz .LBB650_42
; %bb.37:
	s_and_b64 vcc, exec, s[8:9]
	s_cbranch_vccz .LBB650_43
; %bb.38:
	s_add_u32 s6, s40, -4
	s_addc_u32 s7, s41, -1
	s_load_dword s3, s[6:7], 0x0
	v_lshlrev_b32_e32 v24, 2, v0
	v_cmp_ne_u32_e32 vcc, 0, v0
	ds_write_b32 v24, v1
	s_waitcnt lgkmcnt(0)
	v_mov_b32_e32 v7, s3
	s_barrier
	s_and_saveexec_b64 s[6:7], vcc
	s_cbranch_execz .LBB650_40
; %bb.39:
	v_add_u32_e32 v7, -4, v24
	ds_read_b32 v7, v7
.LBB650_40:
	s_or_b64 exec, exec, s[6:7]
	v_cmp_ne_u32_e32 vcc, v22, v21
	s_waitcnt lgkmcnt(0)
	v_cmp_ne_u32_e64 s[6:7], v7, v20
	v_cndmask_b32_e64 v69, 0, 1, vcc
	v_cmp_ne_u32_e32 vcc, v23, v21
	s_mov_b64 s[42:43], -1
	s_nop 0
	v_cndmask_b32_e64 v68, 0, 1, vcc
	v_cmp_ne_u32_e32 vcc, v23, v19
	s_nop 1
	v_cndmask_b32_e64 v67, 0, 1, vcc
	v_cmp_ne_u32_e32 vcc, v4, v19
	;; [unrolled: 3-line block ×12, first 2 shown]
	s_nop 1
	v_cndmask_b32_e64 v56, 0, 1, vcc
.LBB650_41:
                                        ; implicit-def: $sgpr3
	s_branch .LBB650_55
.LBB650_42:
                                        ; implicit-def: $sgpr6_sgpr7
                                        ; implicit-def: $vgpr56
                                        ; implicit-def: $vgpr57
                                        ; implicit-def: $vgpr58
                                        ; implicit-def: $vgpr59
                                        ; implicit-def: $vgpr60
                                        ; implicit-def: $vgpr61
                                        ; implicit-def: $vgpr62
                                        ; implicit-def: $vgpr63
                                        ; implicit-def: $vgpr64
                                        ; implicit-def: $vgpr65
                                        ; implicit-def: $vgpr66
                                        ; implicit-def: $vgpr67
                                        ; implicit-def: $vgpr68
                                        ; implicit-def: $vgpr69
                                        ; implicit-def: $sgpr3
	s_cbranch_execnz .LBB650_47
	s_branch .LBB650_55
.LBB650_43:
                                        ; implicit-def: $sgpr6_sgpr7
                                        ; implicit-def: $vgpr56
                                        ; implicit-def: $vgpr57
                                        ; implicit-def: $vgpr58
                                        ; implicit-def: $vgpr59
                                        ; implicit-def: $vgpr60
                                        ; implicit-def: $vgpr61
                                        ; implicit-def: $vgpr62
                                        ; implicit-def: $vgpr63
                                        ; implicit-def: $vgpr64
                                        ; implicit-def: $vgpr65
                                        ; implicit-def: $vgpr66
                                        ; implicit-def: $vgpr67
                                        ; implicit-def: $vgpr68
                                        ; implicit-def: $vgpr69
	s_cbranch_execz .LBB650_41
; %bb.44:
	v_cmp_ne_u32_e32 vcc, v21, v22
	v_lshlrev_b32_e32 v7, 2, v0
	ds_write_b32 v7, v1
	v_cndmask_b32_e64 v69, 0, 1, vcc
	v_cmp_ne_u32_e32 vcc, v21, v23
	s_waitcnt lgkmcnt(0)
	s_barrier
	v_cndmask_b32_e64 v68, 0, 1, vcc
	v_cmp_ne_u32_e32 vcc, v23, v19
	s_waitcnt lgkmcnt(0)
                                        ; implicit-def: $sgpr6_sgpr7
	s_nop 0
	v_cndmask_b32_e64 v67, 0, 1, vcc
	v_cmp_ne_u32_e32 vcc, v4, v19
	s_nop 1
	v_cndmask_b32_e64 v66, 0, 1, vcc
	v_cmp_ne_u32_e32 vcc, v17, v4
	;; [unrolled: 3-line block ×12, first 2 shown]
	s_and_saveexec_b64 s[10:11], vcc
	s_xor_b64 s[10:11], exec, s[10:11]
	s_cbranch_execz .LBB650_46
; %bb.45:
	v_add_u32_e32 v2, -4, v7
	ds_read_b32 v2, v2
	s_or_b64 s[42:43], s[42:43], exec
	s_waitcnt lgkmcnt(0)
	v_cmp_ne_u32_e32 vcc, v2, v20
	s_and_b64 s[6:7], vcc, exec
.LBB650_46:
	s_or_b64 exec, exec, s[10:11]
	s_mov_b32 s3, 1
	s_branch .LBB650_55
.LBB650_47:
	s_mul_i32 s3, s5, 0xffffe200
	s_mul_hi_u32 s5, s4, 0xffffe200
	s_sub_i32 s5, s5, s4
	s_add_i32 s5, s5, s3
	s_mul_i32 s3, s4, 0xffffe200
	s_add_u32 s44, s3, s44
	s_addc_u32 s45, s5, s45
	s_and_b64 vcc, exec, s[8:9]
	v_cmp_ne_u32_e64 s[30:31], v9, v1
	v_cmp_ne_u32_e64 s[28:29], v8, v9
	;; [unrolled: 1-line block ×14, first 2 shown]
	v_mad_u32_u24 v2, v0, 15, 14
	v_mad_u32_u24 v42, v0, 15, 13
	v_mad_u32_u24 v40, v0, 15, 12
	v_mad_u32_u24 v38, v0, 15, 11
	v_mad_u32_u24 v36, v0, 15, 10
	v_mad_u32_u24 v34, v0, 15, 9
	v_mad_u32_u24 v32, v0, 15, 8
	v_mad_u32_u24 v30, v0, 15, 7
	v_mad_u32_u24 v28, v0, 15, 6
	v_mad_u32_u24 v26, v0, 15, 5
	v_mad_u32_u24 v24, v0, 15, 4
	v_mad_u32_u24 v22, v0, 15, 3
	v_mad_u32_u24 v6, v0, 15, 2
	v_mad_u32_u24 v4, v0, 15, 1
	v_cmp_ne_u32_e64 s[8:9], 0, v0
	s_cbranch_vccz .LBB650_52
; %bb.48:
	v_mov_b32_e32 v3, 0
	s_add_u32 s40, s40, -4
	v_cmp_gt_u64_e32 vcc, s[44:45], v[2:3]
	v_mov_b32_e32 v43, v3
	s_addc_u32 s41, s41, -1
	s_and_b64 s[30:31], vcc, s[30:31]
	v_cmp_gt_u64_e32 vcc, s[44:45], v[42:43]
	v_mov_b32_e32 v41, v3
	s_and_b64 s[28:29], vcc, s[28:29]
	v_cmp_gt_u64_e32 vcc, s[44:45], v[40:41]
	v_mov_b32_e32 v39, v3
	;; [unrolled: 3-line block ×8, first 2 shown]
	s_load_dword s3, s[40:41], 0x0
	s_and_b64 s[14:15], vcc, s[14:15]
	v_cmp_gt_u64_e32 vcc, s[44:45], v[26:27]
	v_mov_b32_e32 v25, v3
	s_and_b64 s[12:13], vcc, s[12:13]
	v_cmp_gt_u64_e32 vcc, s[44:45], v[24:25]
	v_mov_b32_e32 v23, v3
	;; [unrolled: 3-line block ×4, first 2 shown]
	s_and_b64 s[4:5], vcc, s[4:5]
	v_cmp_gt_u64_e32 vcc, s[44:45], v[4:5]
	v_lshlrev_b32_e32 v45, 2, v0
	v_mul_u32_u24_e32 v44, 15, v0
	s_and_b64 s[34:35], vcc, s[34:35]
	s_waitcnt lgkmcnt(0)
	v_mov_b32_e32 v5, s3
	ds_write_b32 v45, v1
	s_waitcnt lgkmcnt(0)
	s_barrier
	s_and_saveexec_b64 s[40:41], s[8:9]
	s_cbranch_execz .LBB650_50
; %bb.49:
	v_add_u32_e32 v5, -4, v45
	ds_read_b32 v5, v5
.LBB650_50:
	s_or_b64 exec, exec, s[40:41]
	v_mov_b32_e32 v45, v3
	v_cndmask_b32_e64 v68, 0, 1, s[4:5]
	v_cmp_gt_u64_e32 vcc, s[44:45], v[44:45]
	s_waitcnt lgkmcnt(0)
	v_cmp_ne_u32_e64 s[4:5], v5, v20
	v_cndmask_b32_e64 v56, 0, 1, s[30:31]
	v_cndmask_b32_e64 v57, 0, 1, s[28:29]
	;; [unrolled: 1-line block ×13, first 2 shown]
	s_and_b64 s[6:7], vcc, s[4:5]
	s_mov_b64 s[42:43], -1
.LBB650_51:
                                        ; implicit-def: $sgpr3
	v_mov_b32_e32 v70, s3
	s_and_saveexec_b64 s[4:5], s[42:43]
	s_cbranch_execnz .LBB650_56
	s_branch .LBB650_57
.LBB650_52:
                                        ; implicit-def: $sgpr6_sgpr7
                                        ; implicit-def: $vgpr56
                                        ; implicit-def: $vgpr57
                                        ; implicit-def: $vgpr58
                                        ; implicit-def: $vgpr59
                                        ; implicit-def: $vgpr60
                                        ; implicit-def: $vgpr61
                                        ; implicit-def: $vgpr62
                                        ; implicit-def: $vgpr63
                                        ; implicit-def: $vgpr64
                                        ; implicit-def: $vgpr65
                                        ; implicit-def: $vgpr66
                                        ; implicit-def: $vgpr67
                                        ; implicit-def: $vgpr68
                                        ; implicit-def: $vgpr69
	s_cbranch_execz .LBB650_51
; %bb.53:
	v_mov_b32_e32 v3, 0
	v_cmp_gt_u64_e32 vcc, s[44:45], v[2:3]
	v_cmp_ne_u32_e64 s[4:5], v9, v1
	s_and_b64 s[4:5], vcc, s[4:5]
	v_mov_b32_e32 v43, v3
	v_cndmask_b32_e64 v56, 0, 1, s[4:5]
	v_cmp_gt_u64_e32 vcc, s[44:45], v[42:43]
	v_cmp_ne_u32_e64 s[4:5], v8, v9
	s_and_b64 s[4:5], vcc, s[4:5]
	v_mov_b32_e32 v41, v3
	v_cndmask_b32_e64 v57, 0, 1, s[4:5]
	;; [unrolled: 5-line block ×13, first 2 shown]
	v_cmp_gt_u64_e32 vcc, s[44:45], v[4:5]
	v_cmp_ne_u32_e64 s[4:5], v20, v21
	s_and_b64 s[4:5], vcc, s[4:5]
	v_lshlrev_b32_e32 v44, 2, v0
	s_mov_b32 s3, 1
	v_cndmask_b32_e64 v69, 0, 1, s[4:5]
	v_cmp_ne_u32_e32 vcc, 0, v0
	ds_write_b32 v44, v1
	s_waitcnt lgkmcnt(0)
	s_barrier
	s_waitcnt lgkmcnt(0)
                                        ; implicit-def: $sgpr6_sgpr7
	s_and_saveexec_b64 s[8:9], vcc
	s_cbranch_execz .LBB650_146
; %bb.54:
	v_add_u32_e32 v2, -4, v44
	ds_read_b32 v4, v2
	v_mul_u32_u24_e32 v2, 15, v0
	v_cmp_gt_u64_e32 vcc, s[44:45], v[2:3]
	s_or_b64 s[42:43], s[42:43], exec
	s_waitcnt lgkmcnt(0)
	v_cmp_ne_u32_e64 s[4:5], v4, v20
	s_and_b64 s[4:5], vcc, s[4:5]
	s_and_b64 s[6:7], s[4:5], exec
	s_or_b64 exec, exec, s[8:9]
.LBB650_55:
	v_mov_b32_e32 v70, s3
	s_and_saveexec_b64 s[4:5], s[42:43]
.LBB650_56:
	v_cndmask_b32_e64 v70, 0, 1, s[6:7]
.LBB650_57:
	s_or_b64 exec, exec, s[4:5]
	s_load_dwordx4 s[40:43], s[0:1], 0x20
	s_load_dwordx2 s[34:35], s[0:1], 0x30
	s_cmp_eq_u64 s[38:39], 0
	v_add3_u32 v2, v69, v70, v68
	s_cselect_b64 s[38:39], -1, 0
	s_cmp_lg_u32 s2, 0
	v_cmp_eq_u32_e64 s[24:25], 0, v69
	v_cmp_eq_u32_e64 s[22:23], 0, v68
	;; [unrolled: 1-line block ×3, first 2 shown]
	v_add3_u32 v72, v2, v67, v66
	v_cmp_eq_u32_e64 s[18:19], 0, v66
	v_cmp_eq_u32_e64 s[16:17], 0, v65
	;; [unrolled: 1-line block ×10, first 2 shown]
	v_cmp_eq_u32_e32 vcc, 0, v56
	v_mbcnt_lo_u32_b32 v71, -1, 0
	v_lshrrev_b32_e32 v54, 6, v0
	v_or_b32_e32 v55, 63, v0
	s_cbranch_scc0 .LBB650_84
; %bb.58:
	v_cndmask_b32_e64 v2, 0, v52, s[24:25]
	v_add_u32_e32 v2, v2, v52
	v_cndmask_b32_e64 v2, 0, v2, s[22:23]
	v_add_u32_e32 v2, v2, v52
	v_cndmask_b32_e64 v2, 0, v2, s[20:21]
	v_add_u32_e32 v2, v2, v52
	v_cndmask_b32_e64 v2, 0, v2, s[18:19]
	v_add_u32_e32 v2, v2, v52
	v_cndmask_b32_e64 v2, 0, v2, s[16:17]
	v_add_u32_e32 v2, v2, v52
	v_cndmask_b32_e64 v2, 0, v2, s[14:15]
	v_add_u32_e32 v2, v2, v52
	v_cndmask_b32_e64 v2, 0, v2, s[12:13]
	v_add_u32_e32 v2, v2, v52
	v_cndmask_b32_e64 v2, 0, v2, s[10:11]
	v_add_u32_e32 v2, v2, v52
	v_cndmask_b32_e64 v2, 0, v2, s[8:9]
	v_add_u32_e32 v2, v2, v52
	v_cndmask_b32_e64 v2, 0, v2, s[6:7]
	v_add_u32_e32 v2, v2, v52
	v_cndmask_b32_e64 v2, 0, v2, s[4:5]
	v_add_u32_e32 v2, v2, v52
	v_cndmask_b32_e64 v2, 0, v2, s[28:29]
	v_add3_u32 v3, v72, v65, v64
	v_add_u32_e32 v2, v2, v52
	v_add3_u32 v3, v3, v63, v62
	v_cndmask_b32_e64 v2, 0, v2, s[0:1]
	v_add3_u32 v3, v3, v61, v60
	v_add_u32_e32 v2, v2, v52
	v_add3_u32 v3, v3, v59, v58
	v_cndmask_b32_e32 v2, 0, v2, vcc
	v_add3_u32 v3, v3, v57, v56
	v_add_u32_e32 v2, v2, v53
	v_mbcnt_hi_u32_b32 v25, -1, v71
	v_and_b32_e32 v4, 15, v25
	v_mov_b32_dpp v6, v2 row_shr:1 row_mask:0xf bank_mask:0xf
	v_cmp_eq_u32_e32 vcc, 0, v3
	v_mov_b32_dpp v5, v3 row_shr:1 row_mask:0xf bank_mask:0xf
	v_cmp_lt_u32_e64 s[26:27], 1, v4
	v_cndmask_b32_e32 v6, 0, v6, vcc
	v_cmp_eq_u32_e32 vcc, 0, v4
	s_nop 1
	v_cndmask_b32_e64 v5, v5, 0, vcc
	v_add_u32_e32 v3, v5, v3
	v_cndmask_b32_e64 v5, v6, 0, vcc
	v_add_u32_e32 v2, v5, v2
	v_cmp_eq_u32_e32 vcc, 0, v3
	v_mov_b32_dpp v5, v3 row_shr:2 row_mask:0xf bank_mask:0xf
	v_mov_b32_dpp v6, v2 row_shr:2 row_mask:0xf bank_mask:0xf
	v_cndmask_b32_e64 v5, 0, v5, s[26:27]
	s_and_b64 vcc, s[26:27], vcc
	v_cndmask_b32_e32 v6, 0, v6, vcc
	v_add_u32_e32 v3, v3, v5
	v_add_u32_e32 v2, v6, v2
	v_cmp_eq_u32_e32 vcc, 0, v3
	v_mov_b32_dpp v5, v3 row_shr:4 row_mask:0xf bank_mask:0xf
	v_cmp_lt_u32_e64 s[26:27], 3, v4
	v_mov_b32_dpp v6, v2 row_shr:4 row_mask:0xf bank_mask:0xf
	s_and_b64 vcc, s[26:27], vcc
	v_cndmask_b32_e64 v5, 0, v5, s[26:27]
	v_cndmask_b32_e32 v6, 0, v6, vcc
	v_add_u32_e32 v3, v5, v3
	v_add_u32_e32 v2, v2, v6
	v_cmp_eq_u32_e32 vcc, 0, v3
	v_cmp_lt_u32_e64 s[26:27], 7, v4
	v_mov_b32_dpp v5, v3 row_shr:8 row_mask:0xf bank_mask:0xf
	v_mov_b32_dpp v6, v2 row_shr:8 row_mask:0xf bank_mask:0xf
	s_and_b64 vcc, s[26:27], vcc
	v_cndmask_b32_e64 v4, 0, v5, s[26:27]
	v_cndmask_b32_e32 v5, 0, v6, vcc
	v_add_u32_e32 v2, v5, v2
	v_add_u32_e32 v3, v4, v3
	v_bfe_i32 v6, v25, 4, 1
	v_mov_b32_dpp v5, v2 row_bcast:15 row_mask:0xf bank_mask:0xf
	v_mov_b32_dpp v4, v3 row_bcast:15 row_mask:0xf bank_mask:0xf
	v_cmp_eq_u32_e32 vcc, 0, v3
	v_and_b32_e32 v4, v6, v4
	v_add_u32_e32 v3, v4, v3
	v_cndmask_b32_e32 v5, 0, v5, vcc
	v_and_b32_e32 v4, v6, v5
	v_add_u32_e32 v4, v4, v2
	v_mov_b32_dpp v2, v3 row_bcast:31 row_mask:0xf bank_mask:0xf
	v_cmp_eq_u32_e32 vcc, 0, v3
	v_cmp_lt_u32_e64 s[26:27], 31, v25
	v_mov_b32_dpp v5, v4 row_bcast:31 row_mask:0xf bank_mask:0xf
	s_and_b64 vcc, s[26:27], vcc
	v_cndmask_b32_e64 v2, 0, v2, s[26:27]
	v_add_u32_e32 v2, v2, v3
	v_cndmask_b32_e32 v3, 0, v5, vcc
	v_add_u32_e32 v3, v3, v4
	v_cmp_eq_u32_e32 vcc, v55, v0
	v_lshlrev_b32_e32 v4, 3, v54
	s_and_saveexec_b64 s[26:27], vcc
	s_cbranch_execz .LBB650_60
; %bb.59:
	ds_write_b64 v4, v[2:3] offset:4112
.LBB650_60:
	s_or_b64 exec, exec, s[26:27]
	v_cmp_gt_u32_e32 vcc, 8, v0
	s_waitcnt lgkmcnt(0)
	s_barrier
	s_and_saveexec_b64 s[30:31], vcc
	s_cbranch_execz .LBB650_62
; %bb.61:
	v_lshlrev_b32_e32 v5, 3, v0
	ds_read_b64 v[6:7], v5 offset:4112
	v_and_b32_e32 v22, 7, v25
	v_cmp_lt_u32_e64 s[26:27], 1, v22
	s_waitcnt lgkmcnt(0)
	v_mov_b32_dpp v24, v7 row_shr:1 row_mask:0xf bank_mask:0xf
	v_cmp_eq_u32_e32 vcc, 0, v6
	v_mov_b32_dpp v23, v6 row_shr:1 row_mask:0xf bank_mask:0xf
	s_nop 0
	v_cndmask_b32_e32 v24, 0, v24, vcc
	v_cmp_eq_u32_e32 vcc, 0, v22
	s_nop 1
	v_cndmask_b32_e64 v23, v23, 0, vcc
	v_add_u32_e32 v6, v23, v6
	v_cndmask_b32_e64 v23, v24, 0, vcc
	v_add_u32_e32 v7, v23, v7
	v_cmp_eq_u32_e32 vcc, 0, v6
	v_mov_b32_dpp v23, v6 row_shr:2 row_mask:0xf bank_mask:0xf
	v_mov_b32_dpp v24, v7 row_shr:2 row_mask:0xf bank_mask:0xf
	v_cndmask_b32_e64 v23, 0, v23, s[26:27]
	s_and_b64 vcc, s[26:27], vcc
	v_cndmask_b32_e32 v24, 0, v24, vcc
	v_add_u32_e32 v6, v23, v6
	v_add_u32_e32 v7, v24, v7
	v_cmp_eq_u32_e32 vcc, 0, v6
	v_mov_b32_dpp v23, v6 row_shr:4 row_mask:0xf bank_mask:0xf
	v_cmp_lt_u32_e64 s[26:27], 3, v22
	v_mov_b32_dpp v24, v7 row_shr:4 row_mask:0xf bank_mask:0xf
	s_and_b64 vcc, s[26:27], vcc
	v_cndmask_b32_e64 v22, 0, v23, s[26:27]
	v_add_u32_e32 v6, v22, v6
	v_cndmask_b32_e32 v22, 0, v24, vcc
	v_add_u32_e32 v7, v22, v7
	ds_write_b64 v5, v[6:7] offset:4112
.LBB650_62:
	s_or_b64 exec, exec, s[30:31]
	v_cmp_gt_u32_e32 vcc, 64, v0
	v_cmp_lt_u32_e64 s[26:27], 63, v0
	v_mov_b32_e32 v22, 0
	v_mov_b32_e32 v23, 0
	s_waitcnt lgkmcnt(0)
	s_barrier
	s_and_saveexec_b64 s[30:31], s[26:27]
	s_cbranch_execz .LBB650_64
; %bb.63:
	ds_read_b64 v[22:23], v4 offset:4104
	v_cmp_eq_u32_e64 s[26:27], 0, v2
	s_waitcnt lgkmcnt(0)
	v_add_u32_e32 v4, v22, v2
	v_cndmask_b32_e64 v2, 0, v23, s[26:27]
	v_add_u32_e32 v3, v2, v3
	v_mov_b32_e32 v2, v4
.LBB650_64:
	s_or_b64 exec, exec, s[30:31]
	v_add_u32_e32 v4, -1, v25
	v_and_b32_e32 v5, 64, v25
	v_cmp_lt_i32_e64 s[26:27], v4, v5
	s_nop 1
	v_cndmask_b32_e64 v4, v4, v25, s[26:27]
	v_lshlrev_b32_e32 v4, 2, v4
	ds_bpermute_b32 v30, v4, v2
	ds_bpermute_b32 v31, v4, v3
	v_cmp_eq_u32_e64 s[26:27], 0, v25
	s_and_saveexec_b64 s[44:45], vcc
	s_cbranch_execz .LBB650_83
; %bb.65:
	v_mov_b32_e32 v7, 0
	ds_read_b64 v[2:3], v7 offset:4168
	s_waitcnt lgkmcnt(0)
	v_readfirstlane_b32 s3, v2
	v_readfirstlane_b32 s56, v3
	s_and_saveexec_b64 s[30:31], s[26:27]
	s_cbranch_execz .LBB650_67
; %bb.66:
	s_add_i32 s54, s2, 64
	s_mov_b32 s55, 0
	s_lshl_b64 s[58:59], s[54:55], 4
	s_add_u32 s58, s36, s58
	s_addc_u32 s59, s37, s59
	s_and_b32 s61, s56, 0xff000000
	s_mov_b32 s60, s55
	s_and_b32 s63, s56, 0xff0000
	s_mov_b32 s62, s55
	s_or_b64 s[60:61], s[62:63], s[60:61]
	s_and_b32 s63, s56, 0xff00
	s_or_b64 s[60:61], s[60:61], s[62:63]
	s_and_b32 s63, s56, 0xff
	s_or_b64 s[54:55], s[60:61], s[62:63]
	v_mov_b32_e32 v4, s3
	v_mov_b32_e32 v5, s55
	;; [unrolled: 1-line block ×3, first 2 shown]
	v_mov_b64_e32 v[2:3], s[58:59]
	;;#ASMSTART
	global_store_dwordx4 v[2:3], v[4:7] off sc1	
s_waitcnt vmcnt(0)
	;;#ASMEND
.LBB650_67:
	s_or_b64 exec, exec, s[30:31]
	v_xad_u32 v24, v25, -1, s2
	v_add_u32_e32 v6, 64, v24
	v_lshl_add_u64 v[26:27], v[6:7], 4, s[36:37]
	;;#ASMSTART
	global_load_dwordx4 v[2:5], v[26:27] off sc1	
s_waitcnt vmcnt(0)
	;;#ASMEND
	s_nop 0
	v_and_b32_e32 v5, 0xff, v3
	v_and_b32_e32 v6, 0xff00, v3
	v_or3_b32 v2, v2, 0, 0
	v_and_b32_e32 v28, 0xff000000, v3
	v_or3_b32 v5, 0, v5, v6
	;; [unrolled: 2-line block ×3, first 2 shown]
	v_or3_b32 v2, v2, 0, 0
	v_cmp_eq_u16_sdwa s[54:55], v4, v7 src0_sel:BYTE_0 src1_sel:DWORD
	s_and_saveexec_b64 s[30:31], s[54:55]
	s_cbranch_execz .LBB650_71
; %bb.68:
	s_mov_b64 s[54:55], 0
	v_mov_b32_e32 v6, 0
.LBB650_69:                             ; =>This Inner Loop Header: Depth=1
	;;#ASMSTART
	global_load_dwordx4 v[2:5], v[26:27] off sc1	
s_waitcnt vmcnt(0)
	;;#ASMEND
	s_nop 0
	v_cmp_ne_u16_sdwa s[58:59], v4, v6 src0_sel:BYTE_0 src1_sel:DWORD
	s_or_b64 s[54:55], s[58:59], s[54:55]
	s_andn2_b64 exec, exec, s[54:55]
	s_cbranch_execnz .LBB650_69
; %bb.70:
	s_or_b64 exec, exec, s[54:55]
.LBB650_71:
	s_or_b64 exec, exec, s[30:31]
	v_mov_b32_e32 v32, 2
	v_cmp_eq_u16_sdwa s[30:31], v4, v32 src0_sel:BYTE_0 src1_sel:DWORD
	v_lshlrev_b64 v[26:27], v25, -1
	v_and_b32_e32 v33, 63, v25
	v_and_b32_e32 v5, s31, v27
	v_or_b32_e32 v5, 0x80000000, v5
	v_cmp_ne_u32_e32 vcc, 63, v33
	v_and_b32_e32 v6, s30, v26
	v_ffbl_b32_e32 v5, v5
	v_addc_co_u32_e32 v7, vcc, 0, v25, vcc
	v_add_u32_e32 v5, 32, v5
	v_ffbl_b32_e32 v6, v6
	v_lshlrev_b32_e32 v34, 2, v7
	v_min_u32_e32 v5, v6, v5
	ds_bpermute_b32 v6, v34, v3
	v_cmp_eq_u32_e32 vcc, 0, v2
	v_cmp_lt_u32_e64 s[30:31], v33, v5
	ds_bpermute_b32 v7, v34, v2
	s_and_b64 vcc, s[30:31], vcc
	s_waitcnt lgkmcnt(1)
	v_cndmask_b32_e32 v6, 0, v6, vcc
	v_cmp_gt_u32_e32 vcc, 62, v33
	v_add_u32_e32 v3, v6, v3
	s_waitcnt lgkmcnt(0)
	v_cndmask_b32_e64 v7, 0, v7, s[30:31]
	v_cndmask_b32_e64 v6, 0, 1, vcc
	v_lshlrev_b32_e32 v6, 1, v6
	v_add_lshl_u32 v35, v6, v25, 2
	ds_bpermute_b32 v6, v35, v3
	v_add_u32_e32 v2, v7, v2
	ds_bpermute_b32 v7, v35, v2
	v_add_u32_e32 v36, 2, v33
	v_cmp_eq_u32_e32 vcc, 0, v2
	v_add_u32_e32 v38, 4, v33
	v_add_u32_e32 v40, 8, v33
	s_waitcnt lgkmcnt(1)
	v_cndmask_b32_e32 v6, 0, v6, vcc
	v_cmp_gt_u32_e32 vcc, v36, v5
	v_add_u32_e32 v42, 16, v33
	v_add_u32_e32 v44, 32, v33
	v_cndmask_b32_e64 v6, v6, 0, vcc
	v_add_u32_e32 v3, v6, v3
	s_waitcnt lgkmcnt(0)
	v_cndmask_b32_e64 v6, v7, 0, vcc
	v_cmp_gt_u32_e32 vcc, 60, v33
	v_add_u32_e32 v2, v2, v6
	s_nop 0
	v_cndmask_b32_e64 v7, 0, 1, vcc
	v_lshlrev_b32_e32 v7, 2, v7
	v_add_lshl_u32 v37, v7, v25, 2
	ds_bpermute_b32 v7, v37, v3
	ds_bpermute_b32 v6, v37, v2
	v_cmp_eq_u32_e32 vcc, 0, v2
	s_waitcnt lgkmcnt(1)
	s_nop 0
	v_cndmask_b32_e32 v7, 0, v7, vcc
	v_cmp_gt_u32_e32 vcc, v38, v5
	s_nop 1
	v_cndmask_b32_e64 v7, v7, 0, vcc
	s_waitcnt lgkmcnt(0)
	v_cndmask_b32_e64 v6, v6, 0, vcc
	v_cmp_gt_u32_e32 vcc, 56, v33
	v_add_u32_e32 v3, v3, v7
	v_add_u32_e32 v2, v2, v6
	v_cndmask_b32_e64 v7, 0, 1, vcc
	v_lshlrev_b32_e32 v7, 3, v7
	v_add_lshl_u32 v39, v7, v25, 2
	ds_bpermute_b32 v7, v39, v3
	ds_bpermute_b32 v6, v39, v2
	v_cmp_eq_u32_e32 vcc, 0, v2
	s_waitcnt lgkmcnt(1)
	s_nop 0
	v_cndmask_b32_e32 v7, 0, v7, vcc
	v_cmp_gt_u32_e32 vcc, v40, v5
	s_nop 1
	v_cndmask_b32_e64 v7, v7, 0, vcc
	s_waitcnt lgkmcnt(0)
	v_cndmask_b32_e64 v6, v6, 0, vcc
	v_cmp_gt_u32_e32 vcc, 48, v33
	v_add_u32_e32 v3, v3, v7
	v_add_u32_e32 v2, v2, v6
	;; [unrolled: 17-line block ×3, first 2 shown]
	v_cndmask_b32_e64 v7, 0, 1, vcc
	v_lshlrev_b32_e32 v7, 5, v7
	v_add_lshl_u32 v43, v7, v25, 2
	ds_bpermute_b32 v7, v43, v3
	ds_bpermute_b32 v6, v43, v2
	v_cmp_eq_u32_e32 vcc, 0, v2
	v_mov_b32_e32 v25, 0
	s_waitcnt lgkmcnt(1)
	v_cndmask_b32_e32 v7, 0, v7, vcc
	v_cmp_gt_u32_e32 vcc, v44, v5
	s_nop 1
	v_cndmask_b32_e64 v5, v7, 0, vcc
	v_add_u32_e32 v3, v5, v3
	s_waitcnt lgkmcnt(0)
	v_cndmask_b32_e64 v5, v6, 0, vcc
	v_add_u32_e32 v2, v5, v2
	s_branch .LBB650_73
.LBB650_72:                             ;   in Loop: Header=BB650_73 Depth=1
	s_or_b64 exec, exec, s[30:31]
	v_cmp_eq_u16_sdwa s[30:31], v4, v32 src0_sel:BYTE_0 src1_sel:DWORD
	v_cmp_eq_u32_e32 vcc, 0, v2
	ds_bpermute_b32 v29, v34, v2
	v_and_b32_e32 v5, s31, v27
	v_or_b32_e32 v5, 0x80000000, v5
	v_and_b32_e32 v28, s30, v26
	v_ffbl_b32_e32 v5, v5
	v_add_u32_e32 v5, 32, v5
	v_ffbl_b32_e32 v28, v28
	v_min_u32_e32 v5, v28, v5
	ds_bpermute_b32 v28, v34, v3
	v_cmp_lt_u32_e64 s[30:31], v33, v5
	s_and_b64 vcc, s[30:31], vcc
	v_subrev_u32_e32 v24, 64, v24
	s_waitcnt lgkmcnt(1)
	v_cndmask_b32_e64 v29, 0, v29, s[30:31]
	s_waitcnt lgkmcnt(0)
	v_cndmask_b32_e32 v28, 0, v28, vcc
	v_add_u32_e32 v3, v28, v3
	ds_bpermute_b32 v28, v35, v3
	v_add_u32_e32 v2, v29, v2
	v_cmp_eq_u32_e32 vcc, 0, v2
	ds_bpermute_b32 v29, v35, v2
	s_waitcnt lgkmcnt(1)
	v_cndmask_b32_e32 v28, 0, v28, vcc
	v_cmp_gt_u32_e32 vcc, v36, v5
	s_nop 1
	v_cndmask_b32_e64 v28, v28, 0, vcc
	v_add_u32_e32 v3, v28, v3
	ds_bpermute_b32 v28, v37, v3
	s_waitcnt lgkmcnt(1)
	v_cndmask_b32_e64 v29, v29, 0, vcc
	v_add_u32_e32 v2, v2, v29
	v_cmp_eq_u32_e32 vcc, 0, v2
	ds_bpermute_b32 v29, v37, v2
	s_waitcnt lgkmcnt(1)
	v_cndmask_b32_e32 v28, 0, v28, vcc
	v_cmp_gt_u32_e32 vcc, v38, v5
	s_nop 1
	v_cndmask_b32_e64 v28, v28, 0, vcc
	v_add_u32_e32 v3, v3, v28
	ds_bpermute_b32 v28, v39, v3
	s_waitcnt lgkmcnt(1)
	v_cndmask_b32_e64 v29, v29, 0, vcc
	v_add_u32_e32 v2, v2, v29
	ds_bpermute_b32 v29, v39, v2
	v_cmp_eq_u32_e32 vcc, 0, v2
	s_waitcnt lgkmcnt(1)
	s_nop 0
	v_cndmask_b32_e32 v28, 0, v28, vcc
	v_cmp_gt_u32_e32 vcc, v40, v5
	s_nop 1
	v_cndmask_b32_e64 v28, v28, 0, vcc
	v_add_u32_e32 v3, v3, v28
	ds_bpermute_b32 v28, v41, v3
	s_waitcnt lgkmcnt(1)
	v_cndmask_b32_e64 v29, v29, 0, vcc
	v_add_u32_e32 v2, v2, v29
	ds_bpermute_b32 v29, v41, v2
	v_cmp_eq_u32_e32 vcc, 0, v2
	s_waitcnt lgkmcnt(1)
	s_nop 0
	;; [unrolled: 13-line block ×3, first 2 shown]
	v_cndmask_b32_e32 v28, 0, v28, vcc
	v_cmp_gt_u32_e32 vcc, v44, v5
	s_nop 1
	v_cndmask_b32_e64 v5, v28, 0, vcc
	v_add_u32_e32 v3, v5, v3
	s_waitcnt lgkmcnt(0)
	v_cndmask_b32_e64 v5, v29, 0, vcc
	v_cmp_eq_u32_e32 vcc, 0, v6
	v_add3_u32 v2, v2, v6, v5
	s_nop 0
	v_cndmask_b32_e32 v3, 0, v3, vcc
	v_add_u32_e32 v3, v3, v7
.LBB650_73:                             ; =>This Loop Header: Depth=1
                                        ;     Child Loop BB650_76 Depth 2
	v_cmp_ne_u16_sdwa s[30:31], v4, v32 src0_sel:BYTE_0 src1_sel:DWORD
	v_mov_b32_e32 v7, v3
	v_mov_b32_e32 v6, v2
	v_cndmask_b32_e64 v3, 0, 1, s[30:31]
	;;#ASMSTART
	;;#ASMEND
	s_nop 0
	v_cmp_ne_u32_e32 vcc, 0, v3
	s_cmp_lg_u64 vcc, exec
	s_cbranch_scc1 .LBB650_78
; %bb.74:                               ;   in Loop: Header=BB650_73 Depth=1
	v_lshl_add_u64 v[28:29], v[24:25], 4, s[36:37]
	;;#ASMSTART
	global_load_dwordx4 v[2:5], v[28:29] off sc1	
s_waitcnt vmcnt(0)
	;;#ASMEND
	s_nop 0
	v_and_b32_e32 v5, 0xff, v3
	v_and_b32_e32 v45, 0xff00, v3
	v_or3_b32 v2, v2, 0, 0
	v_and_b32_e32 v46, 0xff000000, v3
	v_or3_b32 v5, 0, v5, v45
	;; [unrolled: 2-line block ×3, first 2 shown]
	v_or3_b32 v2, v2, 0, 0
	v_cmp_eq_u16_sdwa s[54:55], v4, v25 src0_sel:BYTE_0 src1_sel:DWORD
	s_and_saveexec_b64 s[30:31], s[54:55]
	s_cbranch_execz .LBB650_72
; %bb.75:                               ;   in Loop: Header=BB650_73 Depth=1
	s_mov_b64 s[54:55], 0
.LBB650_76:                             ;   Parent Loop BB650_73 Depth=1
                                        ; =>  This Inner Loop Header: Depth=2
	;;#ASMSTART
	global_load_dwordx4 v[2:5], v[28:29] off sc1	
s_waitcnt vmcnt(0)
	;;#ASMEND
	s_nop 0
	v_cmp_ne_u16_sdwa s[58:59], v4, v25 src0_sel:BYTE_0 src1_sel:DWORD
	s_or_b64 s[54:55], s[58:59], s[54:55]
	s_andn2_b64 exec, exec, s[54:55]
	s_cbranch_execnz .LBB650_76
; %bb.77:                               ;   in Loop: Header=BB650_73 Depth=1
	s_or_b64 exec, exec, s[54:55]
	s_branch .LBB650_72
.LBB650_78:                             ;   in Loop: Header=BB650_73 Depth=1
                                        ; implicit-def: $vgpr3
                                        ; implicit-def: $vgpr2
                                        ; implicit-def: $vgpr4
	s_cbranch_execz .LBB650_73
; %bb.79:
	s_and_saveexec_b64 s[30:31], s[26:27]
	s_cbranch_execz .LBB650_81
; %bb.80:
	s_cmp_eq_u32 s3, 0
	s_cselect_b64 vcc, -1, 0
	s_mov_b32 s55, 0
	v_cndmask_b32_e32 v2, 0, v7, vcc
	s_add_i32 s54, s2, 64
	v_add_u32_e32 v2, s56, v2
	s_lshl_b64 s[54:55], s[54:55], 4
	s_add_u32 s54, s36, s54
	v_and_b32_e32 v3, 0xff000000, v2
	v_and_b32_e32 v4, 0xff0000, v2
	s_addc_u32 s55, s37, s55
	v_or_b32_e32 v3, v4, v3
	v_and_b32_e32 v4, 0xff00, v2
	v_and_b32_e32 v2, 0xff, v2
	v_add_u32_e32 v24, s3, v6
	v_mov_b32_e32 v27, 0
	v_or3_b32 v25, v3, v4, v2
	v_mov_b32_e32 v26, 2
	v_mov_b64_e32 v[2:3], s[54:55]
	;;#ASMSTART
	global_store_dwordx4 v[2:3], v[24:27] off sc1	
s_waitcnt vmcnt(0)
	;;#ASMEND
	v_mov_b32_e32 v4, s3
	v_mov_b32_e32 v5, s56
	ds_write_b128 v27, v[4:7] offset:4096
.LBB650_81:
	s_or_b64 exec, exec, s[30:31]
	v_cmp_eq_u32_e32 vcc, 0, v0
	s_and_b64 exec, exec, vcc
	s_cbranch_execz .LBB650_83
; %bb.82:
	v_mov_b32_e32 v2, 0
	ds_write_b64 v2, v[6:7] offset:4168
.LBB650_83:
	s_or_b64 exec, exec, s[44:45]
	v_mov_b32_e32 v4, 0
	s_waitcnt lgkmcnt(0)
	s_barrier
	ds_read_b64 v[2:3], v4 offset:4168
	v_cndmask_b32_e64 v6, v30, v22, s[26:27]
	v_cmp_eq_u32_e32 vcc, 0, v6
	v_cndmask_b32_e64 v5, v31, v23, s[26:27]
	s_waitcnt lgkmcnt(0)
	v_cndmask_b32_e32 v7, 0, v3, vcc
	v_add_u32_e32 v5, v7, v5
	v_cmp_eq_u32_e32 vcc, 0, v0
	s_barrier
	s_nop 0
	v_cndmask_b32_e32 v51, v5, v3, vcc
	v_cndmask_b32_e64 v3, v6, 0, vcc
	v_cmp_eq_u32_e32 vcc, 0, v70
	v_add_u32_e32 v50, v2, v3
	v_add_u32_e32 v48, v50, v70
	v_cndmask_b32_e32 v2, 0, v51, vcc
	v_add_u32_e32 v49, v2, v52
	v_cndmask_b32_e64 v2, 0, v49, s[24:25]
	v_add_u32_e32 v47, v2, v52
	v_cndmask_b32_e64 v2, 0, v47, s[22:23]
	;; [unrolled: 2-line block ×8, first 2 shown]
	v_add_u32_e32 v33, v2, v52
	v_add_u32_e32 v46, v48, v69
	v_cndmask_b32_e64 v2, 0, v33, s[8:9]
	v_add_u32_e32 v44, v46, v68
	v_add_u32_e32 v31, v2, v52
	v_add_u32_e32 v42, v44, v67
	v_cndmask_b32_e64 v2, 0, v31, s[6:7]
	v_add_u32_e32 v40, v42, v66
	;; [unrolled: 4-line block ×3, first 2 shown]
	v_add_u32_e32 v27, v2, v52
	ds_read_b128 v[2:5], v4 offset:4096
	v_add_u32_e32 v34, v36, v63
	v_add_u32_e32 v32, v34, v62
	;; [unrolled: 1-line block ×4, first 2 shown]
	v_cndmask_b32_e64 v6, 0, v27, s[28:29]
	v_add_u32_e32 v26, v28, v59
	v_add_u32_e32 v23, v6, v52
	s_waitcnt lgkmcnt(0)
	v_cmp_eq_u32_e32 vcc, 0, v2
	v_add_u32_e32 v22, v26, v58
	v_cndmask_b32_e64 v6, 0, v23, s[0:1]
	v_cndmask_b32_e32 v5, 0, v5, vcc
	v_add_u32_e32 v24, v22, v57
	v_add_u32_e32 v25, v6, v52
	;; [unrolled: 1-line block ×3, first 2 shown]
	s_branch .LBB650_96
.LBB650_84:
                                        ; implicit-def: $vgpr2
                                        ; implicit-def: $vgpr6
                                        ; implicit-def: $vgpr24_vgpr25
                                        ; implicit-def: $vgpr22_vgpr23
                                        ; implicit-def: $vgpr26_vgpr27
                                        ; implicit-def: $vgpr28_vgpr29
                                        ; implicit-def: $vgpr50_vgpr51
                                        ; implicit-def: $vgpr48_vgpr49
                                        ; implicit-def: $vgpr46_vgpr47
                                        ; implicit-def: $vgpr44_vgpr45
                                        ; implicit-def: $vgpr42_vgpr43
                                        ; implicit-def: $vgpr40_vgpr41
                                        ; implicit-def: $vgpr38_vgpr39
                                        ; implicit-def: $vgpr36_vgpr37
                                        ; implicit-def: $vgpr34_vgpr35
                                        ; implicit-def: $vgpr32_vgpr33
                                        ; implicit-def: $vgpr30_vgpr31
	s_cbranch_execz .LBB650_96
; %bb.85:
	s_and_b64 s[0:1], s[38:39], exec
	s_cselect_b32 s1, 0, s53
	s_cselect_b32 s0, 0, s52
	s_cmp_eq_u64 s[0:1], 0
	v_mov_b32_e32 v6, v52
	s_cbranch_scc1 .LBB650_87
; %bb.86:
	v_mov_b32_e32 v2, 0
	global_load_dword v6, v2, s[0:1]
.LBB650_87:
	v_cmp_eq_u32_e64 s[0:1], 0, v69
	v_cmp_eq_u32_e64 s[2:3], 0, v68
	v_cmp_eq_u32_e64 s[4:5], 0, v67
	v_cndmask_b32_e64 v2, 0, v52, s[0:1]
	v_add_u32_e32 v2, v2, v52
	v_cndmask_b32_e64 v2, 0, v2, s[2:3]
	v_add_u32_e32 v2, v2, v52
	v_cndmask_b32_e64 v2, 0, v2, s[4:5]
	v_add_u32_e32 v2, v2, v52
	v_cmp_eq_u32_e64 s[6:7], 0, v66
	v_cmp_eq_u32_e64 s[8:9], 0, v65
	v_cmp_eq_u32_e64 s[10:11], 0, v64
	v_cndmask_b32_e64 v2, 0, v2, s[6:7]
	v_add_u32_e32 v2, v2, v52
	v_cndmask_b32_e64 v2, 0, v2, s[8:9]
	v_add_u32_e32 v2, v2, v52
	v_cndmask_b32_e64 v2, 0, v2, s[10:11]
	v_add_u32_e32 v2, v2, v52
	;; [unrolled: 9-line block ×3, first 2 shown]
	v_cmp_eq_u32_e64 s[18:19], 0, v60
	v_cmp_eq_u32_e64 s[20:21], 0, v59
	;; [unrolled: 1-line block ×3, first 2 shown]
	v_cndmask_b32_e64 v2, 0, v2, s[18:19]
	v_add_u32_e32 v2, v2, v52
	v_cndmask_b32_e64 v2, 0, v2, s[20:21]
	v_add_u32_e32 v2, v2, v52
	v_cndmask_b32_e64 v2, 0, v2, s[22:23]
	v_add3_u32 v3, v72, v65, v64
	v_add_u32_e32 v2, v2, v52
	v_cmp_eq_u32_e32 vcc, 0, v57
	v_add3_u32 v3, v3, v63, v62
	v_add3_u32 v3, v3, v61, v60
	v_cndmask_b32_e32 v2, 0, v2, vcc
	v_add_u32_e32 v2, v2, v52
	v_cmp_eq_u32_e64 s[24:25], 0, v56
	v_add3_u32 v3, v3, v59, v58
	v_add3_u32 v3, v3, v57, v56
	v_cndmask_b32_e64 v2, 0, v2, s[24:25]
	v_add_u32_e32 v2, v2, v53
	v_mbcnt_hi_u32_b32 v7, -1, v71
	v_and_b32_e32 v4, 15, v7
	v_mov_b32_dpp v22, v2 row_shr:1 row_mask:0xf bank_mask:0xf
	v_cmp_eq_u32_e64 s[24:25], 0, v3
	v_mov_b32_dpp v5, v3 row_shr:1 row_mask:0xf bank_mask:0xf
	v_cmp_lt_u32_e64 s[26:27], 1, v4
	v_cndmask_b32_e64 v22, 0, v22, s[24:25]
	v_cmp_eq_u32_e64 s[24:25], 0, v4
	s_nop 1
	v_cndmask_b32_e64 v5, v5, 0, s[24:25]
	v_add_u32_e32 v3, v5, v3
	v_cndmask_b32_e64 v5, v22, 0, s[24:25]
	v_add_u32_e32 v2, v5, v2
	v_cmp_eq_u32_e64 s[24:25], 0, v3
	v_mov_b32_dpp v5, v3 row_shr:2 row_mask:0xf bank_mask:0xf
	v_mov_b32_dpp v22, v2 row_shr:2 row_mask:0xf bank_mask:0xf
	v_cndmask_b32_e64 v5, 0, v5, s[26:27]
	s_and_b64 s[24:25], s[26:27], s[24:25]
	v_cndmask_b32_e64 v22, 0, v22, s[24:25]
	v_add_u32_e32 v3, v3, v5
	v_add_u32_e32 v2, v22, v2
	v_cmp_eq_u32_e64 s[24:25], 0, v3
	v_mov_b32_dpp v5, v3 row_shr:4 row_mask:0xf bank_mask:0xf
	v_cmp_lt_u32_e64 s[26:27], 3, v4
	v_mov_b32_dpp v22, v2 row_shr:4 row_mask:0xf bank_mask:0xf
	s_and_b64 s[24:25], s[26:27], s[24:25]
	v_cndmask_b32_e64 v5, 0, v5, s[26:27]
	v_cndmask_b32_e64 v22, 0, v22, s[24:25]
	v_add_u32_e32 v3, v5, v3
	v_add_u32_e32 v2, v2, v22
	v_cmp_eq_u32_e64 s[24:25], 0, v3
	v_cmp_lt_u32_e64 s[26:27], 7, v4
	v_mov_b32_dpp v5, v3 row_shr:8 row_mask:0xf bank_mask:0xf
	v_mov_b32_dpp v22, v2 row_shr:8 row_mask:0xf bank_mask:0xf
	s_and_b64 s[24:25], s[26:27], s[24:25]
	v_cndmask_b32_e64 v4, 0, v5, s[26:27]
	v_cndmask_b32_e64 v5, 0, v22, s[24:25]
	v_add_u32_e32 v2, v5, v2
	v_add_u32_e32 v3, v4, v3
	v_bfe_i32 v22, v7, 4, 1
	v_mov_b32_dpp v5, v2 row_bcast:15 row_mask:0xf bank_mask:0xf
	v_mov_b32_dpp v4, v3 row_bcast:15 row_mask:0xf bank_mask:0xf
	v_cmp_eq_u32_e64 s[24:25], 0, v3
	v_and_b32_e32 v4, v22, v4
	v_add_u32_e32 v3, v4, v3
	v_cndmask_b32_e64 v5, 0, v5, s[24:25]
	v_and_b32_e32 v4, v22, v5
	v_add_u32_e32 v4, v4, v2
	v_mov_b32_dpp v2, v3 row_bcast:31 row_mask:0xf bank_mask:0xf
	v_cmp_eq_u32_e64 s[24:25], 0, v3
	v_cmp_lt_u32_e64 s[26:27], 31, v7
	v_mov_b32_dpp v5, v4 row_bcast:31 row_mask:0xf bank_mask:0xf
	s_and_b64 s[24:25], s[26:27], s[24:25]
	v_cndmask_b32_e64 v2, 0, v2, s[26:27]
	v_add_u32_e32 v2, v2, v3
	v_cndmask_b32_e64 v3, 0, v5, s[24:25]
	v_add_u32_e32 v3, v3, v4
	v_cmp_eq_u32_e64 s[24:25], v55, v0
	v_lshlrev_b32_e32 v5, 3, v54
	s_and_saveexec_b64 s[26:27], s[24:25]
	s_cbranch_execz .LBB650_89
; %bb.88:
	ds_write_b64 v5, v[2:3] offset:4112
.LBB650_89:
	s_or_b64 exec, exec, s[26:27]
	v_cmp_gt_u32_e64 s[24:25], 8, v0
	s_waitcnt lgkmcnt(0)
	s_barrier
	s_and_saveexec_b64 s[28:29], s[24:25]
	s_cbranch_execz .LBB650_91
; %bb.90:
	v_lshlrev_b32_e32 v4, 3, v0
	ds_read_b64 v[22:23], v4 offset:4112
	v_and_b32_e32 v24, 7, v7
	v_cmp_lt_u32_e64 s[26:27], 1, v24
	s_waitcnt lgkmcnt(0)
	v_mov_b32_dpp v26, v23 row_shr:1 row_mask:0xf bank_mask:0xf
	v_cmp_eq_u32_e64 s[24:25], 0, v22
	v_mov_b32_dpp v25, v22 row_shr:1 row_mask:0xf bank_mask:0xf
	s_nop 0
	v_cndmask_b32_e64 v26, 0, v26, s[24:25]
	v_cmp_eq_u32_e64 s[24:25], 0, v24
	s_nop 1
	v_cndmask_b32_e64 v25, v25, 0, s[24:25]
	v_add_u32_e32 v22, v25, v22
	v_cndmask_b32_e64 v25, v26, 0, s[24:25]
	v_add_u32_e32 v23, v25, v23
	v_cmp_eq_u32_e64 s[24:25], 0, v22
	v_mov_b32_dpp v25, v22 row_shr:2 row_mask:0xf bank_mask:0xf
	v_mov_b32_dpp v26, v23 row_shr:2 row_mask:0xf bank_mask:0xf
	v_cndmask_b32_e64 v25, 0, v25, s[26:27]
	s_and_b64 s[24:25], s[26:27], s[24:25]
	v_cndmask_b32_e64 v26, 0, v26, s[24:25]
	v_add_u32_e32 v22, v25, v22
	v_add_u32_e32 v23, v26, v23
	v_cmp_eq_u32_e64 s[24:25], 0, v22
	v_mov_b32_dpp v25, v22 row_shr:4 row_mask:0xf bank_mask:0xf
	v_cmp_lt_u32_e64 s[26:27], 3, v24
	v_mov_b32_dpp v26, v23 row_shr:4 row_mask:0xf bank_mask:0xf
	s_and_b64 s[24:25], s[26:27], s[24:25]
	v_cndmask_b32_e64 v24, 0, v25, s[26:27]
	v_add_u32_e32 v22, v24, v22
	v_cndmask_b32_e64 v24, 0, v26, s[24:25]
	v_add_u32_e32 v23, v24, v23
	ds_write_b64 v4, v[22:23] offset:4112
.LBB650_91:
	s_or_b64 exec, exec, s[28:29]
	v_cmp_lt_u32_e64 s[24:25], 63, v0
	v_mov_b32_e32 v23, 0
	v_mov_b32_e32 v4, 0
	s_waitcnt vmcnt(0)
	v_mov_b32_e32 v22, v6
	s_waitcnt lgkmcnt(0)
	s_barrier
	s_and_saveexec_b64 s[26:27], s[24:25]
	s_cbranch_execz .LBB650_93
; %bb.92:
	ds_read_b64 v[4:5], v5 offset:4104
	s_waitcnt lgkmcnt(0)
	v_cmp_eq_u32_e64 s[24:25], 0, v4
	s_nop 1
	v_cndmask_b32_e64 v22, 0, v6, s[24:25]
	v_add_u32_e32 v22, v22, v5
.LBB650_93:
	s_or_b64 exec, exec, s[26:27]
	v_cmp_eq_u32_e64 s[24:25], 0, v2
	v_add_u32_e32 v5, v4, v2
	v_and_b32_e32 v24, 64, v7
	v_cndmask_b32_e64 v2, 0, v22, s[24:25]
	v_add_u32_e32 v2, v2, v3
	v_add_u32_e32 v3, -1, v7
	v_cmp_lt_i32_e64 s[24:25], v3, v24
	v_cmp_eq_u32_e64 s[26:27], 0, v70
	s_nop 0
	v_cndmask_b32_e64 v3, v3, v7, s[24:25]
	v_lshlrev_b32_e32 v3, 2, v3
	ds_bpermute_b32 v5, v3, v5
	ds_bpermute_b32 v2, v3, v2
	v_cmp_eq_u32_e64 s[24:25], 0, v7
	s_waitcnt lgkmcnt(1)
	s_nop 0
	v_cndmask_b32_e64 v3, v5, v4, s[24:25]
	s_waitcnt lgkmcnt(0)
	v_cndmask_b32_e64 v2, v2, v22, s[24:25]
	v_cmp_eq_u32_e64 s[24:25], 0, v0
	s_nop 1
	v_cndmask_b32_e64 v51, v2, v6, s[24:25]
	v_cndmask_b32_e64 v2, 0, v51, s[26:27]
	v_add_u32_e32 v49, v2, v52
	v_cndmask_b32_e64 v2, 0, v49, s[0:1]
	v_add_u32_e32 v47, v2, v52
	;; [unrolled: 2-line block ×8, first 2 shown]
	v_cndmask_b32_e64 v50, v3, 0, s[24:25]
	v_cndmask_b32_e64 v2, 0, v35, s[14:15]
	v_add_u32_e32 v48, v50, v70
	v_add_u32_e32 v33, v2, v52
	v_add_u32_e32 v46, v48, v69
	v_cndmask_b32_e64 v2, 0, v33, s[16:17]
	v_add_u32_e32 v44, v46, v68
	v_add_u32_e32 v31, v2, v52
	v_add_u32_e32 v42, v44, v67
	;; [unrolled: 4-line block ×3, first 2 shown]
	v_cndmask_b32_e64 v2, 0, v29, s[20:21]
	v_add_u32_e32 v36, v38, v64
	v_add_u32_e32 v27, v2, v52
	ds_read_b64 v[2:3], v23 offset:4168
	v_add_u32_e32 v34, v36, v63
	v_add_u32_e32 v32, v34, v62
	;; [unrolled: 1-line block ×3, first 2 shown]
	v_cndmask_b32_e64 v4, 0, v27, s[22:23]
	v_add_u32_e32 v28, v30, v60
	v_add_u32_e32 v23, v4, v52
	;; [unrolled: 1-line block ×3, first 2 shown]
	v_cndmask_b32_e32 v4, 0, v23, vcc
	s_waitcnt lgkmcnt(0)
	v_cmp_eq_u32_e32 vcc, 0, v2
	v_add_u32_e32 v22, v26, v58
	v_add_u32_e32 v25, v4, v52
	v_cndmask_b32_e32 v4, 0, v6, vcc
	v_add_u32_e32 v24, v22, v57
	v_add_u32_e32 v6, v4, v3
	s_and_saveexec_b64 s[0:1], s[24:25]
	s_cbranch_execz .LBB650_95
; %bb.94:
	s_add_u32 s2, s36, 0x400
	v_and_b32_e32 v3, 0xff000000, v6
	v_and_b32_e32 v4, 0xff0000, v6
	s_addc_u32 s3, s37, 0
	v_or_b32_e32 v3, v4, v3
	v_and_b32_e32 v4, 0xff00, v6
	v_and_b32_e32 v7, 0xff, v6
	v_mov_b32_e32 v5, 0
	v_or3_b32 v3, v3, v4, v7
	v_mov_b32_e32 v4, 2
	v_mov_b64_e32 v[52:53], s[2:3]
	;;#ASMSTART
	global_store_dwordx4 v[52:53], v[2:5] off sc1	
s_waitcnt vmcnt(0)
	;;#ASMEND
.LBB650_95:
	s_or_b64 exec, exec, s[0:1]
	v_mov_b32_e32 v4, 0
.LBB650_96:
	s_and_b64 s[0:1], s[38:39], exec
	s_cselect_b32 s1, 0, s47
	s_cselect_b32 s0, 0, s46
	s_cmp_eq_u64 s[0:1], 0
	v_mov_b64_e32 v[52:53], 0
	s_waitcnt lgkmcnt(0)
	s_barrier
	s_cbranch_scc1 .LBB650_98
; %bb.97:
	v_mov_b32_e32 v3, 0
	global_load_dwordx2 v[52:53], v3, s[0:1]
.LBB650_98:
	v_cmp_eq_u32_e32 vcc, 0, v70
	s_waitcnt vmcnt(0)
	v_lshlrev_b64 v[54:55], 2, v[52:53]
	v_mov_b32_e32 v5, 0
	v_cndmask_b32_e64 v3, 1, 2, vcc
	v_cmp_eq_u32_e32 vcc, 0, v69
	s_movk_i32 s30, 0x200
	v_lshl_add_u64 v[54:55], s[40:41], 0, v[54:55]
	v_cndmask_b32_e64 v7, 1, 2, vcc
	v_cmp_eq_u32_e32 vcc, 0, v68
	v_and_b32_e32 v3, v7, v3
	v_lshlrev_b64 v[72:73], 2, v[4:5]
	v_cndmask_b32_e64 v7, 1, 2, vcc
	v_cmp_eq_u32_e32 vcc, 0, v67
	v_and_b32_e32 v3, v3, v7
	v_lshl_add_u64 v[54:55], v[54:55], 0, v[72:73]
	v_cndmask_b32_e64 v7, 1, 2, vcc
	v_cmp_eq_u32_e32 vcc, 0, v66
	v_and_b32_e32 v3, v3, v7
	v_cmp_ne_u32_e64 s[28:29], 0, v70
	v_cndmask_b32_e64 v7, 1, 2, vcc
	v_cmp_eq_u32_e32 vcc, 0, v65
	v_and_b32_e32 v3, v3, v7
	v_cmp_ne_u32_e64 s[26:27], 0, v69
	;; [unrolled: 4-line block ×11, first 2 shown]
	v_cndmask_b32_e64 v7, 1, 2, vcc
	v_and_b32_e32 v3, v3, v7
	v_cmp_gt_u32_e32 vcc, s30, v2
	v_cmp_ne_u32_e64 s[6:7], 0, v59
	v_cmp_ne_u32_e64 s[4:5], 0, v58
	;; [unrolled: 1-line block ×4, first 2 shown]
	s_mov_b64 s[36:37], -1
	v_cmp_gt_i16_e64 s[30:31], 2, v3
	s_cbranch_vccz .LBB650_105
; %bb.99:
	s_and_saveexec_b64 s[36:37], s[30:31]
	s_cbranch_execz .LBB650_104
; %bb.100:
	v_cmp_ne_u16_e32 vcc, 1, v3
	s_mov_b64 s[38:39], 0
	s_and_saveexec_b64 s[30:31], vcc
	s_xor_b64 s[30:31], exec, s[30:31]
	s_cbranch_execnz .LBB650_147
; %bb.101:
	s_andn2_saveexec_b64 s[30:31], s[30:31]
	s_cbranch_execnz .LBB650_163
.LBB650_102:
	s_or_b64 exec, exec, s[30:31]
	s_and_b64 exec, exec, s[38:39]
	s_cbranch_execz .LBB650_104
.LBB650_103:
	v_sub_u32_e32 v72, v24, v4
	v_mov_b32_e32 v73, 0
	v_lshl_add_u64 v[72:73], v[72:73], 2, v[54:55]
	global_store_dword v[72:73], v1, off
.LBB650_104:
	s_or_b64 exec, exec, s[36:37]
	s_mov_b64 s[36:37], 0
.LBB650_105:
	s_and_b64 vcc, exec, s[36:37]
	s_cbranch_vccz .LBB650_125
; %bb.106:
	v_cmp_gt_i16_e32 vcc, 2, v3
	s_and_saveexec_b64 s[30:31], vcc
	s_cbranch_execz .LBB650_111
; %bb.107:
	v_cmp_ne_u16_e32 vcc, 1, v3
	s_mov_b64 s[38:39], 0
	s_and_saveexec_b64 s[36:37], vcc
	s_xor_b64 s[36:37], exec, s[36:37]
	s_cbranch_execnz .LBB650_164
; %bb.108:
	s_andn2_saveexec_b64 s[0:1], s[36:37]
	s_cbranch_execnz .LBB650_180
.LBB650_109:
	s_or_b64 exec, exec, s[0:1]
	s_and_b64 exec, exec, s[38:39]
	s_cbranch_execz .LBB650_111
.LBB650_110:
	v_sub_u32_e32 v3, v24, v4
	v_lshlrev_b32_e32 v3, 2, v3
	ds_write_b32 v3, v1
.LBB650_111:
	s_or_b64 exec, exec, s[30:31]
	v_cmp_lt_u32_e32 vcc, v0, v2
	s_waitcnt lgkmcnt(0)
	s_barrier
	s_and_saveexec_b64 s[0:1], vcc
	s_cbranch_execz .LBB650_124
; %bb.112:
	v_xad_u32 v1, v0, -1, v2
	s_movk_i32 s2, 0x1ff
	v_cmp_lt_u32_e32 vcc, s2, v1
	s_mov_b64 s[4:5], -1
	v_mov_b32_e32 v8, v0
	s_and_saveexec_b64 s[2:3], vcc
	s_cbranch_execz .LBB650_121
; %bb.113:
	v_lshrrev_b32_e32 v3, 9, v1
	v_add_u32_e32 v8, -1, v3
	v_or_b32_e32 v1, 0x200, v0
	v_lshrrev_b32_e32 v7, 1, v8
	v_add_u32_e32 v7, 1, v7
	v_cmp_lt_u32_e32 vcc, 13, v8
	v_mov_b32_e32 v14, 0
	v_mov_b64_e32 v[8:9], v[0:1]
	s_and_saveexec_b64 s[4:5], vcc
	s_cbranch_execz .LBB650_117
; %bb.114:
	v_and_b32_e32 v12, -8, v7
	v_lshlrev_b32_e32 v13, 2, v0
	s_mov_b32 s8, 0
	s_mov_b64 s[6:7], 0
	v_mov_b32_e32 v11, 0
	v_mov_b64_e32 v[8:9], v[0:1]
.LBB650_115:                            ; =>This Inner Loop Header: Depth=1
	ds_read2st64_b32 v[16:17], v13 offset1:8
	v_mov_b32_e32 v10, v8
	ds_read2st64_b32 v[76:77], v13 offset0:48 offset1:56
	v_lshl_add_u64 v[94:95], v[10:11], 2, v[54:55]
	v_mov_b32_e32 v10, v9
	ds_read2st64_b32 v[18:19], v13 offset0:16 offset1:24
	ds_read2st64_b32 v[80:81], v13 offset0:64 offset1:72
	v_lshl_add_u64 v[98:99], v[10:11], 2, v[54:55]
	v_add_u32_e32 v10, 0x400, v8
	ds_read2st64_b32 v[84:85], v13 offset0:80 offset1:88
	v_lshl_add_u64 v[100:101], v[10:11], 2, v[54:55]
	v_add_u32_e32 v10, 0x800, v8
	v_add_u32_e32 v14, 0x400, v9
	v_mov_b32_e32 v15, v11
	v_add_u32_e32 v20, 0x800, v9
	ds_read2st64_b32 v[72:73], v13 offset0:32 offset1:40
	v_mov_b32_e32 v21, v11
	ds_read2st64_b32 v[88:89], v13 offset0:96 offset1:104
	v_lshl_add_u64 v[102:103], v[10:11], 2, v[54:55]
	v_add_u32_e32 v10, 0xc00, v8
	v_add_u32_e32 v74, 0xc00, v9
	v_mov_b32_e32 v75, v11
	ds_read2st64_b32 v[92:93], v13 offset0:112 offset1:120
	v_lshl_add_u64 v[96:97], v[14:15], 2, v[54:55]
	v_lshl_add_u64 v[20:21], v[20:21], 2, v[54:55]
	s_waitcnt lgkmcnt(7)
	global_store_dword v[94:95], v16, off
	global_store_dword v[98:99], v17, off
	s_waitcnt lgkmcnt(5)
	global_store_dword v[100:101], v18, off
	global_store_dword v[96:97], v19, off
	;; [unrolled: 3-line block ×3, first 2 shown]
	v_lshl_add_u64 v[16:17], v[10:11], 2, v[54:55]
	v_add_u32_e32 v10, 0x1000, v8
	v_add_u32_e32 v78, 0x1000, v9
	v_mov_b32_e32 v79, v11
	v_lshl_add_u64 v[74:75], v[74:75], 2, v[54:55]
	global_store_dword v[16:17], v76, off
	global_store_dword v[74:75], v77, off
	v_lshl_add_u64 v[16:17], v[10:11], 2, v[54:55]
	v_add_u32_e32 v10, 0x1400, v8
	v_add_u32_e32 v82, 0x1400, v9
	v_mov_b32_e32 v83, v11
	v_add_u32_e32 v12, -8, v12
	v_lshl_add_u64 v[78:79], v[78:79], 2, v[54:55]
	global_store_dword v[16:17], v80, off
	global_store_dword v[78:79], v81, off
	v_lshl_add_u64 v[16:17], v[10:11], 2, v[54:55]
	v_add_u32_e32 v10, 0x1800, v8
	v_add_u32_e32 v86, 0x1800, v9
	v_mov_b32_e32 v87, v11
	s_add_i32 s8, s8, 16
	v_lshl_add_u64 v[82:83], v[82:83], 2, v[54:55]
	v_cmp_eq_u32_e32 vcc, 0, v12
	global_store_dword v[16:17], v84, off
	global_store_dword v[82:83], v85, off
	v_lshl_add_u64 v[16:17], v[10:11], 2, v[54:55]
	v_add_u32_e32 v10, 0x1c00, v8
	v_add_u32_e32 v90, 0x1c00, v9
	v_mov_b32_e32 v91, v11
	v_add_u32_e32 v13, 0x8000, v13
	v_lshl_add_u64 v[86:87], v[86:87], 2, v[54:55]
	v_add_u32_e32 v9, 0x2000, v9
	v_mov_b32_e32 v14, s8
	s_or_b64 s[6:7], vcc, s[6:7]
	v_add_u32_e32 v8, 0x2000, v8
	s_waitcnt lgkmcnt(1)
	global_store_dword v[16:17], v88, off
	global_store_dword v[86:87], v89, off
	v_lshl_add_u64 v[16:17], v[10:11], 2, v[54:55]
	v_lshl_add_u64 v[90:91], v[90:91], 2, v[54:55]
	s_waitcnt lgkmcnt(0)
	global_store_dword v[16:17], v92, off
	global_store_dword v[90:91], v93, off
	s_andn2_b64 exec, exec, s[6:7]
	s_cbranch_execnz .LBB650_115
; %bb.116:
	s_or_b64 exec, exec, s[6:7]
.LBB650_117:
	s_or_b64 exec, exec, s[4:5]
	v_and_b32_e32 v1, 7, v7
	v_cmp_ne_u32_e32 vcc, 0, v1
	s_and_saveexec_b64 s[4:5], vcc
	s_cbranch_execz .LBB650_120
; %bb.118:
	v_lshlrev_b32_e32 v7, 2, v0
	v_lshl_or_b32 v7, v14, 11, v7
	s_mov_b64 s[6:7], 0
	v_mov_b32_e32 v11, 0
.LBB650_119:                            ; =>This Inner Loop Header: Depth=1
	ds_read2st64_b32 v[12:13], v7 offset1:8
	v_add_u32_e32 v1, -1, v1
	v_mov_b32_e32 v10, v8
	v_cmp_eq_u32_e32 vcc, 0, v1
	v_add_u32_e32 v8, 0x400, v8
	v_add_u32_e32 v7, 0x1000, v7
	v_lshl_add_u64 v[14:15], v[10:11], 2, v[54:55]
	v_mov_b32_e32 v10, v9
	v_add_u32_e32 v9, 0x400, v9
	s_or_b64 s[6:7], vcc, s[6:7]
	v_lshl_add_u64 v[16:17], v[10:11], 2, v[54:55]
	s_waitcnt lgkmcnt(0)
	global_store_dword v[14:15], v12, off
	global_store_dword v[16:17], v13, off
	s_andn2_b64 exec, exec, s[6:7]
	s_cbranch_execnz .LBB650_119
.LBB650_120:
	s_or_b64 exec, exec, s[4:5]
	v_add_u32_e32 v1, 1, v3
	v_and_b32_e32 v3, 0xfffffe, v1
	v_cmp_ne_u32_e32 vcc, v1, v3
	v_lshl_or_b32 v8, v3, 9, v0
	s_orn2_b64 s[4:5], vcc, exec
.LBB650_121:
	s_or_b64 exec, exec, s[2:3]
	s_and_b64 exec, exec, s[4:5]
	s_cbranch_execz .LBB650_124
; %bb.122:
	v_lshlrev_b32_e32 v1, 2, v8
	s_mov_b64 s[2:3], 0
	v_mov_b32_e32 v9, 0
.LBB650_123:                            ; =>This Inner Loop Header: Depth=1
	ds_read_b32 v3, v1
	v_lshl_add_u64 v[10:11], v[8:9], 2, v[54:55]
	v_add_u32_e32 v8, 0x200, v8
	v_cmp_ge_u32_e32 vcc, v8, v2
	v_add_u32_e32 v1, 0x800, v1
	s_or_b64 s[2:3], vcc, s[2:3]
	s_waitcnt lgkmcnt(0)
	global_store_dword v[10:11], v3, off
	s_andn2_b64 exec, exec, s[2:3]
	s_cbranch_execnz .LBB650_123
.LBB650_124:
	s_or_b64 exec, exec, s[0:1]
.LBB650_125:
	s_cmpk_lg_i32 s33, 0x1e00
	s_cselect_b64 s[0:1], -1, 0
	v_cndmask_b32_e64 v16, 0, 1, s[50:51]
	s_and_b64 s[0:1], s[48:49], s[0:1]
	v_cmp_eq_u32_e32 vcc, 0, v0
	v_sub_u32_e32 v1, v2, v16
	v_cndmask_b32_e64 v3, 0, 1, s[0:1]
	s_and_b64 s[0:1], vcc, s[50:51]
	v_add_u32_e32 v1, v1, v3
	v_cndmask_b32_e64 v3, v70, 0, s[0:1]
	s_mul_hi_u32 s0, s33, 0x88888889
	s_lshr_b32 s0, s0, 3
	v_mad_i32_i24 v7, v0, -15, s33
	v_cmp_eq_u32_e32 vcc, s0, v0
	v_cmp_ne_u32_e64 s[0:1], 0, v7
	s_and_b64 vcc, s[48:49], vcc
	s_mov_b32 s2, 0
	v_cndmask_b32_e64 v8, 1, v3, s[0:1]
	v_cmp_ne_u32_e64 s[0:1], 1, v7
	s_movk_i32 s30, 0x200
	s_mov_b64 s[36:37], -1
	v_cndmask_b32_e64 v9, 1, v69, s[0:1]
	v_cmp_ne_u32_e64 s[0:1], 2, v7
	s_barrier
	s_nop 0
	v_cndmask_b32_e64 v10, 1, v68, s[0:1]
	v_cmp_ne_u32_e64 s[0:1], 3, v7
	s_nop 1
	v_cndmask_b32_e64 v11, 1, v67, s[0:1]
	v_cmp_ne_u32_e64 s[0:1], 4, v7
	;; [unrolled: 3-line block ×7, first 2 shown]
	v_cndmask_b32_e32 v55, v62, v17, vcc
	v_cndmask_b32_e32 v62, v69, v9, vcc
	v_cndmask_b32_e64 v18, 1, v61, s[0:1]
	v_cmp_ne_u32_e64 s[0:1], 10, v7
	v_cndmask_b32_e32 v18, v61, v18, vcc
	v_cndmask_b32_e32 v61, v68, v10, vcc
	v_cndmask_b32_e64 v19, 1, v60, s[0:1]
	v_cmp_ne_u32_e64 s[0:1], 11, v7
	;; [unrolled: 4-line block ×5, first 2 shown]
	v_cndmask_b32_e32 v54, v57, v54, vcc
	v_cndmask_b32_e32 v57, v64, v14, vcc
	v_cndmask_b32_e64 v7, 1, v56, s[0:1]
	v_cndmask_b32_e32 v7, v56, v7, vcc
	v_cndmask_b32_e32 v56, v63, v15, vcc
	;; [unrolled: 1-line block ×3, first 2 shown]
	v_mov_b32_e32 v17, s2
	v_cmp_eq_u32_e32 vcc, 0, v63
	v_lshl_add_u64 v[14:15], v[16:17], 0, -1
	v_add_u32_e32 v3, v4, v16
	v_cndmask_b32_e64 v16, 1, 2, vcc
	v_cmp_eq_u32_e32 vcc, 0, v62
	v_lshlrev_b64 v[10:11], 3, v[52:53]
	v_cmp_ne_u32_e64 s[0:1], 0, v7
	v_cndmask_b32_e64 v17, 1, 2, vcc
	v_cmp_eq_u32_e32 vcc, 0, v61
	v_and_b32_e32 v16, v17, v16
	v_lshl_add_u64 v[8:9], s[42:43], 0, v[10:11]
	v_cndmask_b32_e64 v17, 1, 2, vcc
	v_cmp_eq_u32_e32 vcc, 0, v60
	v_and_b32_e32 v16, v16, v17
	v_lshlrev_b64 v[12:13], 3, v[4:5]
	v_cndmask_b32_e64 v17, 1, 2, vcc
	v_cmp_eq_u32_e32 vcc, 0, v59
	v_and_b32_e32 v16, v16, v17
	v_lshl_add_u64 v[8:9], v[8:9], 0, v[12:13]
	v_cndmask_b32_e64 v17, 1, 2, vcc
	v_cmp_eq_u32_e32 vcc, 0, v58
	v_and_b32_e32 v16, v16, v17
	v_cmp_ne_u32_e64 s[28:29], 0, v63
	v_cndmask_b32_e64 v17, 1, 2, vcc
	v_cmp_eq_u32_e32 vcc, 0, v57
	v_and_b32_e32 v16, v16, v17
	v_cmp_ne_u32_e64 s[26:27], 0, v62
	;; [unrolled: 4-line block ×10, first 2 shown]
	v_cndmask_b32_e64 v7, 1, 2, vcc
	v_and_b32_e32 v7, v16, v7
	v_cmp_gt_u32_e32 vcc, s30, v1
	v_cmp_ne_u32_e64 s[8:9], 0, v19
	v_cmp_ne_u32_e64 s[6:7], 0, v20
	;; [unrolled: 1-line block ×4, first 2 shown]
	v_cmp_gt_i16_e64 s[30:31], 2, v7
	s_cbranch_vccz .LBB650_132
; %bb.126:
	s_and_saveexec_b64 s[36:37], s[30:31]
	s_cbranch_execz .LBB650_131
; %bb.127:
	v_lshlrev_b64 v[16:17], 3, v[14:15]
	v_lshl_add_u64 v[16:17], v[8:9], 0, v[16:17]
	v_cmp_ne_u16_e32 vcc, 1, v7
	s_mov_b64 s[38:39], 0
	s_and_saveexec_b64 s[30:31], vcc
	s_xor_b64 s[30:31], exec, s[30:31]
	s_cbranch_execnz .LBB650_181
; %bb.128:
	s_andn2_saveexec_b64 s[30:31], s[30:31]
	s_cbranch_execnz .LBB650_197
.LBB650_129:
	s_or_b64 exec, exec, s[30:31]
	s_and_b64 exec, exec, s[38:39]
	s_cbranch_execz .LBB650_131
.LBB650_130:
	v_mov_b32_e32 v19, 0
	v_sub_u32_e32 v20, v24, v3
	v_mov_b32_e32 v21, v19
	v_mov_b32_e32 v18, v25
	v_lshl_add_u64 v[16:17], v[20:21], 3, v[16:17]
	global_store_dwordx2 v[16:17], v[18:19], off
.LBB650_131:
	s_or_b64 exec, exec, s[36:37]
	s_mov_b64 s[36:37], 0
.LBB650_132:
	s_and_b64 vcc, exec, s[36:37]
	s_cbranch_vccz .LBB650_142
; %bb.133:
	v_cmp_gt_i16_e32 vcc, 2, v7
	s_and_saveexec_b64 s[30:31], vcc
	s_cbranch_execz .LBB650_138
; %bb.134:
	v_cmp_ne_u16_e32 vcc, 1, v7
	s_mov_b64 s[38:39], 0
	s_and_saveexec_b64 s[36:37], vcc
	s_xor_b64 s[36:37], exec, s[36:37]
	s_cbranch_execnz .LBB650_198
; %bb.135:
	s_andn2_saveexec_b64 s[0:1], s[36:37]
	s_cbranch_execnz .LBB650_214
.LBB650_136:
	s_or_b64 exec, exec, s[0:1]
	s_and_b64 exec, exec, s[38:39]
	s_cbranch_execz .LBB650_138
.LBB650_137:
	v_sub_u32_e32 v3, v24, v3
	v_lshlrev_b32_e32 v3, 2, v3
	ds_write_b32 v3, v25
.LBB650_138:
	s_or_b64 exec, exec, s[30:31]
	v_cmp_lt_u32_e32 vcc, v0, v1
	s_waitcnt lgkmcnt(0)
	s_barrier
	s_and_saveexec_b64 s[0:1], vcc
	s_cbranch_execz .LBB650_141
; %bb.139:
	v_lshlrev_b64 v[14:15], 3, v[14:15]
	v_lshl_add_u64 v[10:11], v[10:11], 0, v[14:15]
	v_lshl_add_u64 v[12:13], v[10:11], 0, v[12:13]
	v_lshlrev_b32_e32 v10, 3, v0
	v_mov_b32_e32 v11, 0
	v_lshl_add_u64 v[12:13], s[42:43], 0, v[12:13]
	v_lshlrev_b32_e32 v3, 2, v0
	v_lshl_add_u64 v[12:13], v[12:13], 0, v[10:11]
	s_mov_b64 s[2:3], 0
	s_mov_b64 s[4:5], 0x1000
	v_mov_b32_e32 v7, v0
.LBB650_140:                            ; =>This Inner Loop Header: Depth=1
	ds_read_b32 v10, v3
	v_add_u32_e32 v7, 0x200, v7
	v_cmp_ge_u32_e32 vcc, v7, v1
	v_add_u32_e32 v3, 0x800, v3
	s_or_b64 s[2:3], vcc, s[2:3]
	s_waitcnt lgkmcnt(0)
	global_store_dwordx2 v[12:13], v[10:11], off
	v_lshl_add_u64 v[12:13], v[12:13], 0, s[4:5]
	s_andn2_b64 exec, exec, s[2:3]
	s_cbranch_execnz .LBB650_140
.LBB650_141:
	s_or_b64 exec, exec, s[0:1]
.LBB650_142:
	s_movk_i32 s0, 0x1ff
	v_cmp_eq_u32_e32 vcc, s0, v0
	s_and_b64 s[0:1], vcc, s[48:49]
	s_and_saveexec_b64 s[2:3], s[0:1]
	s_cbranch_execz .LBB650_145
; %bb.143:
	v_mov_b32_e32 v3, 0
	v_lshl_add_u64 v[0:1], v[2:3], 0, v[4:5]
	v_lshl_add_u64 v[0:1], v[0:1], 0, v[52:53]
	s_cmpk_lg_i32 s33, 0x1e00
	global_store_dwordx2 v3, v[0:1], s[34:35]
	s_cbranch_scc1 .LBB650_145
; %bb.144:
	v_lshlrev_b64 v[0:1], 3, v[2:3]
	v_mov_b32_e32 v7, v3
	v_lshl_add_u64 v[0:1], v[8:9], 0, v[0:1]
	global_store_dwordx2 v[0:1], v[6:7], off offset:-8
.LBB650_145:
	s_endpgm
.LBB650_146:
	s_or_b64 exec, exec, s[8:9]
	v_mov_b32_e32 v70, s3
	s_and_saveexec_b64 s[4:5], s[42:43]
	s_cbranch_execnz .LBB650_56
	s_branch .LBB650_57
.LBB650_147:
	s_and_saveexec_b64 s[38:39], s[28:29]
	s_cbranch_execnz .LBB650_215
; %bb.148:
	s_or_b64 exec, exec, s[38:39]
	s_and_saveexec_b64 s[38:39], s[26:27]
	s_cbranch_execnz .LBB650_216
.LBB650_149:
	s_or_b64 exec, exec, s[38:39]
	s_and_saveexec_b64 s[38:39], s[24:25]
	s_cbranch_execnz .LBB650_217
.LBB650_150:
	s_or_b64 exec, exec, s[38:39]
	s_and_saveexec_b64 s[38:39], s[22:23]
	s_cbranch_execnz .LBB650_218
.LBB650_151:
	s_or_b64 exec, exec, s[38:39]
	s_and_saveexec_b64 s[38:39], s[20:21]
	s_cbranch_execnz .LBB650_219
.LBB650_152:
	s_or_b64 exec, exec, s[38:39]
	s_and_saveexec_b64 s[38:39], s[18:19]
	s_cbranch_execnz .LBB650_220
.LBB650_153:
	s_or_b64 exec, exec, s[38:39]
	s_and_saveexec_b64 s[38:39], s[16:17]
	s_cbranch_execnz .LBB650_221
.LBB650_154:
	s_or_b64 exec, exec, s[38:39]
	s_and_saveexec_b64 s[38:39], s[14:15]
	s_cbranch_execnz .LBB650_222
.LBB650_155:
	s_or_b64 exec, exec, s[38:39]
	s_and_saveexec_b64 s[38:39], s[12:13]
	s_cbranch_execnz .LBB650_223
.LBB650_156:
	s_or_b64 exec, exec, s[38:39]
	s_and_saveexec_b64 s[38:39], s[10:11]
	s_cbranch_execnz .LBB650_224
.LBB650_157:
	s_or_b64 exec, exec, s[38:39]
	s_and_saveexec_b64 s[38:39], s[8:9]
	s_cbranch_execnz .LBB650_225
.LBB650_158:
	s_or_b64 exec, exec, s[38:39]
	s_and_saveexec_b64 s[38:39], s[6:7]
	s_cbranch_execnz .LBB650_226
.LBB650_159:
	s_or_b64 exec, exec, s[38:39]
	s_and_saveexec_b64 s[38:39], s[4:5]
	s_cbranch_execnz .LBB650_227
.LBB650_160:
	s_or_b64 exec, exec, s[38:39]
	s_and_saveexec_b64 s[38:39], s[2:3]
	s_cbranch_execz .LBB650_162
.LBB650_161:
	v_sub_u32_e32 v72, v22, v4
	v_mov_b32_e32 v73, 0
	v_lshl_add_u64 v[72:73], v[72:73], 2, v[54:55]
	global_store_dword v[72:73], v9, off
.LBB650_162:
	s_or_b64 exec, exec, s[38:39]
	s_and_b64 s[38:39], s[0:1], exec
	s_andn2_saveexec_b64 s[30:31], s[30:31]
	s_cbranch_execz .LBB650_102
.LBB650_163:
	v_sub_u32_e32 v72, v50, v4
	v_mov_b32_e32 v73, 0
	v_lshl_add_u64 v[74:75], v[72:73], 2, v[54:55]
	v_sub_u32_e32 v72, v48, v4
	global_store_dword v[74:75], v20, off
	v_lshl_add_u64 v[74:75], v[72:73], 2, v[54:55]
	v_sub_u32_e32 v72, v46, v4
	global_store_dword v[74:75], v21, off
	;; [unrolled: 3-line block ×12, first 2 shown]
	v_lshl_add_u64 v[74:75], v[72:73], 2, v[54:55]
	v_sub_u32_e32 v72, v22, v4
	v_lshl_add_u64 v[72:73], v[72:73], 2, v[54:55]
	s_or_b64 s[38:39], s[38:39], exec
	global_store_dword v[74:75], v8, off
	global_store_dword v[72:73], v9, off
	s_or_b64 exec, exec, s[30:31]
	s_and_b64 exec, exec, s[38:39]
	s_cbranch_execnz .LBB650_103
	s_branch .LBB650_104
.LBB650_164:
	s_and_saveexec_b64 s[38:39], s[28:29]
	s_cbranch_execnz .LBB650_228
; %bb.165:
	s_or_b64 exec, exec, s[38:39]
	s_and_saveexec_b64 s[28:29], s[26:27]
	s_cbranch_execnz .LBB650_229
.LBB650_166:
	s_or_b64 exec, exec, s[28:29]
	s_and_saveexec_b64 s[26:27], s[24:25]
	s_cbranch_execnz .LBB650_230
.LBB650_167:
	s_or_b64 exec, exec, s[26:27]
	s_and_saveexec_b64 s[24:25], s[22:23]
	s_cbranch_execnz .LBB650_231
.LBB650_168:
	s_or_b64 exec, exec, s[24:25]
	s_and_saveexec_b64 s[22:23], s[20:21]
	s_cbranch_execnz .LBB650_232
.LBB650_169:
	s_or_b64 exec, exec, s[22:23]
	s_and_saveexec_b64 s[20:21], s[18:19]
	s_cbranch_execnz .LBB650_233
.LBB650_170:
	s_or_b64 exec, exec, s[20:21]
	s_and_saveexec_b64 s[18:19], s[16:17]
	s_cbranch_execnz .LBB650_234
.LBB650_171:
	s_or_b64 exec, exec, s[18:19]
	s_and_saveexec_b64 s[16:17], s[14:15]
	s_cbranch_execnz .LBB650_235
.LBB650_172:
	s_or_b64 exec, exec, s[16:17]
	s_and_saveexec_b64 s[14:15], s[12:13]
	s_cbranch_execnz .LBB650_236
.LBB650_173:
	s_or_b64 exec, exec, s[14:15]
	s_and_saveexec_b64 s[12:13], s[10:11]
	s_cbranch_execnz .LBB650_237
.LBB650_174:
	s_or_b64 exec, exec, s[12:13]
	s_and_saveexec_b64 s[10:11], s[8:9]
	s_cbranch_execnz .LBB650_238
.LBB650_175:
	s_or_b64 exec, exec, s[10:11]
	s_and_saveexec_b64 s[8:9], s[6:7]
	s_cbranch_execnz .LBB650_239
.LBB650_176:
	s_or_b64 exec, exec, s[8:9]
	s_and_saveexec_b64 s[6:7], s[4:5]
	s_cbranch_execnz .LBB650_240
.LBB650_177:
	s_or_b64 exec, exec, s[6:7]
	s_and_saveexec_b64 s[4:5], s[2:3]
	s_cbranch_execz .LBB650_179
.LBB650_178:
	v_sub_u32_e32 v3, v22, v4
	v_lshlrev_b32_e32 v3, 2, v3
	ds_write_b32 v3, v9
.LBB650_179:
	s_or_b64 exec, exec, s[4:5]
	s_and_b64 s[38:39], s[0:1], exec
                                        ; implicit-def: $vgpr9
                                        ; implicit-def: $vgpr11
                                        ; implicit-def: $vgpr13
                                        ; implicit-def: $vgpr15
                                        ; implicit-def: $vgpr17
                                        ; implicit-def: $vgpr19
                                        ; implicit-def: $vgpr21
	s_andn2_saveexec_b64 s[0:1], s[36:37]
	s_cbranch_execz .LBB650_109
.LBB650_180:
	v_sub_u32_e32 v3, v50, v4
	v_lshlrev_b32_e32 v3, 2, v3
	ds_write_b32 v3, v20
	v_sub_u32_e32 v3, v48, v4
	v_lshlrev_b32_e32 v3, 2, v3
	ds_write_b32 v3, v21
	;; [unrolled: 3-line block ×13, first 2 shown]
	v_sub_u32_e32 v3, v22, v4
	v_lshlrev_b32_e32 v3, 2, v3
	s_or_b64 s[38:39], s[38:39], exec
	ds_write_b32 v3, v9
	s_or_b64 exec, exec, s[0:1]
	s_and_b64 exec, exec, s[38:39]
	s_cbranch_execnz .LBB650_110
	s_branch .LBB650_111
.LBB650_181:
	s_and_saveexec_b64 s[38:39], s[28:29]
	s_cbranch_execnz .LBB650_241
; %bb.182:
	s_or_b64 exec, exec, s[38:39]
	s_and_saveexec_b64 s[38:39], s[26:27]
	s_cbranch_execnz .LBB650_242
.LBB650_183:
	s_or_b64 exec, exec, s[38:39]
	s_and_saveexec_b64 s[38:39], s[24:25]
	s_cbranch_execnz .LBB650_243
.LBB650_184:
	s_or_b64 exec, exec, s[38:39]
	s_and_saveexec_b64 s[38:39], s[22:23]
	s_cbranch_execnz .LBB650_244
.LBB650_185:
	s_or_b64 exec, exec, s[38:39]
	s_and_saveexec_b64 s[38:39], s[20:21]
	s_cbranch_execnz .LBB650_245
.LBB650_186:
	s_or_b64 exec, exec, s[38:39]
	s_and_saveexec_b64 s[38:39], s[18:19]
	s_cbranch_execnz .LBB650_246
.LBB650_187:
	s_or_b64 exec, exec, s[38:39]
	s_and_saveexec_b64 s[38:39], s[16:17]
	s_cbranch_execnz .LBB650_247
.LBB650_188:
	s_or_b64 exec, exec, s[38:39]
	s_and_saveexec_b64 s[38:39], s[14:15]
	s_cbranch_execnz .LBB650_248
.LBB650_189:
	s_or_b64 exec, exec, s[38:39]
	s_and_saveexec_b64 s[38:39], s[12:13]
	s_cbranch_execnz .LBB650_249
.LBB650_190:
	s_or_b64 exec, exec, s[38:39]
	s_and_saveexec_b64 s[38:39], s[10:11]
	s_cbranch_execnz .LBB650_250
.LBB650_191:
	s_or_b64 exec, exec, s[38:39]
	s_and_saveexec_b64 s[38:39], s[8:9]
	s_cbranch_execnz .LBB650_251
.LBB650_192:
	s_or_b64 exec, exec, s[38:39]
	s_and_saveexec_b64 s[38:39], s[6:7]
	s_cbranch_execnz .LBB650_252
.LBB650_193:
	s_or_b64 exec, exec, s[38:39]
	s_and_saveexec_b64 s[38:39], s[4:5]
	s_cbranch_execnz .LBB650_253
.LBB650_194:
	s_or_b64 exec, exec, s[38:39]
	s_and_saveexec_b64 s[38:39], s[2:3]
	s_cbranch_execz .LBB650_196
.LBB650_195:
	v_sub_u32_e32 v18, v22, v3
	v_mov_b32_e32 v19, 0
	v_lshl_add_u64 v[20:21], v[18:19], 3, v[16:17]
	v_mov_b32_e32 v18, v23
	global_store_dwordx2 v[20:21], v[18:19], off
.LBB650_196:
	s_or_b64 exec, exec, s[38:39]
	s_and_b64 s[38:39], s[0:1], exec
	s_andn2_saveexec_b64 s[30:31], s[30:31]
	s_cbranch_execz .LBB650_129
.LBB650_197:
	v_mov_b32_e32 v19, 0
	v_sub_u32_e32 v20, v50, v3
	v_mov_b32_e32 v21, v19
	v_mov_b32_e32 v18, v51
	v_lshl_add_u64 v[20:21], v[20:21], 3, v[16:17]
	global_store_dwordx2 v[20:21], v[18:19], off
	v_sub_u32_e32 v20, v48, v3
	v_mov_b32_e32 v21, v19
	v_mov_b32_e32 v18, v49
	v_lshl_add_u64 v[20:21], v[20:21], 3, v[16:17]
	global_store_dwordx2 v[20:21], v[18:19], off
	;; [unrolled: 5-line block ×13, first 2 shown]
	v_sub_u32_e32 v20, v22, v3
	v_mov_b32_e32 v21, v19
	v_mov_b32_e32 v18, v23
	v_lshl_add_u64 v[20:21], v[20:21], 3, v[16:17]
	s_or_b64 s[38:39], s[38:39], exec
	global_store_dwordx2 v[20:21], v[18:19], off
	s_or_b64 exec, exec, s[30:31]
	s_and_b64 exec, exec, s[38:39]
	s_cbranch_execnz .LBB650_130
	s_branch .LBB650_131
.LBB650_198:
	s_and_saveexec_b64 s[38:39], s[28:29]
	s_cbranch_execnz .LBB650_254
; %bb.199:
	s_or_b64 exec, exec, s[38:39]
	s_and_saveexec_b64 s[28:29], s[26:27]
	s_cbranch_execnz .LBB650_255
.LBB650_200:
	s_or_b64 exec, exec, s[28:29]
	s_and_saveexec_b64 s[26:27], s[24:25]
	s_cbranch_execnz .LBB650_256
.LBB650_201:
	s_or_b64 exec, exec, s[26:27]
	s_and_saveexec_b64 s[24:25], s[22:23]
	s_cbranch_execnz .LBB650_257
.LBB650_202:
	s_or_b64 exec, exec, s[24:25]
	s_and_saveexec_b64 s[22:23], s[20:21]
	s_cbranch_execnz .LBB650_258
.LBB650_203:
	s_or_b64 exec, exec, s[22:23]
	s_and_saveexec_b64 s[20:21], s[18:19]
	s_cbranch_execnz .LBB650_259
.LBB650_204:
	s_or_b64 exec, exec, s[20:21]
	s_and_saveexec_b64 s[18:19], s[16:17]
	s_cbranch_execnz .LBB650_260
.LBB650_205:
	s_or_b64 exec, exec, s[18:19]
	s_and_saveexec_b64 s[16:17], s[14:15]
	s_cbranch_execnz .LBB650_261
.LBB650_206:
	s_or_b64 exec, exec, s[16:17]
	s_and_saveexec_b64 s[14:15], s[12:13]
	s_cbranch_execnz .LBB650_262
.LBB650_207:
	s_or_b64 exec, exec, s[14:15]
	s_and_saveexec_b64 s[12:13], s[10:11]
	s_cbranch_execnz .LBB650_263
.LBB650_208:
	s_or_b64 exec, exec, s[12:13]
	s_and_saveexec_b64 s[10:11], s[8:9]
	s_cbranch_execnz .LBB650_264
.LBB650_209:
	s_or_b64 exec, exec, s[10:11]
	s_and_saveexec_b64 s[8:9], s[6:7]
	s_cbranch_execnz .LBB650_265
.LBB650_210:
	s_or_b64 exec, exec, s[8:9]
	s_and_saveexec_b64 s[6:7], s[4:5]
	s_cbranch_execnz .LBB650_266
.LBB650_211:
	s_or_b64 exec, exec, s[6:7]
	s_and_saveexec_b64 s[4:5], s[2:3]
	s_cbranch_execz .LBB650_213
.LBB650_212:
	v_sub_u32_e32 v7, v22, v3
	v_lshlrev_b32_e32 v7, 2, v7
	ds_write_b32 v7, v23
.LBB650_213:
	s_or_b64 exec, exec, s[4:5]
	s_and_b64 s[38:39], s[0:1], exec
                                        ; implicit-def: $vgpr22_vgpr23
                                        ; implicit-def: $vgpr26_vgpr27
                                        ; implicit-def: $vgpr28_vgpr29
                                        ; implicit-def: $vgpr50_vgpr51
                                        ; implicit-def: $vgpr48_vgpr49
                                        ; implicit-def: $vgpr46_vgpr47
                                        ; implicit-def: $vgpr44_vgpr45
                                        ; implicit-def: $vgpr42_vgpr43
                                        ; implicit-def: $vgpr40_vgpr41
                                        ; implicit-def: $vgpr38_vgpr39
                                        ; implicit-def: $vgpr36_vgpr37
                                        ; implicit-def: $vgpr34_vgpr35
                                        ; implicit-def: $vgpr32_vgpr33
                                        ; implicit-def: $vgpr30_vgpr31
	s_andn2_saveexec_b64 s[0:1], s[36:37]
	s_cbranch_execz .LBB650_136
.LBB650_214:
	v_sub_u32_e32 v7, v50, v3
	v_lshlrev_b32_e32 v7, 2, v7
	ds_write_b32 v7, v51
	v_sub_u32_e32 v7, v48, v3
	v_lshlrev_b32_e32 v7, 2, v7
	ds_write_b32 v7, v49
	;; [unrolled: 3-line block ×13, first 2 shown]
	v_sub_u32_e32 v7, v22, v3
	v_lshlrev_b32_e32 v7, 2, v7
	s_or_b64 s[38:39], s[38:39], exec
	ds_write_b32 v7, v23
	s_or_b64 exec, exec, s[0:1]
	s_and_b64 exec, exec, s[38:39]
	s_cbranch_execnz .LBB650_137
	s_branch .LBB650_138
.LBB650_215:
	v_sub_u32_e32 v72, v50, v4
	v_mov_b32_e32 v73, 0
	v_lshl_add_u64 v[72:73], v[72:73], 2, v[54:55]
	global_store_dword v[72:73], v20, off
	s_or_b64 exec, exec, s[38:39]
	s_and_saveexec_b64 s[38:39], s[26:27]
	s_cbranch_execz .LBB650_149
.LBB650_216:
	v_sub_u32_e32 v72, v48, v4
	v_mov_b32_e32 v73, 0
	v_lshl_add_u64 v[72:73], v[72:73], 2, v[54:55]
	global_store_dword v[72:73], v21, off
	s_or_b64 exec, exec, s[38:39]
	s_and_saveexec_b64 s[38:39], s[24:25]
	s_cbranch_execz .LBB650_150
.LBB650_217:
	v_sub_u32_e32 v72, v46, v4
	v_mov_b32_e32 v73, 0
	v_lshl_add_u64 v[72:73], v[72:73], 2, v[54:55]
	global_store_dword v[72:73], v18, off
	s_or_b64 exec, exec, s[38:39]
	s_and_saveexec_b64 s[38:39], s[22:23]
	s_cbranch_execz .LBB650_151
.LBB650_218:
	v_sub_u32_e32 v72, v44, v4
	v_mov_b32_e32 v73, 0
	v_lshl_add_u64 v[72:73], v[72:73], 2, v[54:55]
	global_store_dword v[72:73], v19, off
	s_or_b64 exec, exec, s[38:39]
	s_and_saveexec_b64 s[38:39], s[20:21]
	s_cbranch_execz .LBB650_152
.LBB650_219:
	v_sub_u32_e32 v72, v42, v4
	v_mov_b32_e32 v73, 0
	v_lshl_add_u64 v[72:73], v[72:73], 2, v[54:55]
	global_store_dword v[72:73], v16, off
	s_or_b64 exec, exec, s[38:39]
	s_and_saveexec_b64 s[38:39], s[18:19]
	s_cbranch_execz .LBB650_153
.LBB650_220:
	v_sub_u32_e32 v72, v40, v4
	v_mov_b32_e32 v73, 0
	v_lshl_add_u64 v[72:73], v[72:73], 2, v[54:55]
	global_store_dword v[72:73], v17, off
	s_or_b64 exec, exec, s[38:39]
	s_and_saveexec_b64 s[38:39], s[16:17]
	s_cbranch_execz .LBB650_154
.LBB650_221:
	v_sub_u32_e32 v72, v38, v4
	v_mov_b32_e32 v73, 0
	v_lshl_add_u64 v[72:73], v[72:73], 2, v[54:55]
	global_store_dword v[72:73], v14, off
	s_or_b64 exec, exec, s[38:39]
	s_and_saveexec_b64 s[38:39], s[14:15]
	s_cbranch_execz .LBB650_155
.LBB650_222:
	v_sub_u32_e32 v72, v36, v4
	v_mov_b32_e32 v73, 0
	v_lshl_add_u64 v[72:73], v[72:73], 2, v[54:55]
	global_store_dword v[72:73], v15, off
	s_or_b64 exec, exec, s[38:39]
	s_and_saveexec_b64 s[38:39], s[12:13]
	s_cbranch_execz .LBB650_156
.LBB650_223:
	v_sub_u32_e32 v72, v34, v4
	v_mov_b32_e32 v73, 0
	v_lshl_add_u64 v[72:73], v[72:73], 2, v[54:55]
	global_store_dword v[72:73], v12, off
	s_or_b64 exec, exec, s[38:39]
	s_and_saveexec_b64 s[38:39], s[10:11]
	s_cbranch_execz .LBB650_157
.LBB650_224:
	v_sub_u32_e32 v72, v32, v4
	v_mov_b32_e32 v73, 0
	v_lshl_add_u64 v[72:73], v[72:73], 2, v[54:55]
	global_store_dword v[72:73], v13, off
	s_or_b64 exec, exec, s[38:39]
	s_and_saveexec_b64 s[38:39], s[8:9]
	s_cbranch_execz .LBB650_158
.LBB650_225:
	v_sub_u32_e32 v72, v30, v4
	v_mov_b32_e32 v73, 0
	v_lshl_add_u64 v[72:73], v[72:73], 2, v[54:55]
	global_store_dword v[72:73], v10, off
	s_or_b64 exec, exec, s[38:39]
	s_and_saveexec_b64 s[38:39], s[6:7]
	s_cbranch_execz .LBB650_159
.LBB650_226:
	v_sub_u32_e32 v72, v28, v4
	v_mov_b32_e32 v73, 0
	v_lshl_add_u64 v[72:73], v[72:73], 2, v[54:55]
	global_store_dword v[72:73], v11, off
	s_or_b64 exec, exec, s[38:39]
	s_and_saveexec_b64 s[38:39], s[4:5]
	s_cbranch_execz .LBB650_160
.LBB650_227:
	v_sub_u32_e32 v72, v26, v4
	v_mov_b32_e32 v73, 0
	v_lshl_add_u64 v[72:73], v[72:73], 2, v[54:55]
	global_store_dword v[72:73], v8, off
	s_or_b64 exec, exec, s[38:39]
	s_and_saveexec_b64 s[38:39], s[2:3]
	s_cbranch_execnz .LBB650_161
	s_branch .LBB650_162
.LBB650_228:
	v_sub_u32_e32 v3, v50, v4
	v_lshlrev_b32_e32 v3, 2, v3
	ds_write_b32 v3, v20
	s_or_b64 exec, exec, s[38:39]
	s_and_saveexec_b64 s[28:29], s[26:27]
	s_cbranch_execz .LBB650_166
.LBB650_229:
	v_sub_u32_e32 v3, v48, v4
	v_lshlrev_b32_e32 v3, 2, v3
	ds_write_b32 v3, v21
	s_or_b64 exec, exec, s[28:29]
	s_and_saveexec_b64 s[26:27], s[24:25]
	s_cbranch_execz .LBB650_167
.LBB650_230:
	v_sub_u32_e32 v3, v46, v4
	v_lshlrev_b32_e32 v3, 2, v3
	ds_write_b32 v3, v18
	s_or_b64 exec, exec, s[26:27]
	s_and_saveexec_b64 s[24:25], s[22:23]
	s_cbranch_execz .LBB650_168
.LBB650_231:
	v_sub_u32_e32 v3, v44, v4
	v_lshlrev_b32_e32 v3, 2, v3
	ds_write_b32 v3, v19
	s_or_b64 exec, exec, s[24:25]
	s_and_saveexec_b64 s[22:23], s[20:21]
	s_cbranch_execz .LBB650_169
.LBB650_232:
	v_sub_u32_e32 v3, v42, v4
	v_lshlrev_b32_e32 v3, 2, v3
	ds_write_b32 v3, v16
	s_or_b64 exec, exec, s[22:23]
	s_and_saveexec_b64 s[20:21], s[18:19]
	s_cbranch_execz .LBB650_170
.LBB650_233:
	v_sub_u32_e32 v3, v40, v4
	v_lshlrev_b32_e32 v3, 2, v3
	ds_write_b32 v3, v17
	s_or_b64 exec, exec, s[20:21]
	s_and_saveexec_b64 s[18:19], s[16:17]
	s_cbranch_execz .LBB650_171
.LBB650_234:
	v_sub_u32_e32 v3, v38, v4
	v_lshlrev_b32_e32 v3, 2, v3
	ds_write_b32 v3, v14
	s_or_b64 exec, exec, s[18:19]
	s_and_saveexec_b64 s[16:17], s[14:15]
	s_cbranch_execz .LBB650_172
.LBB650_235:
	v_sub_u32_e32 v3, v36, v4
	v_lshlrev_b32_e32 v3, 2, v3
	ds_write_b32 v3, v15
	s_or_b64 exec, exec, s[16:17]
	s_and_saveexec_b64 s[14:15], s[12:13]
	s_cbranch_execz .LBB650_173
.LBB650_236:
	v_sub_u32_e32 v3, v34, v4
	v_lshlrev_b32_e32 v3, 2, v3
	ds_write_b32 v3, v12
	s_or_b64 exec, exec, s[14:15]
	s_and_saveexec_b64 s[12:13], s[10:11]
	s_cbranch_execz .LBB650_174
.LBB650_237:
	v_sub_u32_e32 v3, v32, v4
	v_lshlrev_b32_e32 v3, 2, v3
	ds_write_b32 v3, v13
	s_or_b64 exec, exec, s[12:13]
	s_and_saveexec_b64 s[10:11], s[8:9]
	s_cbranch_execz .LBB650_175
.LBB650_238:
	v_sub_u32_e32 v3, v30, v4
	v_lshlrev_b32_e32 v3, 2, v3
	ds_write_b32 v3, v10
	s_or_b64 exec, exec, s[10:11]
	s_and_saveexec_b64 s[8:9], s[6:7]
	s_cbranch_execz .LBB650_176
.LBB650_239:
	v_sub_u32_e32 v3, v28, v4
	v_lshlrev_b32_e32 v3, 2, v3
	ds_write_b32 v3, v11
	s_or_b64 exec, exec, s[8:9]
	s_and_saveexec_b64 s[6:7], s[4:5]
	s_cbranch_execz .LBB650_177
.LBB650_240:
	v_sub_u32_e32 v3, v26, v4
	v_lshlrev_b32_e32 v3, 2, v3
	ds_write_b32 v3, v8
	s_or_b64 exec, exec, s[6:7]
	s_and_saveexec_b64 s[4:5], s[2:3]
	s_cbranch_execnz .LBB650_178
	s_branch .LBB650_179
.LBB650_241:
	v_sub_u32_e32 v18, v50, v3
	v_mov_b32_e32 v19, 0
	v_lshl_add_u64 v[20:21], v[18:19], 3, v[16:17]
	v_mov_b32_e32 v18, v51
	global_store_dwordx2 v[20:21], v[18:19], off
	s_or_b64 exec, exec, s[38:39]
	s_and_saveexec_b64 s[38:39], s[26:27]
	s_cbranch_execz .LBB650_183
.LBB650_242:
	v_sub_u32_e32 v18, v48, v3
	v_mov_b32_e32 v19, 0
	v_lshl_add_u64 v[20:21], v[18:19], 3, v[16:17]
	v_mov_b32_e32 v18, v49
	global_store_dwordx2 v[20:21], v[18:19], off
	s_or_b64 exec, exec, s[38:39]
	s_and_saveexec_b64 s[38:39], s[24:25]
	s_cbranch_execz .LBB650_184
.LBB650_243:
	v_sub_u32_e32 v18, v46, v3
	v_mov_b32_e32 v19, 0
	v_lshl_add_u64 v[20:21], v[18:19], 3, v[16:17]
	v_mov_b32_e32 v18, v47
	global_store_dwordx2 v[20:21], v[18:19], off
	s_or_b64 exec, exec, s[38:39]
	s_and_saveexec_b64 s[38:39], s[22:23]
	s_cbranch_execz .LBB650_185
.LBB650_244:
	v_sub_u32_e32 v18, v44, v3
	v_mov_b32_e32 v19, 0
	v_lshl_add_u64 v[20:21], v[18:19], 3, v[16:17]
	v_mov_b32_e32 v18, v45
	global_store_dwordx2 v[20:21], v[18:19], off
	s_or_b64 exec, exec, s[38:39]
	s_and_saveexec_b64 s[38:39], s[20:21]
	s_cbranch_execz .LBB650_186
.LBB650_245:
	v_sub_u32_e32 v18, v42, v3
	v_mov_b32_e32 v19, 0
	v_lshl_add_u64 v[20:21], v[18:19], 3, v[16:17]
	v_mov_b32_e32 v18, v43
	global_store_dwordx2 v[20:21], v[18:19], off
	s_or_b64 exec, exec, s[38:39]
	s_and_saveexec_b64 s[38:39], s[18:19]
	s_cbranch_execz .LBB650_187
.LBB650_246:
	v_sub_u32_e32 v18, v40, v3
	v_mov_b32_e32 v19, 0
	v_lshl_add_u64 v[20:21], v[18:19], 3, v[16:17]
	v_mov_b32_e32 v18, v41
	global_store_dwordx2 v[20:21], v[18:19], off
	s_or_b64 exec, exec, s[38:39]
	s_and_saveexec_b64 s[38:39], s[16:17]
	s_cbranch_execz .LBB650_188
.LBB650_247:
	v_sub_u32_e32 v18, v38, v3
	v_mov_b32_e32 v19, 0
	v_lshl_add_u64 v[20:21], v[18:19], 3, v[16:17]
	v_mov_b32_e32 v18, v39
	global_store_dwordx2 v[20:21], v[18:19], off
	s_or_b64 exec, exec, s[38:39]
	s_and_saveexec_b64 s[38:39], s[14:15]
	s_cbranch_execz .LBB650_189
.LBB650_248:
	v_sub_u32_e32 v18, v36, v3
	v_mov_b32_e32 v19, 0
	v_lshl_add_u64 v[20:21], v[18:19], 3, v[16:17]
	v_mov_b32_e32 v18, v37
	global_store_dwordx2 v[20:21], v[18:19], off
	s_or_b64 exec, exec, s[38:39]
	s_and_saveexec_b64 s[38:39], s[12:13]
	s_cbranch_execz .LBB650_190
.LBB650_249:
	v_sub_u32_e32 v18, v34, v3
	v_mov_b32_e32 v19, 0
	v_lshl_add_u64 v[20:21], v[18:19], 3, v[16:17]
	v_mov_b32_e32 v18, v35
	global_store_dwordx2 v[20:21], v[18:19], off
	s_or_b64 exec, exec, s[38:39]
	s_and_saveexec_b64 s[38:39], s[10:11]
	s_cbranch_execz .LBB650_191
.LBB650_250:
	v_sub_u32_e32 v18, v32, v3
	v_mov_b32_e32 v19, 0
	v_lshl_add_u64 v[20:21], v[18:19], 3, v[16:17]
	v_mov_b32_e32 v18, v33
	global_store_dwordx2 v[20:21], v[18:19], off
	s_or_b64 exec, exec, s[38:39]
	s_and_saveexec_b64 s[38:39], s[8:9]
	s_cbranch_execz .LBB650_192
.LBB650_251:
	v_sub_u32_e32 v18, v30, v3
	v_mov_b32_e32 v19, 0
	v_lshl_add_u64 v[20:21], v[18:19], 3, v[16:17]
	v_mov_b32_e32 v18, v31
	global_store_dwordx2 v[20:21], v[18:19], off
	s_or_b64 exec, exec, s[38:39]
	s_and_saveexec_b64 s[38:39], s[6:7]
	s_cbranch_execz .LBB650_193
.LBB650_252:
	v_sub_u32_e32 v18, v28, v3
	v_mov_b32_e32 v19, 0
	v_lshl_add_u64 v[20:21], v[18:19], 3, v[16:17]
	v_mov_b32_e32 v18, v29
	global_store_dwordx2 v[20:21], v[18:19], off
	s_or_b64 exec, exec, s[38:39]
	s_and_saveexec_b64 s[38:39], s[4:5]
	s_cbranch_execz .LBB650_194
.LBB650_253:
	v_sub_u32_e32 v18, v26, v3
	v_mov_b32_e32 v19, 0
	v_lshl_add_u64 v[20:21], v[18:19], 3, v[16:17]
	v_mov_b32_e32 v18, v27
	global_store_dwordx2 v[20:21], v[18:19], off
	s_or_b64 exec, exec, s[38:39]
	s_and_saveexec_b64 s[38:39], s[2:3]
	s_cbranch_execnz .LBB650_195
	s_branch .LBB650_196
.LBB650_254:
	v_sub_u32_e32 v7, v50, v3
	v_lshlrev_b32_e32 v7, 2, v7
	ds_write_b32 v7, v51
	s_or_b64 exec, exec, s[38:39]
	s_and_saveexec_b64 s[28:29], s[26:27]
	s_cbranch_execz .LBB650_200
.LBB650_255:
	v_sub_u32_e32 v7, v48, v3
	v_lshlrev_b32_e32 v7, 2, v7
	ds_write_b32 v7, v49
	s_or_b64 exec, exec, s[28:29]
	s_and_saveexec_b64 s[26:27], s[24:25]
	s_cbranch_execz .LBB650_201
.LBB650_256:
	v_sub_u32_e32 v7, v46, v3
	v_lshlrev_b32_e32 v7, 2, v7
	ds_write_b32 v7, v47
	s_or_b64 exec, exec, s[26:27]
	s_and_saveexec_b64 s[24:25], s[22:23]
	s_cbranch_execz .LBB650_202
.LBB650_257:
	v_sub_u32_e32 v7, v44, v3
	v_lshlrev_b32_e32 v7, 2, v7
	ds_write_b32 v7, v45
	s_or_b64 exec, exec, s[24:25]
	s_and_saveexec_b64 s[22:23], s[20:21]
	s_cbranch_execz .LBB650_203
.LBB650_258:
	v_sub_u32_e32 v7, v42, v3
	v_lshlrev_b32_e32 v7, 2, v7
	ds_write_b32 v7, v43
	s_or_b64 exec, exec, s[22:23]
	s_and_saveexec_b64 s[20:21], s[18:19]
	s_cbranch_execz .LBB650_204
.LBB650_259:
	v_sub_u32_e32 v7, v40, v3
	v_lshlrev_b32_e32 v7, 2, v7
	ds_write_b32 v7, v41
	s_or_b64 exec, exec, s[20:21]
	s_and_saveexec_b64 s[18:19], s[16:17]
	s_cbranch_execz .LBB650_205
.LBB650_260:
	v_sub_u32_e32 v7, v38, v3
	v_lshlrev_b32_e32 v7, 2, v7
	ds_write_b32 v7, v39
	s_or_b64 exec, exec, s[18:19]
	s_and_saveexec_b64 s[16:17], s[14:15]
	s_cbranch_execz .LBB650_206
.LBB650_261:
	v_sub_u32_e32 v7, v36, v3
	v_lshlrev_b32_e32 v7, 2, v7
	ds_write_b32 v7, v37
	s_or_b64 exec, exec, s[16:17]
	s_and_saveexec_b64 s[14:15], s[12:13]
	s_cbranch_execz .LBB650_207
.LBB650_262:
	v_sub_u32_e32 v7, v34, v3
	v_lshlrev_b32_e32 v7, 2, v7
	ds_write_b32 v7, v35
	s_or_b64 exec, exec, s[14:15]
	s_and_saveexec_b64 s[12:13], s[10:11]
	s_cbranch_execz .LBB650_208
.LBB650_263:
	v_sub_u32_e32 v7, v32, v3
	v_lshlrev_b32_e32 v7, 2, v7
	ds_write_b32 v7, v33
	s_or_b64 exec, exec, s[12:13]
	s_and_saveexec_b64 s[10:11], s[8:9]
	s_cbranch_execz .LBB650_209
.LBB650_264:
	v_sub_u32_e32 v7, v30, v3
	v_lshlrev_b32_e32 v7, 2, v7
	ds_write_b32 v7, v31
	s_or_b64 exec, exec, s[10:11]
	s_and_saveexec_b64 s[8:9], s[6:7]
	s_cbranch_execz .LBB650_210
.LBB650_265:
	v_sub_u32_e32 v7, v28, v3
	v_lshlrev_b32_e32 v7, 2, v7
	ds_write_b32 v7, v29
	s_or_b64 exec, exec, s[8:9]
	s_and_saveexec_b64 s[6:7], s[4:5]
	s_cbranch_execz .LBB650_211
.LBB650_266:
	v_sub_u32_e32 v7, v26, v3
	v_lshlrev_b32_e32 v7, 2, v7
	ds_write_b32 v7, v27
	s_or_b64 exec, exec, s[6:7]
	s_and_saveexec_b64 s[4:5], s[2:3]
	s_cbranch_execnz .LBB650_212
	s_branch .LBB650_213
	.section	.rodata,"a",@progbits
	.p2align	6, 0x0
	.amdhsa_kernel _ZN7rocprim17ROCPRIM_400000_NS6detail17trampoline_kernelINS0_14default_configENS1_33run_length_encode_config_selectorIjjNS0_4plusIjEEEEZZNS1_33reduce_by_key_impl_wrapped_configILNS1_25lookback_scan_determinismE0ES3_S7_PKjNS0_17constant_iteratorIjlEEPjPlSF_S6_NS0_8equal_toIjEEEE10hipError_tPvRmT2_T3_mT4_T5_T6_T7_T8_P12ihipStream_tbENKUlT_T0_E_clISt17integral_constantIbLb0EESZ_EEDaSU_SV_EUlSU_E_NS1_11comp_targetILNS1_3genE5ELNS1_11target_archE942ELNS1_3gpuE9ELNS1_3repE0EEENS1_30default_config_static_selectorELNS0_4arch9wavefront6targetE1EEEvT1_
		.amdhsa_group_segment_fixed_size 30720
		.amdhsa_private_segment_fixed_size 0
		.amdhsa_kernarg_size 128
		.amdhsa_user_sgpr_count 2
		.amdhsa_user_sgpr_dispatch_ptr 0
		.amdhsa_user_sgpr_queue_ptr 0
		.amdhsa_user_sgpr_kernarg_segment_ptr 1
		.amdhsa_user_sgpr_dispatch_id 0
		.amdhsa_user_sgpr_kernarg_preload_length 0
		.amdhsa_user_sgpr_kernarg_preload_offset 0
		.amdhsa_user_sgpr_private_segment_size 0
		.amdhsa_uses_dynamic_stack 0
		.amdhsa_enable_private_segment 0
		.amdhsa_system_sgpr_workgroup_id_x 1
		.amdhsa_system_sgpr_workgroup_id_y 0
		.amdhsa_system_sgpr_workgroup_id_z 0
		.amdhsa_system_sgpr_workgroup_info 0
		.amdhsa_system_vgpr_workitem_id 0
		.amdhsa_next_free_vgpr 104
		.amdhsa_next_free_sgpr 64
		.amdhsa_accum_offset 104
		.amdhsa_reserve_vcc 1
		.amdhsa_float_round_mode_32 0
		.amdhsa_float_round_mode_16_64 0
		.amdhsa_float_denorm_mode_32 3
		.amdhsa_float_denorm_mode_16_64 3
		.amdhsa_dx10_clamp 1
		.amdhsa_ieee_mode 1
		.amdhsa_fp16_overflow 0
		.amdhsa_tg_split 0
		.amdhsa_exception_fp_ieee_invalid_op 0
		.amdhsa_exception_fp_denorm_src 0
		.amdhsa_exception_fp_ieee_div_zero 0
		.amdhsa_exception_fp_ieee_overflow 0
		.amdhsa_exception_fp_ieee_underflow 0
		.amdhsa_exception_fp_ieee_inexact 0
		.amdhsa_exception_int_div_zero 0
	.end_amdhsa_kernel
	.section	.text._ZN7rocprim17ROCPRIM_400000_NS6detail17trampoline_kernelINS0_14default_configENS1_33run_length_encode_config_selectorIjjNS0_4plusIjEEEEZZNS1_33reduce_by_key_impl_wrapped_configILNS1_25lookback_scan_determinismE0ES3_S7_PKjNS0_17constant_iteratorIjlEEPjPlSF_S6_NS0_8equal_toIjEEEE10hipError_tPvRmT2_T3_mT4_T5_T6_T7_T8_P12ihipStream_tbENKUlT_T0_E_clISt17integral_constantIbLb0EESZ_EEDaSU_SV_EUlSU_E_NS1_11comp_targetILNS1_3genE5ELNS1_11target_archE942ELNS1_3gpuE9ELNS1_3repE0EEENS1_30default_config_static_selectorELNS0_4arch9wavefront6targetE1EEEvT1_,"axG",@progbits,_ZN7rocprim17ROCPRIM_400000_NS6detail17trampoline_kernelINS0_14default_configENS1_33run_length_encode_config_selectorIjjNS0_4plusIjEEEEZZNS1_33reduce_by_key_impl_wrapped_configILNS1_25lookback_scan_determinismE0ES3_S7_PKjNS0_17constant_iteratorIjlEEPjPlSF_S6_NS0_8equal_toIjEEEE10hipError_tPvRmT2_T3_mT4_T5_T6_T7_T8_P12ihipStream_tbENKUlT_T0_E_clISt17integral_constantIbLb0EESZ_EEDaSU_SV_EUlSU_E_NS1_11comp_targetILNS1_3genE5ELNS1_11target_archE942ELNS1_3gpuE9ELNS1_3repE0EEENS1_30default_config_static_selectorELNS0_4arch9wavefront6targetE1EEEvT1_,comdat
.Lfunc_end650:
	.size	_ZN7rocprim17ROCPRIM_400000_NS6detail17trampoline_kernelINS0_14default_configENS1_33run_length_encode_config_selectorIjjNS0_4plusIjEEEEZZNS1_33reduce_by_key_impl_wrapped_configILNS1_25lookback_scan_determinismE0ES3_S7_PKjNS0_17constant_iteratorIjlEEPjPlSF_S6_NS0_8equal_toIjEEEE10hipError_tPvRmT2_T3_mT4_T5_T6_T7_T8_P12ihipStream_tbENKUlT_T0_E_clISt17integral_constantIbLb0EESZ_EEDaSU_SV_EUlSU_E_NS1_11comp_targetILNS1_3genE5ELNS1_11target_archE942ELNS1_3gpuE9ELNS1_3repE0EEENS1_30default_config_static_selectorELNS0_4arch9wavefront6targetE1EEEvT1_, .Lfunc_end650-_ZN7rocprim17ROCPRIM_400000_NS6detail17trampoline_kernelINS0_14default_configENS1_33run_length_encode_config_selectorIjjNS0_4plusIjEEEEZZNS1_33reduce_by_key_impl_wrapped_configILNS1_25lookback_scan_determinismE0ES3_S7_PKjNS0_17constant_iteratorIjlEEPjPlSF_S6_NS0_8equal_toIjEEEE10hipError_tPvRmT2_T3_mT4_T5_T6_T7_T8_P12ihipStream_tbENKUlT_T0_E_clISt17integral_constantIbLb0EESZ_EEDaSU_SV_EUlSU_E_NS1_11comp_targetILNS1_3genE5ELNS1_11target_archE942ELNS1_3gpuE9ELNS1_3repE0EEENS1_30default_config_static_selectorELNS0_4arch9wavefront6targetE1EEEvT1_
                                        ; -- End function
	.section	.AMDGPU.csdata,"",@progbits
; Kernel info:
; codeLenInByte = 14608
; NumSgprs: 70
; NumVgprs: 104
; NumAgprs: 0
; TotalNumVgprs: 104
; ScratchSize: 0
; MemoryBound: 0
; FloatMode: 240
; IeeeMode: 1
; LDSByteSize: 30720 bytes/workgroup (compile time only)
; SGPRBlocks: 8
; VGPRBlocks: 12
; NumSGPRsForWavesPerEU: 70
; NumVGPRsForWavesPerEU: 104
; AccumOffset: 104
; Occupancy: 4
; WaveLimiterHint : 1
; COMPUTE_PGM_RSRC2:SCRATCH_EN: 0
; COMPUTE_PGM_RSRC2:USER_SGPR: 2
; COMPUTE_PGM_RSRC2:TRAP_HANDLER: 0
; COMPUTE_PGM_RSRC2:TGID_X_EN: 1
; COMPUTE_PGM_RSRC2:TGID_Y_EN: 0
; COMPUTE_PGM_RSRC2:TGID_Z_EN: 0
; COMPUTE_PGM_RSRC2:TIDIG_COMP_CNT: 0
; COMPUTE_PGM_RSRC3_GFX90A:ACCUM_OFFSET: 25
; COMPUTE_PGM_RSRC3_GFX90A:TG_SPLIT: 0
	.section	.text._ZN7rocprim17ROCPRIM_400000_NS6detail17trampoline_kernelINS0_14default_configENS1_33run_length_encode_config_selectorIjjNS0_4plusIjEEEEZZNS1_33reduce_by_key_impl_wrapped_configILNS1_25lookback_scan_determinismE0ES3_S7_PKjNS0_17constant_iteratorIjlEEPjPlSF_S6_NS0_8equal_toIjEEEE10hipError_tPvRmT2_T3_mT4_T5_T6_T7_T8_P12ihipStream_tbENKUlT_T0_E_clISt17integral_constantIbLb0EESZ_EEDaSU_SV_EUlSU_E_NS1_11comp_targetILNS1_3genE4ELNS1_11target_archE910ELNS1_3gpuE8ELNS1_3repE0EEENS1_30default_config_static_selectorELNS0_4arch9wavefront6targetE1EEEvT1_,"axG",@progbits,_ZN7rocprim17ROCPRIM_400000_NS6detail17trampoline_kernelINS0_14default_configENS1_33run_length_encode_config_selectorIjjNS0_4plusIjEEEEZZNS1_33reduce_by_key_impl_wrapped_configILNS1_25lookback_scan_determinismE0ES3_S7_PKjNS0_17constant_iteratorIjlEEPjPlSF_S6_NS0_8equal_toIjEEEE10hipError_tPvRmT2_T3_mT4_T5_T6_T7_T8_P12ihipStream_tbENKUlT_T0_E_clISt17integral_constantIbLb0EESZ_EEDaSU_SV_EUlSU_E_NS1_11comp_targetILNS1_3genE4ELNS1_11target_archE910ELNS1_3gpuE8ELNS1_3repE0EEENS1_30default_config_static_selectorELNS0_4arch9wavefront6targetE1EEEvT1_,comdat
	.protected	_ZN7rocprim17ROCPRIM_400000_NS6detail17trampoline_kernelINS0_14default_configENS1_33run_length_encode_config_selectorIjjNS0_4plusIjEEEEZZNS1_33reduce_by_key_impl_wrapped_configILNS1_25lookback_scan_determinismE0ES3_S7_PKjNS0_17constant_iteratorIjlEEPjPlSF_S6_NS0_8equal_toIjEEEE10hipError_tPvRmT2_T3_mT4_T5_T6_T7_T8_P12ihipStream_tbENKUlT_T0_E_clISt17integral_constantIbLb0EESZ_EEDaSU_SV_EUlSU_E_NS1_11comp_targetILNS1_3genE4ELNS1_11target_archE910ELNS1_3gpuE8ELNS1_3repE0EEENS1_30default_config_static_selectorELNS0_4arch9wavefront6targetE1EEEvT1_ ; -- Begin function _ZN7rocprim17ROCPRIM_400000_NS6detail17trampoline_kernelINS0_14default_configENS1_33run_length_encode_config_selectorIjjNS0_4plusIjEEEEZZNS1_33reduce_by_key_impl_wrapped_configILNS1_25lookback_scan_determinismE0ES3_S7_PKjNS0_17constant_iteratorIjlEEPjPlSF_S6_NS0_8equal_toIjEEEE10hipError_tPvRmT2_T3_mT4_T5_T6_T7_T8_P12ihipStream_tbENKUlT_T0_E_clISt17integral_constantIbLb0EESZ_EEDaSU_SV_EUlSU_E_NS1_11comp_targetILNS1_3genE4ELNS1_11target_archE910ELNS1_3gpuE8ELNS1_3repE0EEENS1_30default_config_static_selectorELNS0_4arch9wavefront6targetE1EEEvT1_
	.globl	_ZN7rocprim17ROCPRIM_400000_NS6detail17trampoline_kernelINS0_14default_configENS1_33run_length_encode_config_selectorIjjNS0_4plusIjEEEEZZNS1_33reduce_by_key_impl_wrapped_configILNS1_25lookback_scan_determinismE0ES3_S7_PKjNS0_17constant_iteratorIjlEEPjPlSF_S6_NS0_8equal_toIjEEEE10hipError_tPvRmT2_T3_mT4_T5_T6_T7_T8_P12ihipStream_tbENKUlT_T0_E_clISt17integral_constantIbLb0EESZ_EEDaSU_SV_EUlSU_E_NS1_11comp_targetILNS1_3genE4ELNS1_11target_archE910ELNS1_3gpuE8ELNS1_3repE0EEENS1_30default_config_static_selectorELNS0_4arch9wavefront6targetE1EEEvT1_
	.p2align	8
	.type	_ZN7rocprim17ROCPRIM_400000_NS6detail17trampoline_kernelINS0_14default_configENS1_33run_length_encode_config_selectorIjjNS0_4plusIjEEEEZZNS1_33reduce_by_key_impl_wrapped_configILNS1_25lookback_scan_determinismE0ES3_S7_PKjNS0_17constant_iteratorIjlEEPjPlSF_S6_NS0_8equal_toIjEEEE10hipError_tPvRmT2_T3_mT4_T5_T6_T7_T8_P12ihipStream_tbENKUlT_T0_E_clISt17integral_constantIbLb0EESZ_EEDaSU_SV_EUlSU_E_NS1_11comp_targetILNS1_3genE4ELNS1_11target_archE910ELNS1_3gpuE8ELNS1_3repE0EEENS1_30default_config_static_selectorELNS0_4arch9wavefront6targetE1EEEvT1_,@function
_ZN7rocprim17ROCPRIM_400000_NS6detail17trampoline_kernelINS0_14default_configENS1_33run_length_encode_config_selectorIjjNS0_4plusIjEEEEZZNS1_33reduce_by_key_impl_wrapped_configILNS1_25lookback_scan_determinismE0ES3_S7_PKjNS0_17constant_iteratorIjlEEPjPlSF_S6_NS0_8equal_toIjEEEE10hipError_tPvRmT2_T3_mT4_T5_T6_T7_T8_P12ihipStream_tbENKUlT_T0_E_clISt17integral_constantIbLb0EESZ_EEDaSU_SV_EUlSU_E_NS1_11comp_targetILNS1_3genE4ELNS1_11target_archE910ELNS1_3gpuE8ELNS1_3repE0EEENS1_30default_config_static_selectorELNS0_4arch9wavefront6targetE1EEEvT1_: ; @_ZN7rocprim17ROCPRIM_400000_NS6detail17trampoline_kernelINS0_14default_configENS1_33run_length_encode_config_selectorIjjNS0_4plusIjEEEEZZNS1_33reduce_by_key_impl_wrapped_configILNS1_25lookback_scan_determinismE0ES3_S7_PKjNS0_17constant_iteratorIjlEEPjPlSF_S6_NS0_8equal_toIjEEEE10hipError_tPvRmT2_T3_mT4_T5_T6_T7_T8_P12ihipStream_tbENKUlT_T0_E_clISt17integral_constantIbLb0EESZ_EEDaSU_SV_EUlSU_E_NS1_11comp_targetILNS1_3genE4ELNS1_11target_archE910ELNS1_3gpuE8ELNS1_3repE0EEENS1_30default_config_static_selectorELNS0_4arch9wavefront6targetE1EEEvT1_
; %bb.0:
	.section	.rodata,"a",@progbits
	.p2align	6, 0x0
	.amdhsa_kernel _ZN7rocprim17ROCPRIM_400000_NS6detail17trampoline_kernelINS0_14default_configENS1_33run_length_encode_config_selectorIjjNS0_4plusIjEEEEZZNS1_33reduce_by_key_impl_wrapped_configILNS1_25lookback_scan_determinismE0ES3_S7_PKjNS0_17constant_iteratorIjlEEPjPlSF_S6_NS0_8equal_toIjEEEE10hipError_tPvRmT2_T3_mT4_T5_T6_T7_T8_P12ihipStream_tbENKUlT_T0_E_clISt17integral_constantIbLb0EESZ_EEDaSU_SV_EUlSU_E_NS1_11comp_targetILNS1_3genE4ELNS1_11target_archE910ELNS1_3gpuE8ELNS1_3repE0EEENS1_30default_config_static_selectorELNS0_4arch9wavefront6targetE1EEEvT1_
		.amdhsa_group_segment_fixed_size 0
		.amdhsa_private_segment_fixed_size 0
		.amdhsa_kernarg_size 128
		.amdhsa_user_sgpr_count 2
		.amdhsa_user_sgpr_dispatch_ptr 0
		.amdhsa_user_sgpr_queue_ptr 0
		.amdhsa_user_sgpr_kernarg_segment_ptr 1
		.amdhsa_user_sgpr_dispatch_id 0
		.amdhsa_user_sgpr_kernarg_preload_length 0
		.amdhsa_user_sgpr_kernarg_preload_offset 0
		.amdhsa_user_sgpr_private_segment_size 0
		.amdhsa_uses_dynamic_stack 0
		.amdhsa_enable_private_segment 0
		.amdhsa_system_sgpr_workgroup_id_x 1
		.amdhsa_system_sgpr_workgroup_id_y 0
		.amdhsa_system_sgpr_workgroup_id_z 0
		.amdhsa_system_sgpr_workgroup_info 0
		.amdhsa_system_vgpr_workitem_id 0
		.amdhsa_next_free_vgpr 1
		.amdhsa_next_free_sgpr 0
		.amdhsa_accum_offset 4
		.amdhsa_reserve_vcc 0
		.amdhsa_float_round_mode_32 0
		.amdhsa_float_round_mode_16_64 0
		.amdhsa_float_denorm_mode_32 3
		.amdhsa_float_denorm_mode_16_64 3
		.amdhsa_dx10_clamp 1
		.amdhsa_ieee_mode 1
		.amdhsa_fp16_overflow 0
		.amdhsa_tg_split 0
		.amdhsa_exception_fp_ieee_invalid_op 0
		.amdhsa_exception_fp_denorm_src 0
		.amdhsa_exception_fp_ieee_div_zero 0
		.amdhsa_exception_fp_ieee_overflow 0
		.amdhsa_exception_fp_ieee_underflow 0
		.amdhsa_exception_fp_ieee_inexact 0
		.amdhsa_exception_int_div_zero 0
	.end_amdhsa_kernel
	.section	.text._ZN7rocprim17ROCPRIM_400000_NS6detail17trampoline_kernelINS0_14default_configENS1_33run_length_encode_config_selectorIjjNS0_4plusIjEEEEZZNS1_33reduce_by_key_impl_wrapped_configILNS1_25lookback_scan_determinismE0ES3_S7_PKjNS0_17constant_iteratorIjlEEPjPlSF_S6_NS0_8equal_toIjEEEE10hipError_tPvRmT2_T3_mT4_T5_T6_T7_T8_P12ihipStream_tbENKUlT_T0_E_clISt17integral_constantIbLb0EESZ_EEDaSU_SV_EUlSU_E_NS1_11comp_targetILNS1_3genE4ELNS1_11target_archE910ELNS1_3gpuE8ELNS1_3repE0EEENS1_30default_config_static_selectorELNS0_4arch9wavefront6targetE1EEEvT1_,"axG",@progbits,_ZN7rocprim17ROCPRIM_400000_NS6detail17trampoline_kernelINS0_14default_configENS1_33run_length_encode_config_selectorIjjNS0_4plusIjEEEEZZNS1_33reduce_by_key_impl_wrapped_configILNS1_25lookback_scan_determinismE0ES3_S7_PKjNS0_17constant_iteratorIjlEEPjPlSF_S6_NS0_8equal_toIjEEEE10hipError_tPvRmT2_T3_mT4_T5_T6_T7_T8_P12ihipStream_tbENKUlT_T0_E_clISt17integral_constantIbLb0EESZ_EEDaSU_SV_EUlSU_E_NS1_11comp_targetILNS1_3genE4ELNS1_11target_archE910ELNS1_3gpuE8ELNS1_3repE0EEENS1_30default_config_static_selectorELNS0_4arch9wavefront6targetE1EEEvT1_,comdat
.Lfunc_end651:
	.size	_ZN7rocprim17ROCPRIM_400000_NS6detail17trampoline_kernelINS0_14default_configENS1_33run_length_encode_config_selectorIjjNS0_4plusIjEEEEZZNS1_33reduce_by_key_impl_wrapped_configILNS1_25lookback_scan_determinismE0ES3_S7_PKjNS0_17constant_iteratorIjlEEPjPlSF_S6_NS0_8equal_toIjEEEE10hipError_tPvRmT2_T3_mT4_T5_T6_T7_T8_P12ihipStream_tbENKUlT_T0_E_clISt17integral_constantIbLb0EESZ_EEDaSU_SV_EUlSU_E_NS1_11comp_targetILNS1_3genE4ELNS1_11target_archE910ELNS1_3gpuE8ELNS1_3repE0EEENS1_30default_config_static_selectorELNS0_4arch9wavefront6targetE1EEEvT1_, .Lfunc_end651-_ZN7rocprim17ROCPRIM_400000_NS6detail17trampoline_kernelINS0_14default_configENS1_33run_length_encode_config_selectorIjjNS0_4plusIjEEEEZZNS1_33reduce_by_key_impl_wrapped_configILNS1_25lookback_scan_determinismE0ES3_S7_PKjNS0_17constant_iteratorIjlEEPjPlSF_S6_NS0_8equal_toIjEEEE10hipError_tPvRmT2_T3_mT4_T5_T6_T7_T8_P12ihipStream_tbENKUlT_T0_E_clISt17integral_constantIbLb0EESZ_EEDaSU_SV_EUlSU_E_NS1_11comp_targetILNS1_3genE4ELNS1_11target_archE910ELNS1_3gpuE8ELNS1_3repE0EEENS1_30default_config_static_selectorELNS0_4arch9wavefront6targetE1EEEvT1_
                                        ; -- End function
	.section	.AMDGPU.csdata,"",@progbits
; Kernel info:
; codeLenInByte = 0
; NumSgprs: 6
; NumVgprs: 0
; NumAgprs: 0
; TotalNumVgprs: 0
; ScratchSize: 0
; MemoryBound: 0
; FloatMode: 240
; IeeeMode: 1
; LDSByteSize: 0 bytes/workgroup (compile time only)
; SGPRBlocks: 0
; VGPRBlocks: 0
; NumSGPRsForWavesPerEU: 6
; NumVGPRsForWavesPerEU: 1
; AccumOffset: 4
; Occupancy: 8
; WaveLimiterHint : 0
; COMPUTE_PGM_RSRC2:SCRATCH_EN: 0
; COMPUTE_PGM_RSRC2:USER_SGPR: 2
; COMPUTE_PGM_RSRC2:TRAP_HANDLER: 0
; COMPUTE_PGM_RSRC2:TGID_X_EN: 1
; COMPUTE_PGM_RSRC2:TGID_Y_EN: 0
; COMPUTE_PGM_RSRC2:TGID_Z_EN: 0
; COMPUTE_PGM_RSRC2:TIDIG_COMP_CNT: 0
; COMPUTE_PGM_RSRC3_GFX90A:ACCUM_OFFSET: 0
; COMPUTE_PGM_RSRC3_GFX90A:TG_SPLIT: 0
	.section	.text._ZN7rocprim17ROCPRIM_400000_NS6detail17trampoline_kernelINS0_14default_configENS1_33run_length_encode_config_selectorIjjNS0_4plusIjEEEEZZNS1_33reduce_by_key_impl_wrapped_configILNS1_25lookback_scan_determinismE0ES3_S7_PKjNS0_17constant_iteratorIjlEEPjPlSF_S6_NS0_8equal_toIjEEEE10hipError_tPvRmT2_T3_mT4_T5_T6_T7_T8_P12ihipStream_tbENKUlT_T0_E_clISt17integral_constantIbLb0EESZ_EEDaSU_SV_EUlSU_E_NS1_11comp_targetILNS1_3genE3ELNS1_11target_archE908ELNS1_3gpuE7ELNS1_3repE0EEENS1_30default_config_static_selectorELNS0_4arch9wavefront6targetE1EEEvT1_,"axG",@progbits,_ZN7rocprim17ROCPRIM_400000_NS6detail17trampoline_kernelINS0_14default_configENS1_33run_length_encode_config_selectorIjjNS0_4plusIjEEEEZZNS1_33reduce_by_key_impl_wrapped_configILNS1_25lookback_scan_determinismE0ES3_S7_PKjNS0_17constant_iteratorIjlEEPjPlSF_S6_NS0_8equal_toIjEEEE10hipError_tPvRmT2_T3_mT4_T5_T6_T7_T8_P12ihipStream_tbENKUlT_T0_E_clISt17integral_constantIbLb0EESZ_EEDaSU_SV_EUlSU_E_NS1_11comp_targetILNS1_3genE3ELNS1_11target_archE908ELNS1_3gpuE7ELNS1_3repE0EEENS1_30default_config_static_selectorELNS0_4arch9wavefront6targetE1EEEvT1_,comdat
	.protected	_ZN7rocprim17ROCPRIM_400000_NS6detail17trampoline_kernelINS0_14default_configENS1_33run_length_encode_config_selectorIjjNS0_4plusIjEEEEZZNS1_33reduce_by_key_impl_wrapped_configILNS1_25lookback_scan_determinismE0ES3_S7_PKjNS0_17constant_iteratorIjlEEPjPlSF_S6_NS0_8equal_toIjEEEE10hipError_tPvRmT2_T3_mT4_T5_T6_T7_T8_P12ihipStream_tbENKUlT_T0_E_clISt17integral_constantIbLb0EESZ_EEDaSU_SV_EUlSU_E_NS1_11comp_targetILNS1_3genE3ELNS1_11target_archE908ELNS1_3gpuE7ELNS1_3repE0EEENS1_30default_config_static_selectorELNS0_4arch9wavefront6targetE1EEEvT1_ ; -- Begin function _ZN7rocprim17ROCPRIM_400000_NS6detail17trampoline_kernelINS0_14default_configENS1_33run_length_encode_config_selectorIjjNS0_4plusIjEEEEZZNS1_33reduce_by_key_impl_wrapped_configILNS1_25lookback_scan_determinismE0ES3_S7_PKjNS0_17constant_iteratorIjlEEPjPlSF_S6_NS0_8equal_toIjEEEE10hipError_tPvRmT2_T3_mT4_T5_T6_T7_T8_P12ihipStream_tbENKUlT_T0_E_clISt17integral_constantIbLb0EESZ_EEDaSU_SV_EUlSU_E_NS1_11comp_targetILNS1_3genE3ELNS1_11target_archE908ELNS1_3gpuE7ELNS1_3repE0EEENS1_30default_config_static_selectorELNS0_4arch9wavefront6targetE1EEEvT1_
	.globl	_ZN7rocprim17ROCPRIM_400000_NS6detail17trampoline_kernelINS0_14default_configENS1_33run_length_encode_config_selectorIjjNS0_4plusIjEEEEZZNS1_33reduce_by_key_impl_wrapped_configILNS1_25lookback_scan_determinismE0ES3_S7_PKjNS0_17constant_iteratorIjlEEPjPlSF_S6_NS0_8equal_toIjEEEE10hipError_tPvRmT2_T3_mT4_T5_T6_T7_T8_P12ihipStream_tbENKUlT_T0_E_clISt17integral_constantIbLb0EESZ_EEDaSU_SV_EUlSU_E_NS1_11comp_targetILNS1_3genE3ELNS1_11target_archE908ELNS1_3gpuE7ELNS1_3repE0EEENS1_30default_config_static_selectorELNS0_4arch9wavefront6targetE1EEEvT1_
	.p2align	8
	.type	_ZN7rocprim17ROCPRIM_400000_NS6detail17trampoline_kernelINS0_14default_configENS1_33run_length_encode_config_selectorIjjNS0_4plusIjEEEEZZNS1_33reduce_by_key_impl_wrapped_configILNS1_25lookback_scan_determinismE0ES3_S7_PKjNS0_17constant_iteratorIjlEEPjPlSF_S6_NS0_8equal_toIjEEEE10hipError_tPvRmT2_T3_mT4_T5_T6_T7_T8_P12ihipStream_tbENKUlT_T0_E_clISt17integral_constantIbLb0EESZ_EEDaSU_SV_EUlSU_E_NS1_11comp_targetILNS1_3genE3ELNS1_11target_archE908ELNS1_3gpuE7ELNS1_3repE0EEENS1_30default_config_static_selectorELNS0_4arch9wavefront6targetE1EEEvT1_,@function
_ZN7rocprim17ROCPRIM_400000_NS6detail17trampoline_kernelINS0_14default_configENS1_33run_length_encode_config_selectorIjjNS0_4plusIjEEEEZZNS1_33reduce_by_key_impl_wrapped_configILNS1_25lookback_scan_determinismE0ES3_S7_PKjNS0_17constant_iteratorIjlEEPjPlSF_S6_NS0_8equal_toIjEEEE10hipError_tPvRmT2_T3_mT4_T5_T6_T7_T8_P12ihipStream_tbENKUlT_T0_E_clISt17integral_constantIbLb0EESZ_EEDaSU_SV_EUlSU_E_NS1_11comp_targetILNS1_3genE3ELNS1_11target_archE908ELNS1_3gpuE7ELNS1_3repE0EEENS1_30default_config_static_selectorELNS0_4arch9wavefront6targetE1EEEvT1_: ; @_ZN7rocprim17ROCPRIM_400000_NS6detail17trampoline_kernelINS0_14default_configENS1_33run_length_encode_config_selectorIjjNS0_4plusIjEEEEZZNS1_33reduce_by_key_impl_wrapped_configILNS1_25lookback_scan_determinismE0ES3_S7_PKjNS0_17constant_iteratorIjlEEPjPlSF_S6_NS0_8equal_toIjEEEE10hipError_tPvRmT2_T3_mT4_T5_T6_T7_T8_P12ihipStream_tbENKUlT_T0_E_clISt17integral_constantIbLb0EESZ_EEDaSU_SV_EUlSU_E_NS1_11comp_targetILNS1_3genE3ELNS1_11target_archE908ELNS1_3gpuE7ELNS1_3repE0EEENS1_30default_config_static_selectorELNS0_4arch9wavefront6targetE1EEEvT1_
; %bb.0:
	.section	.rodata,"a",@progbits
	.p2align	6, 0x0
	.amdhsa_kernel _ZN7rocprim17ROCPRIM_400000_NS6detail17trampoline_kernelINS0_14default_configENS1_33run_length_encode_config_selectorIjjNS0_4plusIjEEEEZZNS1_33reduce_by_key_impl_wrapped_configILNS1_25lookback_scan_determinismE0ES3_S7_PKjNS0_17constant_iteratorIjlEEPjPlSF_S6_NS0_8equal_toIjEEEE10hipError_tPvRmT2_T3_mT4_T5_T6_T7_T8_P12ihipStream_tbENKUlT_T0_E_clISt17integral_constantIbLb0EESZ_EEDaSU_SV_EUlSU_E_NS1_11comp_targetILNS1_3genE3ELNS1_11target_archE908ELNS1_3gpuE7ELNS1_3repE0EEENS1_30default_config_static_selectorELNS0_4arch9wavefront6targetE1EEEvT1_
		.amdhsa_group_segment_fixed_size 0
		.amdhsa_private_segment_fixed_size 0
		.amdhsa_kernarg_size 128
		.amdhsa_user_sgpr_count 2
		.amdhsa_user_sgpr_dispatch_ptr 0
		.amdhsa_user_sgpr_queue_ptr 0
		.amdhsa_user_sgpr_kernarg_segment_ptr 1
		.amdhsa_user_sgpr_dispatch_id 0
		.amdhsa_user_sgpr_kernarg_preload_length 0
		.amdhsa_user_sgpr_kernarg_preload_offset 0
		.amdhsa_user_sgpr_private_segment_size 0
		.amdhsa_uses_dynamic_stack 0
		.amdhsa_enable_private_segment 0
		.amdhsa_system_sgpr_workgroup_id_x 1
		.amdhsa_system_sgpr_workgroup_id_y 0
		.amdhsa_system_sgpr_workgroup_id_z 0
		.amdhsa_system_sgpr_workgroup_info 0
		.amdhsa_system_vgpr_workitem_id 0
		.amdhsa_next_free_vgpr 1
		.amdhsa_next_free_sgpr 0
		.amdhsa_accum_offset 4
		.amdhsa_reserve_vcc 0
		.amdhsa_float_round_mode_32 0
		.amdhsa_float_round_mode_16_64 0
		.amdhsa_float_denorm_mode_32 3
		.amdhsa_float_denorm_mode_16_64 3
		.amdhsa_dx10_clamp 1
		.amdhsa_ieee_mode 1
		.amdhsa_fp16_overflow 0
		.amdhsa_tg_split 0
		.amdhsa_exception_fp_ieee_invalid_op 0
		.amdhsa_exception_fp_denorm_src 0
		.amdhsa_exception_fp_ieee_div_zero 0
		.amdhsa_exception_fp_ieee_overflow 0
		.amdhsa_exception_fp_ieee_underflow 0
		.amdhsa_exception_fp_ieee_inexact 0
		.amdhsa_exception_int_div_zero 0
	.end_amdhsa_kernel
	.section	.text._ZN7rocprim17ROCPRIM_400000_NS6detail17trampoline_kernelINS0_14default_configENS1_33run_length_encode_config_selectorIjjNS0_4plusIjEEEEZZNS1_33reduce_by_key_impl_wrapped_configILNS1_25lookback_scan_determinismE0ES3_S7_PKjNS0_17constant_iteratorIjlEEPjPlSF_S6_NS0_8equal_toIjEEEE10hipError_tPvRmT2_T3_mT4_T5_T6_T7_T8_P12ihipStream_tbENKUlT_T0_E_clISt17integral_constantIbLb0EESZ_EEDaSU_SV_EUlSU_E_NS1_11comp_targetILNS1_3genE3ELNS1_11target_archE908ELNS1_3gpuE7ELNS1_3repE0EEENS1_30default_config_static_selectorELNS0_4arch9wavefront6targetE1EEEvT1_,"axG",@progbits,_ZN7rocprim17ROCPRIM_400000_NS6detail17trampoline_kernelINS0_14default_configENS1_33run_length_encode_config_selectorIjjNS0_4plusIjEEEEZZNS1_33reduce_by_key_impl_wrapped_configILNS1_25lookback_scan_determinismE0ES3_S7_PKjNS0_17constant_iteratorIjlEEPjPlSF_S6_NS0_8equal_toIjEEEE10hipError_tPvRmT2_T3_mT4_T5_T6_T7_T8_P12ihipStream_tbENKUlT_T0_E_clISt17integral_constantIbLb0EESZ_EEDaSU_SV_EUlSU_E_NS1_11comp_targetILNS1_3genE3ELNS1_11target_archE908ELNS1_3gpuE7ELNS1_3repE0EEENS1_30default_config_static_selectorELNS0_4arch9wavefront6targetE1EEEvT1_,comdat
.Lfunc_end652:
	.size	_ZN7rocprim17ROCPRIM_400000_NS6detail17trampoline_kernelINS0_14default_configENS1_33run_length_encode_config_selectorIjjNS0_4plusIjEEEEZZNS1_33reduce_by_key_impl_wrapped_configILNS1_25lookback_scan_determinismE0ES3_S7_PKjNS0_17constant_iteratorIjlEEPjPlSF_S6_NS0_8equal_toIjEEEE10hipError_tPvRmT2_T3_mT4_T5_T6_T7_T8_P12ihipStream_tbENKUlT_T0_E_clISt17integral_constantIbLb0EESZ_EEDaSU_SV_EUlSU_E_NS1_11comp_targetILNS1_3genE3ELNS1_11target_archE908ELNS1_3gpuE7ELNS1_3repE0EEENS1_30default_config_static_selectorELNS0_4arch9wavefront6targetE1EEEvT1_, .Lfunc_end652-_ZN7rocprim17ROCPRIM_400000_NS6detail17trampoline_kernelINS0_14default_configENS1_33run_length_encode_config_selectorIjjNS0_4plusIjEEEEZZNS1_33reduce_by_key_impl_wrapped_configILNS1_25lookback_scan_determinismE0ES3_S7_PKjNS0_17constant_iteratorIjlEEPjPlSF_S6_NS0_8equal_toIjEEEE10hipError_tPvRmT2_T3_mT4_T5_T6_T7_T8_P12ihipStream_tbENKUlT_T0_E_clISt17integral_constantIbLb0EESZ_EEDaSU_SV_EUlSU_E_NS1_11comp_targetILNS1_3genE3ELNS1_11target_archE908ELNS1_3gpuE7ELNS1_3repE0EEENS1_30default_config_static_selectorELNS0_4arch9wavefront6targetE1EEEvT1_
                                        ; -- End function
	.section	.AMDGPU.csdata,"",@progbits
; Kernel info:
; codeLenInByte = 0
; NumSgprs: 6
; NumVgprs: 0
; NumAgprs: 0
; TotalNumVgprs: 0
; ScratchSize: 0
; MemoryBound: 0
; FloatMode: 240
; IeeeMode: 1
; LDSByteSize: 0 bytes/workgroup (compile time only)
; SGPRBlocks: 0
; VGPRBlocks: 0
; NumSGPRsForWavesPerEU: 6
; NumVGPRsForWavesPerEU: 1
; AccumOffset: 4
; Occupancy: 8
; WaveLimiterHint : 0
; COMPUTE_PGM_RSRC2:SCRATCH_EN: 0
; COMPUTE_PGM_RSRC2:USER_SGPR: 2
; COMPUTE_PGM_RSRC2:TRAP_HANDLER: 0
; COMPUTE_PGM_RSRC2:TGID_X_EN: 1
; COMPUTE_PGM_RSRC2:TGID_Y_EN: 0
; COMPUTE_PGM_RSRC2:TGID_Z_EN: 0
; COMPUTE_PGM_RSRC2:TIDIG_COMP_CNT: 0
; COMPUTE_PGM_RSRC3_GFX90A:ACCUM_OFFSET: 0
; COMPUTE_PGM_RSRC3_GFX90A:TG_SPLIT: 0
	.section	.text._ZN7rocprim17ROCPRIM_400000_NS6detail17trampoline_kernelINS0_14default_configENS1_33run_length_encode_config_selectorIjjNS0_4plusIjEEEEZZNS1_33reduce_by_key_impl_wrapped_configILNS1_25lookback_scan_determinismE0ES3_S7_PKjNS0_17constant_iteratorIjlEEPjPlSF_S6_NS0_8equal_toIjEEEE10hipError_tPvRmT2_T3_mT4_T5_T6_T7_T8_P12ihipStream_tbENKUlT_T0_E_clISt17integral_constantIbLb0EESZ_EEDaSU_SV_EUlSU_E_NS1_11comp_targetILNS1_3genE2ELNS1_11target_archE906ELNS1_3gpuE6ELNS1_3repE0EEENS1_30default_config_static_selectorELNS0_4arch9wavefront6targetE1EEEvT1_,"axG",@progbits,_ZN7rocprim17ROCPRIM_400000_NS6detail17trampoline_kernelINS0_14default_configENS1_33run_length_encode_config_selectorIjjNS0_4plusIjEEEEZZNS1_33reduce_by_key_impl_wrapped_configILNS1_25lookback_scan_determinismE0ES3_S7_PKjNS0_17constant_iteratorIjlEEPjPlSF_S6_NS0_8equal_toIjEEEE10hipError_tPvRmT2_T3_mT4_T5_T6_T7_T8_P12ihipStream_tbENKUlT_T0_E_clISt17integral_constantIbLb0EESZ_EEDaSU_SV_EUlSU_E_NS1_11comp_targetILNS1_3genE2ELNS1_11target_archE906ELNS1_3gpuE6ELNS1_3repE0EEENS1_30default_config_static_selectorELNS0_4arch9wavefront6targetE1EEEvT1_,comdat
	.protected	_ZN7rocprim17ROCPRIM_400000_NS6detail17trampoline_kernelINS0_14default_configENS1_33run_length_encode_config_selectorIjjNS0_4plusIjEEEEZZNS1_33reduce_by_key_impl_wrapped_configILNS1_25lookback_scan_determinismE0ES3_S7_PKjNS0_17constant_iteratorIjlEEPjPlSF_S6_NS0_8equal_toIjEEEE10hipError_tPvRmT2_T3_mT4_T5_T6_T7_T8_P12ihipStream_tbENKUlT_T0_E_clISt17integral_constantIbLb0EESZ_EEDaSU_SV_EUlSU_E_NS1_11comp_targetILNS1_3genE2ELNS1_11target_archE906ELNS1_3gpuE6ELNS1_3repE0EEENS1_30default_config_static_selectorELNS0_4arch9wavefront6targetE1EEEvT1_ ; -- Begin function _ZN7rocprim17ROCPRIM_400000_NS6detail17trampoline_kernelINS0_14default_configENS1_33run_length_encode_config_selectorIjjNS0_4plusIjEEEEZZNS1_33reduce_by_key_impl_wrapped_configILNS1_25lookback_scan_determinismE0ES3_S7_PKjNS0_17constant_iteratorIjlEEPjPlSF_S6_NS0_8equal_toIjEEEE10hipError_tPvRmT2_T3_mT4_T5_T6_T7_T8_P12ihipStream_tbENKUlT_T0_E_clISt17integral_constantIbLb0EESZ_EEDaSU_SV_EUlSU_E_NS1_11comp_targetILNS1_3genE2ELNS1_11target_archE906ELNS1_3gpuE6ELNS1_3repE0EEENS1_30default_config_static_selectorELNS0_4arch9wavefront6targetE1EEEvT1_
	.globl	_ZN7rocprim17ROCPRIM_400000_NS6detail17trampoline_kernelINS0_14default_configENS1_33run_length_encode_config_selectorIjjNS0_4plusIjEEEEZZNS1_33reduce_by_key_impl_wrapped_configILNS1_25lookback_scan_determinismE0ES3_S7_PKjNS0_17constant_iteratorIjlEEPjPlSF_S6_NS0_8equal_toIjEEEE10hipError_tPvRmT2_T3_mT4_T5_T6_T7_T8_P12ihipStream_tbENKUlT_T0_E_clISt17integral_constantIbLb0EESZ_EEDaSU_SV_EUlSU_E_NS1_11comp_targetILNS1_3genE2ELNS1_11target_archE906ELNS1_3gpuE6ELNS1_3repE0EEENS1_30default_config_static_selectorELNS0_4arch9wavefront6targetE1EEEvT1_
	.p2align	8
	.type	_ZN7rocprim17ROCPRIM_400000_NS6detail17trampoline_kernelINS0_14default_configENS1_33run_length_encode_config_selectorIjjNS0_4plusIjEEEEZZNS1_33reduce_by_key_impl_wrapped_configILNS1_25lookback_scan_determinismE0ES3_S7_PKjNS0_17constant_iteratorIjlEEPjPlSF_S6_NS0_8equal_toIjEEEE10hipError_tPvRmT2_T3_mT4_T5_T6_T7_T8_P12ihipStream_tbENKUlT_T0_E_clISt17integral_constantIbLb0EESZ_EEDaSU_SV_EUlSU_E_NS1_11comp_targetILNS1_3genE2ELNS1_11target_archE906ELNS1_3gpuE6ELNS1_3repE0EEENS1_30default_config_static_selectorELNS0_4arch9wavefront6targetE1EEEvT1_,@function
_ZN7rocprim17ROCPRIM_400000_NS6detail17trampoline_kernelINS0_14default_configENS1_33run_length_encode_config_selectorIjjNS0_4plusIjEEEEZZNS1_33reduce_by_key_impl_wrapped_configILNS1_25lookback_scan_determinismE0ES3_S7_PKjNS0_17constant_iteratorIjlEEPjPlSF_S6_NS0_8equal_toIjEEEE10hipError_tPvRmT2_T3_mT4_T5_T6_T7_T8_P12ihipStream_tbENKUlT_T0_E_clISt17integral_constantIbLb0EESZ_EEDaSU_SV_EUlSU_E_NS1_11comp_targetILNS1_3genE2ELNS1_11target_archE906ELNS1_3gpuE6ELNS1_3repE0EEENS1_30default_config_static_selectorELNS0_4arch9wavefront6targetE1EEEvT1_: ; @_ZN7rocprim17ROCPRIM_400000_NS6detail17trampoline_kernelINS0_14default_configENS1_33run_length_encode_config_selectorIjjNS0_4plusIjEEEEZZNS1_33reduce_by_key_impl_wrapped_configILNS1_25lookback_scan_determinismE0ES3_S7_PKjNS0_17constant_iteratorIjlEEPjPlSF_S6_NS0_8equal_toIjEEEE10hipError_tPvRmT2_T3_mT4_T5_T6_T7_T8_P12ihipStream_tbENKUlT_T0_E_clISt17integral_constantIbLb0EESZ_EEDaSU_SV_EUlSU_E_NS1_11comp_targetILNS1_3genE2ELNS1_11target_archE906ELNS1_3gpuE6ELNS1_3repE0EEENS1_30default_config_static_selectorELNS0_4arch9wavefront6targetE1EEEvT1_
; %bb.0:
	.section	.rodata,"a",@progbits
	.p2align	6, 0x0
	.amdhsa_kernel _ZN7rocprim17ROCPRIM_400000_NS6detail17trampoline_kernelINS0_14default_configENS1_33run_length_encode_config_selectorIjjNS0_4plusIjEEEEZZNS1_33reduce_by_key_impl_wrapped_configILNS1_25lookback_scan_determinismE0ES3_S7_PKjNS0_17constant_iteratorIjlEEPjPlSF_S6_NS0_8equal_toIjEEEE10hipError_tPvRmT2_T3_mT4_T5_T6_T7_T8_P12ihipStream_tbENKUlT_T0_E_clISt17integral_constantIbLb0EESZ_EEDaSU_SV_EUlSU_E_NS1_11comp_targetILNS1_3genE2ELNS1_11target_archE906ELNS1_3gpuE6ELNS1_3repE0EEENS1_30default_config_static_selectorELNS0_4arch9wavefront6targetE1EEEvT1_
		.amdhsa_group_segment_fixed_size 0
		.amdhsa_private_segment_fixed_size 0
		.amdhsa_kernarg_size 128
		.amdhsa_user_sgpr_count 2
		.amdhsa_user_sgpr_dispatch_ptr 0
		.amdhsa_user_sgpr_queue_ptr 0
		.amdhsa_user_sgpr_kernarg_segment_ptr 1
		.amdhsa_user_sgpr_dispatch_id 0
		.amdhsa_user_sgpr_kernarg_preload_length 0
		.amdhsa_user_sgpr_kernarg_preload_offset 0
		.amdhsa_user_sgpr_private_segment_size 0
		.amdhsa_uses_dynamic_stack 0
		.amdhsa_enable_private_segment 0
		.amdhsa_system_sgpr_workgroup_id_x 1
		.amdhsa_system_sgpr_workgroup_id_y 0
		.amdhsa_system_sgpr_workgroup_id_z 0
		.amdhsa_system_sgpr_workgroup_info 0
		.amdhsa_system_vgpr_workitem_id 0
		.amdhsa_next_free_vgpr 1
		.amdhsa_next_free_sgpr 0
		.amdhsa_accum_offset 4
		.amdhsa_reserve_vcc 0
		.amdhsa_float_round_mode_32 0
		.amdhsa_float_round_mode_16_64 0
		.amdhsa_float_denorm_mode_32 3
		.amdhsa_float_denorm_mode_16_64 3
		.amdhsa_dx10_clamp 1
		.amdhsa_ieee_mode 1
		.amdhsa_fp16_overflow 0
		.amdhsa_tg_split 0
		.amdhsa_exception_fp_ieee_invalid_op 0
		.amdhsa_exception_fp_denorm_src 0
		.amdhsa_exception_fp_ieee_div_zero 0
		.amdhsa_exception_fp_ieee_overflow 0
		.amdhsa_exception_fp_ieee_underflow 0
		.amdhsa_exception_fp_ieee_inexact 0
		.amdhsa_exception_int_div_zero 0
	.end_amdhsa_kernel
	.section	.text._ZN7rocprim17ROCPRIM_400000_NS6detail17trampoline_kernelINS0_14default_configENS1_33run_length_encode_config_selectorIjjNS0_4plusIjEEEEZZNS1_33reduce_by_key_impl_wrapped_configILNS1_25lookback_scan_determinismE0ES3_S7_PKjNS0_17constant_iteratorIjlEEPjPlSF_S6_NS0_8equal_toIjEEEE10hipError_tPvRmT2_T3_mT4_T5_T6_T7_T8_P12ihipStream_tbENKUlT_T0_E_clISt17integral_constantIbLb0EESZ_EEDaSU_SV_EUlSU_E_NS1_11comp_targetILNS1_3genE2ELNS1_11target_archE906ELNS1_3gpuE6ELNS1_3repE0EEENS1_30default_config_static_selectorELNS0_4arch9wavefront6targetE1EEEvT1_,"axG",@progbits,_ZN7rocprim17ROCPRIM_400000_NS6detail17trampoline_kernelINS0_14default_configENS1_33run_length_encode_config_selectorIjjNS0_4plusIjEEEEZZNS1_33reduce_by_key_impl_wrapped_configILNS1_25lookback_scan_determinismE0ES3_S7_PKjNS0_17constant_iteratorIjlEEPjPlSF_S6_NS0_8equal_toIjEEEE10hipError_tPvRmT2_T3_mT4_T5_T6_T7_T8_P12ihipStream_tbENKUlT_T0_E_clISt17integral_constantIbLb0EESZ_EEDaSU_SV_EUlSU_E_NS1_11comp_targetILNS1_3genE2ELNS1_11target_archE906ELNS1_3gpuE6ELNS1_3repE0EEENS1_30default_config_static_selectorELNS0_4arch9wavefront6targetE1EEEvT1_,comdat
.Lfunc_end653:
	.size	_ZN7rocprim17ROCPRIM_400000_NS6detail17trampoline_kernelINS0_14default_configENS1_33run_length_encode_config_selectorIjjNS0_4plusIjEEEEZZNS1_33reduce_by_key_impl_wrapped_configILNS1_25lookback_scan_determinismE0ES3_S7_PKjNS0_17constant_iteratorIjlEEPjPlSF_S6_NS0_8equal_toIjEEEE10hipError_tPvRmT2_T3_mT4_T5_T6_T7_T8_P12ihipStream_tbENKUlT_T0_E_clISt17integral_constantIbLb0EESZ_EEDaSU_SV_EUlSU_E_NS1_11comp_targetILNS1_3genE2ELNS1_11target_archE906ELNS1_3gpuE6ELNS1_3repE0EEENS1_30default_config_static_selectorELNS0_4arch9wavefront6targetE1EEEvT1_, .Lfunc_end653-_ZN7rocprim17ROCPRIM_400000_NS6detail17trampoline_kernelINS0_14default_configENS1_33run_length_encode_config_selectorIjjNS0_4plusIjEEEEZZNS1_33reduce_by_key_impl_wrapped_configILNS1_25lookback_scan_determinismE0ES3_S7_PKjNS0_17constant_iteratorIjlEEPjPlSF_S6_NS0_8equal_toIjEEEE10hipError_tPvRmT2_T3_mT4_T5_T6_T7_T8_P12ihipStream_tbENKUlT_T0_E_clISt17integral_constantIbLb0EESZ_EEDaSU_SV_EUlSU_E_NS1_11comp_targetILNS1_3genE2ELNS1_11target_archE906ELNS1_3gpuE6ELNS1_3repE0EEENS1_30default_config_static_selectorELNS0_4arch9wavefront6targetE1EEEvT1_
                                        ; -- End function
	.section	.AMDGPU.csdata,"",@progbits
; Kernel info:
; codeLenInByte = 0
; NumSgprs: 6
; NumVgprs: 0
; NumAgprs: 0
; TotalNumVgprs: 0
; ScratchSize: 0
; MemoryBound: 0
; FloatMode: 240
; IeeeMode: 1
; LDSByteSize: 0 bytes/workgroup (compile time only)
; SGPRBlocks: 0
; VGPRBlocks: 0
; NumSGPRsForWavesPerEU: 6
; NumVGPRsForWavesPerEU: 1
; AccumOffset: 4
; Occupancy: 8
; WaveLimiterHint : 0
; COMPUTE_PGM_RSRC2:SCRATCH_EN: 0
; COMPUTE_PGM_RSRC2:USER_SGPR: 2
; COMPUTE_PGM_RSRC2:TRAP_HANDLER: 0
; COMPUTE_PGM_RSRC2:TGID_X_EN: 1
; COMPUTE_PGM_RSRC2:TGID_Y_EN: 0
; COMPUTE_PGM_RSRC2:TGID_Z_EN: 0
; COMPUTE_PGM_RSRC2:TIDIG_COMP_CNT: 0
; COMPUTE_PGM_RSRC3_GFX90A:ACCUM_OFFSET: 0
; COMPUTE_PGM_RSRC3_GFX90A:TG_SPLIT: 0
	.section	.text._ZN7rocprim17ROCPRIM_400000_NS6detail17trampoline_kernelINS0_14default_configENS1_33run_length_encode_config_selectorIjjNS0_4plusIjEEEEZZNS1_33reduce_by_key_impl_wrapped_configILNS1_25lookback_scan_determinismE0ES3_S7_PKjNS0_17constant_iteratorIjlEEPjPlSF_S6_NS0_8equal_toIjEEEE10hipError_tPvRmT2_T3_mT4_T5_T6_T7_T8_P12ihipStream_tbENKUlT_T0_E_clISt17integral_constantIbLb0EESZ_EEDaSU_SV_EUlSU_E_NS1_11comp_targetILNS1_3genE10ELNS1_11target_archE1201ELNS1_3gpuE5ELNS1_3repE0EEENS1_30default_config_static_selectorELNS0_4arch9wavefront6targetE1EEEvT1_,"axG",@progbits,_ZN7rocprim17ROCPRIM_400000_NS6detail17trampoline_kernelINS0_14default_configENS1_33run_length_encode_config_selectorIjjNS0_4plusIjEEEEZZNS1_33reduce_by_key_impl_wrapped_configILNS1_25lookback_scan_determinismE0ES3_S7_PKjNS0_17constant_iteratorIjlEEPjPlSF_S6_NS0_8equal_toIjEEEE10hipError_tPvRmT2_T3_mT4_T5_T6_T7_T8_P12ihipStream_tbENKUlT_T0_E_clISt17integral_constantIbLb0EESZ_EEDaSU_SV_EUlSU_E_NS1_11comp_targetILNS1_3genE10ELNS1_11target_archE1201ELNS1_3gpuE5ELNS1_3repE0EEENS1_30default_config_static_selectorELNS0_4arch9wavefront6targetE1EEEvT1_,comdat
	.protected	_ZN7rocprim17ROCPRIM_400000_NS6detail17trampoline_kernelINS0_14default_configENS1_33run_length_encode_config_selectorIjjNS0_4plusIjEEEEZZNS1_33reduce_by_key_impl_wrapped_configILNS1_25lookback_scan_determinismE0ES3_S7_PKjNS0_17constant_iteratorIjlEEPjPlSF_S6_NS0_8equal_toIjEEEE10hipError_tPvRmT2_T3_mT4_T5_T6_T7_T8_P12ihipStream_tbENKUlT_T0_E_clISt17integral_constantIbLb0EESZ_EEDaSU_SV_EUlSU_E_NS1_11comp_targetILNS1_3genE10ELNS1_11target_archE1201ELNS1_3gpuE5ELNS1_3repE0EEENS1_30default_config_static_selectorELNS0_4arch9wavefront6targetE1EEEvT1_ ; -- Begin function _ZN7rocprim17ROCPRIM_400000_NS6detail17trampoline_kernelINS0_14default_configENS1_33run_length_encode_config_selectorIjjNS0_4plusIjEEEEZZNS1_33reduce_by_key_impl_wrapped_configILNS1_25lookback_scan_determinismE0ES3_S7_PKjNS0_17constant_iteratorIjlEEPjPlSF_S6_NS0_8equal_toIjEEEE10hipError_tPvRmT2_T3_mT4_T5_T6_T7_T8_P12ihipStream_tbENKUlT_T0_E_clISt17integral_constantIbLb0EESZ_EEDaSU_SV_EUlSU_E_NS1_11comp_targetILNS1_3genE10ELNS1_11target_archE1201ELNS1_3gpuE5ELNS1_3repE0EEENS1_30default_config_static_selectorELNS0_4arch9wavefront6targetE1EEEvT1_
	.globl	_ZN7rocprim17ROCPRIM_400000_NS6detail17trampoline_kernelINS0_14default_configENS1_33run_length_encode_config_selectorIjjNS0_4plusIjEEEEZZNS1_33reduce_by_key_impl_wrapped_configILNS1_25lookback_scan_determinismE0ES3_S7_PKjNS0_17constant_iteratorIjlEEPjPlSF_S6_NS0_8equal_toIjEEEE10hipError_tPvRmT2_T3_mT4_T5_T6_T7_T8_P12ihipStream_tbENKUlT_T0_E_clISt17integral_constantIbLb0EESZ_EEDaSU_SV_EUlSU_E_NS1_11comp_targetILNS1_3genE10ELNS1_11target_archE1201ELNS1_3gpuE5ELNS1_3repE0EEENS1_30default_config_static_selectorELNS0_4arch9wavefront6targetE1EEEvT1_
	.p2align	8
	.type	_ZN7rocprim17ROCPRIM_400000_NS6detail17trampoline_kernelINS0_14default_configENS1_33run_length_encode_config_selectorIjjNS0_4plusIjEEEEZZNS1_33reduce_by_key_impl_wrapped_configILNS1_25lookback_scan_determinismE0ES3_S7_PKjNS0_17constant_iteratorIjlEEPjPlSF_S6_NS0_8equal_toIjEEEE10hipError_tPvRmT2_T3_mT4_T5_T6_T7_T8_P12ihipStream_tbENKUlT_T0_E_clISt17integral_constantIbLb0EESZ_EEDaSU_SV_EUlSU_E_NS1_11comp_targetILNS1_3genE10ELNS1_11target_archE1201ELNS1_3gpuE5ELNS1_3repE0EEENS1_30default_config_static_selectorELNS0_4arch9wavefront6targetE1EEEvT1_,@function
_ZN7rocprim17ROCPRIM_400000_NS6detail17trampoline_kernelINS0_14default_configENS1_33run_length_encode_config_selectorIjjNS0_4plusIjEEEEZZNS1_33reduce_by_key_impl_wrapped_configILNS1_25lookback_scan_determinismE0ES3_S7_PKjNS0_17constant_iteratorIjlEEPjPlSF_S6_NS0_8equal_toIjEEEE10hipError_tPvRmT2_T3_mT4_T5_T6_T7_T8_P12ihipStream_tbENKUlT_T0_E_clISt17integral_constantIbLb0EESZ_EEDaSU_SV_EUlSU_E_NS1_11comp_targetILNS1_3genE10ELNS1_11target_archE1201ELNS1_3gpuE5ELNS1_3repE0EEENS1_30default_config_static_selectorELNS0_4arch9wavefront6targetE1EEEvT1_: ; @_ZN7rocprim17ROCPRIM_400000_NS6detail17trampoline_kernelINS0_14default_configENS1_33run_length_encode_config_selectorIjjNS0_4plusIjEEEEZZNS1_33reduce_by_key_impl_wrapped_configILNS1_25lookback_scan_determinismE0ES3_S7_PKjNS0_17constant_iteratorIjlEEPjPlSF_S6_NS0_8equal_toIjEEEE10hipError_tPvRmT2_T3_mT4_T5_T6_T7_T8_P12ihipStream_tbENKUlT_T0_E_clISt17integral_constantIbLb0EESZ_EEDaSU_SV_EUlSU_E_NS1_11comp_targetILNS1_3genE10ELNS1_11target_archE1201ELNS1_3gpuE5ELNS1_3repE0EEENS1_30default_config_static_selectorELNS0_4arch9wavefront6targetE1EEEvT1_
; %bb.0:
	.section	.rodata,"a",@progbits
	.p2align	6, 0x0
	.amdhsa_kernel _ZN7rocprim17ROCPRIM_400000_NS6detail17trampoline_kernelINS0_14default_configENS1_33run_length_encode_config_selectorIjjNS0_4plusIjEEEEZZNS1_33reduce_by_key_impl_wrapped_configILNS1_25lookback_scan_determinismE0ES3_S7_PKjNS0_17constant_iteratorIjlEEPjPlSF_S6_NS0_8equal_toIjEEEE10hipError_tPvRmT2_T3_mT4_T5_T6_T7_T8_P12ihipStream_tbENKUlT_T0_E_clISt17integral_constantIbLb0EESZ_EEDaSU_SV_EUlSU_E_NS1_11comp_targetILNS1_3genE10ELNS1_11target_archE1201ELNS1_3gpuE5ELNS1_3repE0EEENS1_30default_config_static_selectorELNS0_4arch9wavefront6targetE1EEEvT1_
		.amdhsa_group_segment_fixed_size 0
		.amdhsa_private_segment_fixed_size 0
		.amdhsa_kernarg_size 128
		.amdhsa_user_sgpr_count 2
		.amdhsa_user_sgpr_dispatch_ptr 0
		.amdhsa_user_sgpr_queue_ptr 0
		.amdhsa_user_sgpr_kernarg_segment_ptr 1
		.amdhsa_user_sgpr_dispatch_id 0
		.amdhsa_user_sgpr_kernarg_preload_length 0
		.amdhsa_user_sgpr_kernarg_preload_offset 0
		.amdhsa_user_sgpr_private_segment_size 0
		.amdhsa_uses_dynamic_stack 0
		.amdhsa_enable_private_segment 0
		.amdhsa_system_sgpr_workgroup_id_x 1
		.amdhsa_system_sgpr_workgroup_id_y 0
		.amdhsa_system_sgpr_workgroup_id_z 0
		.amdhsa_system_sgpr_workgroup_info 0
		.amdhsa_system_vgpr_workitem_id 0
		.amdhsa_next_free_vgpr 1
		.amdhsa_next_free_sgpr 0
		.amdhsa_accum_offset 4
		.amdhsa_reserve_vcc 0
		.amdhsa_float_round_mode_32 0
		.amdhsa_float_round_mode_16_64 0
		.amdhsa_float_denorm_mode_32 3
		.amdhsa_float_denorm_mode_16_64 3
		.amdhsa_dx10_clamp 1
		.amdhsa_ieee_mode 1
		.amdhsa_fp16_overflow 0
		.amdhsa_tg_split 0
		.amdhsa_exception_fp_ieee_invalid_op 0
		.amdhsa_exception_fp_denorm_src 0
		.amdhsa_exception_fp_ieee_div_zero 0
		.amdhsa_exception_fp_ieee_overflow 0
		.amdhsa_exception_fp_ieee_underflow 0
		.amdhsa_exception_fp_ieee_inexact 0
		.amdhsa_exception_int_div_zero 0
	.end_amdhsa_kernel
	.section	.text._ZN7rocprim17ROCPRIM_400000_NS6detail17trampoline_kernelINS0_14default_configENS1_33run_length_encode_config_selectorIjjNS0_4plusIjEEEEZZNS1_33reduce_by_key_impl_wrapped_configILNS1_25lookback_scan_determinismE0ES3_S7_PKjNS0_17constant_iteratorIjlEEPjPlSF_S6_NS0_8equal_toIjEEEE10hipError_tPvRmT2_T3_mT4_T5_T6_T7_T8_P12ihipStream_tbENKUlT_T0_E_clISt17integral_constantIbLb0EESZ_EEDaSU_SV_EUlSU_E_NS1_11comp_targetILNS1_3genE10ELNS1_11target_archE1201ELNS1_3gpuE5ELNS1_3repE0EEENS1_30default_config_static_selectorELNS0_4arch9wavefront6targetE1EEEvT1_,"axG",@progbits,_ZN7rocprim17ROCPRIM_400000_NS6detail17trampoline_kernelINS0_14default_configENS1_33run_length_encode_config_selectorIjjNS0_4plusIjEEEEZZNS1_33reduce_by_key_impl_wrapped_configILNS1_25lookback_scan_determinismE0ES3_S7_PKjNS0_17constant_iteratorIjlEEPjPlSF_S6_NS0_8equal_toIjEEEE10hipError_tPvRmT2_T3_mT4_T5_T6_T7_T8_P12ihipStream_tbENKUlT_T0_E_clISt17integral_constantIbLb0EESZ_EEDaSU_SV_EUlSU_E_NS1_11comp_targetILNS1_3genE10ELNS1_11target_archE1201ELNS1_3gpuE5ELNS1_3repE0EEENS1_30default_config_static_selectorELNS0_4arch9wavefront6targetE1EEEvT1_,comdat
.Lfunc_end654:
	.size	_ZN7rocprim17ROCPRIM_400000_NS6detail17trampoline_kernelINS0_14default_configENS1_33run_length_encode_config_selectorIjjNS0_4plusIjEEEEZZNS1_33reduce_by_key_impl_wrapped_configILNS1_25lookback_scan_determinismE0ES3_S7_PKjNS0_17constant_iteratorIjlEEPjPlSF_S6_NS0_8equal_toIjEEEE10hipError_tPvRmT2_T3_mT4_T5_T6_T7_T8_P12ihipStream_tbENKUlT_T0_E_clISt17integral_constantIbLb0EESZ_EEDaSU_SV_EUlSU_E_NS1_11comp_targetILNS1_3genE10ELNS1_11target_archE1201ELNS1_3gpuE5ELNS1_3repE0EEENS1_30default_config_static_selectorELNS0_4arch9wavefront6targetE1EEEvT1_, .Lfunc_end654-_ZN7rocprim17ROCPRIM_400000_NS6detail17trampoline_kernelINS0_14default_configENS1_33run_length_encode_config_selectorIjjNS0_4plusIjEEEEZZNS1_33reduce_by_key_impl_wrapped_configILNS1_25lookback_scan_determinismE0ES3_S7_PKjNS0_17constant_iteratorIjlEEPjPlSF_S6_NS0_8equal_toIjEEEE10hipError_tPvRmT2_T3_mT4_T5_T6_T7_T8_P12ihipStream_tbENKUlT_T0_E_clISt17integral_constantIbLb0EESZ_EEDaSU_SV_EUlSU_E_NS1_11comp_targetILNS1_3genE10ELNS1_11target_archE1201ELNS1_3gpuE5ELNS1_3repE0EEENS1_30default_config_static_selectorELNS0_4arch9wavefront6targetE1EEEvT1_
                                        ; -- End function
	.section	.AMDGPU.csdata,"",@progbits
; Kernel info:
; codeLenInByte = 0
; NumSgprs: 6
; NumVgprs: 0
; NumAgprs: 0
; TotalNumVgprs: 0
; ScratchSize: 0
; MemoryBound: 0
; FloatMode: 240
; IeeeMode: 1
; LDSByteSize: 0 bytes/workgroup (compile time only)
; SGPRBlocks: 0
; VGPRBlocks: 0
; NumSGPRsForWavesPerEU: 6
; NumVGPRsForWavesPerEU: 1
; AccumOffset: 4
; Occupancy: 8
; WaveLimiterHint : 0
; COMPUTE_PGM_RSRC2:SCRATCH_EN: 0
; COMPUTE_PGM_RSRC2:USER_SGPR: 2
; COMPUTE_PGM_RSRC2:TRAP_HANDLER: 0
; COMPUTE_PGM_RSRC2:TGID_X_EN: 1
; COMPUTE_PGM_RSRC2:TGID_Y_EN: 0
; COMPUTE_PGM_RSRC2:TGID_Z_EN: 0
; COMPUTE_PGM_RSRC2:TIDIG_COMP_CNT: 0
; COMPUTE_PGM_RSRC3_GFX90A:ACCUM_OFFSET: 0
; COMPUTE_PGM_RSRC3_GFX90A:TG_SPLIT: 0
	.section	.text._ZN7rocprim17ROCPRIM_400000_NS6detail17trampoline_kernelINS0_14default_configENS1_33run_length_encode_config_selectorIjjNS0_4plusIjEEEEZZNS1_33reduce_by_key_impl_wrapped_configILNS1_25lookback_scan_determinismE0ES3_S7_PKjNS0_17constant_iteratorIjlEEPjPlSF_S6_NS0_8equal_toIjEEEE10hipError_tPvRmT2_T3_mT4_T5_T6_T7_T8_P12ihipStream_tbENKUlT_T0_E_clISt17integral_constantIbLb0EESZ_EEDaSU_SV_EUlSU_E_NS1_11comp_targetILNS1_3genE10ELNS1_11target_archE1200ELNS1_3gpuE4ELNS1_3repE0EEENS1_30default_config_static_selectorELNS0_4arch9wavefront6targetE1EEEvT1_,"axG",@progbits,_ZN7rocprim17ROCPRIM_400000_NS6detail17trampoline_kernelINS0_14default_configENS1_33run_length_encode_config_selectorIjjNS0_4plusIjEEEEZZNS1_33reduce_by_key_impl_wrapped_configILNS1_25lookback_scan_determinismE0ES3_S7_PKjNS0_17constant_iteratorIjlEEPjPlSF_S6_NS0_8equal_toIjEEEE10hipError_tPvRmT2_T3_mT4_T5_T6_T7_T8_P12ihipStream_tbENKUlT_T0_E_clISt17integral_constantIbLb0EESZ_EEDaSU_SV_EUlSU_E_NS1_11comp_targetILNS1_3genE10ELNS1_11target_archE1200ELNS1_3gpuE4ELNS1_3repE0EEENS1_30default_config_static_selectorELNS0_4arch9wavefront6targetE1EEEvT1_,comdat
	.protected	_ZN7rocprim17ROCPRIM_400000_NS6detail17trampoline_kernelINS0_14default_configENS1_33run_length_encode_config_selectorIjjNS0_4plusIjEEEEZZNS1_33reduce_by_key_impl_wrapped_configILNS1_25lookback_scan_determinismE0ES3_S7_PKjNS0_17constant_iteratorIjlEEPjPlSF_S6_NS0_8equal_toIjEEEE10hipError_tPvRmT2_T3_mT4_T5_T6_T7_T8_P12ihipStream_tbENKUlT_T0_E_clISt17integral_constantIbLb0EESZ_EEDaSU_SV_EUlSU_E_NS1_11comp_targetILNS1_3genE10ELNS1_11target_archE1200ELNS1_3gpuE4ELNS1_3repE0EEENS1_30default_config_static_selectorELNS0_4arch9wavefront6targetE1EEEvT1_ ; -- Begin function _ZN7rocprim17ROCPRIM_400000_NS6detail17trampoline_kernelINS0_14default_configENS1_33run_length_encode_config_selectorIjjNS0_4plusIjEEEEZZNS1_33reduce_by_key_impl_wrapped_configILNS1_25lookback_scan_determinismE0ES3_S7_PKjNS0_17constant_iteratorIjlEEPjPlSF_S6_NS0_8equal_toIjEEEE10hipError_tPvRmT2_T3_mT4_T5_T6_T7_T8_P12ihipStream_tbENKUlT_T0_E_clISt17integral_constantIbLb0EESZ_EEDaSU_SV_EUlSU_E_NS1_11comp_targetILNS1_3genE10ELNS1_11target_archE1200ELNS1_3gpuE4ELNS1_3repE0EEENS1_30default_config_static_selectorELNS0_4arch9wavefront6targetE1EEEvT1_
	.globl	_ZN7rocprim17ROCPRIM_400000_NS6detail17trampoline_kernelINS0_14default_configENS1_33run_length_encode_config_selectorIjjNS0_4plusIjEEEEZZNS1_33reduce_by_key_impl_wrapped_configILNS1_25lookback_scan_determinismE0ES3_S7_PKjNS0_17constant_iteratorIjlEEPjPlSF_S6_NS0_8equal_toIjEEEE10hipError_tPvRmT2_T3_mT4_T5_T6_T7_T8_P12ihipStream_tbENKUlT_T0_E_clISt17integral_constantIbLb0EESZ_EEDaSU_SV_EUlSU_E_NS1_11comp_targetILNS1_3genE10ELNS1_11target_archE1200ELNS1_3gpuE4ELNS1_3repE0EEENS1_30default_config_static_selectorELNS0_4arch9wavefront6targetE1EEEvT1_
	.p2align	8
	.type	_ZN7rocprim17ROCPRIM_400000_NS6detail17trampoline_kernelINS0_14default_configENS1_33run_length_encode_config_selectorIjjNS0_4plusIjEEEEZZNS1_33reduce_by_key_impl_wrapped_configILNS1_25lookback_scan_determinismE0ES3_S7_PKjNS0_17constant_iteratorIjlEEPjPlSF_S6_NS0_8equal_toIjEEEE10hipError_tPvRmT2_T3_mT4_T5_T6_T7_T8_P12ihipStream_tbENKUlT_T0_E_clISt17integral_constantIbLb0EESZ_EEDaSU_SV_EUlSU_E_NS1_11comp_targetILNS1_3genE10ELNS1_11target_archE1200ELNS1_3gpuE4ELNS1_3repE0EEENS1_30default_config_static_selectorELNS0_4arch9wavefront6targetE1EEEvT1_,@function
_ZN7rocprim17ROCPRIM_400000_NS6detail17trampoline_kernelINS0_14default_configENS1_33run_length_encode_config_selectorIjjNS0_4plusIjEEEEZZNS1_33reduce_by_key_impl_wrapped_configILNS1_25lookback_scan_determinismE0ES3_S7_PKjNS0_17constant_iteratorIjlEEPjPlSF_S6_NS0_8equal_toIjEEEE10hipError_tPvRmT2_T3_mT4_T5_T6_T7_T8_P12ihipStream_tbENKUlT_T0_E_clISt17integral_constantIbLb0EESZ_EEDaSU_SV_EUlSU_E_NS1_11comp_targetILNS1_3genE10ELNS1_11target_archE1200ELNS1_3gpuE4ELNS1_3repE0EEENS1_30default_config_static_selectorELNS0_4arch9wavefront6targetE1EEEvT1_: ; @_ZN7rocprim17ROCPRIM_400000_NS6detail17trampoline_kernelINS0_14default_configENS1_33run_length_encode_config_selectorIjjNS0_4plusIjEEEEZZNS1_33reduce_by_key_impl_wrapped_configILNS1_25lookback_scan_determinismE0ES3_S7_PKjNS0_17constant_iteratorIjlEEPjPlSF_S6_NS0_8equal_toIjEEEE10hipError_tPvRmT2_T3_mT4_T5_T6_T7_T8_P12ihipStream_tbENKUlT_T0_E_clISt17integral_constantIbLb0EESZ_EEDaSU_SV_EUlSU_E_NS1_11comp_targetILNS1_3genE10ELNS1_11target_archE1200ELNS1_3gpuE4ELNS1_3repE0EEENS1_30default_config_static_selectorELNS0_4arch9wavefront6targetE1EEEvT1_
; %bb.0:
	.section	.rodata,"a",@progbits
	.p2align	6, 0x0
	.amdhsa_kernel _ZN7rocprim17ROCPRIM_400000_NS6detail17trampoline_kernelINS0_14default_configENS1_33run_length_encode_config_selectorIjjNS0_4plusIjEEEEZZNS1_33reduce_by_key_impl_wrapped_configILNS1_25lookback_scan_determinismE0ES3_S7_PKjNS0_17constant_iteratorIjlEEPjPlSF_S6_NS0_8equal_toIjEEEE10hipError_tPvRmT2_T3_mT4_T5_T6_T7_T8_P12ihipStream_tbENKUlT_T0_E_clISt17integral_constantIbLb0EESZ_EEDaSU_SV_EUlSU_E_NS1_11comp_targetILNS1_3genE10ELNS1_11target_archE1200ELNS1_3gpuE4ELNS1_3repE0EEENS1_30default_config_static_selectorELNS0_4arch9wavefront6targetE1EEEvT1_
		.amdhsa_group_segment_fixed_size 0
		.amdhsa_private_segment_fixed_size 0
		.amdhsa_kernarg_size 128
		.amdhsa_user_sgpr_count 2
		.amdhsa_user_sgpr_dispatch_ptr 0
		.amdhsa_user_sgpr_queue_ptr 0
		.amdhsa_user_sgpr_kernarg_segment_ptr 1
		.amdhsa_user_sgpr_dispatch_id 0
		.amdhsa_user_sgpr_kernarg_preload_length 0
		.amdhsa_user_sgpr_kernarg_preload_offset 0
		.amdhsa_user_sgpr_private_segment_size 0
		.amdhsa_uses_dynamic_stack 0
		.amdhsa_enable_private_segment 0
		.amdhsa_system_sgpr_workgroup_id_x 1
		.amdhsa_system_sgpr_workgroup_id_y 0
		.amdhsa_system_sgpr_workgroup_id_z 0
		.amdhsa_system_sgpr_workgroup_info 0
		.amdhsa_system_vgpr_workitem_id 0
		.amdhsa_next_free_vgpr 1
		.amdhsa_next_free_sgpr 0
		.amdhsa_accum_offset 4
		.amdhsa_reserve_vcc 0
		.amdhsa_float_round_mode_32 0
		.amdhsa_float_round_mode_16_64 0
		.amdhsa_float_denorm_mode_32 3
		.amdhsa_float_denorm_mode_16_64 3
		.amdhsa_dx10_clamp 1
		.amdhsa_ieee_mode 1
		.amdhsa_fp16_overflow 0
		.amdhsa_tg_split 0
		.amdhsa_exception_fp_ieee_invalid_op 0
		.amdhsa_exception_fp_denorm_src 0
		.amdhsa_exception_fp_ieee_div_zero 0
		.amdhsa_exception_fp_ieee_overflow 0
		.amdhsa_exception_fp_ieee_underflow 0
		.amdhsa_exception_fp_ieee_inexact 0
		.amdhsa_exception_int_div_zero 0
	.end_amdhsa_kernel
	.section	.text._ZN7rocprim17ROCPRIM_400000_NS6detail17trampoline_kernelINS0_14default_configENS1_33run_length_encode_config_selectorIjjNS0_4plusIjEEEEZZNS1_33reduce_by_key_impl_wrapped_configILNS1_25lookback_scan_determinismE0ES3_S7_PKjNS0_17constant_iteratorIjlEEPjPlSF_S6_NS0_8equal_toIjEEEE10hipError_tPvRmT2_T3_mT4_T5_T6_T7_T8_P12ihipStream_tbENKUlT_T0_E_clISt17integral_constantIbLb0EESZ_EEDaSU_SV_EUlSU_E_NS1_11comp_targetILNS1_3genE10ELNS1_11target_archE1200ELNS1_3gpuE4ELNS1_3repE0EEENS1_30default_config_static_selectorELNS0_4arch9wavefront6targetE1EEEvT1_,"axG",@progbits,_ZN7rocprim17ROCPRIM_400000_NS6detail17trampoline_kernelINS0_14default_configENS1_33run_length_encode_config_selectorIjjNS0_4plusIjEEEEZZNS1_33reduce_by_key_impl_wrapped_configILNS1_25lookback_scan_determinismE0ES3_S7_PKjNS0_17constant_iteratorIjlEEPjPlSF_S6_NS0_8equal_toIjEEEE10hipError_tPvRmT2_T3_mT4_T5_T6_T7_T8_P12ihipStream_tbENKUlT_T0_E_clISt17integral_constantIbLb0EESZ_EEDaSU_SV_EUlSU_E_NS1_11comp_targetILNS1_3genE10ELNS1_11target_archE1200ELNS1_3gpuE4ELNS1_3repE0EEENS1_30default_config_static_selectorELNS0_4arch9wavefront6targetE1EEEvT1_,comdat
.Lfunc_end655:
	.size	_ZN7rocprim17ROCPRIM_400000_NS6detail17trampoline_kernelINS0_14default_configENS1_33run_length_encode_config_selectorIjjNS0_4plusIjEEEEZZNS1_33reduce_by_key_impl_wrapped_configILNS1_25lookback_scan_determinismE0ES3_S7_PKjNS0_17constant_iteratorIjlEEPjPlSF_S6_NS0_8equal_toIjEEEE10hipError_tPvRmT2_T3_mT4_T5_T6_T7_T8_P12ihipStream_tbENKUlT_T0_E_clISt17integral_constantIbLb0EESZ_EEDaSU_SV_EUlSU_E_NS1_11comp_targetILNS1_3genE10ELNS1_11target_archE1200ELNS1_3gpuE4ELNS1_3repE0EEENS1_30default_config_static_selectorELNS0_4arch9wavefront6targetE1EEEvT1_, .Lfunc_end655-_ZN7rocprim17ROCPRIM_400000_NS6detail17trampoline_kernelINS0_14default_configENS1_33run_length_encode_config_selectorIjjNS0_4plusIjEEEEZZNS1_33reduce_by_key_impl_wrapped_configILNS1_25lookback_scan_determinismE0ES3_S7_PKjNS0_17constant_iteratorIjlEEPjPlSF_S6_NS0_8equal_toIjEEEE10hipError_tPvRmT2_T3_mT4_T5_T6_T7_T8_P12ihipStream_tbENKUlT_T0_E_clISt17integral_constantIbLb0EESZ_EEDaSU_SV_EUlSU_E_NS1_11comp_targetILNS1_3genE10ELNS1_11target_archE1200ELNS1_3gpuE4ELNS1_3repE0EEENS1_30default_config_static_selectorELNS0_4arch9wavefront6targetE1EEEvT1_
                                        ; -- End function
	.section	.AMDGPU.csdata,"",@progbits
; Kernel info:
; codeLenInByte = 0
; NumSgprs: 6
; NumVgprs: 0
; NumAgprs: 0
; TotalNumVgprs: 0
; ScratchSize: 0
; MemoryBound: 0
; FloatMode: 240
; IeeeMode: 1
; LDSByteSize: 0 bytes/workgroup (compile time only)
; SGPRBlocks: 0
; VGPRBlocks: 0
; NumSGPRsForWavesPerEU: 6
; NumVGPRsForWavesPerEU: 1
; AccumOffset: 4
; Occupancy: 8
; WaveLimiterHint : 0
; COMPUTE_PGM_RSRC2:SCRATCH_EN: 0
; COMPUTE_PGM_RSRC2:USER_SGPR: 2
; COMPUTE_PGM_RSRC2:TRAP_HANDLER: 0
; COMPUTE_PGM_RSRC2:TGID_X_EN: 1
; COMPUTE_PGM_RSRC2:TGID_Y_EN: 0
; COMPUTE_PGM_RSRC2:TGID_Z_EN: 0
; COMPUTE_PGM_RSRC2:TIDIG_COMP_CNT: 0
; COMPUTE_PGM_RSRC3_GFX90A:ACCUM_OFFSET: 0
; COMPUTE_PGM_RSRC3_GFX90A:TG_SPLIT: 0
	.section	.text._ZN7rocprim17ROCPRIM_400000_NS6detail17trampoline_kernelINS0_14default_configENS1_33run_length_encode_config_selectorIjjNS0_4plusIjEEEEZZNS1_33reduce_by_key_impl_wrapped_configILNS1_25lookback_scan_determinismE0ES3_S7_PKjNS0_17constant_iteratorIjlEEPjPlSF_S6_NS0_8equal_toIjEEEE10hipError_tPvRmT2_T3_mT4_T5_T6_T7_T8_P12ihipStream_tbENKUlT_T0_E_clISt17integral_constantIbLb0EESZ_EEDaSU_SV_EUlSU_E_NS1_11comp_targetILNS1_3genE9ELNS1_11target_archE1100ELNS1_3gpuE3ELNS1_3repE0EEENS1_30default_config_static_selectorELNS0_4arch9wavefront6targetE1EEEvT1_,"axG",@progbits,_ZN7rocprim17ROCPRIM_400000_NS6detail17trampoline_kernelINS0_14default_configENS1_33run_length_encode_config_selectorIjjNS0_4plusIjEEEEZZNS1_33reduce_by_key_impl_wrapped_configILNS1_25lookback_scan_determinismE0ES3_S7_PKjNS0_17constant_iteratorIjlEEPjPlSF_S6_NS0_8equal_toIjEEEE10hipError_tPvRmT2_T3_mT4_T5_T6_T7_T8_P12ihipStream_tbENKUlT_T0_E_clISt17integral_constantIbLb0EESZ_EEDaSU_SV_EUlSU_E_NS1_11comp_targetILNS1_3genE9ELNS1_11target_archE1100ELNS1_3gpuE3ELNS1_3repE0EEENS1_30default_config_static_selectorELNS0_4arch9wavefront6targetE1EEEvT1_,comdat
	.protected	_ZN7rocprim17ROCPRIM_400000_NS6detail17trampoline_kernelINS0_14default_configENS1_33run_length_encode_config_selectorIjjNS0_4plusIjEEEEZZNS1_33reduce_by_key_impl_wrapped_configILNS1_25lookback_scan_determinismE0ES3_S7_PKjNS0_17constant_iteratorIjlEEPjPlSF_S6_NS0_8equal_toIjEEEE10hipError_tPvRmT2_T3_mT4_T5_T6_T7_T8_P12ihipStream_tbENKUlT_T0_E_clISt17integral_constantIbLb0EESZ_EEDaSU_SV_EUlSU_E_NS1_11comp_targetILNS1_3genE9ELNS1_11target_archE1100ELNS1_3gpuE3ELNS1_3repE0EEENS1_30default_config_static_selectorELNS0_4arch9wavefront6targetE1EEEvT1_ ; -- Begin function _ZN7rocprim17ROCPRIM_400000_NS6detail17trampoline_kernelINS0_14default_configENS1_33run_length_encode_config_selectorIjjNS0_4plusIjEEEEZZNS1_33reduce_by_key_impl_wrapped_configILNS1_25lookback_scan_determinismE0ES3_S7_PKjNS0_17constant_iteratorIjlEEPjPlSF_S6_NS0_8equal_toIjEEEE10hipError_tPvRmT2_T3_mT4_T5_T6_T7_T8_P12ihipStream_tbENKUlT_T0_E_clISt17integral_constantIbLb0EESZ_EEDaSU_SV_EUlSU_E_NS1_11comp_targetILNS1_3genE9ELNS1_11target_archE1100ELNS1_3gpuE3ELNS1_3repE0EEENS1_30default_config_static_selectorELNS0_4arch9wavefront6targetE1EEEvT1_
	.globl	_ZN7rocprim17ROCPRIM_400000_NS6detail17trampoline_kernelINS0_14default_configENS1_33run_length_encode_config_selectorIjjNS0_4plusIjEEEEZZNS1_33reduce_by_key_impl_wrapped_configILNS1_25lookback_scan_determinismE0ES3_S7_PKjNS0_17constant_iteratorIjlEEPjPlSF_S6_NS0_8equal_toIjEEEE10hipError_tPvRmT2_T3_mT4_T5_T6_T7_T8_P12ihipStream_tbENKUlT_T0_E_clISt17integral_constantIbLb0EESZ_EEDaSU_SV_EUlSU_E_NS1_11comp_targetILNS1_3genE9ELNS1_11target_archE1100ELNS1_3gpuE3ELNS1_3repE0EEENS1_30default_config_static_selectorELNS0_4arch9wavefront6targetE1EEEvT1_
	.p2align	8
	.type	_ZN7rocprim17ROCPRIM_400000_NS6detail17trampoline_kernelINS0_14default_configENS1_33run_length_encode_config_selectorIjjNS0_4plusIjEEEEZZNS1_33reduce_by_key_impl_wrapped_configILNS1_25lookback_scan_determinismE0ES3_S7_PKjNS0_17constant_iteratorIjlEEPjPlSF_S6_NS0_8equal_toIjEEEE10hipError_tPvRmT2_T3_mT4_T5_T6_T7_T8_P12ihipStream_tbENKUlT_T0_E_clISt17integral_constantIbLb0EESZ_EEDaSU_SV_EUlSU_E_NS1_11comp_targetILNS1_3genE9ELNS1_11target_archE1100ELNS1_3gpuE3ELNS1_3repE0EEENS1_30default_config_static_selectorELNS0_4arch9wavefront6targetE1EEEvT1_,@function
_ZN7rocprim17ROCPRIM_400000_NS6detail17trampoline_kernelINS0_14default_configENS1_33run_length_encode_config_selectorIjjNS0_4plusIjEEEEZZNS1_33reduce_by_key_impl_wrapped_configILNS1_25lookback_scan_determinismE0ES3_S7_PKjNS0_17constant_iteratorIjlEEPjPlSF_S6_NS0_8equal_toIjEEEE10hipError_tPvRmT2_T3_mT4_T5_T6_T7_T8_P12ihipStream_tbENKUlT_T0_E_clISt17integral_constantIbLb0EESZ_EEDaSU_SV_EUlSU_E_NS1_11comp_targetILNS1_3genE9ELNS1_11target_archE1100ELNS1_3gpuE3ELNS1_3repE0EEENS1_30default_config_static_selectorELNS0_4arch9wavefront6targetE1EEEvT1_: ; @_ZN7rocprim17ROCPRIM_400000_NS6detail17trampoline_kernelINS0_14default_configENS1_33run_length_encode_config_selectorIjjNS0_4plusIjEEEEZZNS1_33reduce_by_key_impl_wrapped_configILNS1_25lookback_scan_determinismE0ES3_S7_PKjNS0_17constant_iteratorIjlEEPjPlSF_S6_NS0_8equal_toIjEEEE10hipError_tPvRmT2_T3_mT4_T5_T6_T7_T8_P12ihipStream_tbENKUlT_T0_E_clISt17integral_constantIbLb0EESZ_EEDaSU_SV_EUlSU_E_NS1_11comp_targetILNS1_3genE9ELNS1_11target_archE1100ELNS1_3gpuE3ELNS1_3repE0EEENS1_30default_config_static_selectorELNS0_4arch9wavefront6targetE1EEEvT1_
; %bb.0:
	.section	.rodata,"a",@progbits
	.p2align	6, 0x0
	.amdhsa_kernel _ZN7rocprim17ROCPRIM_400000_NS6detail17trampoline_kernelINS0_14default_configENS1_33run_length_encode_config_selectorIjjNS0_4plusIjEEEEZZNS1_33reduce_by_key_impl_wrapped_configILNS1_25lookback_scan_determinismE0ES3_S7_PKjNS0_17constant_iteratorIjlEEPjPlSF_S6_NS0_8equal_toIjEEEE10hipError_tPvRmT2_T3_mT4_T5_T6_T7_T8_P12ihipStream_tbENKUlT_T0_E_clISt17integral_constantIbLb0EESZ_EEDaSU_SV_EUlSU_E_NS1_11comp_targetILNS1_3genE9ELNS1_11target_archE1100ELNS1_3gpuE3ELNS1_3repE0EEENS1_30default_config_static_selectorELNS0_4arch9wavefront6targetE1EEEvT1_
		.amdhsa_group_segment_fixed_size 0
		.amdhsa_private_segment_fixed_size 0
		.amdhsa_kernarg_size 128
		.amdhsa_user_sgpr_count 2
		.amdhsa_user_sgpr_dispatch_ptr 0
		.amdhsa_user_sgpr_queue_ptr 0
		.amdhsa_user_sgpr_kernarg_segment_ptr 1
		.amdhsa_user_sgpr_dispatch_id 0
		.amdhsa_user_sgpr_kernarg_preload_length 0
		.amdhsa_user_sgpr_kernarg_preload_offset 0
		.amdhsa_user_sgpr_private_segment_size 0
		.amdhsa_uses_dynamic_stack 0
		.amdhsa_enable_private_segment 0
		.amdhsa_system_sgpr_workgroup_id_x 1
		.amdhsa_system_sgpr_workgroup_id_y 0
		.amdhsa_system_sgpr_workgroup_id_z 0
		.amdhsa_system_sgpr_workgroup_info 0
		.amdhsa_system_vgpr_workitem_id 0
		.amdhsa_next_free_vgpr 1
		.amdhsa_next_free_sgpr 0
		.amdhsa_accum_offset 4
		.amdhsa_reserve_vcc 0
		.amdhsa_float_round_mode_32 0
		.amdhsa_float_round_mode_16_64 0
		.amdhsa_float_denorm_mode_32 3
		.amdhsa_float_denorm_mode_16_64 3
		.amdhsa_dx10_clamp 1
		.amdhsa_ieee_mode 1
		.amdhsa_fp16_overflow 0
		.amdhsa_tg_split 0
		.amdhsa_exception_fp_ieee_invalid_op 0
		.amdhsa_exception_fp_denorm_src 0
		.amdhsa_exception_fp_ieee_div_zero 0
		.amdhsa_exception_fp_ieee_overflow 0
		.amdhsa_exception_fp_ieee_underflow 0
		.amdhsa_exception_fp_ieee_inexact 0
		.amdhsa_exception_int_div_zero 0
	.end_amdhsa_kernel
	.section	.text._ZN7rocprim17ROCPRIM_400000_NS6detail17trampoline_kernelINS0_14default_configENS1_33run_length_encode_config_selectorIjjNS0_4plusIjEEEEZZNS1_33reduce_by_key_impl_wrapped_configILNS1_25lookback_scan_determinismE0ES3_S7_PKjNS0_17constant_iteratorIjlEEPjPlSF_S6_NS0_8equal_toIjEEEE10hipError_tPvRmT2_T3_mT4_T5_T6_T7_T8_P12ihipStream_tbENKUlT_T0_E_clISt17integral_constantIbLb0EESZ_EEDaSU_SV_EUlSU_E_NS1_11comp_targetILNS1_3genE9ELNS1_11target_archE1100ELNS1_3gpuE3ELNS1_3repE0EEENS1_30default_config_static_selectorELNS0_4arch9wavefront6targetE1EEEvT1_,"axG",@progbits,_ZN7rocprim17ROCPRIM_400000_NS6detail17trampoline_kernelINS0_14default_configENS1_33run_length_encode_config_selectorIjjNS0_4plusIjEEEEZZNS1_33reduce_by_key_impl_wrapped_configILNS1_25lookback_scan_determinismE0ES3_S7_PKjNS0_17constant_iteratorIjlEEPjPlSF_S6_NS0_8equal_toIjEEEE10hipError_tPvRmT2_T3_mT4_T5_T6_T7_T8_P12ihipStream_tbENKUlT_T0_E_clISt17integral_constantIbLb0EESZ_EEDaSU_SV_EUlSU_E_NS1_11comp_targetILNS1_3genE9ELNS1_11target_archE1100ELNS1_3gpuE3ELNS1_3repE0EEENS1_30default_config_static_selectorELNS0_4arch9wavefront6targetE1EEEvT1_,comdat
.Lfunc_end656:
	.size	_ZN7rocprim17ROCPRIM_400000_NS6detail17trampoline_kernelINS0_14default_configENS1_33run_length_encode_config_selectorIjjNS0_4plusIjEEEEZZNS1_33reduce_by_key_impl_wrapped_configILNS1_25lookback_scan_determinismE0ES3_S7_PKjNS0_17constant_iteratorIjlEEPjPlSF_S6_NS0_8equal_toIjEEEE10hipError_tPvRmT2_T3_mT4_T5_T6_T7_T8_P12ihipStream_tbENKUlT_T0_E_clISt17integral_constantIbLb0EESZ_EEDaSU_SV_EUlSU_E_NS1_11comp_targetILNS1_3genE9ELNS1_11target_archE1100ELNS1_3gpuE3ELNS1_3repE0EEENS1_30default_config_static_selectorELNS0_4arch9wavefront6targetE1EEEvT1_, .Lfunc_end656-_ZN7rocprim17ROCPRIM_400000_NS6detail17trampoline_kernelINS0_14default_configENS1_33run_length_encode_config_selectorIjjNS0_4plusIjEEEEZZNS1_33reduce_by_key_impl_wrapped_configILNS1_25lookback_scan_determinismE0ES3_S7_PKjNS0_17constant_iteratorIjlEEPjPlSF_S6_NS0_8equal_toIjEEEE10hipError_tPvRmT2_T3_mT4_T5_T6_T7_T8_P12ihipStream_tbENKUlT_T0_E_clISt17integral_constantIbLb0EESZ_EEDaSU_SV_EUlSU_E_NS1_11comp_targetILNS1_3genE9ELNS1_11target_archE1100ELNS1_3gpuE3ELNS1_3repE0EEENS1_30default_config_static_selectorELNS0_4arch9wavefront6targetE1EEEvT1_
                                        ; -- End function
	.section	.AMDGPU.csdata,"",@progbits
; Kernel info:
; codeLenInByte = 0
; NumSgprs: 6
; NumVgprs: 0
; NumAgprs: 0
; TotalNumVgprs: 0
; ScratchSize: 0
; MemoryBound: 0
; FloatMode: 240
; IeeeMode: 1
; LDSByteSize: 0 bytes/workgroup (compile time only)
; SGPRBlocks: 0
; VGPRBlocks: 0
; NumSGPRsForWavesPerEU: 6
; NumVGPRsForWavesPerEU: 1
; AccumOffset: 4
; Occupancy: 8
; WaveLimiterHint : 0
; COMPUTE_PGM_RSRC2:SCRATCH_EN: 0
; COMPUTE_PGM_RSRC2:USER_SGPR: 2
; COMPUTE_PGM_RSRC2:TRAP_HANDLER: 0
; COMPUTE_PGM_RSRC2:TGID_X_EN: 1
; COMPUTE_PGM_RSRC2:TGID_Y_EN: 0
; COMPUTE_PGM_RSRC2:TGID_Z_EN: 0
; COMPUTE_PGM_RSRC2:TIDIG_COMP_CNT: 0
; COMPUTE_PGM_RSRC3_GFX90A:ACCUM_OFFSET: 0
; COMPUTE_PGM_RSRC3_GFX90A:TG_SPLIT: 0
	.section	.text._ZN7rocprim17ROCPRIM_400000_NS6detail17trampoline_kernelINS0_14default_configENS1_33run_length_encode_config_selectorIjjNS0_4plusIjEEEEZZNS1_33reduce_by_key_impl_wrapped_configILNS1_25lookback_scan_determinismE0ES3_S7_PKjNS0_17constant_iteratorIjlEEPjPlSF_S6_NS0_8equal_toIjEEEE10hipError_tPvRmT2_T3_mT4_T5_T6_T7_T8_P12ihipStream_tbENKUlT_T0_E_clISt17integral_constantIbLb0EESZ_EEDaSU_SV_EUlSU_E_NS1_11comp_targetILNS1_3genE8ELNS1_11target_archE1030ELNS1_3gpuE2ELNS1_3repE0EEENS1_30default_config_static_selectorELNS0_4arch9wavefront6targetE1EEEvT1_,"axG",@progbits,_ZN7rocprim17ROCPRIM_400000_NS6detail17trampoline_kernelINS0_14default_configENS1_33run_length_encode_config_selectorIjjNS0_4plusIjEEEEZZNS1_33reduce_by_key_impl_wrapped_configILNS1_25lookback_scan_determinismE0ES3_S7_PKjNS0_17constant_iteratorIjlEEPjPlSF_S6_NS0_8equal_toIjEEEE10hipError_tPvRmT2_T3_mT4_T5_T6_T7_T8_P12ihipStream_tbENKUlT_T0_E_clISt17integral_constantIbLb0EESZ_EEDaSU_SV_EUlSU_E_NS1_11comp_targetILNS1_3genE8ELNS1_11target_archE1030ELNS1_3gpuE2ELNS1_3repE0EEENS1_30default_config_static_selectorELNS0_4arch9wavefront6targetE1EEEvT1_,comdat
	.protected	_ZN7rocprim17ROCPRIM_400000_NS6detail17trampoline_kernelINS0_14default_configENS1_33run_length_encode_config_selectorIjjNS0_4plusIjEEEEZZNS1_33reduce_by_key_impl_wrapped_configILNS1_25lookback_scan_determinismE0ES3_S7_PKjNS0_17constant_iteratorIjlEEPjPlSF_S6_NS0_8equal_toIjEEEE10hipError_tPvRmT2_T3_mT4_T5_T6_T7_T8_P12ihipStream_tbENKUlT_T0_E_clISt17integral_constantIbLb0EESZ_EEDaSU_SV_EUlSU_E_NS1_11comp_targetILNS1_3genE8ELNS1_11target_archE1030ELNS1_3gpuE2ELNS1_3repE0EEENS1_30default_config_static_selectorELNS0_4arch9wavefront6targetE1EEEvT1_ ; -- Begin function _ZN7rocprim17ROCPRIM_400000_NS6detail17trampoline_kernelINS0_14default_configENS1_33run_length_encode_config_selectorIjjNS0_4plusIjEEEEZZNS1_33reduce_by_key_impl_wrapped_configILNS1_25lookback_scan_determinismE0ES3_S7_PKjNS0_17constant_iteratorIjlEEPjPlSF_S6_NS0_8equal_toIjEEEE10hipError_tPvRmT2_T3_mT4_T5_T6_T7_T8_P12ihipStream_tbENKUlT_T0_E_clISt17integral_constantIbLb0EESZ_EEDaSU_SV_EUlSU_E_NS1_11comp_targetILNS1_3genE8ELNS1_11target_archE1030ELNS1_3gpuE2ELNS1_3repE0EEENS1_30default_config_static_selectorELNS0_4arch9wavefront6targetE1EEEvT1_
	.globl	_ZN7rocprim17ROCPRIM_400000_NS6detail17trampoline_kernelINS0_14default_configENS1_33run_length_encode_config_selectorIjjNS0_4plusIjEEEEZZNS1_33reduce_by_key_impl_wrapped_configILNS1_25lookback_scan_determinismE0ES3_S7_PKjNS0_17constant_iteratorIjlEEPjPlSF_S6_NS0_8equal_toIjEEEE10hipError_tPvRmT2_T3_mT4_T5_T6_T7_T8_P12ihipStream_tbENKUlT_T0_E_clISt17integral_constantIbLb0EESZ_EEDaSU_SV_EUlSU_E_NS1_11comp_targetILNS1_3genE8ELNS1_11target_archE1030ELNS1_3gpuE2ELNS1_3repE0EEENS1_30default_config_static_selectorELNS0_4arch9wavefront6targetE1EEEvT1_
	.p2align	8
	.type	_ZN7rocprim17ROCPRIM_400000_NS6detail17trampoline_kernelINS0_14default_configENS1_33run_length_encode_config_selectorIjjNS0_4plusIjEEEEZZNS1_33reduce_by_key_impl_wrapped_configILNS1_25lookback_scan_determinismE0ES3_S7_PKjNS0_17constant_iteratorIjlEEPjPlSF_S6_NS0_8equal_toIjEEEE10hipError_tPvRmT2_T3_mT4_T5_T6_T7_T8_P12ihipStream_tbENKUlT_T0_E_clISt17integral_constantIbLb0EESZ_EEDaSU_SV_EUlSU_E_NS1_11comp_targetILNS1_3genE8ELNS1_11target_archE1030ELNS1_3gpuE2ELNS1_3repE0EEENS1_30default_config_static_selectorELNS0_4arch9wavefront6targetE1EEEvT1_,@function
_ZN7rocprim17ROCPRIM_400000_NS6detail17trampoline_kernelINS0_14default_configENS1_33run_length_encode_config_selectorIjjNS0_4plusIjEEEEZZNS1_33reduce_by_key_impl_wrapped_configILNS1_25lookback_scan_determinismE0ES3_S7_PKjNS0_17constant_iteratorIjlEEPjPlSF_S6_NS0_8equal_toIjEEEE10hipError_tPvRmT2_T3_mT4_T5_T6_T7_T8_P12ihipStream_tbENKUlT_T0_E_clISt17integral_constantIbLb0EESZ_EEDaSU_SV_EUlSU_E_NS1_11comp_targetILNS1_3genE8ELNS1_11target_archE1030ELNS1_3gpuE2ELNS1_3repE0EEENS1_30default_config_static_selectorELNS0_4arch9wavefront6targetE1EEEvT1_: ; @_ZN7rocprim17ROCPRIM_400000_NS6detail17trampoline_kernelINS0_14default_configENS1_33run_length_encode_config_selectorIjjNS0_4plusIjEEEEZZNS1_33reduce_by_key_impl_wrapped_configILNS1_25lookback_scan_determinismE0ES3_S7_PKjNS0_17constant_iteratorIjlEEPjPlSF_S6_NS0_8equal_toIjEEEE10hipError_tPvRmT2_T3_mT4_T5_T6_T7_T8_P12ihipStream_tbENKUlT_T0_E_clISt17integral_constantIbLb0EESZ_EEDaSU_SV_EUlSU_E_NS1_11comp_targetILNS1_3genE8ELNS1_11target_archE1030ELNS1_3gpuE2ELNS1_3repE0EEENS1_30default_config_static_selectorELNS0_4arch9wavefront6targetE1EEEvT1_
; %bb.0:
	.section	.rodata,"a",@progbits
	.p2align	6, 0x0
	.amdhsa_kernel _ZN7rocprim17ROCPRIM_400000_NS6detail17trampoline_kernelINS0_14default_configENS1_33run_length_encode_config_selectorIjjNS0_4plusIjEEEEZZNS1_33reduce_by_key_impl_wrapped_configILNS1_25lookback_scan_determinismE0ES3_S7_PKjNS0_17constant_iteratorIjlEEPjPlSF_S6_NS0_8equal_toIjEEEE10hipError_tPvRmT2_T3_mT4_T5_T6_T7_T8_P12ihipStream_tbENKUlT_T0_E_clISt17integral_constantIbLb0EESZ_EEDaSU_SV_EUlSU_E_NS1_11comp_targetILNS1_3genE8ELNS1_11target_archE1030ELNS1_3gpuE2ELNS1_3repE0EEENS1_30default_config_static_selectorELNS0_4arch9wavefront6targetE1EEEvT1_
		.amdhsa_group_segment_fixed_size 0
		.amdhsa_private_segment_fixed_size 0
		.amdhsa_kernarg_size 128
		.amdhsa_user_sgpr_count 2
		.amdhsa_user_sgpr_dispatch_ptr 0
		.amdhsa_user_sgpr_queue_ptr 0
		.amdhsa_user_sgpr_kernarg_segment_ptr 1
		.amdhsa_user_sgpr_dispatch_id 0
		.amdhsa_user_sgpr_kernarg_preload_length 0
		.amdhsa_user_sgpr_kernarg_preload_offset 0
		.amdhsa_user_sgpr_private_segment_size 0
		.amdhsa_uses_dynamic_stack 0
		.amdhsa_enable_private_segment 0
		.amdhsa_system_sgpr_workgroup_id_x 1
		.amdhsa_system_sgpr_workgroup_id_y 0
		.amdhsa_system_sgpr_workgroup_id_z 0
		.amdhsa_system_sgpr_workgroup_info 0
		.amdhsa_system_vgpr_workitem_id 0
		.amdhsa_next_free_vgpr 1
		.amdhsa_next_free_sgpr 0
		.amdhsa_accum_offset 4
		.amdhsa_reserve_vcc 0
		.amdhsa_float_round_mode_32 0
		.amdhsa_float_round_mode_16_64 0
		.amdhsa_float_denorm_mode_32 3
		.amdhsa_float_denorm_mode_16_64 3
		.amdhsa_dx10_clamp 1
		.amdhsa_ieee_mode 1
		.amdhsa_fp16_overflow 0
		.amdhsa_tg_split 0
		.amdhsa_exception_fp_ieee_invalid_op 0
		.amdhsa_exception_fp_denorm_src 0
		.amdhsa_exception_fp_ieee_div_zero 0
		.amdhsa_exception_fp_ieee_overflow 0
		.amdhsa_exception_fp_ieee_underflow 0
		.amdhsa_exception_fp_ieee_inexact 0
		.amdhsa_exception_int_div_zero 0
	.end_amdhsa_kernel
	.section	.text._ZN7rocprim17ROCPRIM_400000_NS6detail17trampoline_kernelINS0_14default_configENS1_33run_length_encode_config_selectorIjjNS0_4plusIjEEEEZZNS1_33reduce_by_key_impl_wrapped_configILNS1_25lookback_scan_determinismE0ES3_S7_PKjNS0_17constant_iteratorIjlEEPjPlSF_S6_NS0_8equal_toIjEEEE10hipError_tPvRmT2_T3_mT4_T5_T6_T7_T8_P12ihipStream_tbENKUlT_T0_E_clISt17integral_constantIbLb0EESZ_EEDaSU_SV_EUlSU_E_NS1_11comp_targetILNS1_3genE8ELNS1_11target_archE1030ELNS1_3gpuE2ELNS1_3repE0EEENS1_30default_config_static_selectorELNS0_4arch9wavefront6targetE1EEEvT1_,"axG",@progbits,_ZN7rocprim17ROCPRIM_400000_NS6detail17trampoline_kernelINS0_14default_configENS1_33run_length_encode_config_selectorIjjNS0_4plusIjEEEEZZNS1_33reduce_by_key_impl_wrapped_configILNS1_25lookback_scan_determinismE0ES3_S7_PKjNS0_17constant_iteratorIjlEEPjPlSF_S6_NS0_8equal_toIjEEEE10hipError_tPvRmT2_T3_mT4_T5_T6_T7_T8_P12ihipStream_tbENKUlT_T0_E_clISt17integral_constantIbLb0EESZ_EEDaSU_SV_EUlSU_E_NS1_11comp_targetILNS1_3genE8ELNS1_11target_archE1030ELNS1_3gpuE2ELNS1_3repE0EEENS1_30default_config_static_selectorELNS0_4arch9wavefront6targetE1EEEvT1_,comdat
.Lfunc_end657:
	.size	_ZN7rocprim17ROCPRIM_400000_NS6detail17trampoline_kernelINS0_14default_configENS1_33run_length_encode_config_selectorIjjNS0_4plusIjEEEEZZNS1_33reduce_by_key_impl_wrapped_configILNS1_25lookback_scan_determinismE0ES3_S7_PKjNS0_17constant_iteratorIjlEEPjPlSF_S6_NS0_8equal_toIjEEEE10hipError_tPvRmT2_T3_mT4_T5_T6_T7_T8_P12ihipStream_tbENKUlT_T0_E_clISt17integral_constantIbLb0EESZ_EEDaSU_SV_EUlSU_E_NS1_11comp_targetILNS1_3genE8ELNS1_11target_archE1030ELNS1_3gpuE2ELNS1_3repE0EEENS1_30default_config_static_selectorELNS0_4arch9wavefront6targetE1EEEvT1_, .Lfunc_end657-_ZN7rocprim17ROCPRIM_400000_NS6detail17trampoline_kernelINS0_14default_configENS1_33run_length_encode_config_selectorIjjNS0_4plusIjEEEEZZNS1_33reduce_by_key_impl_wrapped_configILNS1_25lookback_scan_determinismE0ES3_S7_PKjNS0_17constant_iteratorIjlEEPjPlSF_S6_NS0_8equal_toIjEEEE10hipError_tPvRmT2_T3_mT4_T5_T6_T7_T8_P12ihipStream_tbENKUlT_T0_E_clISt17integral_constantIbLb0EESZ_EEDaSU_SV_EUlSU_E_NS1_11comp_targetILNS1_3genE8ELNS1_11target_archE1030ELNS1_3gpuE2ELNS1_3repE0EEENS1_30default_config_static_selectorELNS0_4arch9wavefront6targetE1EEEvT1_
                                        ; -- End function
	.section	.AMDGPU.csdata,"",@progbits
; Kernel info:
; codeLenInByte = 0
; NumSgprs: 6
; NumVgprs: 0
; NumAgprs: 0
; TotalNumVgprs: 0
; ScratchSize: 0
; MemoryBound: 0
; FloatMode: 240
; IeeeMode: 1
; LDSByteSize: 0 bytes/workgroup (compile time only)
; SGPRBlocks: 0
; VGPRBlocks: 0
; NumSGPRsForWavesPerEU: 6
; NumVGPRsForWavesPerEU: 1
; AccumOffset: 4
; Occupancy: 8
; WaveLimiterHint : 0
; COMPUTE_PGM_RSRC2:SCRATCH_EN: 0
; COMPUTE_PGM_RSRC2:USER_SGPR: 2
; COMPUTE_PGM_RSRC2:TRAP_HANDLER: 0
; COMPUTE_PGM_RSRC2:TGID_X_EN: 1
; COMPUTE_PGM_RSRC2:TGID_Y_EN: 0
; COMPUTE_PGM_RSRC2:TGID_Z_EN: 0
; COMPUTE_PGM_RSRC2:TIDIG_COMP_CNT: 0
; COMPUTE_PGM_RSRC3_GFX90A:ACCUM_OFFSET: 0
; COMPUTE_PGM_RSRC3_GFX90A:TG_SPLIT: 0
	.section	.text._ZN7rocprim17ROCPRIM_400000_NS6detail17trampoline_kernelINS0_14default_configENS1_33run_length_encode_config_selectorIjjNS0_4plusIjEEEEZZNS1_33reduce_by_key_impl_wrapped_configILNS1_25lookback_scan_determinismE0ES3_S7_PKjNS0_17constant_iteratorIjlEEPjPlSF_S6_NS0_8equal_toIjEEEE10hipError_tPvRmT2_T3_mT4_T5_T6_T7_T8_P12ihipStream_tbENKUlT_T0_E_clISt17integral_constantIbLb1EESZ_EEDaSU_SV_EUlSU_E_NS1_11comp_targetILNS1_3genE0ELNS1_11target_archE4294967295ELNS1_3gpuE0ELNS1_3repE0EEENS1_30default_config_static_selectorELNS0_4arch9wavefront6targetE1EEEvT1_,"axG",@progbits,_ZN7rocprim17ROCPRIM_400000_NS6detail17trampoline_kernelINS0_14default_configENS1_33run_length_encode_config_selectorIjjNS0_4plusIjEEEEZZNS1_33reduce_by_key_impl_wrapped_configILNS1_25lookback_scan_determinismE0ES3_S7_PKjNS0_17constant_iteratorIjlEEPjPlSF_S6_NS0_8equal_toIjEEEE10hipError_tPvRmT2_T3_mT4_T5_T6_T7_T8_P12ihipStream_tbENKUlT_T0_E_clISt17integral_constantIbLb1EESZ_EEDaSU_SV_EUlSU_E_NS1_11comp_targetILNS1_3genE0ELNS1_11target_archE4294967295ELNS1_3gpuE0ELNS1_3repE0EEENS1_30default_config_static_selectorELNS0_4arch9wavefront6targetE1EEEvT1_,comdat
	.protected	_ZN7rocprim17ROCPRIM_400000_NS6detail17trampoline_kernelINS0_14default_configENS1_33run_length_encode_config_selectorIjjNS0_4plusIjEEEEZZNS1_33reduce_by_key_impl_wrapped_configILNS1_25lookback_scan_determinismE0ES3_S7_PKjNS0_17constant_iteratorIjlEEPjPlSF_S6_NS0_8equal_toIjEEEE10hipError_tPvRmT2_T3_mT4_T5_T6_T7_T8_P12ihipStream_tbENKUlT_T0_E_clISt17integral_constantIbLb1EESZ_EEDaSU_SV_EUlSU_E_NS1_11comp_targetILNS1_3genE0ELNS1_11target_archE4294967295ELNS1_3gpuE0ELNS1_3repE0EEENS1_30default_config_static_selectorELNS0_4arch9wavefront6targetE1EEEvT1_ ; -- Begin function _ZN7rocprim17ROCPRIM_400000_NS6detail17trampoline_kernelINS0_14default_configENS1_33run_length_encode_config_selectorIjjNS0_4plusIjEEEEZZNS1_33reduce_by_key_impl_wrapped_configILNS1_25lookback_scan_determinismE0ES3_S7_PKjNS0_17constant_iteratorIjlEEPjPlSF_S6_NS0_8equal_toIjEEEE10hipError_tPvRmT2_T3_mT4_T5_T6_T7_T8_P12ihipStream_tbENKUlT_T0_E_clISt17integral_constantIbLb1EESZ_EEDaSU_SV_EUlSU_E_NS1_11comp_targetILNS1_3genE0ELNS1_11target_archE4294967295ELNS1_3gpuE0ELNS1_3repE0EEENS1_30default_config_static_selectorELNS0_4arch9wavefront6targetE1EEEvT1_
	.globl	_ZN7rocprim17ROCPRIM_400000_NS6detail17trampoline_kernelINS0_14default_configENS1_33run_length_encode_config_selectorIjjNS0_4plusIjEEEEZZNS1_33reduce_by_key_impl_wrapped_configILNS1_25lookback_scan_determinismE0ES3_S7_PKjNS0_17constant_iteratorIjlEEPjPlSF_S6_NS0_8equal_toIjEEEE10hipError_tPvRmT2_T3_mT4_T5_T6_T7_T8_P12ihipStream_tbENKUlT_T0_E_clISt17integral_constantIbLb1EESZ_EEDaSU_SV_EUlSU_E_NS1_11comp_targetILNS1_3genE0ELNS1_11target_archE4294967295ELNS1_3gpuE0ELNS1_3repE0EEENS1_30default_config_static_selectorELNS0_4arch9wavefront6targetE1EEEvT1_
	.p2align	8
	.type	_ZN7rocprim17ROCPRIM_400000_NS6detail17trampoline_kernelINS0_14default_configENS1_33run_length_encode_config_selectorIjjNS0_4plusIjEEEEZZNS1_33reduce_by_key_impl_wrapped_configILNS1_25lookback_scan_determinismE0ES3_S7_PKjNS0_17constant_iteratorIjlEEPjPlSF_S6_NS0_8equal_toIjEEEE10hipError_tPvRmT2_T3_mT4_T5_T6_T7_T8_P12ihipStream_tbENKUlT_T0_E_clISt17integral_constantIbLb1EESZ_EEDaSU_SV_EUlSU_E_NS1_11comp_targetILNS1_3genE0ELNS1_11target_archE4294967295ELNS1_3gpuE0ELNS1_3repE0EEENS1_30default_config_static_selectorELNS0_4arch9wavefront6targetE1EEEvT1_,@function
_ZN7rocprim17ROCPRIM_400000_NS6detail17trampoline_kernelINS0_14default_configENS1_33run_length_encode_config_selectorIjjNS0_4plusIjEEEEZZNS1_33reduce_by_key_impl_wrapped_configILNS1_25lookback_scan_determinismE0ES3_S7_PKjNS0_17constant_iteratorIjlEEPjPlSF_S6_NS0_8equal_toIjEEEE10hipError_tPvRmT2_T3_mT4_T5_T6_T7_T8_P12ihipStream_tbENKUlT_T0_E_clISt17integral_constantIbLb1EESZ_EEDaSU_SV_EUlSU_E_NS1_11comp_targetILNS1_3genE0ELNS1_11target_archE4294967295ELNS1_3gpuE0ELNS1_3repE0EEENS1_30default_config_static_selectorELNS0_4arch9wavefront6targetE1EEEvT1_: ; @_ZN7rocprim17ROCPRIM_400000_NS6detail17trampoline_kernelINS0_14default_configENS1_33run_length_encode_config_selectorIjjNS0_4plusIjEEEEZZNS1_33reduce_by_key_impl_wrapped_configILNS1_25lookback_scan_determinismE0ES3_S7_PKjNS0_17constant_iteratorIjlEEPjPlSF_S6_NS0_8equal_toIjEEEE10hipError_tPvRmT2_T3_mT4_T5_T6_T7_T8_P12ihipStream_tbENKUlT_T0_E_clISt17integral_constantIbLb1EESZ_EEDaSU_SV_EUlSU_E_NS1_11comp_targetILNS1_3genE0ELNS1_11target_archE4294967295ELNS1_3gpuE0ELNS1_3repE0EEENS1_30default_config_static_selectorELNS0_4arch9wavefront6targetE1EEEvT1_
; %bb.0:
	.section	.rodata,"a",@progbits
	.p2align	6, 0x0
	.amdhsa_kernel _ZN7rocprim17ROCPRIM_400000_NS6detail17trampoline_kernelINS0_14default_configENS1_33run_length_encode_config_selectorIjjNS0_4plusIjEEEEZZNS1_33reduce_by_key_impl_wrapped_configILNS1_25lookback_scan_determinismE0ES3_S7_PKjNS0_17constant_iteratorIjlEEPjPlSF_S6_NS0_8equal_toIjEEEE10hipError_tPvRmT2_T3_mT4_T5_T6_T7_T8_P12ihipStream_tbENKUlT_T0_E_clISt17integral_constantIbLb1EESZ_EEDaSU_SV_EUlSU_E_NS1_11comp_targetILNS1_3genE0ELNS1_11target_archE4294967295ELNS1_3gpuE0ELNS1_3repE0EEENS1_30default_config_static_selectorELNS0_4arch9wavefront6targetE1EEEvT1_
		.amdhsa_group_segment_fixed_size 0
		.amdhsa_private_segment_fixed_size 0
		.amdhsa_kernarg_size 128
		.amdhsa_user_sgpr_count 2
		.amdhsa_user_sgpr_dispatch_ptr 0
		.amdhsa_user_sgpr_queue_ptr 0
		.amdhsa_user_sgpr_kernarg_segment_ptr 1
		.amdhsa_user_sgpr_dispatch_id 0
		.amdhsa_user_sgpr_kernarg_preload_length 0
		.amdhsa_user_sgpr_kernarg_preload_offset 0
		.amdhsa_user_sgpr_private_segment_size 0
		.amdhsa_uses_dynamic_stack 0
		.amdhsa_enable_private_segment 0
		.amdhsa_system_sgpr_workgroup_id_x 1
		.amdhsa_system_sgpr_workgroup_id_y 0
		.amdhsa_system_sgpr_workgroup_id_z 0
		.amdhsa_system_sgpr_workgroup_info 0
		.amdhsa_system_vgpr_workitem_id 0
		.amdhsa_next_free_vgpr 1
		.amdhsa_next_free_sgpr 0
		.amdhsa_accum_offset 4
		.amdhsa_reserve_vcc 0
		.amdhsa_float_round_mode_32 0
		.amdhsa_float_round_mode_16_64 0
		.amdhsa_float_denorm_mode_32 3
		.amdhsa_float_denorm_mode_16_64 3
		.amdhsa_dx10_clamp 1
		.amdhsa_ieee_mode 1
		.amdhsa_fp16_overflow 0
		.amdhsa_tg_split 0
		.amdhsa_exception_fp_ieee_invalid_op 0
		.amdhsa_exception_fp_denorm_src 0
		.amdhsa_exception_fp_ieee_div_zero 0
		.amdhsa_exception_fp_ieee_overflow 0
		.amdhsa_exception_fp_ieee_underflow 0
		.amdhsa_exception_fp_ieee_inexact 0
		.amdhsa_exception_int_div_zero 0
	.end_amdhsa_kernel
	.section	.text._ZN7rocprim17ROCPRIM_400000_NS6detail17trampoline_kernelINS0_14default_configENS1_33run_length_encode_config_selectorIjjNS0_4plusIjEEEEZZNS1_33reduce_by_key_impl_wrapped_configILNS1_25lookback_scan_determinismE0ES3_S7_PKjNS0_17constant_iteratorIjlEEPjPlSF_S6_NS0_8equal_toIjEEEE10hipError_tPvRmT2_T3_mT4_T5_T6_T7_T8_P12ihipStream_tbENKUlT_T0_E_clISt17integral_constantIbLb1EESZ_EEDaSU_SV_EUlSU_E_NS1_11comp_targetILNS1_3genE0ELNS1_11target_archE4294967295ELNS1_3gpuE0ELNS1_3repE0EEENS1_30default_config_static_selectorELNS0_4arch9wavefront6targetE1EEEvT1_,"axG",@progbits,_ZN7rocprim17ROCPRIM_400000_NS6detail17trampoline_kernelINS0_14default_configENS1_33run_length_encode_config_selectorIjjNS0_4plusIjEEEEZZNS1_33reduce_by_key_impl_wrapped_configILNS1_25lookback_scan_determinismE0ES3_S7_PKjNS0_17constant_iteratorIjlEEPjPlSF_S6_NS0_8equal_toIjEEEE10hipError_tPvRmT2_T3_mT4_T5_T6_T7_T8_P12ihipStream_tbENKUlT_T0_E_clISt17integral_constantIbLb1EESZ_EEDaSU_SV_EUlSU_E_NS1_11comp_targetILNS1_3genE0ELNS1_11target_archE4294967295ELNS1_3gpuE0ELNS1_3repE0EEENS1_30default_config_static_selectorELNS0_4arch9wavefront6targetE1EEEvT1_,comdat
.Lfunc_end658:
	.size	_ZN7rocprim17ROCPRIM_400000_NS6detail17trampoline_kernelINS0_14default_configENS1_33run_length_encode_config_selectorIjjNS0_4plusIjEEEEZZNS1_33reduce_by_key_impl_wrapped_configILNS1_25lookback_scan_determinismE0ES3_S7_PKjNS0_17constant_iteratorIjlEEPjPlSF_S6_NS0_8equal_toIjEEEE10hipError_tPvRmT2_T3_mT4_T5_T6_T7_T8_P12ihipStream_tbENKUlT_T0_E_clISt17integral_constantIbLb1EESZ_EEDaSU_SV_EUlSU_E_NS1_11comp_targetILNS1_3genE0ELNS1_11target_archE4294967295ELNS1_3gpuE0ELNS1_3repE0EEENS1_30default_config_static_selectorELNS0_4arch9wavefront6targetE1EEEvT1_, .Lfunc_end658-_ZN7rocprim17ROCPRIM_400000_NS6detail17trampoline_kernelINS0_14default_configENS1_33run_length_encode_config_selectorIjjNS0_4plusIjEEEEZZNS1_33reduce_by_key_impl_wrapped_configILNS1_25lookback_scan_determinismE0ES3_S7_PKjNS0_17constant_iteratorIjlEEPjPlSF_S6_NS0_8equal_toIjEEEE10hipError_tPvRmT2_T3_mT4_T5_T6_T7_T8_P12ihipStream_tbENKUlT_T0_E_clISt17integral_constantIbLb1EESZ_EEDaSU_SV_EUlSU_E_NS1_11comp_targetILNS1_3genE0ELNS1_11target_archE4294967295ELNS1_3gpuE0ELNS1_3repE0EEENS1_30default_config_static_selectorELNS0_4arch9wavefront6targetE1EEEvT1_
                                        ; -- End function
	.section	.AMDGPU.csdata,"",@progbits
; Kernel info:
; codeLenInByte = 0
; NumSgprs: 6
; NumVgprs: 0
; NumAgprs: 0
; TotalNumVgprs: 0
; ScratchSize: 0
; MemoryBound: 0
; FloatMode: 240
; IeeeMode: 1
; LDSByteSize: 0 bytes/workgroup (compile time only)
; SGPRBlocks: 0
; VGPRBlocks: 0
; NumSGPRsForWavesPerEU: 6
; NumVGPRsForWavesPerEU: 1
; AccumOffset: 4
; Occupancy: 8
; WaveLimiterHint : 0
; COMPUTE_PGM_RSRC2:SCRATCH_EN: 0
; COMPUTE_PGM_RSRC2:USER_SGPR: 2
; COMPUTE_PGM_RSRC2:TRAP_HANDLER: 0
; COMPUTE_PGM_RSRC2:TGID_X_EN: 1
; COMPUTE_PGM_RSRC2:TGID_Y_EN: 0
; COMPUTE_PGM_RSRC2:TGID_Z_EN: 0
; COMPUTE_PGM_RSRC2:TIDIG_COMP_CNT: 0
; COMPUTE_PGM_RSRC3_GFX90A:ACCUM_OFFSET: 0
; COMPUTE_PGM_RSRC3_GFX90A:TG_SPLIT: 0
	.section	.text._ZN7rocprim17ROCPRIM_400000_NS6detail17trampoline_kernelINS0_14default_configENS1_33run_length_encode_config_selectorIjjNS0_4plusIjEEEEZZNS1_33reduce_by_key_impl_wrapped_configILNS1_25lookback_scan_determinismE0ES3_S7_PKjNS0_17constant_iteratorIjlEEPjPlSF_S6_NS0_8equal_toIjEEEE10hipError_tPvRmT2_T3_mT4_T5_T6_T7_T8_P12ihipStream_tbENKUlT_T0_E_clISt17integral_constantIbLb1EESZ_EEDaSU_SV_EUlSU_E_NS1_11comp_targetILNS1_3genE5ELNS1_11target_archE942ELNS1_3gpuE9ELNS1_3repE0EEENS1_30default_config_static_selectorELNS0_4arch9wavefront6targetE1EEEvT1_,"axG",@progbits,_ZN7rocprim17ROCPRIM_400000_NS6detail17trampoline_kernelINS0_14default_configENS1_33run_length_encode_config_selectorIjjNS0_4plusIjEEEEZZNS1_33reduce_by_key_impl_wrapped_configILNS1_25lookback_scan_determinismE0ES3_S7_PKjNS0_17constant_iteratorIjlEEPjPlSF_S6_NS0_8equal_toIjEEEE10hipError_tPvRmT2_T3_mT4_T5_T6_T7_T8_P12ihipStream_tbENKUlT_T0_E_clISt17integral_constantIbLb1EESZ_EEDaSU_SV_EUlSU_E_NS1_11comp_targetILNS1_3genE5ELNS1_11target_archE942ELNS1_3gpuE9ELNS1_3repE0EEENS1_30default_config_static_selectorELNS0_4arch9wavefront6targetE1EEEvT1_,comdat
	.protected	_ZN7rocprim17ROCPRIM_400000_NS6detail17trampoline_kernelINS0_14default_configENS1_33run_length_encode_config_selectorIjjNS0_4plusIjEEEEZZNS1_33reduce_by_key_impl_wrapped_configILNS1_25lookback_scan_determinismE0ES3_S7_PKjNS0_17constant_iteratorIjlEEPjPlSF_S6_NS0_8equal_toIjEEEE10hipError_tPvRmT2_T3_mT4_T5_T6_T7_T8_P12ihipStream_tbENKUlT_T0_E_clISt17integral_constantIbLb1EESZ_EEDaSU_SV_EUlSU_E_NS1_11comp_targetILNS1_3genE5ELNS1_11target_archE942ELNS1_3gpuE9ELNS1_3repE0EEENS1_30default_config_static_selectorELNS0_4arch9wavefront6targetE1EEEvT1_ ; -- Begin function _ZN7rocprim17ROCPRIM_400000_NS6detail17trampoline_kernelINS0_14default_configENS1_33run_length_encode_config_selectorIjjNS0_4plusIjEEEEZZNS1_33reduce_by_key_impl_wrapped_configILNS1_25lookback_scan_determinismE0ES3_S7_PKjNS0_17constant_iteratorIjlEEPjPlSF_S6_NS0_8equal_toIjEEEE10hipError_tPvRmT2_T3_mT4_T5_T6_T7_T8_P12ihipStream_tbENKUlT_T0_E_clISt17integral_constantIbLb1EESZ_EEDaSU_SV_EUlSU_E_NS1_11comp_targetILNS1_3genE5ELNS1_11target_archE942ELNS1_3gpuE9ELNS1_3repE0EEENS1_30default_config_static_selectorELNS0_4arch9wavefront6targetE1EEEvT1_
	.globl	_ZN7rocprim17ROCPRIM_400000_NS6detail17trampoline_kernelINS0_14default_configENS1_33run_length_encode_config_selectorIjjNS0_4plusIjEEEEZZNS1_33reduce_by_key_impl_wrapped_configILNS1_25lookback_scan_determinismE0ES3_S7_PKjNS0_17constant_iteratorIjlEEPjPlSF_S6_NS0_8equal_toIjEEEE10hipError_tPvRmT2_T3_mT4_T5_T6_T7_T8_P12ihipStream_tbENKUlT_T0_E_clISt17integral_constantIbLb1EESZ_EEDaSU_SV_EUlSU_E_NS1_11comp_targetILNS1_3genE5ELNS1_11target_archE942ELNS1_3gpuE9ELNS1_3repE0EEENS1_30default_config_static_selectorELNS0_4arch9wavefront6targetE1EEEvT1_
	.p2align	8
	.type	_ZN7rocprim17ROCPRIM_400000_NS6detail17trampoline_kernelINS0_14default_configENS1_33run_length_encode_config_selectorIjjNS0_4plusIjEEEEZZNS1_33reduce_by_key_impl_wrapped_configILNS1_25lookback_scan_determinismE0ES3_S7_PKjNS0_17constant_iteratorIjlEEPjPlSF_S6_NS0_8equal_toIjEEEE10hipError_tPvRmT2_T3_mT4_T5_T6_T7_T8_P12ihipStream_tbENKUlT_T0_E_clISt17integral_constantIbLb1EESZ_EEDaSU_SV_EUlSU_E_NS1_11comp_targetILNS1_3genE5ELNS1_11target_archE942ELNS1_3gpuE9ELNS1_3repE0EEENS1_30default_config_static_selectorELNS0_4arch9wavefront6targetE1EEEvT1_,@function
_ZN7rocprim17ROCPRIM_400000_NS6detail17trampoline_kernelINS0_14default_configENS1_33run_length_encode_config_selectorIjjNS0_4plusIjEEEEZZNS1_33reduce_by_key_impl_wrapped_configILNS1_25lookback_scan_determinismE0ES3_S7_PKjNS0_17constant_iteratorIjlEEPjPlSF_S6_NS0_8equal_toIjEEEE10hipError_tPvRmT2_T3_mT4_T5_T6_T7_T8_P12ihipStream_tbENKUlT_T0_E_clISt17integral_constantIbLb1EESZ_EEDaSU_SV_EUlSU_E_NS1_11comp_targetILNS1_3genE5ELNS1_11target_archE942ELNS1_3gpuE9ELNS1_3repE0EEENS1_30default_config_static_selectorELNS0_4arch9wavefront6targetE1EEEvT1_: ; @_ZN7rocprim17ROCPRIM_400000_NS6detail17trampoline_kernelINS0_14default_configENS1_33run_length_encode_config_selectorIjjNS0_4plusIjEEEEZZNS1_33reduce_by_key_impl_wrapped_configILNS1_25lookback_scan_determinismE0ES3_S7_PKjNS0_17constant_iteratorIjlEEPjPlSF_S6_NS0_8equal_toIjEEEE10hipError_tPvRmT2_T3_mT4_T5_T6_T7_T8_P12ihipStream_tbENKUlT_T0_E_clISt17integral_constantIbLb1EESZ_EEDaSU_SV_EUlSU_E_NS1_11comp_targetILNS1_3genE5ELNS1_11target_archE942ELNS1_3gpuE9ELNS1_3repE0EEENS1_30default_config_static_selectorELNS0_4arch9wavefront6targetE1EEEvT1_
; %bb.0:
	s_load_dword s10, s[0:1], 0x10
	s_load_dwordx4 s[44:47], s[0:1], 0x20
	s_load_dwordx2 s[48:49], s[0:1], 0x30
	s_load_dwordx2 s[50:51], s[0:1], 0x70
	s_load_dwordx4 s[28:31], s[0:1], 0x60
	s_load_dwordx8 s[36:43], s[0:1], 0x40
	v_cmp_ne_u32_e64 s[2:3], 0, v0
	v_cmp_eq_u32_e64 s[34:35], 0, v0
	s_and_saveexec_b64 s[4:5], s[34:35]
	s_cbranch_execz .LBB659_4
; %bb.1:
	s_mov_b64 s[8:9], exec
	v_mbcnt_lo_u32_b32 v1, s8, 0
	v_mbcnt_hi_u32_b32 v1, s9, v1
	v_cmp_eq_u32_e32 vcc, 0, v1
                                        ; implicit-def: $vgpr2
	s_and_saveexec_b64 s[6:7], vcc
	s_cbranch_execz .LBB659_3
; %bb.2:
	s_load_dwordx2 s[12:13], s[0:1], 0x78
	s_bcnt1_i32_b64 s8, s[8:9]
	v_mov_b32_e32 v2, 0
	v_mov_b32_e32 v3, s8
	s_waitcnt lgkmcnt(0)
	global_atomic_add v2, v2, v3, s[12:13] sc0
.LBB659_3:
	s_or_b64 exec, exec, s[6:7]
	s_waitcnt vmcnt(0)
	v_readfirstlane_b32 s6, v2
	v_mov_b32_e32 v2, 0
	s_nop 0
	v_add_u32_e32 v1, s6, v1
	ds_write_b32 v2, v1
.LBB659_4:
	s_or_b64 exec, exec, s[4:5]
	s_load_dwordx4 s[4:7], s[0:1], 0x0
	v_mov_b32_e32 v5, 0
	s_waitcnt lgkmcnt(0)
	s_barrier
	ds_read_b32 v1, v5
	s_mul_i32 s0, s40, s39
	s_mul_hi_u32 s1, s40, s38
	s_add_i32 s0, s1, s0
	s_mul_i32 s1, s41, s38
	s_add_i32 s8, s0, s1
	s_lshl_b64 s[0:1], s[6:7], 2
	s_add_u32 s0, s4, s0
	s_movk_i32 s4, 0x1e00
	s_waitcnt lgkmcnt(0)
	v_mul_lo_u32 v4, v1, s4
	s_mul_i32 s9, s40, s38
	s_addc_u32 s1, s5, s1
	v_readfirstlane_b32 s56, v1
	v_lshlrev_b64 v[2:3], 2, v[4:5]
	v_lshl_add_u64 v[2:3], s[0:1], 0, v[2:3]
	s_add_u32 s0, s9, s56
	s_addc_u32 s1, s8, 0
	s_add_u32 s4, s42, -1
	s_addc_u32 s5, s43, -1
	s_cmp_eq_u64 s[0:1], s[4:5]
	s_cselect_b64 s[40:41], -1, 0
	s_cmp_lg_u64 s[0:1], s[4:5]
	s_mov_b64 s[8:9], -1
	s_cselect_b64 s[6:7], -1, 0
	s_mul_i32 s33, s4, 0xffffe200
	s_and_b64 vcc, exec, s[40:41]
	s_barrier
	s_cbranch_vccnz .LBB659_6
; %bb.5:
	v_lshlrev_b32_e32 v4, 2, v0
	v_lshl_add_u64 v[6:7], v[2:3], 0, v[4:5]
	v_add_co_u32_e32 v8, vcc, 0x1000, v6
	v_readfirstlane_b32 s4, v2
	s_nop 0
	v_addc_co_u32_e32 v9, vcc, 0, v7, vcc
	v_add_co_u32_e32 v10, vcc, 0x2000, v6
	v_readfirstlane_b32 s5, v3
	s_nop 0
	v_addc_co_u32_e32 v11, vcc, 0, v7, vcc
	v_add_co_u32_e32 v12, vcc, 0x3000, v6
	s_nop 1
	global_load_dword v1, v4, s[4:5]
	global_load_dword v5, v4, s[4:5] offset:2048
	v_addc_co_u32_e32 v13, vcc, 0, v7, vcc
	v_add_co_u32_e32 v14, vcc, 0x4000, v6
	s_nop 1
	v_addc_co_u32_e32 v15, vcc, 0, v7, vcc
	global_load_dword v16, v[8:9], off
	global_load_dword v17, v[8:9], off offset:2048
	global_load_dword v18, v[10:11], off
	global_load_dword v19, v[10:11], off offset:2048
	;; [unrolled: 2-line block ×4, first 2 shown]
	v_add_co_u32_e32 v8, vcc, 0x5000, v6
	s_mov_b64 s[4:5], -1
	s_nop 0
	v_addc_co_u32_e32 v9, vcc, 0, v7, vcc
	v_add_co_u32_e32 v10, vcc, 0x6000, v6
	s_nop 1
	v_addc_co_u32_e32 v11, vcc, 0, v7, vcc
	global_load_dword v12, v[8:9], off
	global_load_dword v13, v[8:9], off offset:2048
	global_load_dword v14, v[10:11], off
	global_load_dword v15, v[10:11], off offset:2048
	v_add_co_u32_e32 v6, vcc, 0x7000, v6
	s_nop 1
	v_addc_co_u32_e32 v7, vcc, 0, v7, vcc
	global_load_dword v6, v[6:7], off
	v_mad_u32_u24 v7, v0, 56, v4
	s_waitcnt vmcnt(13)
	ds_write2st64_b32 v4, v1, v5 offset1:8
	s_waitcnt vmcnt(11)
	ds_write2st64_b32 v4, v16, v17 offset0:16 offset1:24
	s_waitcnt vmcnt(9)
	ds_write2st64_b32 v4, v18, v19 offset0:32 offset1:40
	;; [unrolled: 2-line block ×6, first 2 shown]
	s_waitcnt vmcnt(0)
	ds_write_b32 v4, v6 offset:28672
	s_waitcnt lgkmcnt(0)
	s_barrier
	ds_read2_b32 v[20:21], v7 offset1:1
	ds_read2_b32 v[18:19], v7 offset0:2 offset1:3
	ds_read2_b32 v[16:17], v7 offset0:4 offset1:5
	ds_read2_b32 v[14:15], v7 offset0:6 offset1:7
	ds_read2_b32 v[12:13], v7 offset0:8 offset1:9
	ds_read2_b32 v[10:11], v7 offset0:10 offset1:11
	ds_read2_b32 v[8:9], v7 offset0:12 offset1:13
	ds_read_b32 v1, v7 offset:56
	s_waitcnt lgkmcnt(7)
	v_mov_b32_e32 v24, v20
	s_waitcnt lgkmcnt(6)
	v_mov_b32_e32 v25, v18
	;; [unrolled: 2-line block ×7, first 2 shown]
	s_add_i32 s33, s33, s28
	s_cbranch_execz .LBB659_7
	s_branch .LBB659_38
.LBB659_6:
	s_mov_b64 s[4:5], 0
                                        ; implicit-def: $vgpr1
                                        ; implicit-def: $vgpr8
                                        ; implicit-def: $vgpr10
                                        ; implicit-def: $vgpr12
                                        ; implicit-def: $vgpr14
                                        ; implicit-def: $vgpr16
                                        ; implicit-def: $vgpr18
                                        ; implicit-def: $vgpr20
                                        ; implicit-def: $vgpr4_vgpr5
                                        ; implicit-def: $vgpr6_vgpr7
                                        ; implicit-def: $vgpr24_vgpr25
                                        ; implicit-def: $vgpr22_vgpr23
	s_add_i32 s33, s33, s28
	s_andn2_b64 vcc, exec, s[8:9]
	s_cbranch_vccnz .LBB659_38
.LBB659_7:
	v_cmp_gt_u32_e32 vcc, s33, v0
                                        ; implicit-def: $vgpr1
	s_and_saveexec_b64 s[4:5], vcc
	s_cbranch_execz .LBB659_9
; %bb.8:
	s_waitcnt lgkmcnt(0)
	v_lshlrev_b32_e32 v1, 2, v0
	v_readfirstlane_b32 s8, v2
	v_readfirstlane_b32 s9, v3
	s_nop 4
	global_load_dword v1, v1, s[8:9]
.LBB659_9:
	s_or_b64 exec, exec, s[4:5]
	v_or_b32_e32 v4, 0x200, v0
	v_cmp_gt_u32_e32 vcc, s33, v4
                                        ; implicit-def: $vgpr4
	s_and_saveexec_b64 s[4:5], vcc
	s_cbranch_execz .LBB659_11
; %bb.10:
	v_lshlrev_b32_e32 v4, 2, v0
	v_readfirstlane_b32 s8, v2
	v_readfirstlane_b32 s9, v3
	s_nop 4
	global_load_dword v4, v4, s[8:9] offset:2048
.LBB659_11:
	s_or_b64 exec, exec, s[4:5]
	v_or_b32_e32 v6, 0x400, v0
	v_cmp_gt_u32_e32 vcc, s33, v6
                                        ; implicit-def: $vgpr5
	s_and_saveexec_b64 s[4:5], vcc
	s_cbranch_execz .LBB659_13
; %bb.12:
	v_lshlrev_b32_e32 v5, 2, v6
	v_readfirstlane_b32 s8, v2
	v_readfirstlane_b32 s9, v3
	s_nop 4
	global_load_dword v5, v5, s[8:9]
.LBB659_13:
	s_or_b64 exec, exec, s[4:5]
	v_or_b32_e32 v7, 0x600, v0
	v_cmp_gt_u32_e32 vcc, s33, v7
                                        ; implicit-def: $vgpr6
	s_and_saveexec_b64 s[4:5], vcc
	s_cbranch_execz .LBB659_15
; %bb.14:
	v_lshlrev_b32_e32 v6, 2, v7
	v_readfirstlane_b32 s8, v2
	v_readfirstlane_b32 s9, v3
	s_nop 4
	global_load_dword v6, v6, s[8:9]
.LBB659_15:
	s_or_b64 exec, exec, s[4:5]
	v_or_b32_e32 v8, 0x800, v0
	v_cmp_gt_u32_e32 vcc, s33, v8
                                        ; implicit-def: $vgpr7
	s_and_saveexec_b64 s[4:5], vcc
	s_cbranch_execz .LBB659_17
; %bb.16:
	v_lshlrev_b32_e32 v7, 2, v8
	v_readfirstlane_b32 s8, v2
	v_readfirstlane_b32 s9, v3
	s_nop 4
	global_load_dword v7, v7, s[8:9]
.LBB659_17:
	s_or_b64 exec, exec, s[4:5]
	v_or_b32_e32 v9, 0xa00, v0
	v_cmp_gt_u32_e32 vcc, s33, v9
                                        ; implicit-def: $vgpr8
	s_and_saveexec_b64 s[4:5], vcc
	s_cbranch_execz .LBB659_19
; %bb.18:
	v_lshlrev_b32_e32 v8, 2, v9
	v_readfirstlane_b32 s8, v2
	v_readfirstlane_b32 s9, v3
	s_nop 4
	global_load_dword v8, v8, s[8:9]
.LBB659_19:
	s_or_b64 exec, exec, s[4:5]
	v_or_b32_e32 v10, 0xc00, v0
	v_cmp_gt_u32_e32 vcc, s33, v10
                                        ; implicit-def: $vgpr9
	s_and_saveexec_b64 s[4:5], vcc
	s_cbranch_execz .LBB659_21
; %bb.20:
	v_lshlrev_b32_e32 v9, 2, v10
	v_readfirstlane_b32 s8, v2
	v_readfirstlane_b32 s9, v3
	s_nop 4
	global_load_dword v9, v9, s[8:9]
.LBB659_21:
	s_or_b64 exec, exec, s[4:5]
	v_or_b32_e32 v11, 0xe00, v0
	v_cmp_gt_u32_e32 vcc, s33, v11
                                        ; implicit-def: $vgpr10
	s_and_saveexec_b64 s[4:5], vcc
	s_cbranch_execz .LBB659_23
; %bb.22:
	v_lshlrev_b32_e32 v10, 2, v11
	v_readfirstlane_b32 s8, v2
	v_readfirstlane_b32 s9, v3
	s_nop 4
	global_load_dword v10, v10, s[8:9]
.LBB659_23:
	s_or_b64 exec, exec, s[4:5]
	v_or_b32_e32 v12, 0x1000, v0
	v_cmp_gt_u32_e32 vcc, s33, v12
                                        ; implicit-def: $vgpr11
	s_and_saveexec_b64 s[4:5], vcc
	s_cbranch_execz .LBB659_25
; %bb.24:
	v_lshlrev_b32_e32 v11, 2, v12
	v_readfirstlane_b32 s8, v2
	v_readfirstlane_b32 s9, v3
	s_nop 4
	global_load_dword v11, v11, s[8:9]
.LBB659_25:
	s_or_b64 exec, exec, s[4:5]
	v_or_b32_e32 v13, 0x1200, v0
	v_cmp_gt_u32_e32 vcc, s33, v13
                                        ; implicit-def: $vgpr12
	s_and_saveexec_b64 s[4:5], vcc
	s_cbranch_execz .LBB659_27
; %bb.26:
	v_lshlrev_b32_e32 v12, 2, v13
	v_readfirstlane_b32 s8, v2
	v_readfirstlane_b32 s9, v3
	s_nop 4
	global_load_dword v12, v12, s[8:9]
.LBB659_27:
	s_or_b64 exec, exec, s[4:5]
	v_or_b32_e32 v14, 0x1400, v0
	v_cmp_gt_u32_e32 vcc, s33, v14
                                        ; implicit-def: $vgpr13
	s_and_saveexec_b64 s[4:5], vcc
	s_cbranch_execz .LBB659_29
; %bb.28:
	v_lshlrev_b32_e32 v13, 2, v14
	v_readfirstlane_b32 s8, v2
	v_readfirstlane_b32 s9, v3
	s_nop 4
	global_load_dword v13, v13, s[8:9]
.LBB659_29:
	s_or_b64 exec, exec, s[4:5]
	v_or_b32_e32 v15, 0x1600, v0
	v_cmp_gt_u32_e32 vcc, s33, v15
                                        ; implicit-def: $vgpr14
	s_and_saveexec_b64 s[4:5], vcc
	s_cbranch_execz .LBB659_31
; %bb.30:
	v_lshlrev_b32_e32 v14, 2, v15
	v_readfirstlane_b32 s8, v2
	v_readfirstlane_b32 s9, v3
	s_nop 4
	global_load_dword v14, v14, s[8:9]
.LBB659_31:
	s_or_b64 exec, exec, s[4:5]
	v_or_b32_e32 v16, 0x1800, v0
	v_cmp_gt_u32_e32 vcc, s33, v16
                                        ; implicit-def: $vgpr15
	s_and_saveexec_b64 s[4:5], vcc
	s_cbranch_execz .LBB659_33
; %bb.32:
	v_lshlrev_b32_e32 v15, 2, v16
	v_readfirstlane_b32 s8, v2
	v_readfirstlane_b32 s9, v3
	s_nop 4
	global_load_dword v15, v15, s[8:9]
.LBB659_33:
	s_or_b64 exec, exec, s[4:5]
	v_or_b32_e32 v17, 0x1a00, v0
	v_cmp_gt_u32_e32 vcc, s33, v17
                                        ; implicit-def: $vgpr16
	s_and_saveexec_b64 s[4:5], vcc
	s_cbranch_execz .LBB659_35
; %bb.34:
	v_lshlrev_b32_e32 v16, 2, v17
	v_readfirstlane_b32 s8, v2
	v_readfirstlane_b32 s9, v3
	s_nop 4
	global_load_dword v16, v16, s[8:9]
.LBB659_35:
	s_or_b64 exec, exec, s[4:5]
	v_or_b32_e32 v18, 0x1c00, v0
	v_cmp_gt_u32_e32 vcc, s33, v18
                                        ; implicit-def: $vgpr17
	s_and_saveexec_b64 s[4:5], vcc
	s_cbranch_execz .LBB659_37
; %bb.36:
	v_lshlrev_b32_e32 v17, 2, v18
	v_readfirstlane_b32 s8, v2
	v_readfirstlane_b32 s9, v3
	s_nop 4
	global_load_dword v17, v17, s[8:9]
.LBB659_37:
	s_or_b64 exec, exec, s[4:5]
	v_lshlrev_b32_e32 v18, 2, v0
	s_waitcnt vmcnt(0) lgkmcnt(0)
	ds_write2st64_b32 v18, v1, v4 offset1:8
	ds_write2st64_b32 v18, v5, v6 offset0:16 offset1:24
	ds_write2st64_b32 v18, v7, v8 offset0:32 offset1:40
	;; [unrolled: 1-line block ×6, first 2 shown]
	ds_write_b32 v18, v17 offset:28672
	v_mad_u32_u24 v1, v0, 56, v18
	s_waitcnt lgkmcnt(0)
	s_barrier
	ds_read2_b32 v[20:21], v1 offset1:1
	ds_read2_b32 v[18:19], v1 offset0:2 offset1:3
	ds_read2_b32 v[16:17], v1 offset0:4 offset1:5
	;; [unrolled: 1-line block ×6, first 2 shown]
	ds_read_b32 v1, v1 offset:56
	v_mad_u32_u24 v4, v0, 15, 14
	v_cmp_gt_u32_e64 s[4:5], s33, v4
	s_waitcnt lgkmcnt(7)
	v_mov_b32_e32 v24, v20
	s_waitcnt lgkmcnt(6)
	v_mov_b32_e32 v25, v18
	;; [unrolled: 2-line block ×7, first 2 shown]
.LBB659_38:
	v_mov_b32_e32 v52, s10
                                        ; implicit-def: $vgpr53
	s_and_saveexec_b64 s[8:9], s[4:5]
; %bb.39:
	v_mov_b32_e32 v53, s10
; %bb.40:
	s_or_b64 exec, exec, s[8:9]
	s_cmp_eq_u64 s[0:1], 0
	s_cselect_b64 s[42:43], -1, 0
	s_cmp_lg_u64 s[0:1], 0
	s_mov_b64 s[4:5], 0
	s_cselect_b64 s[8:9], -1, 0
	s_and_b64 vcc, exec, s[6:7]
	s_waitcnt lgkmcnt(0)
	s_barrier
	s_cbranch_vccz .LBB659_46
; %bb.41:
	s_and_b64 vcc, exec, s[8:9]
	s_cbranch_vccz .LBB659_47
; %bb.42:
	global_load_dword v23, v[2:3], off offset:-4
	v_lshlrev_b32_e32 v26, 2, v0
	ds_write_b32 v26, v1
	s_waitcnt lgkmcnt(0)
	s_barrier
	s_and_saveexec_b64 s[4:5], s[2:3]
	s_cbranch_execz .LBB659_44
; %bb.43:
	s_waitcnt vmcnt(0)
	v_add_u32_e32 v23, -4, v26
	ds_read_b32 v23, v23
.LBB659_44:
	s_or_b64 exec, exec, s[4:5]
	v_cmp_ne_u32_e32 vcc, v24, v21
	s_waitcnt vmcnt(0) lgkmcnt(0)
	v_cmp_ne_u32_e64 s[6:7], v23, v20
	v_cndmask_b32_e64 v69, 0, 1, vcc
	v_cmp_ne_u32_e32 vcc, v25, v21
	s_mov_b64 s[4:5], -1
	s_nop 0
	v_cndmask_b32_e64 v68, 0, 1, vcc
	v_cmp_ne_u32_e32 vcc, v25, v19
	s_nop 1
	v_cndmask_b32_e64 v67, 0, 1, vcc
	v_cmp_ne_u32_e32 vcc, v6, v19
	;; [unrolled: 3-line block ×12, first 2 shown]
	s_nop 1
	v_cndmask_b32_e64 v56, 0, 1, vcc
.LBB659_45:
                                        ; implicit-def: $sgpr12
	s_branch .LBB659_59
.LBB659_46:
                                        ; implicit-def: $sgpr6_sgpr7
                                        ; implicit-def: $vgpr56
                                        ; implicit-def: $vgpr57
                                        ; implicit-def: $vgpr58
                                        ; implicit-def: $vgpr59
                                        ; implicit-def: $vgpr60
                                        ; implicit-def: $vgpr61
                                        ; implicit-def: $vgpr62
                                        ; implicit-def: $vgpr63
                                        ; implicit-def: $vgpr64
                                        ; implicit-def: $vgpr65
                                        ; implicit-def: $vgpr66
                                        ; implicit-def: $vgpr67
                                        ; implicit-def: $vgpr68
                                        ; implicit-def: $vgpr69
                                        ; implicit-def: $sgpr12
	s_cbranch_execnz .LBB659_51
	s_branch .LBB659_59
.LBB659_47:
                                        ; implicit-def: $sgpr6_sgpr7
                                        ; implicit-def: $vgpr56
                                        ; implicit-def: $vgpr57
                                        ; implicit-def: $vgpr58
                                        ; implicit-def: $vgpr59
                                        ; implicit-def: $vgpr60
                                        ; implicit-def: $vgpr61
                                        ; implicit-def: $vgpr62
                                        ; implicit-def: $vgpr63
                                        ; implicit-def: $vgpr64
                                        ; implicit-def: $vgpr65
                                        ; implicit-def: $vgpr66
                                        ; implicit-def: $vgpr67
                                        ; implicit-def: $vgpr68
                                        ; implicit-def: $vgpr69
	s_cbranch_execz .LBB659_45
; %bb.48:
	v_cmp_ne_u32_e32 vcc, v21, v24
	v_lshlrev_b32_e32 v23, 2, v0
	ds_write_b32 v23, v1
	v_cndmask_b32_e64 v69, 0, 1, vcc
	v_cmp_ne_u32_e32 vcc, v21, v25
	s_waitcnt lgkmcnt(0)
	s_barrier
	v_cndmask_b32_e64 v68, 0, 1, vcc
	v_cmp_ne_u32_e32 vcc, v25, v19
	s_waitcnt lgkmcnt(0)
                                        ; implicit-def: $sgpr6_sgpr7
	s_nop 0
	v_cndmask_b32_e64 v67, 0, 1, vcc
	v_cmp_ne_u32_e32 vcc, v6, v19
	s_nop 1
	v_cndmask_b32_e64 v66, 0, 1, vcc
	v_cmp_ne_u32_e32 vcc, v17, v6
	;; [unrolled: 3-line block ×11, first 2 shown]
	s_nop 1
	v_cndmask_b32_e64 v56, 0, 1, vcc
	s_and_saveexec_b64 s[10:11], s[2:3]
	s_xor_b64 s[10:11], exec, s[10:11]
	s_cbranch_execz .LBB659_50
; %bb.49:
	v_add_u32_e32 v4, -4, v23
	ds_read_b32 v4, v4
	s_or_b64 s[4:5], s[4:5], exec
	s_waitcnt lgkmcnt(0)
	v_cmp_ne_u32_e32 vcc, v4, v20
	s_and_b64 s[6:7], vcc, exec
.LBB659_50:
	s_or_b64 exec, exec, s[10:11]
	s_mov_b32 s12, 1
	s_branch .LBB659_59
.LBB659_51:
	s_mul_hi_u32 s6, s0, 0xffffe200
	s_mulk_i32 s1, 0xe200
	s_sub_i32 s6, s6, s0
	s_add_i32 s6, s6, s1
	s_mulk_i32 s0, 0xe200
	s_add_u32 s10, s0, s28
	s_addc_u32 s11, s6, s29
	s_and_b64 vcc, exec, s[8:9]
	s_cbranch_vccz .LBB659_56
; %bb.52:
	global_load_dword v6, v[2:3], off offset:-4
	v_mad_u32_u24 v4, v0, 15, 14
	v_mov_b32_e32 v5, 0
	v_cmp_gt_u64_e32 vcc, s[10:11], v[4:5]
	v_cmp_ne_u32_e64 s[0:1], v9, v1
	v_mad_u32_u24 v4, v0, 15, 13
	s_and_b64 s[4:5], vcc, s[0:1]
	v_cmp_gt_u64_e32 vcc, s[10:11], v[4:5]
	v_cmp_ne_u32_e64 s[0:1], v8, v9
	v_mad_u32_u24 v4, v0, 15, 12
	s_and_b64 s[6:7], vcc, s[0:1]
	;; [unrolled: 4-line block ×13, first 2 shown]
	v_cmp_gt_u64_e32 vcc, s[10:11], v[4:5]
	v_cmp_ne_u32_e64 s[0:1], v20, v21
	v_lshlrev_b32_e32 v3, 2, v0
	v_mul_u32_u24_e32 v2, 15, v0
	s_and_b64 s[0:1], vcc, s[0:1]
	ds_write_b32 v3, v1
	s_waitcnt lgkmcnt(0)
	s_barrier
	s_and_saveexec_b64 s[54:55], s[2:3]
	s_cbranch_execz .LBB659_54
; %bb.53:
	v_add_u32_e32 v3, -4, v3
	s_waitcnt vmcnt(0)
	ds_read_b32 v6, v3
.LBB659_54:
	s_or_b64 exec, exec, s[54:55]
	v_mov_b32_e32 v3, v5
	v_cndmask_b32_e64 v69, 0, 1, s[0:1]
	v_cmp_gt_u64_e32 vcc, s[10:11], v[2:3]
	s_waitcnt vmcnt(0) lgkmcnt(0)
	v_cmp_ne_u32_e64 s[0:1], v6, v20
	v_cndmask_b32_e64 v56, 0, 1, s[4:5]
	v_cndmask_b32_e64 v57, 0, 1, s[6:7]
	;; [unrolled: 1-line block ×13, first 2 shown]
	s_and_b64 s[6:7], vcc, s[0:1]
	s_mov_b64 s[4:5], -1
.LBB659_55:
                                        ; implicit-def: $sgpr12
	v_mov_b32_e32 v70, s12
	s_and_saveexec_b64 s[0:1], s[4:5]
	s_cbranch_execnz .LBB659_60
	s_branch .LBB659_61
.LBB659_56:
                                        ; implicit-def: $sgpr6_sgpr7
                                        ; implicit-def: $vgpr56
                                        ; implicit-def: $vgpr57
                                        ; implicit-def: $vgpr58
                                        ; implicit-def: $vgpr59
                                        ; implicit-def: $vgpr60
                                        ; implicit-def: $vgpr61
                                        ; implicit-def: $vgpr62
                                        ; implicit-def: $vgpr63
                                        ; implicit-def: $vgpr64
                                        ; implicit-def: $vgpr65
                                        ; implicit-def: $vgpr66
                                        ; implicit-def: $vgpr67
                                        ; implicit-def: $vgpr68
                                        ; implicit-def: $vgpr69
	s_cbranch_execz .LBB659_55
; %bb.57:
	v_mad_u32_u24 v2, v0, 15, 14
	v_mov_b32_e32 v3, 0
	v_cmp_gt_u64_e32 vcc, s[10:11], v[2:3]
	v_cmp_ne_u32_e64 s[0:1], v9, v1
	s_and_b64 s[0:1], vcc, s[0:1]
	v_mad_u32_u24 v2, v0, 15, 13
	v_cndmask_b32_e64 v56, 0, 1, s[0:1]
	v_cmp_gt_u64_e32 vcc, s[10:11], v[2:3]
	v_cmp_ne_u32_e64 s[0:1], v8, v9
	s_and_b64 s[0:1], vcc, s[0:1]
	v_mad_u32_u24 v2, v0, 15, 12
	v_cndmask_b32_e64 v57, 0, 1, s[0:1]
	;; [unrolled: 5-line block ×13, first 2 shown]
	v_cmp_gt_u64_e32 vcc, s[10:11], v[2:3]
	v_cmp_ne_u32_e64 s[0:1], v20, v21
	s_and_b64 s[0:1], vcc, s[0:1]
	v_lshlrev_b32_e32 v4, 2, v0
	s_mov_b32 s12, 1
	v_cndmask_b32_e64 v69, 0, 1, s[0:1]
	ds_write_b32 v4, v1
	s_waitcnt lgkmcnt(0)
	s_barrier
	s_waitcnt lgkmcnt(0)
                                        ; implicit-def: $sgpr6_sgpr7
	s_and_saveexec_b64 s[8:9], s[2:3]
	s_cbranch_execz .LBB659_154
; %bb.58:
	v_add_u32_e32 v2, -4, v4
	ds_read_b32 v4, v2
	v_mul_u32_u24_e32 v2, 15, v0
	v_cmp_gt_u64_e32 vcc, s[10:11], v[2:3]
	s_or_b64 s[4:5], s[4:5], exec
	s_waitcnt lgkmcnt(0)
	v_cmp_ne_u32_e64 s[0:1], v4, v20
	s_and_b64 s[0:1], vcc, s[0:1]
	s_and_b64 s[6:7], s[0:1], exec
	s_or_b64 exec, exec, s[8:9]
.LBB659_59:
	v_mov_b32_e32 v70, s12
	s_and_saveexec_b64 s[0:1], s[4:5]
.LBB659_60:
	v_cndmask_b32_e64 v70, 0, 1, s[6:7]
.LBB659_61:
	s_or_b64 exec, exec, s[0:1]
	s_cmp_eq_u64 s[38:39], 0
	v_add3_u32 v2, v69, v70, v68
	s_cselect_b64 s[38:39], -1, 0
	s_cmp_lg_u32 s56, 0
	v_cmp_eq_u32_e64 s[26:27], 0, v69
	v_cmp_eq_u32_e64 s[24:25], 0, v68
	;; [unrolled: 1-line block ×3, first 2 shown]
	v_add3_u32 v72, v2, v67, v66
	v_cmp_eq_u32_e64 s[20:21], 0, v66
	v_cmp_eq_u32_e64 s[18:19], 0, v65
	;; [unrolled: 1-line block ×10, first 2 shown]
	v_cmp_eq_u32_e32 vcc, 0, v56
	v_mbcnt_lo_u32_b32 v71, -1, 0
	v_lshrrev_b32_e32 v54, 6, v0
	v_or_b32_e32 v55, 63, v0
	s_cbranch_scc0 .LBB659_92
; %bb.62:
	v_cndmask_b32_e64 v2, 0, v52, s[26:27]
	v_add_u32_e32 v2, v2, v52
	v_cndmask_b32_e64 v2, 0, v2, s[24:25]
	v_add_u32_e32 v2, v2, v52
	;; [unrolled: 2-line block ×11, first 2 shown]
	v_cndmask_b32_e64 v2, 0, v2, s[4:5]
	v_add3_u32 v3, v72, v65, v64
	v_add_u32_e32 v2, v2, v52
	v_add3_u32 v3, v3, v63, v62
	v_cndmask_b32_e64 v2, 0, v2, s[2:3]
	v_add3_u32 v3, v3, v61, v60
	v_add_u32_e32 v2, v2, v52
	v_add3_u32 v3, v3, v59, v58
	v_cndmask_b32_e32 v2, 0, v2, vcc
	v_add3_u32 v3, v3, v57, v56
	v_add_u32_e32 v2, v2, v53
	v_mbcnt_hi_u32_b32 v25, -1, v71
	v_and_b32_e32 v4, 15, v25
	v_mov_b32_dpp v6, v2 row_shr:1 row_mask:0xf bank_mask:0xf
	v_cmp_eq_u32_e32 vcc, 0, v3
	v_mov_b32_dpp v5, v3 row_shr:1 row_mask:0xf bank_mask:0xf
	v_cmp_lt_u32_e64 s[0:1], 1, v4
	v_cndmask_b32_e32 v6, 0, v6, vcc
	v_cmp_eq_u32_e32 vcc, 0, v4
	s_nop 1
	v_cndmask_b32_e64 v5, v5, 0, vcc
	v_add_u32_e32 v3, v5, v3
	v_cndmask_b32_e64 v5, v6, 0, vcc
	v_add_u32_e32 v2, v5, v2
	v_cmp_eq_u32_e32 vcc, 0, v3
	v_mov_b32_dpp v5, v3 row_shr:2 row_mask:0xf bank_mask:0xf
	v_mov_b32_dpp v6, v2 row_shr:2 row_mask:0xf bank_mask:0xf
	v_cndmask_b32_e64 v5, 0, v5, s[0:1]
	s_and_b64 vcc, s[0:1], vcc
	v_cndmask_b32_e32 v6, 0, v6, vcc
	v_add_u32_e32 v3, v3, v5
	v_add_u32_e32 v2, v6, v2
	v_cmp_eq_u32_e32 vcc, 0, v3
	v_mov_b32_dpp v5, v3 row_shr:4 row_mask:0xf bank_mask:0xf
	v_cmp_lt_u32_e64 s[0:1], 3, v4
	v_mov_b32_dpp v6, v2 row_shr:4 row_mask:0xf bank_mask:0xf
	s_and_b64 vcc, s[0:1], vcc
	v_cndmask_b32_e64 v5, 0, v5, s[0:1]
	v_cndmask_b32_e32 v6, 0, v6, vcc
	v_add_u32_e32 v3, v5, v3
	v_add_u32_e32 v2, v2, v6
	v_cmp_eq_u32_e32 vcc, 0, v3
	v_cmp_lt_u32_e64 s[0:1], 7, v4
	v_mov_b32_dpp v5, v3 row_shr:8 row_mask:0xf bank_mask:0xf
	v_mov_b32_dpp v6, v2 row_shr:8 row_mask:0xf bank_mask:0xf
	s_and_b64 vcc, s[0:1], vcc
	v_cndmask_b32_e64 v4, 0, v5, s[0:1]
	v_cndmask_b32_e32 v5, 0, v6, vcc
	v_add_u32_e32 v2, v5, v2
	v_add_u32_e32 v3, v4, v3
	v_bfe_i32 v6, v25, 4, 1
	v_mov_b32_dpp v5, v2 row_bcast:15 row_mask:0xf bank_mask:0xf
	v_mov_b32_dpp v4, v3 row_bcast:15 row_mask:0xf bank_mask:0xf
	v_cmp_eq_u32_e32 vcc, 0, v3
	v_and_b32_e32 v4, v6, v4
	v_add_u32_e32 v3, v4, v3
	v_cndmask_b32_e32 v5, 0, v5, vcc
	v_and_b32_e32 v4, v6, v5
	v_add_u32_e32 v4, v4, v2
	v_mov_b32_dpp v2, v3 row_bcast:31 row_mask:0xf bank_mask:0xf
	v_cmp_eq_u32_e32 vcc, 0, v3
	v_cmp_lt_u32_e64 s[0:1], 31, v25
	v_mov_b32_dpp v5, v4 row_bcast:31 row_mask:0xf bank_mask:0xf
	s_and_b64 vcc, s[0:1], vcc
	v_cndmask_b32_e64 v2, 0, v2, s[0:1]
	v_add_u32_e32 v2, v2, v3
	v_cndmask_b32_e32 v3, 0, v5, vcc
	v_add_u32_e32 v3, v3, v4
	v_cmp_eq_u32_e32 vcc, v55, v0
	v_lshlrev_b32_e32 v4, 3, v54
	s_and_saveexec_b64 s[0:1], vcc
	s_cbranch_execz .LBB659_64
; %bb.63:
	ds_write_b64 v4, v[2:3] offset:4112
.LBB659_64:
	s_or_b64 exec, exec, s[0:1]
	v_cmp_gt_u32_e32 vcc, 8, v0
	s_waitcnt lgkmcnt(0)
	s_barrier
	s_and_saveexec_b64 s[28:29], vcc
	s_cbranch_execz .LBB659_66
; %bb.65:
	v_lshlrev_b32_e32 v5, 3, v0
	ds_read_b64 v[6:7], v5 offset:4112
	v_and_b32_e32 v22, 7, v25
	v_cmp_lt_u32_e64 s[0:1], 1, v22
	s_waitcnt lgkmcnt(0)
	v_mov_b32_dpp v24, v7 row_shr:1 row_mask:0xf bank_mask:0xf
	v_cmp_eq_u32_e32 vcc, 0, v6
	v_mov_b32_dpp v23, v6 row_shr:1 row_mask:0xf bank_mask:0xf
	s_nop 0
	v_cndmask_b32_e32 v24, 0, v24, vcc
	v_cmp_eq_u32_e32 vcc, 0, v22
	s_nop 1
	v_cndmask_b32_e64 v23, v23, 0, vcc
	v_add_u32_e32 v6, v23, v6
	v_cndmask_b32_e64 v23, v24, 0, vcc
	v_add_u32_e32 v7, v23, v7
	v_cmp_eq_u32_e32 vcc, 0, v6
	v_mov_b32_dpp v23, v6 row_shr:2 row_mask:0xf bank_mask:0xf
	v_mov_b32_dpp v24, v7 row_shr:2 row_mask:0xf bank_mask:0xf
	v_cndmask_b32_e64 v23, 0, v23, s[0:1]
	s_and_b64 vcc, s[0:1], vcc
	v_cndmask_b32_e32 v24, 0, v24, vcc
	v_add_u32_e32 v6, v23, v6
	v_add_u32_e32 v7, v24, v7
	v_cmp_eq_u32_e32 vcc, 0, v6
	v_mov_b32_dpp v23, v6 row_shr:4 row_mask:0xf bank_mask:0xf
	v_cmp_lt_u32_e64 s[0:1], 3, v22
	v_mov_b32_dpp v24, v7 row_shr:4 row_mask:0xf bank_mask:0xf
	s_and_b64 vcc, s[0:1], vcc
	v_cndmask_b32_e64 v22, 0, v23, s[0:1]
	v_add_u32_e32 v6, v22, v6
	v_cndmask_b32_e32 v22, 0, v24, vcc
	v_add_u32_e32 v7, v22, v7
	ds_write_b64 v5, v[6:7] offset:4112
.LBB659_66:
	s_or_b64 exec, exec, s[28:29]
	v_cmp_gt_u32_e32 vcc, 64, v0
	v_cmp_lt_u32_e64 s[0:1], 63, v0
	v_mov_b32_e32 v22, 0
	v_mov_b32_e32 v23, 0
	s_waitcnt lgkmcnt(0)
	s_barrier
	s_and_saveexec_b64 s[28:29], s[0:1]
	s_cbranch_execz .LBB659_68
; %bb.67:
	ds_read_b64 v[22:23], v4 offset:4104
	v_cmp_eq_u32_e64 s[0:1], 0, v2
	s_waitcnt lgkmcnt(0)
	v_add_u32_e32 v4, v22, v2
	v_cndmask_b32_e64 v2, 0, v23, s[0:1]
	v_add_u32_e32 v3, v2, v3
	v_mov_b32_e32 v2, v4
.LBB659_68:
	s_or_b64 exec, exec, s[28:29]
	v_add_u32_e32 v4, -1, v25
	v_and_b32_e32 v5, 64, v25
	v_cmp_lt_i32_e64 s[0:1], v4, v5
	v_cmp_eq_u32_e64 s[28:29], 0, v25
	s_nop 0
	v_cndmask_b32_e64 v4, v4, v25, s[0:1]
	v_lshlrev_b32_e32 v4, 2, v4
	ds_bpermute_b32 v30, v4, v2
	ds_bpermute_b32 v31, v4, v3
	s_and_saveexec_b64 s[52:53], vcc
	s_cbranch_execz .LBB659_91
; %bb.69:
	v_mov_b32_e32 v7, 0
	ds_read_b64 v[2:3], v7 offset:4168
	s_waitcnt lgkmcnt(0)
	v_readfirstlane_b32 s57, v2
	v_readfirstlane_b32 s58, v3
	s_and_saveexec_b64 s[0:1], s[28:29]
	s_cbranch_execz .LBB659_71
; %bb.70:
	s_add_i32 s54, s56, 64
	s_mov_b32 s55, 0
	s_lshl_b64 s[60:61], s[54:55], 4
	s_add_u32 s60, s36, s60
	s_addc_u32 s61, s37, s61
	s_and_b32 s63, s58, 0xff000000
	s_mov_b32 s62, s55
	s_and_b32 s65, s58, 0xff0000
	s_mov_b32 s64, s55
	s_or_b64 s[62:63], s[64:65], s[62:63]
	s_and_b32 s65, s58, 0xff00
	s_or_b64 s[62:63], s[62:63], s[64:65]
	s_and_b32 s65, s58, 0xff
	s_or_b64 s[54:55], s[62:63], s[64:65]
	v_mov_b32_e32 v4, s57
	v_mov_b32_e32 v5, s55
	;; [unrolled: 1-line block ×3, first 2 shown]
	v_mov_b64_e32 v[2:3], s[60:61]
	;;#ASMSTART
	global_store_dwordx4 v[2:3], v[4:7] off sc1	
s_waitcnt vmcnt(0)
	;;#ASMEND
.LBB659_71:
	s_or_b64 exec, exec, s[0:1]
	v_xad_u32 v24, v25, -1, s56
	v_add_u32_e32 v6, 64, v24
	v_lshl_add_u64 v[26:27], v[6:7], 4, s[36:37]
	;;#ASMSTART
	global_load_dwordx4 v[2:5], v[26:27] off sc1	
s_waitcnt vmcnt(0)
	;;#ASMEND
	s_nop 0
	v_and_b32_e32 v5, 0xff, v3
	v_and_b32_e32 v6, 0xff00, v3
	v_or3_b32 v2, v2, 0, 0
	v_and_b32_e32 v28, 0xff000000, v3
	v_or3_b32 v5, 0, v5, v6
	;; [unrolled: 2-line block ×3, first 2 shown]
	v_or3_b32 v2, v2, 0, 0
	v_cmp_eq_u16_sdwa s[54:55], v4, v7 src0_sel:BYTE_0 src1_sel:DWORD
	s_and_saveexec_b64 s[0:1], s[54:55]
	s_cbranch_execz .LBB659_77
; %bb.72:
	s_mov_b32 s59, 1
	s_mov_b64 s[54:55], 0
	v_mov_b32_e32 v6, 0
.LBB659_73:                             ; =>This Loop Header: Depth=1
                                        ;     Child Loop BB659_74 Depth 2
	s_max_u32 s60, s59, 1
.LBB659_74:                             ;   Parent Loop BB659_73 Depth=1
                                        ; =>  This Inner Loop Header: Depth=2
	s_add_i32 s60, s60, -1
	s_cmp_eq_u32 s60, 0
	s_sleep 1
	s_cbranch_scc0 .LBB659_74
; %bb.75:                               ;   in Loop: Header=BB659_73 Depth=1
	s_cmp_lt_u32 s59, 32
	s_cselect_b64 s[60:61], -1, 0
	s_cmp_lg_u64 s[60:61], 0
	s_addc_u32 s59, s59, 0
	;;#ASMSTART
	global_load_dwordx4 v[2:5], v[26:27] off sc1	
s_waitcnt vmcnt(0)
	;;#ASMEND
	s_nop 0
	v_cmp_ne_u16_sdwa s[60:61], v4, v6 src0_sel:BYTE_0 src1_sel:DWORD
	s_or_b64 s[54:55], s[60:61], s[54:55]
	s_andn2_b64 exec, exec, s[54:55]
	s_cbranch_execnz .LBB659_73
; %bb.76:
	s_or_b64 exec, exec, s[54:55]
.LBB659_77:
	s_or_b64 exec, exec, s[0:1]
	v_mov_b32_e32 v32, 2
	v_cmp_eq_u16_sdwa s[0:1], v4, v32 src0_sel:BYTE_0 src1_sel:DWORD
	v_lshlrev_b64 v[26:27], v25, -1
	v_and_b32_e32 v33, 63, v25
	v_and_b32_e32 v5, s1, v27
	v_or_b32_e32 v5, 0x80000000, v5
	v_cmp_ne_u32_e32 vcc, 63, v33
	v_and_b32_e32 v6, s0, v26
	v_ffbl_b32_e32 v5, v5
	v_addc_co_u32_e32 v7, vcc, 0, v25, vcc
	v_add_u32_e32 v5, 32, v5
	v_ffbl_b32_e32 v6, v6
	v_lshlrev_b32_e32 v34, 2, v7
	v_min_u32_e32 v5, v6, v5
	ds_bpermute_b32 v6, v34, v3
	v_cmp_eq_u32_e32 vcc, 0, v2
	v_cmp_lt_u32_e64 s[0:1], v33, v5
	ds_bpermute_b32 v7, v34, v2
	s_and_b64 vcc, s[0:1], vcc
	s_waitcnt lgkmcnt(1)
	v_cndmask_b32_e32 v6, 0, v6, vcc
	v_cmp_gt_u32_e32 vcc, 62, v33
	v_add_u32_e32 v3, v6, v3
	s_waitcnt lgkmcnt(0)
	v_cndmask_b32_e64 v7, 0, v7, s[0:1]
	v_cndmask_b32_e64 v6, 0, 1, vcc
	v_lshlrev_b32_e32 v6, 1, v6
	v_add_lshl_u32 v35, v6, v25, 2
	ds_bpermute_b32 v6, v35, v3
	v_add_u32_e32 v2, v7, v2
	ds_bpermute_b32 v7, v35, v2
	v_add_u32_e32 v36, 2, v33
	v_cmp_eq_u32_e32 vcc, 0, v2
	v_add_u32_e32 v38, 4, v33
	v_add_u32_e32 v40, 8, v33
	s_waitcnt lgkmcnt(1)
	v_cndmask_b32_e32 v6, 0, v6, vcc
	v_cmp_gt_u32_e32 vcc, v36, v5
	v_add_u32_e32 v42, 16, v33
	v_add_u32_e32 v44, 32, v33
	v_cndmask_b32_e64 v6, v6, 0, vcc
	v_add_u32_e32 v3, v6, v3
	s_waitcnt lgkmcnt(0)
	v_cndmask_b32_e64 v6, v7, 0, vcc
	v_cmp_gt_u32_e32 vcc, 60, v33
	v_add_u32_e32 v2, v2, v6
	s_nop 0
	v_cndmask_b32_e64 v7, 0, 1, vcc
	v_lshlrev_b32_e32 v7, 2, v7
	v_add_lshl_u32 v37, v7, v25, 2
	ds_bpermute_b32 v7, v37, v3
	ds_bpermute_b32 v6, v37, v2
	v_cmp_eq_u32_e32 vcc, 0, v2
	s_waitcnt lgkmcnt(1)
	s_nop 0
	v_cndmask_b32_e32 v7, 0, v7, vcc
	v_cmp_gt_u32_e32 vcc, v38, v5
	s_nop 1
	v_cndmask_b32_e64 v7, v7, 0, vcc
	s_waitcnt lgkmcnt(0)
	v_cndmask_b32_e64 v6, v6, 0, vcc
	v_cmp_gt_u32_e32 vcc, 56, v33
	v_add_u32_e32 v3, v3, v7
	v_add_u32_e32 v2, v2, v6
	v_cndmask_b32_e64 v7, 0, 1, vcc
	v_lshlrev_b32_e32 v7, 3, v7
	v_add_lshl_u32 v39, v7, v25, 2
	ds_bpermute_b32 v7, v39, v3
	ds_bpermute_b32 v6, v39, v2
	v_cmp_eq_u32_e32 vcc, 0, v2
	s_waitcnt lgkmcnt(1)
	s_nop 0
	v_cndmask_b32_e32 v7, 0, v7, vcc
	v_cmp_gt_u32_e32 vcc, v40, v5
	s_nop 1
	v_cndmask_b32_e64 v7, v7, 0, vcc
	s_waitcnt lgkmcnt(0)
	v_cndmask_b32_e64 v6, v6, 0, vcc
	v_cmp_gt_u32_e32 vcc, 48, v33
	v_add_u32_e32 v3, v3, v7
	v_add_u32_e32 v2, v2, v6
	;; [unrolled: 17-line block ×3, first 2 shown]
	v_cndmask_b32_e64 v7, 0, 1, vcc
	v_lshlrev_b32_e32 v7, 5, v7
	v_add_lshl_u32 v43, v7, v25, 2
	ds_bpermute_b32 v7, v43, v3
	ds_bpermute_b32 v6, v43, v2
	v_cmp_eq_u32_e32 vcc, 0, v2
	v_mov_b32_e32 v25, 0
	s_waitcnt lgkmcnt(1)
	v_cndmask_b32_e32 v7, 0, v7, vcc
	v_cmp_gt_u32_e32 vcc, v44, v5
	s_nop 1
	v_cndmask_b32_e64 v5, v7, 0, vcc
	v_add_u32_e32 v3, v5, v3
	s_waitcnt lgkmcnt(0)
	v_cndmask_b32_e64 v5, v6, 0, vcc
	v_add_u32_e32 v2, v5, v2
	s_branch .LBB659_79
.LBB659_78:                             ;   in Loop: Header=BB659_79 Depth=1
	s_or_b64 exec, exec, s[0:1]
	v_cmp_eq_u16_sdwa s[0:1], v4, v32 src0_sel:BYTE_0 src1_sel:DWORD
	v_cmp_eq_u32_e32 vcc, 0, v2
	ds_bpermute_b32 v29, v34, v2
	v_and_b32_e32 v5, s1, v27
	v_or_b32_e32 v5, 0x80000000, v5
	v_and_b32_e32 v28, s0, v26
	v_ffbl_b32_e32 v5, v5
	v_add_u32_e32 v5, 32, v5
	v_ffbl_b32_e32 v28, v28
	v_min_u32_e32 v5, v28, v5
	ds_bpermute_b32 v28, v34, v3
	v_cmp_lt_u32_e64 s[0:1], v33, v5
	s_and_b64 vcc, s[0:1], vcc
	v_subrev_u32_e32 v24, 64, v24
	s_waitcnt lgkmcnt(1)
	v_cndmask_b32_e64 v29, 0, v29, s[0:1]
	s_waitcnt lgkmcnt(0)
	v_cndmask_b32_e32 v28, 0, v28, vcc
	v_add_u32_e32 v3, v28, v3
	ds_bpermute_b32 v28, v35, v3
	v_add_u32_e32 v2, v29, v2
	v_cmp_eq_u32_e32 vcc, 0, v2
	ds_bpermute_b32 v29, v35, v2
	s_waitcnt lgkmcnt(1)
	v_cndmask_b32_e32 v28, 0, v28, vcc
	v_cmp_gt_u32_e32 vcc, v36, v5
	s_nop 1
	v_cndmask_b32_e64 v28, v28, 0, vcc
	v_add_u32_e32 v3, v28, v3
	ds_bpermute_b32 v28, v37, v3
	s_waitcnt lgkmcnt(1)
	v_cndmask_b32_e64 v29, v29, 0, vcc
	v_add_u32_e32 v2, v2, v29
	v_cmp_eq_u32_e32 vcc, 0, v2
	ds_bpermute_b32 v29, v37, v2
	s_waitcnt lgkmcnt(1)
	v_cndmask_b32_e32 v28, 0, v28, vcc
	v_cmp_gt_u32_e32 vcc, v38, v5
	s_nop 1
	v_cndmask_b32_e64 v28, v28, 0, vcc
	v_add_u32_e32 v3, v3, v28
	ds_bpermute_b32 v28, v39, v3
	s_waitcnt lgkmcnt(1)
	v_cndmask_b32_e64 v29, v29, 0, vcc
	v_add_u32_e32 v2, v2, v29
	ds_bpermute_b32 v29, v39, v2
	v_cmp_eq_u32_e32 vcc, 0, v2
	s_waitcnt lgkmcnt(1)
	s_nop 0
	v_cndmask_b32_e32 v28, 0, v28, vcc
	v_cmp_gt_u32_e32 vcc, v40, v5
	s_nop 1
	v_cndmask_b32_e64 v28, v28, 0, vcc
	v_add_u32_e32 v3, v3, v28
	ds_bpermute_b32 v28, v41, v3
	s_waitcnt lgkmcnt(1)
	v_cndmask_b32_e64 v29, v29, 0, vcc
	v_add_u32_e32 v2, v2, v29
	ds_bpermute_b32 v29, v41, v2
	v_cmp_eq_u32_e32 vcc, 0, v2
	s_waitcnt lgkmcnt(1)
	s_nop 0
	;; [unrolled: 13-line block ×3, first 2 shown]
	v_cndmask_b32_e32 v28, 0, v28, vcc
	v_cmp_gt_u32_e32 vcc, v44, v5
	s_nop 1
	v_cndmask_b32_e64 v5, v28, 0, vcc
	v_add_u32_e32 v3, v5, v3
	s_waitcnt lgkmcnt(0)
	v_cndmask_b32_e64 v5, v29, 0, vcc
	v_cmp_eq_u32_e32 vcc, 0, v6
	v_add3_u32 v2, v2, v6, v5
	s_nop 0
	v_cndmask_b32_e32 v3, 0, v3, vcc
	v_add_u32_e32 v3, v3, v7
.LBB659_79:                             ; =>This Loop Header: Depth=1
                                        ;     Child Loop BB659_82 Depth 2
                                        ;       Child Loop BB659_83 Depth 3
	v_cmp_ne_u16_sdwa s[0:1], v4, v32 src0_sel:BYTE_0 src1_sel:DWORD
	v_mov_b32_e32 v7, v3
	v_mov_b32_e32 v6, v2
	v_cndmask_b32_e64 v3, 0, 1, s[0:1]
	;;#ASMSTART
	;;#ASMEND
	s_nop 0
	v_cmp_ne_u32_e32 vcc, 0, v3
	s_cmp_lg_u64 vcc, exec
	s_cbranch_scc1 .LBB659_86
; %bb.80:                               ;   in Loop: Header=BB659_79 Depth=1
	v_lshl_add_u64 v[28:29], v[24:25], 4, s[36:37]
	;;#ASMSTART
	global_load_dwordx4 v[2:5], v[28:29] off sc1	
s_waitcnt vmcnt(0)
	;;#ASMEND
	s_nop 0
	v_and_b32_e32 v5, 0xff, v3
	v_and_b32_e32 v45, 0xff00, v3
	v_or3_b32 v2, v2, 0, 0
	v_and_b32_e32 v46, 0xff000000, v3
	v_or3_b32 v5, 0, v5, v45
	;; [unrolled: 2-line block ×3, first 2 shown]
	v_or3_b32 v2, v2, 0, 0
	v_cmp_eq_u16_sdwa s[54:55], v4, v25 src0_sel:BYTE_0 src1_sel:DWORD
	s_and_saveexec_b64 s[0:1], s[54:55]
	s_cbranch_execz .LBB659_78
; %bb.81:                               ;   in Loop: Header=BB659_79 Depth=1
	s_mov_b32 s59, 1
	s_mov_b64 s[54:55], 0
.LBB659_82:                             ;   Parent Loop BB659_79 Depth=1
                                        ; =>  This Loop Header: Depth=2
                                        ;       Child Loop BB659_83 Depth 3
	s_max_u32 s60, s59, 1
.LBB659_83:                             ;   Parent Loop BB659_79 Depth=1
                                        ;     Parent Loop BB659_82 Depth=2
                                        ; =>    This Inner Loop Header: Depth=3
	s_add_i32 s60, s60, -1
	s_cmp_eq_u32 s60, 0
	s_sleep 1
	s_cbranch_scc0 .LBB659_83
; %bb.84:                               ;   in Loop: Header=BB659_82 Depth=2
	s_cmp_lt_u32 s59, 32
	s_cselect_b64 s[60:61], -1, 0
	s_cmp_lg_u64 s[60:61], 0
	s_addc_u32 s59, s59, 0
	;;#ASMSTART
	global_load_dwordx4 v[2:5], v[28:29] off sc1	
s_waitcnt vmcnt(0)
	;;#ASMEND
	s_nop 0
	v_cmp_ne_u16_sdwa s[60:61], v4, v25 src0_sel:BYTE_0 src1_sel:DWORD
	s_or_b64 s[54:55], s[60:61], s[54:55]
	s_andn2_b64 exec, exec, s[54:55]
	s_cbranch_execnz .LBB659_82
; %bb.85:                               ;   in Loop: Header=BB659_79 Depth=1
	s_or_b64 exec, exec, s[54:55]
	s_branch .LBB659_78
.LBB659_86:                             ;   in Loop: Header=BB659_79 Depth=1
                                        ; implicit-def: $vgpr3
                                        ; implicit-def: $vgpr2
                                        ; implicit-def: $vgpr4
	s_cbranch_execz .LBB659_79
; %bb.87:
	s_and_saveexec_b64 s[0:1], s[28:29]
	s_cbranch_execz .LBB659_89
; %bb.88:
	s_cmp_eq_u32 s57, 0
	s_cselect_b64 vcc, -1, 0
	s_mov_b32 s55, 0
	v_cndmask_b32_e32 v2, 0, v7, vcc
	s_add_i32 s54, s56, 64
	v_add_u32_e32 v2, s58, v2
	s_lshl_b64 s[54:55], s[54:55], 4
	s_add_u32 s54, s36, s54
	v_and_b32_e32 v3, 0xff000000, v2
	v_and_b32_e32 v4, 0xff0000, v2
	s_addc_u32 s55, s37, s55
	v_or_b32_e32 v3, v4, v3
	v_and_b32_e32 v4, 0xff00, v2
	v_and_b32_e32 v2, 0xff, v2
	v_add_u32_e32 v24, s57, v6
	v_mov_b32_e32 v27, 0
	v_or3_b32 v25, v3, v4, v2
	v_mov_b32_e32 v26, 2
	v_mov_b64_e32 v[2:3], s[54:55]
	;;#ASMSTART
	global_store_dwordx4 v[2:3], v[24:27] off sc1	
s_waitcnt vmcnt(0)
	;;#ASMEND
	v_mov_b32_e32 v4, s57
	v_mov_b32_e32 v5, s58
	ds_write_b128 v27, v[4:7] offset:4096
.LBB659_89:
	s_or_b64 exec, exec, s[0:1]
	s_and_b64 exec, exec, s[34:35]
	s_cbranch_execz .LBB659_91
; %bb.90:
	v_mov_b32_e32 v2, 0
	ds_write_b64 v2, v[6:7] offset:4168
.LBB659_91:
	s_or_b64 exec, exec, s[52:53]
	v_mov_b32_e32 v4, 0
	s_waitcnt lgkmcnt(0)
	s_barrier
	ds_read_b64 v[2:3], v4 offset:4168
	v_cndmask_b32_e64 v6, v30, v22, s[28:29]
	v_cmp_eq_u32_e32 vcc, 0, v6
	v_cndmask_b32_e64 v5, v31, v23, s[28:29]
	s_waitcnt lgkmcnt(0)
	v_cndmask_b32_e32 v7, 0, v3, vcc
	v_add_u32_e32 v5, v7, v5
	v_cndmask_b32_e64 v51, v5, v3, s[34:35]
	v_cndmask_b32_e64 v3, v6, 0, s[34:35]
	v_cmp_eq_u32_e32 vcc, 0, v70
	v_add_u32_e32 v50, v2, v3
	v_add_u32_e32 v48, v50, v70
	v_cndmask_b32_e32 v2, 0, v51, vcc
	v_add_u32_e32 v49, v2, v52
	v_cndmask_b32_e64 v2, 0, v49, s[26:27]
	v_add_u32_e32 v47, v2, v52
	v_cndmask_b32_e64 v2, 0, v47, s[24:25]
	;; [unrolled: 2-line block ×8, first 2 shown]
	v_add_u32_e32 v33, v2, v52
	v_add_u32_e32 v46, v48, v69
	v_cndmask_b32_e64 v2, 0, v33, s[10:11]
	v_add_u32_e32 v44, v46, v68
	v_add_u32_e32 v31, v2, v52
	v_add_u32_e32 v42, v44, v67
	v_cndmask_b32_e64 v2, 0, v31, s[8:9]
	v_add_u32_e32 v40, v42, v66
	;; [unrolled: 4-line block ×3, first 2 shown]
	v_add_u32_e32 v27, v2, v52
	s_barrier
	ds_read_b128 v[2:5], v4 offset:4096
	v_add_u32_e32 v34, v36, v63
	v_add_u32_e32 v32, v34, v62
	;; [unrolled: 1-line block ×4, first 2 shown]
	v_cndmask_b32_e64 v6, 0, v27, s[4:5]
	v_add_u32_e32 v26, v28, v59
	v_add_u32_e32 v23, v6, v52
	s_waitcnt lgkmcnt(0)
	v_cmp_eq_u32_e32 vcc, 0, v2
	v_add_u32_e32 v22, v26, v58
	v_cndmask_b32_e64 v6, 0, v23, s[2:3]
	v_cndmask_b32_e32 v5, 0, v5, vcc
	v_add_u32_e32 v24, v22, v57
	v_add_u32_e32 v25, v6, v52
	;; [unrolled: 1-line block ×3, first 2 shown]
	s_branch .LBB659_104
.LBB659_92:
                                        ; implicit-def: $vgpr2
                                        ; implicit-def: $vgpr6
                                        ; implicit-def: $vgpr24_vgpr25
                                        ; implicit-def: $vgpr22_vgpr23
                                        ; implicit-def: $vgpr26_vgpr27
                                        ; implicit-def: $vgpr28_vgpr29
                                        ; implicit-def: $vgpr50_vgpr51
                                        ; implicit-def: $vgpr48_vgpr49
                                        ; implicit-def: $vgpr46_vgpr47
                                        ; implicit-def: $vgpr44_vgpr45
                                        ; implicit-def: $vgpr42_vgpr43
                                        ; implicit-def: $vgpr40_vgpr41
                                        ; implicit-def: $vgpr38_vgpr39
                                        ; implicit-def: $vgpr36_vgpr37
                                        ; implicit-def: $vgpr34_vgpr35
                                        ; implicit-def: $vgpr32_vgpr33
                                        ; implicit-def: $vgpr30_vgpr31
	s_cbranch_execz .LBB659_104
; %bb.93:
	s_and_b64 s[0:1], s[38:39], exec
	s_cselect_b32 s1, 0, s51
	s_cselect_b32 s0, 0, s50
	s_cmp_eq_u64 s[0:1], 0
	v_mov_b32_e32 v6, v52
	s_cbranch_scc1 .LBB659_95
; %bb.94:
	v_mov_b32_e32 v2, 0
	global_load_dword v6, v2, s[0:1]
.LBB659_95:
	v_cmp_eq_u32_e64 s[2:3], 0, v69
	v_cmp_eq_u32_e64 s[4:5], 0, v68
	v_cmp_eq_u32_e64 s[6:7], 0, v67
	v_cndmask_b32_e64 v2, 0, v52, s[2:3]
	v_add_u32_e32 v2, v2, v52
	v_cndmask_b32_e64 v2, 0, v2, s[4:5]
	v_add_u32_e32 v2, v2, v52
	v_cndmask_b32_e64 v2, 0, v2, s[6:7]
	v_add_u32_e32 v2, v2, v52
	v_cmp_eq_u32_e64 s[8:9], 0, v66
	v_cmp_eq_u32_e64 s[10:11], 0, v65
	v_cmp_eq_u32_e64 s[12:13], 0, v64
	v_cndmask_b32_e64 v2, 0, v2, s[8:9]
	v_add_u32_e32 v2, v2, v52
	v_cndmask_b32_e64 v2, 0, v2, s[10:11]
	v_add_u32_e32 v2, v2, v52
	v_cndmask_b32_e64 v2, 0, v2, s[12:13]
	v_add_u32_e32 v2, v2, v52
	;; [unrolled: 9-line block ×3, first 2 shown]
	v_cmp_eq_u32_e64 s[20:21], 0, v60
	v_cmp_eq_u32_e64 s[22:23], 0, v59
	;; [unrolled: 1-line block ×3, first 2 shown]
	v_cndmask_b32_e64 v2, 0, v2, s[20:21]
	v_add_u32_e32 v2, v2, v52
	v_cndmask_b32_e64 v2, 0, v2, s[22:23]
	v_add_u32_e32 v2, v2, v52
	v_cndmask_b32_e64 v2, 0, v2, s[24:25]
	v_add3_u32 v3, v72, v65, v64
	v_add_u32_e32 v2, v2, v52
	v_cmp_eq_u32_e32 vcc, 0, v57
	v_add3_u32 v3, v3, v63, v62
	v_add3_u32 v3, v3, v61, v60
	v_cndmask_b32_e32 v2, 0, v2, vcc
	v_add_u32_e32 v2, v2, v52
	v_cmp_eq_u32_e64 s[0:1], 0, v56
	v_add3_u32 v3, v3, v59, v58
	v_add3_u32 v3, v3, v57, v56
	v_cndmask_b32_e64 v2, 0, v2, s[0:1]
	v_add_u32_e32 v2, v2, v53
	v_mbcnt_hi_u32_b32 v7, -1, v71
	v_and_b32_e32 v4, 15, v7
	v_mov_b32_dpp v22, v2 row_shr:1 row_mask:0xf bank_mask:0xf
	v_cmp_eq_u32_e64 s[0:1], 0, v3
	v_mov_b32_dpp v5, v3 row_shr:1 row_mask:0xf bank_mask:0xf
	v_cmp_lt_u32_e64 s[26:27], 1, v4
	v_cndmask_b32_e64 v22, 0, v22, s[0:1]
	v_cmp_eq_u32_e64 s[0:1], 0, v4
	s_nop 1
	v_cndmask_b32_e64 v5, v5, 0, s[0:1]
	v_add_u32_e32 v3, v5, v3
	v_cndmask_b32_e64 v5, v22, 0, s[0:1]
	v_add_u32_e32 v2, v5, v2
	v_cmp_eq_u32_e64 s[0:1], 0, v3
	v_mov_b32_dpp v5, v3 row_shr:2 row_mask:0xf bank_mask:0xf
	v_mov_b32_dpp v22, v2 row_shr:2 row_mask:0xf bank_mask:0xf
	v_cndmask_b32_e64 v5, 0, v5, s[26:27]
	s_and_b64 s[0:1], s[26:27], s[0:1]
	v_cndmask_b32_e64 v22, 0, v22, s[0:1]
	v_add_u32_e32 v3, v3, v5
	v_add_u32_e32 v2, v22, v2
	v_cmp_eq_u32_e64 s[0:1], 0, v3
	v_mov_b32_dpp v5, v3 row_shr:4 row_mask:0xf bank_mask:0xf
	v_cmp_lt_u32_e64 s[26:27], 3, v4
	v_mov_b32_dpp v22, v2 row_shr:4 row_mask:0xf bank_mask:0xf
	s_and_b64 s[0:1], s[26:27], s[0:1]
	v_cndmask_b32_e64 v5, 0, v5, s[26:27]
	v_cndmask_b32_e64 v22, 0, v22, s[0:1]
	v_add_u32_e32 v3, v5, v3
	v_add_u32_e32 v2, v2, v22
	v_cmp_eq_u32_e64 s[0:1], 0, v3
	v_cmp_lt_u32_e64 s[26:27], 7, v4
	v_mov_b32_dpp v5, v3 row_shr:8 row_mask:0xf bank_mask:0xf
	v_mov_b32_dpp v22, v2 row_shr:8 row_mask:0xf bank_mask:0xf
	s_and_b64 s[0:1], s[26:27], s[0:1]
	v_cndmask_b32_e64 v4, 0, v5, s[26:27]
	v_cndmask_b32_e64 v5, 0, v22, s[0:1]
	v_add_u32_e32 v2, v5, v2
	v_add_u32_e32 v3, v4, v3
	v_bfe_i32 v22, v7, 4, 1
	v_mov_b32_dpp v5, v2 row_bcast:15 row_mask:0xf bank_mask:0xf
	v_mov_b32_dpp v4, v3 row_bcast:15 row_mask:0xf bank_mask:0xf
	v_cmp_eq_u32_e64 s[0:1], 0, v3
	v_and_b32_e32 v4, v22, v4
	v_add_u32_e32 v3, v4, v3
	v_cndmask_b32_e64 v5, 0, v5, s[0:1]
	v_and_b32_e32 v4, v22, v5
	v_add_u32_e32 v4, v4, v2
	v_mov_b32_dpp v2, v3 row_bcast:31 row_mask:0xf bank_mask:0xf
	v_cmp_eq_u32_e64 s[0:1], 0, v3
	v_cmp_lt_u32_e64 s[26:27], 31, v7
	v_mov_b32_dpp v5, v4 row_bcast:31 row_mask:0xf bank_mask:0xf
	s_and_b64 s[0:1], s[26:27], s[0:1]
	v_cndmask_b32_e64 v2, 0, v2, s[26:27]
	v_add_u32_e32 v2, v2, v3
	v_cndmask_b32_e64 v3, 0, v5, s[0:1]
	v_add_u32_e32 v3, v3, v4
	v_cmp_eq_u32_e64 s[0:1], v55, v0
	s_and_saveexec_b64 s[26:27], s[0:1]
	s_cbranch_execz .LBB659_97
; %bb.96:
	v_lshlrev_b32_e32 v4, 3, v54
	ds_write_b64 v4, v[2:3] offset:4112
.LBB659_97:
	s_or_b64 exec, exec, s[26:27]
	v_cmp_gt_u32_e64 s[0:1], 8, v0
	s_waitcnt lgkmcnt(0)
	s_barrier
	s_and_saveexec_b64 s[28:29], s[0:1]
	s_cbranch_execz .LBB659_99
; %bb.98:
	v_lshlrev_b32_e32 v22, 3, v0
	ds_read_b64 v[4:5], v22 offset:4112
	v_and_b32_e32 v23, 7, v7
	v_cmp_lt_u32_e64 s[26:27], 1, v23
	s_waitcnt lgkmcnt(0)
	v_mov_b32_dpp v25, v5 row_shr:1 row_mask:0xf bank_mask:0xf
	v_cmp_eq_u32_e64 s[0:1], 0, v4
	v_mov_b32_dpp v24, v4 row_shr:1 row_mask:0xf bank_mask:0xf
	s_nop 0
	v_cndmask_b32_e64 v25, 0, v25, s[0:1]
	v_cmp_eq_u32_e64 s[0:1], 0, v23
	s_nop 1
	v_cndmask_b32_e64 v24, v24, 0, s[0:1]
	v_add_u32_e32 v4, v24, v4
	v_cndmask_b32_e64 v24, v25, 0, s[0:1]
	v_add_u32_e32 v5, v24, v5
	v_cmp_eq_u32_e64 s[0:1], 0, v4
	v_mov_b32_dpp v24, v4 row_shr:2 row_mask:0xf bank_mask:0xf
	v_mov_b32_dpp v25, v5 row_shr:2 row_mask:0xf bank_mask:0xf
	v_cndmask_b32_e64 v24, 0, v24, s[26:27]
	s_and_b64 s[0:1], s[26:27], s[0:1]
	v_cndmask_b32_e64 v25, 0, v25, s[0:1]
	v_add_u32_e32 v4, v24, v4
	v_add_u32_e32 v5, v25, v5
	v_cmp_eq_u32_e64 s[0:1], 0, v4
	v_mov_b32_dpp v24, v4 row_shr:4 row_mask:0xf bank_mask:0xf
	v_cmp_lt_u32_e64 s[26:27], 3, v23
	v_mov_b32_dpp v25, v5 row_shr:4 row_mask:0xf bank_mask:0xf
	s_and_b64 s[0:1], s[26:27], s[0:1]
	v_cndmask_b32_e64 v23, 0, v24, s[26:27]
	v_add_u32_e32 v4, v23, v4
	v_cndmask_b32_e64 v23, 0, v25, s[0:1]
	v_add_u32_e32 v5, v23, v5
	ds_write_b64 v22, v[4:5] offset:4112
.LBB659_99:
	s_or_b64 exec, exec, s[28:29]
	v_cmp_lt_u32_e64 s[0:1], 63, v0
	v_mov_b32_e32 v23, 0
	v_mov_b32_e32 v4, 0
	s_waitcnt vmcnt(0)
	v_mov_b32_e32 v5, v6
	s_waitcnt lgkmcnt(0)
	s_barrier
	s_and_saveexec_b64 s[26:27], s[0:1]
	s_cbranch_execz .LBB659_101
; %bb.100:
	v_lshlrev_b32_e32 v4, 3, v54
	ds_read_b64 v[4:5], v4 offset:4104
	s_waitcnt lgkmcnt(0)
	v_cmp_eq_u32_e64 s[0:1], 0, v4
	s_nop 1
	v_cndmask_b32_e64 v22, 0, v6, s[0:1]
	v_add_u32_e32 v5, v22, v5
.LBB659_101:
	s_or_b64 exec, exec, s[26:27]
	v_cmp_eq_u32_e64 s[0:1], 0, v2
	v_add_u32_e32 v22, v4, v2
	v_and_b32_e32 v24, 64, v7
	v_cndmask_b32_e64 v2, 0, v5, s[0:1]
	v_add_u32_e32 v2, v2, v3
	v_add_u32_e32 v3, -1, v7
	v_cmp_lt_i32_e64 s[0:1], v3, v24
	s_nop 1
	v_cndmask_b32_e64 v3, v3, v7, s[0:1]
	v_lshlrev_b32_e32 v3, 2, v3
	ds_bpermute_b32 v2, v3, v2
	ds_bpermute_b32 v22, v3, v22
	v_cmp_eq_u32_e64 s[0:1], 0, v7
	s_waitcnt lgkmcnt(1)
	s_nop 0
	v_cndmask_b32_e64 v2, v2, v5, s[0:1]
	s_waitcnt lgkmcnt(0)
	v_cndmask_b32_e64 v3, v22, v4, s[0:1]
	v_cndmask_b32_e64 v51, v2, v6, s[34:35]
	v_cmp_eq_u32_e64 s[0:1], 0, v70
	v_cndmask_b32_e64 v50, v3, 0, s[34:35]
	v_add_u32_e32 v48, v50, v70
	v_cndmask_b32_e64 v2, 0, v51, s[0:1]
	v_add_u32_e32 v49, v2, v52
	;; [unrolled: 2-line block ×10, first 2 shown]
	v_add_u32_e32 v46, v48, v69
	v_cndmask_b32_e64 v2, 0, v33, s[18:19]
	v_add_u32_e32 v44, v46, v68
	v_add_u32_e32 v31, v2, v52
	v_add_u32_e32 v42, v44, v67
	v_cndmask_b32_e64 v2, 0, v31, s[20:21]
	v_add_u32_e32 v40, v42, v66
	v_add_u32_e32 v29, v2, v52
	;; [unrolled: 4-line block ×3, first 2 shown]
	ds_read_b64 v[2:3], v23 offset:4168
	v_add_u32_e32 v34, v36, v63
	v_add_u32_e32 v32, v34, v62
	;; [unrolled: 1-line block ×3, first 2 shown]
	v_cndmask_b32_e64 v4, 0, v27, s[24:25]
	v_add_u32_e32 v28, v30, v60
	v_add_u32_e32 v23, v4, v52
	;; [unrolled: 1-line block ×3, first 2 shown]
	v_cndmask_b32_e32 v4, 0, v23, vcc
	s_waitcnt lgkmcnt(0)
	v_cmp_eq_u32_e32 vcc, 0, v2
	v_add_u32_e32 v22, v26, v58
	v_add_u32_e32 v25, v4, v52
	v_cndmask_b32_e32 v4, 0, v6, vcc
	v_add_u32_e32 v24, v22, v57
	v_add_u32_e32 v6, v4, v3
	s_and_saveexec_b64 s[0:1], s[34:35]
	s_cbranch_execz .LBB659_103
; %bb.102:
	s_add_u32 s2, s36, 0x400
	v_and_b32_e32 v3, 0xff000000, v6
	v_and_b32_e32 v4, 0xff0000, v6
	s_addc_u32 s3, s37, 0
	v_or_b32_e32 v3, v4, v3
	v_and_b32_e32 v4, 0xff00, v6
	v_and_b32_e32 v7, 0xff, v6
	v_mov_b32_e32 v5, 0
	v_or3_b32 v3, v3, v4, v7
	v_mov_b32_e32 v4, 2
	v_mov_b64_e32 v[52:53], s[2:3]
	;;#ASMSTART
	global_store_dwordx4 v[52:53], v[2:5] off sc1	
s_waitcnt vmcnt(0)
	;;#ASMEND
.LBB659_103:
	s_or_b64 exec, exec, s[0:1]
	v_mov_b32_e32 v4, 0
.LBB659_104:
	s_and_b64 s[0:1], s[38:39], exec
	s_cselect_b32 s1, 0, s31
	s_cselect_b32 s0, 0, s30
	s_cmp_eq_u64 s[0:1], 0
	v_mov_b64_e32 v[52:53], 0
	s_barrier
	s_cbranch_scc1 .LBB659_106
; %bb.105:
	v_mov_b32_e32 v3, 0
	global_load_dwordx2 v[52:53], v3, s[0:1]
.LBB659_106:
	v_cmp_eq_u32_e32 vcc, 0, v70
	s_waitcnt vmcnt(0)
	v_lshlrev_b64 v[54:55], 2, v[52:53]
	v_mov_b32_e32 v5, 0
	v_cndmask_b32_e64 v3, 1, 2, vcc
	v_cmp_eq_u32_e32 vcc, 0, v69
	s_movk_i32 s0, 0x200
	v_lshl_add_u64 v[54:55], s[44:45], 0, v[54:55]
	v_cndmask_b32_e64 v7, 1, 2, vcc
	v_cmp_eq_u32_e32 vcc, 0, v68
	v_and_b32_e32 v3, v7, v3
	v_lshlrev_b64 v[72:73], 2, v[4:5]
	v_cndmask_b32_e64 v7, 1, 2, vcc
	v_cmp_eq_u32_e32 vcc, 0, v67
	v_and_b32_e32 v3, v3, v7
	v_lshl_add_u64 v[54:55], v[54:55], 0, v[72:73]
	v_cndmask_b32_e64 v7, 1, 2, vcc
	v_cmp_eq_u32_e32 vcc, 0, v66
	v_and_b32_e32 v3, v3, v7
	v_cmp_ne_u32_e64 s[30:31], 0, v70
	v_cndmask_b32_e64 v7, 1, 2, vcc
	v_cmp_eq_u32_e32 vcc, 0, v65
	v_and_b32_e32 v3, v3, v7
	v_cmp_ne_u32_e64 s[28:29], 0, v69
	;; [unrolled: 4-line block ×11, first 2 shown]
	v_cndmask_b32_e64 v7, 1, 2, vcc
	v_and_b32_e32 v3, v3, v7
	v_cmp_gt_u32_e32 vcc, s0, v2
	v_cmp_ne_u32_e64 s[8:9], 0, v59
	v_cmp_ne_u32_e64 s[6:7], 0, v58
	;; [unrolled: 1-line block ×4, first 2 shown]
	s_mov_b64 s[36:37], -1
	v_cmp_gt_i16_e64 s[0:1], 2, v3
	s_cbranch_vccz .LBB659_113
; %bb.107:
	s_and_saveexec_b64 s[36:37], s[0:1]
	s_cbranch_execz .LBB659_112
; %bb.108:
	v_cmp_ne_u16_e32 vcc, 1, v3
	s_mov_b64 s[38:39], 0
	s_and_saveexec_b64 s[0:1], vcc
	s_xor_b64 s[0:1], exec, s[0:1]
	s_cbranch_execnz .LBB659_155
; %bb.109:
	s_andn2_saveexec_b64 s[0:1], s[0:1]
	s_cbranch_execnz .LBB659_171
.LBB659_110:
	s_or_b64 exec, exec, s[0:1]
	s_and_b64 exec, exec, s[38:39]
	s_cbranch_execz .LBB659_112
.LBB659_111:
	v_sub_u32_e32 v72, v24, v4
	v_mov_b32_e32 v73, 0
	v_lshl_add_u64 v[72:73], v[72:73], 2, v[54:55]
	global_store_dword v[72:73], v1, off
.LBB659_112:
	s_or_b64 exec, exec, s[36:37]
	s_mov_b64 s[36:37], 0
.LBB659_113:
	s_and_b64 vcc, exec, s[36:37]
	s_cbranch_vccz .LBB659_133
; %bb.114:
	v_cmp_gt_i16_e32 vcc, 2, v3
	s_and_saveexec_b64 s[0:1], vcc
	s_cbranch_execz .LBB659_119
; %bb.115:
	v_cmp_ne_u16_e32 vcc, 1, v3
	s_mov_b64 s[38:39], 0
	s_and_saveexec_b64 s[36:37], vcc
	s_xor_b64 s[36:37], exec, s[36:37]
	s_cbranch_execnz .LBB659_172
; %bb.116:
	s_andn2_saveexec_b64 s[2:3], s[36:37]
	s_cbranch_execnz .LBB659_188
.LBB659_117:
	s_or_b64 exec, exec, s[2:3]
	s_and_b64 exec, exec, s[38:39]
	s_cbranch_execz .LBB659_119
.LBB659_118:
	v_sub_u32_e32 v3, v24, v4
	v_lshlrev_b32_e32 v3, 2, v3
	ds_write_b32 v3, v1
.LBB659_119:
	s_or_b64 exec, exec, s[0:1]
	v_cmp_lt_u32_e32 vcc, v0, v2
	s_waitcnt lgkmcnt(0)
	s_barrier
	s_and_saveexec_b64 s[0:1], vcc
	s_cbranch_execz .LBB659_132
; %bb.120:
	v_xad_u32 v1, v0, -1, v2
	s_movk_i32 s2, 0x1ff
	v_cmp_lt_u32_e32 vcc, s2, v1
	s_mov_b64 s[4:5], -1
	v_mov_b32_e32 v8, v0
	s_and_saveexec_b64 s[2:3], vcc
	s_cbranch_execz .LBB659_129
; %bb.121:
	v_lshrrev_b32_e32 v3, 9, v1
	v_add_u32_e32 v8, -1, v3
	v_or_b32_e32 v1, 0x200, v0
	v_lshrrev_b32_e32 v7, 1, v8
	v_add_u32_e32 v7, 1, v7
	v_cmp_lt_u32_e32 vcc, 13, v8
	v_mov_b32_e32 v14, 0
	v_mov_b64_e32 v[8:9], v[0:1]
	s_and_saveexec_b64 s[4:5], vcc
	s_cbranch_execz .LBB659_125
; %bb.122:
	v_and_b32_e32 v12, -8, v7
	v_lshlrev_b32_e32 v13, 2, v0
	s_mov_b32 s8, 0
	s_mov_b64 s[6:7], 0
	v_mov_b32_e32 v11, 0
	v_mov_b64_e32 v[8:9], v[0:1]
.LBB659_123:                            ; =>This Inner Loop Header: Depth=1
	ds_read2st64_b32 v[16:17], v13 offset1:8
	v_mov_b32_e32 v10, v8
	ds_read2st64_b32 v[76:77], v13 offset0:48 offset1:56
	v_lshl_add_u64 v[94:95], v[10:11], 2, v[54:55]
	v_mov_b32_e32 v10, v9
	ds_read2st64_b32 v[18:19], v13 offset0:16 offset1:24
	ds_read2st64_b32 v[80:81], v13 offset0:64 offset1:72
	v_lshl_add_u64 v[98:99], v[10:11], 2, v[54:55]
	v_add_u32_e32 v10, 0x400, v8
	ds_read2st64_b32 v[84:85], v13 offset0:80 offset1:88
	v_lshl_add_u64 v[100:101], v[10:11], 2, v[54:55]
	v_add_u32_e32 v10, 0x800, v8
	v_add_u32_e32 v14, 0x400, v9
	v_mov_b32_e32 v15, v11
	v_add_u32_e32 v20, 0x800, v9
	ds_read2st64_b32 v[72:73], v13 offset0:32 offset1:40
	v_mov_b32_e32 v21, v11
	ds_read2st64_b32 v[88:89], v13 offset0:96 offset1:104
	v_lshl_add_u64 v[102:103], v[10:11], 2, v[54:55]
	v_add_u32_e32 v10, 0xc00, v8
	v_add_u32_e32 v74, 0xc00, v9
	v_mov_b32_e32 v75, v11
	ds_read2st64_b32 v[92:93], v13 offset0:112 offset1:120
	v_lshl_add_u64 v[96:97], v[14:15], 2, v[54:55]
	v_lshl_add_u64 v[20:21], v[20:21], 2, v[54:55]
	s_waitcnt lgkmcnt(7)
	global_store_dword v[94:95], v16, off
	global_store_dword v[98:99], v17, off
	s_waitcnt lgkmcnt(5)
	global_store_dword v[100:101], v18, off
	global_store_dword v[96:97], v19, off
	s_waitcnt lgkmcnt(2)
	global_store_dword v[102:103], v72, off
	global_store_dword v[20:21], v73, off
	v_lshl_add_u64 v[16:17], v[10:11], 2, v[54:55]
	v_add_u32_e32 v10, 0x1000, v8
	v_add_u32_e32 v78, 0x1000, v9
	v_mov_b32_e32 v79, v11
	v_lshl_add_u64 v[74:75], v[74:75], 2, v[54:55]
	global_store_dword v[16:17], v76, off
	global_store_dword v[74:75], v77, off
	v_lshl_add_u64 v[16:17], v[10:11], 2, v[54:55]
	v_add_u32_e32 v10, 0x1400, v8
	v_add_u32_e32 v82, 0x1400, v9
	v_mov_b32_e32 v83, v11
	v_add_u32_e32 v12, -8, v12
	v_lshl_add_u64 v[78:79], v[78:79], 2, v[54:55]
	global_store_dword v[16:17], v80, off
	global_store_dword v[78:79], v81, off
	v_lshl_add_u64 v[16:17], v[10:11], 2, v[54:55]
	v_add_u32_e32 v10, 0x1800, v8
	v_add_u32_e32 v86, 0x1800, v9
	v_mov_b32_e32 v87, v11
	s_add_i32 s8, s8, 16
	v_lshl_add_u64 v[82:83], v[82:83], 2, v[54:55]
	v_cmp_eq_u32_e32 vcc, 0, v12
	global_store_dword v[16:17], v84, off
	global_store_dword v[82:83], v85, off
	v_lshl_add_u64 v[16:17], v[10:11], 2, v[54:55]
	v_add_u32_e32 v10, 0x1c00, v8
	v_add_u32_e32 v90, 0x1c00, v9
	v_mov_b32_e32 v91, v11
	v_add_u32_e32 v13, 0x8000, v13
	v_lshl_add_u64 v[86:87], v[86:87], 2, v[54:55]
	v_add_u32_e32 v9, 0x2000, v9
	v_mov_b32_e32 v14, s8
	s_or_b64 s[6:7], vcc, s[6:7]
	v_add_u32_e32 v8, 0x2000, v8
	s_waitcnt lgkmcnt(1)
	global_store_dword v[16:17], v88, off
	global_store_dword v[86:87], v89, off
	v_lshl_add_u64 v[16:17], v[10:11], 2, v[54:55]
	v_lshl_add_u64 v[90:91], v[90:91], 2, v[54:55]
	s_waitcnt lgkmcnt(0)
	global_store_dword v[16:17], v92, off
	global_store_dword v[90:91], v93, off
	s_andn2_b64 exec, exec, s[6:7]
	s_cbranch_execnz .LBB659_123
; %bb.124:
	s_or_b64 exec, exec, s[6:7]
.LBB659_125:
	s_or_b64 exec, exec, s[4:5]
	v_and_b32_e32 v1, 7, v7
	v_cmp_ne_u32_e32 vcc, 0, v1
	s_and_saveexec_b64 s[4:5], vcc
	s_cbranch_execz .LBB659_128
; %bb.126:
	v_lshlrev_b32_e32 v7, 2, v0
	v_lshl_or_b32 v7, v14, 11, v7
	s_mov_b64 s[6:7], 0
	v_mov_b32_e32 v11, 0
.LBB659_127:                            ; =>This Inner Loop Header: Depth=1
	ds_read2st64_b32 v[12:13], v7 offset1:8
	v_add_u32_e32 v1, -1, v1
	v_mov_b32_e32 v10, v8
	v_cmp_eq_u32_e32 vcc, 0, v1
	v_add_u32_e32 v8, 0x400, v8
	v_add_u32_e32 v7, 0x1000, v7
	v_lshl_add_u64 v[14:15], v[10:11], 2, v[54:55]
	v_mov_b32_e32 v10, v9
	v_add_u32_e32 v9, 0x400, v9
	s_or_b64 s[6:7], vcc, s[6:7]
	v_lshl_add_u64 v[16:17], v[10:11], 2, v[54:55]
	s_waitcnt lgkmcnt(0)
	global_store_dword v[14:15], v12, off
	global_store_dword v[16:17], v13, off
	s_andn2_b64 exec, exec, s[6:7]
	s_cbranch_execnz .LBB659_127
.LBB659_128:
	s_or_b64 exec, exec, s[4:5]
	v_add_u32_e32 v1, 1, v3
	v_and_b32_e32 v3, 0xfffffe, v1
	v_cmp_ne_u32_e32 vcc, v1, v3
	v_lshl_or_b32 v8, v3, 9, v0
	s_orn2_b64 s[4:5], vcc, exec
.LBB659_129:
	s_or_b64 exec, exec, s[2:3]
	s_and_b64 exec, exec, s[4:5]
	s_cbranch_execz .LBB659_132
; %bb.130:
	v_lshlrev_b32_e32 v1, 2, v8
	s_mov_b64 s[2:3], 0
	v_mov_b32_e32 v9, 0
.LBB659_131:                            ; =>This Inner Loop Header: Depth=1
	ds_read_b32 v3, v1
	v_lshl_add_u64 v[10:11], v[8:9], 2, v[54:55]
	v_add_u32_e32 v8, 0x200, v8
	v_cmp_ge_u32_e32 vcc, v8, v2
	v_add_u32_e32 v1, 0x800, v1
	s_or_b64 s[2:3], vcc, s[2:3]
	s_waitcnt lgkmcnt(0)
	global_store_dword v[10:11], v3, off
	s_andn2_b64 exec, exec, s[2:3]
	s_cbranch_execnz .LBB659_131
.LBB659_132:
	s_or_b64 exec, exec, s[0:1]
.LBB659_133:
	s_cmpk_lg_i32 s33, 0x1e00
	s_cselect_b64 s[0:1], -1, 0
	v_cndmask_b32_e64 v16, 0, 1, s[42:43]
	s_and_b64 s[0:1], s[0:1], s[40:41]
	v_sub_u32_e32 v1, v2, v16
	v_cndmask_b32_e64 v3, 0, 1, s[0:1]
	s_and_b64 s[0:1], s[34:35], s[42:43]
	v_add_u32_e32 v1, v1, v3
	v_cndmask_b32_e64 v3, v70, 0, s[0:1]
	s_mul_hi_u32 s0, s33, 0x88888889
	s_lshr_b32 s0, s0, 3
	v_mad_i32_i24 v7, v0, -15, s33
	v_cmp_eq_u32_e32 vcc, s0, v0
	v_cmp_ne_u32_e64 s[0:1], 0, v7
	s_and_b64 vcc, vcc, s[40:41]
	s_mov_b32 s2, 0
	v_cndmask_b32_e64 v8, 1, v3, s[0:1]
	v_cmp_ne_u32_e64 s[0:1], 1, v7
	s_movk_i32 s30, 0x200
	s_mov_b64 s[34:35], -1
	v_cndmask_b32_e64 v9, 1, v69, s[0:1]
	v_cmp_ne_u32_e64 s[0:1], 2, v7
	s_barrier
	s_nop 0
	v_cndmask_b32_e64 v10, 1, v68, s[0:1]
	v_cmp_ne_u32_e64 s[0:1], 3, v7
	s_nop 1
	v_cndmask_b32_e64 v11, 1, v67, s[0:1]
	v_cmp_ne_u32_e64 s[0:1], 4, v7
	;; [unrolled: 3-line block ×7, first 2 shown]
	v_cndmask_b32_e32 v55, v62, v17, vcc
	v_cndmask_b32_e32 v62, v69, v9, vcc
	v_cndmask_b32_e64 v18, 1, v61, s[0:1]
	v_cmp_ne_u32_e64 s[0:1], 10, v7
	v_cndmask_b32_e32 v18, v61, v18, vcc
	v_cndmask_b32_e32 v61, v68, v10, vcc
	v_cndmask_b32_e64 v19, 1, v60, s[0:1]
	v_cmp_ne_u32_e64 s[0:1], 11, v7
	v_cndmask_b32_e32 v19, v60, v19, vcc
	v_cndmask_b32_e32 v60, v67, v11, vcc
	v_cndmask_b32_e64 v20, 1, v59, s[0:1]
	v_cmp_ne_u32_e64 s[0:1], 12, v7
	v_cndmask_b32_e32 v20, v59, v20, vcc
	v_cndmask_b32_e32 v59, v66, v12, vcc
	v_cndmask_b32_e64 v21, 1, v58, s[0:1]
	v_cmp_ne_u32_e64 s[0:1], 13, v7
	v_cndmask_b32_e32 v21, v58, v21, vcc
	v_cndmask_b32_e32 v58, v65, v13, vcc
	v_cndmask_b32_e64 v54, 1, v57, s[0:1]
	v_cmp_ne_u32_e64 s[0:1], 14, v7
	v_cndmask_b32_e32 v54, v57, v54, vcc
	v_cndmask_b32_e32 v57, v64, v14, vcc
	v_cndmask_b32_e64 v7, 1, v56, s[0:1]
	v_cndmask_b32_e32 v7, v56, v7, vcc
	v_cndmask_b32_e32 v56, v63, v15, vcc
	;; [unrolled: 1-line block ×3, first 2 shown]
	v_mov_b32_e32 v17, s2
	v_cmp_eq_u32_e32 vcc, 0, v63
	v_lshl_add_u64 v[14:15], v[16:17], 0, -1
	v_add_u32_e32 v3, v4, v16
	v_cndmask_b32_e64 v16, 1, 2, vcc
	v_cmp_eq_u32_e32 vcc, 0, v62
	v_lshlrev_b64 v[10:11], 3, v[52:53]
	v_cmp_ne_u32_e64 s[0:1], 0, v7
	v_cndmask_b32_e64 v17, 1, 2, vcc
	v_cmp_eq_u32_e32 vcc, 0, v61
	v_and_b32_e32 v16, v17, v16
	v_lshl_add_u64 v[8:9], s[46:47], 0, v[10:11]
	v_cndmask_b32_e64 v17, 1, 2, vcc
	v_cmp_eq_u32_e32 vcc, 0, v60
	v_and_b32_e32 v16, v16, v17
	v_lshlrev_b64 v[12:13], 3, v[4:5]
	v_cndmask_b32_e64 v17, 1, 2, vcc
	v_cmp_eq_u32_e32 vcc, 0, v59
	v_and_b32_e32 v16, v16, v17
	v_lshl_add_u64 v[8:9], v[8:9], 0, v[12:13]
	v_cndmask_b32_e64 v17, 1, 2, vcc
	v_cmp_eq_u32_e32 vcc, 0, v58
	v_and_b32_e32 v16, v16, v17
	v_cmp_ne_u32_e64 s[28:29], 0, v63
	v_cndmask_b32_e64 v17, 1, 2, vcc
	v_cmp_eq_u32_e32 vcc, 0, v57
	v_and_b32_e32 v16, v16, v17
	v_cmp_ne_u32_e64 s[26:27], 0, v62
	;; [unrolled: 4-line block ×10, first 2 shown]
	v_cndmask_b32_e64 v7, 1, 2, vcc
	v_and_b32_e32 v7, v16, v7
	v_cmp_gt_u32_e32 vcc, s30, v1
	v_cmp_ne_u32_e64 s[8:9], 0, v19
	v_cmp_ne_u32_e64 s[6:7], 0, v20
	;; [unrolled: 1-line block ×4, first 2 shown]
	v_cmp_gt_i16_e64 s[30:31], 2, v7
	s_cbranch_vccz .LBB659_140
; %bb.134:
	s_and_saveexec_b64 s[34:35], s[30:31]
	s_cbranch_execz .LBB659_139
; %bb.135:
	v_lshlrev_b64 v[16:17], 3, v[14:15]
	v_lshl_add_u64 v[16:17], v[8:9], 0, v[16:17]
	v_cmp_ne_u16_e32 vcc, 1, v7
	s_mov_b64 s[36:37], 0
	s_and_saveexec_b64 s[30:31], vcc
	s_xor_b64 s[30:31], exec, s[30:31]
	s_cbranch_execnz .LBB659_189
; %bb.136:
	s_andn2_saveexec_b64 s[30:31], s[30:31]
	s_cbranch_execnz .LBB659_205
.LBB659_137:
	s_or_b64 exec, exec, s[30:31]
	s_and_b64 exec, exec, s[36:37]
	s_cbranch_execz .LBB659_139
.LBB659_138:
	v_mov_b32_e32 v19, 0
	v_sub_u32_e32 v20, v24, v3
	v_mov_b32_e32 v21, v19
	v_mov_b32_e32 v18, v25
	v_lshl_add_u64 v[16:17], v[20:21], 3, v[16:17]
	global_store_dwordx2 v[16:17], v[18:19], off
.LBB659_139:
	s_or_b64 exec, exec, s[34:35]
	s_mov_b64 s[34:35], 0
.LBB659_140:
	s_and_b64 vcc, exec, s[34:35]
	s_cbranch_vccz .LBB659_150
; %bb.141:
	v_cmp_gt_i16_e32 vcc, 2, v7
	s_and_saveexec_b64 s[30:31], vcc
	s_cbranch_execz .LBB659_146
; %bb.142:
	v_cmp_ne_u16_e32 vcc, 1, v7
	s_mov_b64 s[36:37], 0
	s_and_saveexec_b64 s[34:35], vcc
	s_xor_b64 s[34:35], exec, s[34:35]
	s_cbranch_execnz .LBB659_206
; %bb.143:
	s_andn2_saveexec_b64 s[0:1], s[34:35]
	s_cbranch_execnz .LBB659_222
.LBB659_144:
	s_or_b64 exec, exec, s[0:1]
	s_and_b64 exec, exec, s[36:37]
	s_cbranch_execz .LBB659_146
.LBB659_145:
	v_sub_u32_e32 v3, v24, v3
	v_lshlrev_b32_e32 v3, 2, v3
	ds_write_b32 v3, v25
.LBB659_146:
	s_or_b64 exec, exec, s[30:31]
	v_cmp_lt_u32_e32 vcc, v0, v1
	s_waitcnt lgkmcnt(0)
	s_barrier
	s_and_saveexec_b64 s[0:1], vcc
	s_cbranch_execz .LBB659_149
; %bb.147:
	v_lshlrev_b64 v[14:15], 3, v[14:15]
	v_lshl_add_u64 v[10:11], v[10:11], 0, v[14:15]
	v_lshl_add_u64 v[12:13], v[10:11], 0, v[12:13]
	v_lshlrev_b32_e32 v10, 3, v0
	v_mov_b32_e32 v11, 0
	v_lshl_add_u64 v[12:13], s[46:47], 0, v[12:13]
	v_lshlrev_b32_e32 v3, 2, v0
	v_lshl_add_u64 v[12:13], v[12:13], 0, v[10:11]
	s_mov_b64 s[2:3], 0
	s_mov_b64 s[4:5], 0x1000
	v_mov_b32_e32 v7, v0
.LBB659_148:                            ; =>This Inner Loop Header: Depth=1
	ds_read_b32 v10, v3
	v_add_u32_e32 v7, 0x200, v7
	v_cmp_ge_u32_e32 vcc, v7, v1
	v_add_u32_e32 v3, 0x800, v3
	s_or_b64 s[2:3], vcc, s[2:3]
	s_waitcnt lgkmcnt(0)
	global_store_dwordx2 v[12:13], v[10:11], off
	v_lshl_add_u64 v[12:13], v[12:13], 0, s[4:5]
	s_andn2_b64 exec, exec, s[2:3]
	s_cbranch_execnz .LBB659_148
.LBB659_149:
	s_or_b64 exec, exec, s[0:1]
.LBB659_150:
	s_movk_i32 s0, 0x1ff
	v_cmp_eq_u32_e32 vcc, s0, v0
	s_and_b64 s[0:1], vcc, s[40:41]
	s_and_saveexec_b64 s[2:3], s[0:1]
	s_cbranch_execz .LBB659_153
; %bb.151:
	v_mov_b32_e32 v3, 0
	v_lshl_add_u64 v[0:1], v[2:3], 0, v[4:5]
	v_lshl_add_u64 v[0:1], v[0:1], 0, v[52:53]
	s_cmpk_lg_i32 s33, 0x1e00
	global_store_dwordx2 v3, v[0:1], s[48:49]
	s_cbranch_scc1 .LBB659_153
; %bb.152:
	v_lshlrev_b64 v[0:1], 3, v[2:3]
	v_mov_b32_e32 v7, v3
	v_lshl_add_u64 v[0:1], v[8:9], 0, v[0:1]
	global_store_dwordx2 v[0:1], v[6:7], off offset:-8
.LBB659_153:
	s_endpgm
.LBB659_154:
	s_or_b64 exec, exec, s[8:9]
	v_mov_b32_e32 v70, s12
	s_and_saveexec_b64 s[0:1], s[4:5]
	s_cbranch_execnz .LBB659_60
	s_branch .LBB659_61
.LBB659_155:
	s_and_saveexec_b64 s[38:39], s[30:31]
	s_cbranch_execnz .LBB659_223
; %bb.156:
	s_or_b64 exec, exec, s[38:39]
	s_and_saveexec_b64 s[38:39], s[28:29]
	s_cbranch_execnz .LBB659_224
.LBB659_157:
	s_or_b64 exec, exec, s[38:39]
	s_and_saveexec_b64 s[38:39], s[26:27]
	s_cbranch_execnz .LBB659_225
.LBB659_158:
	s_or_b64 exec, exec, s[38:39]
	s_and_saveexec_b64 s[38:39], s[24:25]
	s_cbranch_execnz .LBB659_226
.LBB659_159:
	s_or_b64 exec, exec, s[38:39]
	s_and_saveexec_b64 s[38:39], s[22:23]
	s_cbranch_execnz .LBB659_227
.LBB659_160:
	s_or_b64 exec, exec, s[38:39]
	s_and_saveexec_b64 s[38:39], s[20:21]
	s_cbranch_execnz .LBB659_228
.LBB659_161:
	s_or_b64 exec, exec, s[38:39]
	s_and_saveexec_b64 s[38:39], s[18:19]
	s_cbranch_execnz .LBB659_229
.LBB659_162:
	s_or_b64 exec, exec, s[38:39]
	s_and_saveexec_b64 s[38:39], s[16:17]
	s_cbranch_execnz .LBB659_230
.LBB659_163:
	s_or_b64 exec, exec, s[38:39]
	s_and_saveexec_b64 s[38:39], s[14:15]
	s_cbranch_execnz .LBB659_231
.LBB659_164:
	s_or_b64 exec, exec, s[38:39]
	s_and_saveexec_b64 s[38:39], s[12:13]
	s_cbranch_execnz .LBB659_232
.LBB659_165:
	s_or_b64 exec, exec, s[38:39]
	s_and_saveexec_b64 s[38:39], s[10:11]
	s_cbranch_execnz .LBB659_233
.LBB659_166:
	s_or_b64 exec, exec, s[38:39]
	s_and_saveexec_b64 s[38:39], s[8:9]
	s_cbranch_execnz .LBB659_234
.LBB659_167:
	s_or_b64 exec, exec, s[38:39]
	s_and_saveexec_b64 s[38:39], s[6:7]
	s_cbranch_execnz .LBB659_235
.LBB659_168:
	s_or_b64 exec, exec, s[38:39]
	s_and_saveexec_b64 s[38:39], s[4:5]
	s_cbranch_execz .LBB659_170
.LBB659_169:
	v_sub_u32_e32 v72, v22, v4
	v_mov_b32_e32 v73, 0
	v_lshl_add_u64 v[72:73], v[72:73], 2, v[54:55]
	global_store_dword v[72:73], v9, off
.LBB659_170:
	s_or_b64 exec, exec, s[38:39]
	s_and_b64 s[38:39], s[2:3], exec
	s_andn2_saveexec_b64 s[0:1], s[0:1]
	s_cbranch_execz .LBB659_110
.LBB659_171:
	v_sub_u32_e32 v72, v50, v4
	v_mov_b32_e32 v73, 0
	v_lshl_add_u64 v[74:75], v[72:73], 2, v[54:55]
	v_sub_u32_e32 v72, v48, v4
	global_store_dword v[74:75], v20, off
	v_lshl_add_u64 v[74:75], v[72:73], 2, v[54:55]
	v_sub_u32_e32 v72, v46, v4
	global_store_dword v[74:75], v21, off
	;; [unrolled: 3-line block ×12, first 2 shown]
	v_lshl_add_u64 v[74:75], v[72:73], 2, v[54:55]
	v_sub_u32_e32 v72, v22, v4
	v_lshl_add_u64 v[72:73], v[72:73], 2, v[54:55]
	s_or_b64 s[38:39], s[38:39], exec
	global_store_dword v[74:75], v8, off
	global_store_dword v[72:73], v9, off
	s_or_b64 exec, exec, s[0:1]
	s_and_b64 exec, exec, s[38:39]
	s_cbranch_execnz .LBB659_111
	s_branch .LBB659_112
.LBB659_172:
	s_and_saveexec_b64 s[38:39], s[30:31]
	s_cbranch_execnz .LBB659_236
; %bb.173:
	s_or_b64 exec, exec, s[38:39]
	s_and_saveexec_b64 s[30:31], s[28:29]
	s_cbranch_execnz .LBB659_237
.LBB659_174:
	s_or_b64 exec, exec, s[30:31]
	s_and_saveexec_b64 s[28:29], s[26:27]
	s_cbranch_execnz .LBB659_238
.LBB659_175:
	s_or_b64 exec, exec, s[28:29]
	s_and_saveexec_b64 s[26:27], s[24:25]
	s_cbranch_execnz .LBB659_239
.LBB659_176:
	s_or_b64 exec, exec, s[26:27]
	s_and_saveexec_b64 s[24:25], s[22:23]
	s_cbranch_execnz .LBB659_240
.LBB659_177:
	s_or_b64 exec, exec, s[24:25]
	s_and_saveexec_b64 s[22:23], s[20:21]
	s_cbranch_execnz .LBB659_241
.LBB659_178:
	s_or_b64 exec, exec, s[22:23]
	s_and_saveexec_b64 s[20:21], s[18:19]
	s_cbranch_execnz .LBB659_242
.LBB659_179:
	s_or_b64 exec, exec, s[20:21]
	s_and_saveexec_b64 s[18:19], s[16:17]
	s_cbranch_execnz .LBB659_243
.LBB659_180:
	s_or_b64 exec, exec, s[18:19]
	s_and_saveexec_b64 s[16:17], s[14:15]
	s_cbranch_execnz .LBB659_244
.LBB659_181:
	s_or_b64 exec, exec, s[16:17]
	s_and_saveexec_b64 s[14:15], s[12:13]
	s_cbranch_execnz .LBB659_245
.LBB659_182:
	s_or_b64 exec, exec, s[14:15]
	s_and_saveexec_b64 s[12:13], s[10:11]
	s_cbranch_execnz .LBB659_246
.LBB659_183:
	s_or_b64 exec, exec, s[12:13]
	s_and_saveexec_b64 s[10:11], s[8:9]
	s_cbranch_execnz .LBB659_247
.LBB659_184:
	s_or_b64 exec, exec, s[10:11]
	s_and_saveexec_b64 s[8:9], s[6:7]
	s_cbranch_execnz .LBB659_248
.LBB659_185:
	s_or_b64 exec, exec, s[8:9]
	s_and_saveexec_b64 s[6:7], s[4:5]
	s_cbranch_execz .LBB659_187
.LBB659_186:
	v_sub_u32_e32 v3, v22, v4
	v_lshlrev_b32_e32 v3, 2, v3
	ds_write_b32 v3, v9
.LBB659_187:
	s_or_b64 exec, exec, s[6:7]
	s_and_b64 s[38:39], s[2:3], exec
                                        ; implicit-def: $vgpr9
                                        ; implicit-def: $vgpr11
                                        ; implicit-def: $vgpr13
                                        ; implicit-def: $vgpr15
                                        ; implicit-def: $vgpr17
                                        ; implicit-def: $vgpr19
                                        ; implicit-def: $vgpr21
	s_andn2_saveexec_b64 s[2:3], s[36:37]
	s_cbranch_execz .LBB659_117
.LBB659_188:
	v_sub_u32_e32 v3, v50, v4
	v_lshlrev_b32_e32 v3, 2, v3
	ds_write_b32 v3, v20
	v_sub_u32_e32 v3, v48, v4
	v_lshlrev_b32_e32 v3, 2, v3
	ds_write_b32 v3, v21
	;; [unrolled: 3-line block ×13, first 2 shown]
	v_sub_u32_e32 v3, v22, v4
	v_lshlrev_b32_e32 v3, 2, v3
	s_or_b64 s[38:39], s[38:39], exec
	ds_write_b32 v3, v9
	s_or_b64 exec, exec, s[2:3]
	s_and_b64 exec, exec, s[38:39]
	s_cbranch_execnz .LBB659_118
	s_branch .LBB659_119
.LBB659_189:
	s_and_saveexec_b64 s[36:37], s[28:29]
	s_cbranch_execnz .LBB659_249
; %bb.190:
	s_or_b64 exec, exec, s[36:37]
	s_and_saveexec_b64 s[36:37], s[26:27]
	s_cbranch_execnz .LBB659_250
.LBB659_191:
	s_or_b64 exec, exec, s[36:37]
	s_and_saveexec_b64 s[36:37], s[24:25]
	s_cbranch_execnz .LBB659_251
.LBB659_192:
	s_or_b64 exec, exec, s[36:37]
	s_and_saveexec_b64 s[36:37], s[22:23]
	s_cbranch_execnz .LBB659_252
.LBB659_193:
	s_or_b64 exec, exec, s[36:37]
	s_and_saveexec_b64 s[36:37], s[20:21]
	s_cbranch_execnz .LBB659_253
.LBB659_194:
	s_or_b64 exec, exec, s[36:37]
	s_and_saveexec_b64 s[36:37], s[18:19]
	s_cbranch_execnz .LBB659_254
.LBB659_195:
	s_or_b64 exec, exec, s[36:37]
	s_and_saveexec_b64 s[36:37], s[16:17]
	s_cbranch_execnz .LBB659_255
.LBB659_196:
	s_or_b64 exec, exec, s[36:37]
	s_and_saveexec_b64 s[36:37], s[14:15]
	s_cbranch_execnz .LBB659_256
.LBB659_197:
	s_or_b64 exec, exec, s[36:37]
	s_and_saveexec_b64 s[36:37], s[12:13]
	s_cbranch_execnz .LBB659_257
.LBB659_198:
	s_or_b64 exec, exec, s[36:37]
	s_and_saveexec_b64 s[36:37], s[10:11]
	s_cbranch_execnz .LBB659_258
.LBB659_199:
	s_or_b64 exec, exec, s[36:37]
	s_and_saveexec_b64 s[36:37], s[8:9]
	s_cbranch_execnz .LBB659_259
.LBB659_200:
	s_or_b64 exec, exec, s[36:37]
	s_and_saveexec_b64 s[36:37], s[6:7]
	s_cbranch_execnz .LBB659_260
.LBB659_201:
	s_or_b64 exec, exec, s[36:37]
	s_and_saveexec_b64 s[36:37], s[4:5]
	s_cbranch_execnz .LBB659_261
.LBB659_202:
	s_or_b64 exec, exec, s[36:37]
	s_and_saveexec_b64 s[36:37], s[2:3]
	s_cbranch_execz .LBB659_204
.LBB659_203:
	v_sub_u32_e32 v18, v22, v3
	v_mov_b32_e32 v19, 0
	v_lshl_add_u64 v[20:21], v[18:19], 3, v[16:17]
	v_mov_b32_e32 v18, v23
	global_store_dwordx2 v[20:21], v[18:19], off
.LBB659_204:
	s_or_b64 exec, exec, s[36:37]
	s_and_b64 s[36:37], s[0:1], exec
	s_andn2_saveexec_b64 s[30:31], s[30:31]
	s_cbranch_execz .LBB659_137
.LBB659_205:
	v_mov_b32_e32 v19, 0
	v_sub_u32_e32 v20, v50, v3
	v_mov_b32_e32 v21, v19
	v_mov_b32_e32 v18, v51
	v_lshl_add_u64 v[20:21], v[20:21], 3, v[16:17]
	global_store_dwordx2 v[20:21], v[18:19], off
	v_sub_u32_e32 v20, v48, v3
	v_mov_b32_e32 v21, v19
	v_mov_b32_e32 v18, v49
	v_lshl_add_u64 v[20:21], v[20:21], 3, v[16:17]
	global_store_dwordx2 v[20:21], v[18:19], off
	;; [unrolled: 5-line block ×13, first 2 shown]
	v_sub_u32_e32 v20, v22, v3
	v_mov_b32_e32 v21, v19
	v_mov_b32_e32 v18, v23
	v_lshl_add_u64 v[20:21], v[20:21], 3, v[16:17]
	s_or_b64 s[36:37], s[36:37], exec
	global_store_dwordx2 v[20:21], v[18:19], off
	s_or_b64 exec, exec, s[30:31]
	s_and_b64 exec, exec, s[36:37]
	s_cbranch_execnz .LBB659_138
	s_branch .LBB659_139
.LBB659_206:
	s_and_saveexec_b64 s[36:37], s[28:29]
	s_cbranch_execnz .LBB659_262
; %bb.207:
	s_or_b64 exec, exec, s[36:37]
	s_and_saveexec_b64 s[28:29], s[26:27]
	s_cbranch_execnz .LBB659_263
.LBB659_208:
	s_or_b64 exec, exec, s[28:29]
	s_and_saveexec_b64 s[26:27], s[24:25]
	s_cbranch_execnz .LBB659_264
.LBB659_209:
	s_or_b64 exec, exec, s[26:27]
	s_and_saveexec_b64 s[24:25], s[22:23]
	s_cbranch_execnz .LBB659_265
.LBB659_210:
	s_or_b64 exec, exec, s[24:25]
	s_and_saveexec_b64 s[22:23], s[20:21]
	s_cbranch_execnz .LBB659_266
.LBB659_211:
	s_or_b64 exec, exec, s[22:23]
	s_and_saveexec_b64 s[20:21], s[18:19]
	s_cbranch_execnz .LBB659_267
.LBB659_212:
	s_or_b64 exec, exec, s[20:21]
	s_and_saveexec_b64 s[18:19], s[16:17]
	s_cbranch_execnz .LBB659_268
.LBB659_213:
	s_or_b64 exec, exec, s[18:19]
	s_and_saveexec_b64 s[16:17], s[14:15]
	s_cbranch_execnz .LBB659_269
.LBB659_214:
	s_or_b64 exec, exec, s[16:17]
	s_and_saveexec_b64 s[14:15], s[12:13]
	s_cbranch_execnz .LBB659_270
.LBB659_215:
	s_or_b64 exec, exec, s[14:15]
	s_and_saveexec_b64 s[12:13], s[10:11]
	s_cbranch_execnz .LBB659_271
.LBB659_216:
	s_or_b64 exec, exec, s[12:13]
	s_and_saveexec_b64 s[10:11], s[8:9]
	s_cbranch_execnz .LBB659_272
.LBB659_217:
	s_or_b64 exec, exec, s[10:11]
	s_and_saveexec_b64 s[8:9], s[6:7]
	s_cbranch_execnz .LBB659_273
.LBB659_218:
	s_or_b64 exec, exec, s[8:9]
	s_and_saveexec_b64 s[6:7], s[4:5]
	s_cbranch_execnz .LBB659_274
.LBB659_219:
	s_or_b64 exec, exec, s[6:7]
	s_and_saveexec_b64 s[4:5], s[2:3]
	s_cbranch_execz .LBB659_221
.LBB659_220:
	v_sub_u32_e32 v7, v22, v3
	v_lshlrev_b32_e32 v7, 2, v7
	ds_write_b32 v7, v23
.LBB659_221:
	s_or_b64 exec, exec, s[4:5]
	s_and_b64 s[36:37], s[0:1], exec
                                        ; implicit-def: $vgpr22_vgpr23
                                        ; implicit-def: $vgpr26_vgpr27
                                        ; implicit-def: $vgpr28_vgpr29
                                        ; implicit-def: $vgpr50_vgpr51
                                        ; implicit-def: $vgpr48_vgpr49
                                        ; implicit-def: $vgpr46_vgpr47
                                        ; implicit-def: $vgpr44_vgpr45
                                        ; implicit-def: $vgpr42_vgpr43
                                        ; implicit-def: $vgpr40_vgpr41
                                        ; implicit-def: $vgpr38_vgpr39
                                        ; implicit-def: $vgpr36_vgpr37
                                        ; implicit-def: $vgpr34_vgpr35
                                        ; implicit-def: $vgpr32_vgpr33
                                        ; implicit-def: $vgpr30_vgpr31
	s_andn2_saveexec_b64 s[0:1], s[34:35]
	s_cbranch_execz .LBB659_144
.LBB659_222:
	v_sub_u32_e32 v7, v50, v3
	v_lshlrev_b32_e32 v7, 2, v7
	ds_write_b32 v7, v51
	v_sub_u32_e32 v7, v48, v3
	v_lshlrev_b32_e32 v7, 2, v7
	ds_write_b32 v7, v49
	;; [unrolled: 3-line block ×13, first 2 shown]
	v_sub_u32_e32 v7, v22, v3
	v_lshlrev_b32_e32 v7, 2, v7
	s_or_b64 s[36:37], s[36:37], exec
	ds_write_b32 v7, v23
	s_or_b64 exec, exec, s[0:1]
	s_and_b64 exec, exec, s[36:37]
	s_cbranch_execnz .LBB659_145
	s_branch .LBB659_146
.LBB659_223:
	v_sub_u32_e32 v72, v50, v4
	v_mov_b32_e32 v73, 0
	v_lshl_add_u64 v[72:73], v[72:73], 2, v[54:55]
	global_store_dword v[72:73], v20, off
	s_or_b64 exec, exec, s[38:39]
	s_and_saveexec_b64 s[38:39], s[28:29]
	s_cbranch_execz .LBB659_157
.LBB659_224:
	v_sub_u32_e32 v72, v48, v4
	v_mov_b32_e32 v73, 0
	v_lshl_add_u64 v[72:73], v[72:73], 2, v[54:55]
	global_store_dword v[72:73], v21, off
	s_or_b64 exec, exec, s[38:39]
	s_and_saveexec_b64 s[38:39], s[26:27]
	s_cbranch_execz .LBB659_158
.LBB659_225:
	v_sub_u32_e32 v72, v46, v4
	v_mov_b32_e32 v73, 0
	v_lshl_add_u64 v[72:73], v[72:73], 2, v[54:55]
	global_store_dword v[72:73], v18, off
	s_or_b64 exec, exec, s[38:39]
	s_and_saveexec_b64 s[38:39], s[24:25]
	s_cbranch_execz .LBB659_159
.LBB659_226:
	v_sub_u32_e32 v72, v44, v4
	v_mov_b32_e32 v73, 0
	v_lshl_add_u64 v[72:73], v[72:73], 2, v[54:55]
	global_store_dword v[72:73], v19, off
	s_or_b64 exec, exec, s[38:39]
	s_and_saveexec_b64 s[38:39], s[22:23]
	s_cbranch_execz .LBB659_160
.LBB659_227:
	v_sub_u32_e32 v72, v42, v4
	v_mov_b32_e32 v73, 0
	v_lshl_add_u64 v[72:73], v[72:73], 2, v[54:55]
	global_store_dword v[72:73], v16, off
	s_or_b64 exec, exec, s[38:39]
	s_and_saveexec_b64 s[38:39], s[20:21]
	s_cbranch_execz .LBB659_161
.LBB659_228:
	v_sub_u32_e32 v72, v40, v4
	v_mov_b32_e32 v73, 0
	v_lshl_add_u64 v[72:73], v[72:73], 2, v[54:55]
	global_store_dword v[72:73], v17, off
	s_or_b64 exec, exec, s[38:39]
	s_and_saveexec_b64 s[38:39], s[18:19]
	s_cbranch_execz .LBB659_162
.LBB659_229:
	v_sub_u32_e32 v72, v38, v4
	v_mov_b32_e32 v73, 0
	v_lshl_add_u64 v[72:73], v[72:73], 2, v[54:55]
	global_store_dword v[72:73], v14, off
	s_or_b64 exec, exec, s[38:39]
	s_and_saveexec_b64 s[38:39], s[16:17]
	s_cbranch_execz .LBB659_163
.LBB659_230:
	v_sub_u32_e32 v72, v36, v4
	v_mov_b32_e32 v73, 0
	v_lshl_add_u64 v[72:73], v[72:73], 2, v[54:55]
	global_store_dword v[72:73], v15, off
	s_or_b64 exec, exec, s[38:39]
	s_and_saveexec_b64 s[38:39], s[14:15]
	s_cbranch_execz .LBB659_164
.LBB659_231:
	v_sub_u32_e32 v72, v34, v4
	v_mov_b32_e32 v73, 0
	v_lshl_add_u64 v[72:73], v[72:73], 2, v[54:55]
	global_store_dword v[72:73], v12, off
	s_or_b64 exec, exec, s[38:39]
	s_and_saveexec_b64 s[38:39], s[12:13]
	s_cbranch_execz .LBB659_165
.LBB659_232:
	v_sub_u32_e32 v72, v32, v4
	v_mov_b32_e32 v73, 0
	v_lshl_add_u64 v[72:73], v[72:73], 2, v[54:55]
	global_store_dword v[72:73], v13, off
	s_or_b64 exec, exec, s[38:39]
	s_and_saveexec_b64 s[38:39], s[10:11]
	s_cbranch_execz .LBB659_166
.LBB659_233:
	v_sub_u32_e32 v72, v30, v4
	v_mov_b32_e32 v73, 0
	v_lshl_add_u64 v[72:73], v[72:73], 2, v[54:55]
	global_store_dword v[72:73], v10, off
	s_or_b64 exec, exec, s[38:39]
	s_and_saveexec_b64 s[38:39], s[8:9]
	s_cbranch_execz .LBB659_167
.LBB659_234:
	v_sub_u32_e32 v72, v28, v4
	v_mov_b32_e32 v73, 0
	v_lshl_add_u64 v[72:73], v[72:73], 2, v[54:55]
	global_store_dword v[72:73], v11, off
	s_or_b64 exec, exec, s[38:39]
	s_and_saveexec_b64 s[38:39], s[6:7]
	s_cbranch_execz .LBB659_168
.LBB659_235:
	v_sub_u32_e32 v72, v26, v4
	v_mov_b32_e32 v73, 0
	v_lshl_add_u64 v[72:73], v[72:73], 2, v[54:55]
	global_store_dword v[72:73], v8, off
	s_or_b64 exec, exec, s[38:39]
	s_and_saveexec_b64 s[38:39], s[4:5]
	s_cbranch_execnz .LBB659_169
	s_branch .LBB659_170
.LBB659_236:
	v_sub_u32_e32 v3, v50, v4
	v_lshlrev_b32_e32 v3, 2, v3
	ds_write_b32 v3, v20
	s_or_b64 exec, exec, s[38:39]
	s_and_saveexec_b64 s[30:31], s[28:29]
	s_cbranch_execz .LBB659_174
.LBB659_237:
	v_sub_u32_e32 v3, v48, v4
	v_lshlrev_b32_e32 v3, 2, v3
	ds_write_b32 v3, v21
	s_or_b64 exec, exec, s[30:31]
	s_and_saveexec_b64 s[28:29], s[26:27]
	s_cbranch_execz .LBB659_175
.LBB659_238:
	v_sub_u32_e32 v3, v46, v4
	v_lshlrev_b32_e32 v3, 2, v3
	ds_write_b32 v3, v18
	s_or_b64 exec, exec, s[28:29]
	s_and_saveexec_b64 s[26:27], s[24:25]
	s_cbranch_execz .LBB659_176
.LBB659_239:
	v_sub_u32_e32 v3, v44, v4
	v_lshlrev_b32_e32 v3, 2, v3
	ds_write_b32 v3, v19
	s_or_b64 exec, exec, s[26:27]
	s_and_saveexec_b64 s[24:25], s[22:23]
	s_cbranch_execz .LBB659_177
.LBB659_240:
	v_sub_u32_e32 v3, v42, v4
	v_lshlrev_b32_e32 v3, 2, v3
	ds_write_b32 v3, v16
	s_or_b64 exec, exec, s[24:25]
	s_and_saveexec_b64 s[22:23], s[20:21]
	s_cbranch_execz .LBB659_178
.LBB659_241:
	v_sub_u32_e32 v3, v40, v4
	v_lshlrev_b32_e32 v3, 2, v3
	ds_write_b32 v3, v17
	s_or_b64 exec, exec, s[22:23]
	s_and_saveexec_b64 s[20:21], s[18:19]
	s_cbranch_execz .LBB659_179
.LBB659_242:
	v_sub_u32_e32 v3, v38, v4
	v_lshlrev_b32_e32 v3, 2, v3
	ds_write_b32 v3, v14
	s_or_b64 exec, exec, s[20:21]
	s_and_saveexec_b64 s[18:19], s[16:17]
	s_cbranch_execz .LBB659_180
.LBB659_243:
	v_sub_u32_e32 v3, v36, v4
	v_lshlrev_b32_e32 v3, 2, v3
	ds_write_b32 v3, v15
	s_or_b64 exec, exec, s[18:19]
	s_and_saveexec_b64 s[16:17], s[14:15]
	s_cbranch_execz .LBB659_181
.LBB659_244:
	v_sub_u32_e32 v3, v34, v4
	v_lshlrev_b32_e32 v3, 2, v3
	ds_write_b32 v3, v12
	s_or_b64 exec, exec, s[16:17]
	s_and_saveexec_b64 s[14:15], s[12:13]
	s_cbranch_execz .LBB659_182
.LBB659_245:
	v_sub_u32_e32 v3, v32, v4
	v_lshlrev_b32_e32 v3, 2, v3
	ds_write_b32 v3, v13
	s_or_b64 exec, exec, s[14:15]
	s_and_saveexec_b64 s[12:13], s[10:11]
	s_cbranch_execz .LBB659_183
.LBB659_246:
	v_sub_u32_e32 v3, v30, v4
	v_lshlrev_b32_e32 v3, 2, v3
	ds_write_b32 v3, v10
	s_or_b64 exec, exec, s[12:13]
	s_and_saveexec_b64 s[10:11], s[8:9]
	s_cbranch_execz .LBB659_184
.LBB659_247:
	v_sub_u32_e32 v3, v28, v4
	v_lshlrev_b32_e32 v3, 2, v3
	ds_write_b32 v3, v11
	s_or_b64 exec, exec, s[10:11]
	s_and_saveexec_b64 s[8:9], s[6:7]
	s_cbranch_execz .LBB659_185
.LBB659_248:
	v_sub_u32_e32 v3, v26, v4
	v_lshlrev_b32_e32 v3, 2, v3
	ds_write_b32 v3, v8
	s_or_b64 exec, exec, s[8:9]
	s_and_saveexec_b64 s[6:7], s[4:5]
	s_cbranch_execnz .LBB659_186
	s_branch .LBB659_187
.LBB659_249:
	v_sub_u32_e32 v18, v50, v3
	v_mov_b32_e32 v19, 0
	v_lshl_add_u64 v[20:21], v[18:19], 3, v[16:17]
	v_mov_b32_e32 v18, v51
	global_store_dwordx2 v[20:21], v[18:19], off
	s_or_b64 exec, exec, s[36:37]
	s_and_saveexec_b64 s[36:37], s[26:27]
	s_cbranch_execz .LBB659_191
.LBB659_250:
	v_sub_u32_e32 v18, v48, v3
	v_mov_b32_e32 v19, 0
	v_lshl_add_u64 v[20:21], v[18:19], 3, v[16:17]
	v_mov_b32_e32 v18, v49
	global_store_dwordx2 v[20:21], v[18:19], off
	s_or_b64 exec, exec, s[36:37]
	s_and_saveexec_b64 s[36:37], s[24:25]
	s_cbranch_execz .LBB659_192
.LBB659_251:
	v_sub_u32_e32 v18, v46, v3
	v_mov_b32_e32 v19, 0
	v_lshl_add_u64 v[20:21], v[18:19], 3, v[16:17]
	v_mov_b32_e32 v18, v47
	global_store_dwordx2 v[20:21], v[18:19], off
	s_or_b64 exec, exec, s[36:37]
	s_and_saveexec_b64 s[36:37], s[22:23]
	s_cbranch_execz .LBB659_193
.LBB659_252:
	v_sub_u32_e32 v18, v44, v3
	v_mov_b32_e32 v19, 0
	v_lshl_add_u64 v[20:21], v[18:19], 3, v[16:17]
	v_mov_b32_e32 v18, v45
	global_store_dwordx2 v[20:21], v[18:19], off
	s_or_b64 exec, exec, s[36:37]
	s_and_saveexec_b64 s[36:37], s[20:21]
	s_cbranch_execz .LBB659_194
.LBB659_253:
	v_sub_u32_e32 v18, v42, v3
	v_mov_b32_e32 v19, 0
	v_lshl_add_u64 v[20:21], v[18:19], 3, v[16:17]
	v_mov_b32_e32 v18, v43
	global_store_dwordx2 v[20:21], v[18:19], off
	s_or_b64 exec, exec, s[36:37]
	s_and_saveexec_b64 s[36:37], s[18:19]
	s_cbranch_execz .LBB659_195
.LBB659_254:
	v_sub_u32_e32 v18, v40, v3
	v_mov_b32_e32 v19, 0
	v_lshl_add_u64 v[20:21], v[18:19], 3, v[16:17]
	v_mov_b32_e32 v18, v41
	global_store_dwordx2 v[20:21], v[18:19], off
	s_or_b64 exec, exec, s[36:37]
	s_and_saveexec_b64 s[36:37], s[16:17]
	s_cbranch_execz .LBB659_196
.LBB659_255:
	v_sub_u32_e32 v18, v38, v3
	v_mov_b32_e32 v19, 0
	v_lshl_add_u64 v[20:21], v[18:19], 3, v[16:17]
	v_mov_b32_e32 v18, v39
	global_store_dwordx2 v[20:21], v[18:19], off
	s_or_b64 exec, exec, s[36:37]
	s_and_saveexec_b64 s[36:37], s[14:15]
	s_cbranch_execz .LBB659_197
.LBB659_256:
	v_sub_u32_e32 v18, v36, v3
	v_mov_b32_e32 v19, 0
	v_lshl_add_u64 v[20:21], v[18:19], 3, v[16:17]
	v_mov_b32_e32 v18, v37
	global_store_dwordx2 v[20:21], v[18:19], off
	s_or_b64 exec, exec, s[36:37]
	s_and_saveexec_b64 s[36:37], s[12:13]
	s_cbranch_execz .LBB659_198
.LBB659_257:
	v_sub_u32_e32 v18, v34, v3
	v_mov_b32_e32 v19, 0
	v_lshl_add_u64 v[20:21], v[18:19], 3, v[16:17]
	v_mov_b32_e32 v18, v35
	global_store_dwordx2 v[20:21], v[18:19], off
	s_or_b64 exec, exec, s[36:37]
	s_and_saveexec_b64 s[36:37], s[10:11]
	s_cbranch_execz .LBB659_199
.LBB659_258:
	v_sub_u32_e32 v18, v32, v3
	v_mov_b32_e32 v19, 0
	v_lshl_add_u64 v[20:21], v[18:19], 3, v[16:17]
	v_mov_b32_e32 v18, v33
	global_store_dwordx2 v[20:21], v[18:19], off
	s_or_b64 exec, exec, s[36:37]
	s_and_saveexec_b64 s[36:37], s[8:9]
	s_cbranch_execz .LBB659_200
.LBB659_259:
	v_sub_u32_e32 v18, v30, v3
	v_mov_b32_e32 v19, 0
	v_lshl_add_u64 v[20:21], v[18:19], 3, v[16:17]
	v_mov_b32_e32 v18, v31
	global_store_dwordx2 v[20:21], v[18:19], off
	s_or_b64 exec, exec, s[36:37]
	s_and_saveexec_b64 s[36:37], s[6:7]
	s_cbranch_execz .LBB659_201
.LBB659_260:
	v_sub_u32_e32 v18, v28, v3
	v_mov_b32_e32 v19, 0
	v_lshl_add_u64 v[20:21], v[18:19], 3, v[16:17]
	v_mov_b32_e32 v18, v29
	global_store_dwordx2 v[20:21], v[18:19], off
	s_or_b64 exec, exec, s[36:37]
	s_and_saveexec_b64 s[36:37], s[4:5]
	s_cbranch_execz .LBB659_202
.LBB659_261:
	v_sub_u32_e32 v18, v26, v3
	v_mov_b32_e32 v19, 0
	v_lshl_add_u64 v[20:21], v[18:19], 3, v[16:17]
	v_mov_b32_e32 v18, v27
	global_store_dwordx2 v[20:21], v[18:19], off
	s_or_b64 exec, exec, s[36:37]
	s_and_saveexec_b64 s[36:37], s[2:3]
	s_cbranch_execnz .LBB659_203
	s_branch .LBB659_204
.LBB659_262:
	v_sub_u32_e32 v7, v50, v3
	v_lshlrev_b32_e32 v7, 2, v7
	ds_write_b32 v7, v51
	s_or_b64 exec, exec, s[36:37]
	s_and_saveexec_b64 s[28:29], s[26:27]
	s_cbranch_execz .LBB659_208
.LBB659_263:
	v_sub_u32_e32 v7, v48, v3
	v_lshlrev_b32_e32 v7, 2, v7
	ds_write_b32 v7, v49
	s_or_b64 exec, exec, s[28:29]
	s_and_saveexec_b64 s[26:27], s[24:25]
	s_cbranch_execz .LBB659_209
.LBB659_264:
	v_sub_u32_e32 v7, v46, v3
	v_lshlrev_b32_e32 v7, 2, v7
	ds_write_b32 v7, v47
	s_or_b64 exec, exec, s[26:27]
	s_and_saveexec_b64 s[24:25], s[22:23]
	s_cbranch_execz .LBB659_210
.LBB659_265:
	v_sub_u32_e32 v7, v44, v3
	v_lshlrev_b32_e32 v7, 2, v7
	ds_write_b32 v7, v45
	s_or_b64 exec, exec, s[24:25]
	s_and_saveexec_b64 s[22:23], s[20:21]
	s_cbranch_execz .LBB659_211
.LBB659_266:
	v_sub_u32_e32 v7, v42, v3
	v_lshlrev_b32_e32 v7, 2, v7
	ds_write_b32 v7, v43
	s_or_b64 exec, exec, s[22:23]
	s_and_saveexec_b64 s[20:21], s[18:19]
	s_cbranch_execz .LBB659_212
.LBB659_267:
	v_sub_u32_e32 v7, v40, v3
	v_lshlrev_b32_e32 v7, 2, v7
	ds_write_b32 v7, v41
	s_or_b64 exec, exec, s[20:21]
	s_and_saveexec_b64 s[18:19], s[16:17]
	s_cbranch_execz .LBB659_213
.LBB659_268:
	v_sub_u32_e32 v7, v38, v3
	v_lshlrev_b32_e32 v7, 2, v7
	ds_write_b32 v7, v39
	s_or_b64 exec, exec, s[18:19]
	s_and_saveexec_b64 s[16:17], s[14:15]
	s_cbranch_execz .LBB659_214
.LBB659_269:
	v_sub_u32_e32 v7, v36, v3
	v_lshlrev_b32_e32 v7, 2, v7
	ds_write_b32 v7, v37
	s_or_b64 exec, exec, s[16:17]
	s_and_saveexec_b64 s[14:15], s[12:13]
	s_cbranch_execz .LBB659_215
.LBB659_270:
	v_sub_u32_e32 v7, v34, v3
	v_lshlrev_b32_e32 v7, 2, v7
	ds_write_b32 v7, v35
	s_or_b64 exec, exec, s[14:15]
	s_and_saveexec_b64 s[12:13], s[10:11]
	s_cbranch_execz .LBB659_216
.LBB659_271:
	v_sub_u32_e32 v7, v32, v3
	v_lshlrev_b32_e32 v7, 2, v7
	ds_write_b32 v7, v33
	s_or_b64 exec, exec, s[12:13]
	s_and_saveexec_b64 s[10:11], s[8:9]
	s_cbranch_execz .LBB659_217
.LBB659_272:
	v_sub_u32_e32 v7, v30, v3
	v_lshlrev_b32_e32 v7, 2, v7
	ds_write_b32 v7, v31
	s_or_b64 exec, exec, s[10:11]
	s_and_saveexec_b64 s[8:9], s[6:7]
	s_cbranch_execz .LBB659_218
.LBB659_273:
	v_sub_u32_e32 v7, v28, v3
	v_lshlrev_b32_e32 v7, 2, v7
	ds_write_b32 v7, v29
	s_or_b64 exec, exec, s[8:9]
	s_and_saveexec_b64 s[6:7], s[4:5]
	s_cbranch_execz .LBB659_219
.LBB659_274:
	v_sub_u32_e32 v7, v26, v3
	v_lshlrev_b32_e32 v7, 2, v7
	ds_write_b32 v7, v27
	s_or_b64 exec, exec, s[6:7]
	s_and_saveexec_b64 s[4:5], s[2:3]
	s_cbranch_execnz .LBB659_220
	s_branch .LBB659_221
	.section	.rodata,"a",@progbits
	.p2align	6, 0x0
	.amdhsa_kernel _ZN7rocprim17ROCPRIM_400000_NS6detail17trampoline_kernelINS0_14default_configENS1_33run_length_encode_config_selectorIjjNS0_4plusIjEEEEZZNS1_33reduce_by_key_impl_wrapped_configILNS1_25lookback_scan_determinismE0ES3_S7_PKjNS0_17constant_iteratorIjlEEPjPlSF_S6_NS0_8equal_toIjEEEE10hipError_tPvRmT2_T3_mT4_T5_T6_T7_T8_P12ihipStream_tbENKUlT_T0_E_clISt17integral_constantIbLb1EESZ_EEDaSU_SV_EUlSU_E_NS1_11comp_targetILNS1_3genE5ELNS1_11target_archE942ELNS1_3gpuE9ELNS1_3repE0EEENS1_30default_config_static_selectorELNS0_4arch9wavefront6targetE1EEEvT1_
		.amdhsa_group_segment_fixed_size 30720
		.amdhsa_private_segment_fixed_size 0
		.amdhsa_kernarg_size 128
		.amdhsa_user_sgpr_count 2
		.amdhsa_user_sgpr_dispatch_ptr 0
		.amdhsa_user_sgpr_queue_ptr 0
		.amdhsa_user_sgpr_kernarg_segment_ptr 1
		.amdhsa_user_sgpr_dispatch_id 0
		.amdhsa_user_sgpr_kernarg_preload_length 0
		.amdhsa_user_sgpr_kernarg_preload_offset 0
		.amdhsa_user_sgpr_private_segment_size 0
		.amdhsa_uses_dynamic_stack 0
		.amdhsa_enable_private_segment 0
		.amdhsa_system_sgpr_workgroup_id_x 1
		.amdhsa_system_sgpr_workgroup_id_y 0
		.amdhsa_system_sgpr_workgroup_id_z 0
		.amdhsa_system_sgpr_workgroup_info 0
		.amdhsa_system_vgpr_workitem_id 0
		.amdhsa_next_free_vgpr 104
		.amdhsa_next_free_sgpr 66
		.amdhsa_accum_offset 104
		.amdhsa_reserve_vcc 1
		.amdhsa_float_round_mode_32 0
		.amdhsa_float_round_mode_16_64 0
		.amdhsa_float_denorm_mode_32 3
		.amdhsa_float_denorm_mode_16_64 3
		.amdhsa_dx10_clamp 1
		.amdhsa_ieee_mode 1
		.amdhsa_fp16_overflow 0
		.amdhsa_tg_split 0
		.amdhsa_exception_fp_ieee_invalid_op 0
		.amdhsa_exception_fp_denorm_src 0
		.amdhsa_exception_fp_ieee_div_zero 0
		.amdhsa_exception_fp_ieee_overflow 0
		.amdhsa_exception_fp_ieee_underflow 0
		.amdhsa_exception_fp_ieee_inexact 0
		.amdhsa_exception_int_div_zero 0
	.end_amdhsa_kernel
	.section	.text._ZN7rocprim17ROCPRIM_400000_NS6detail17trampoline_kernelINS0_14default_configENS1_33run_length_encode_config_selectorIjjNS0_4plusIjEEEEZZNS1_33reduce_by_key_impl_wrapped_configILNS1_25lookback_scan_determinismE0ES3_S7_PKjNS0_17constant_iteratorIjlEEPjPlSF_S6_NS0_8equal_toIjEEEE10hipError_tPvRmT2_T3_mT4_T5_T6_T7_T8_P12ihipStream_tbENKUlT_T0_E_clISt17integral_constantIbLb1EESZ_EEDaSU_SV_EUlSU_E_NS1_11comp_targetILNS1_3genE5ELNS1_11target_archE942ELNS1_3gpuE9ELNS1_3repE0EEENS1_30default_config_static_selectorELNS0_4arch9wavefront6targetE1EEEvT1_,"axG",@progbits,_ZN7rocprim17ROCPRIM_400000_NS6detail17trampoline_kernelINS0_14default_configENS1_33run_length_encode_config_selectorIjjNS0_4plusIjEEEEZZNS1_33reduce_by_key_impl_wrapped_configILNS1_25lookback_scan_determinismE0ES3_S7_PKjNS0_17constant_iteratorIjlEEPjPlSF_S6_NS0_8equal_toIjEEEE10hipError_tPvRmT2_T3_mT4_T5_T6_T7_T8_P12ihipStream_tbENKUlT_T0_E_clISt17integral_constantIbLb1EESZ_EEDaSU_SV_EUlSU_E_NS1_11comp_targetILNS1_3genE5ELNS1_11target_archE942ELNS1_3gpuE9ELNS1_3repE0EEENS1_30default_config_static_selectorELNS0_4arch9wavefront6targetE1EEEvT1_,comdat
.Lfunc_end659:
	.size	_ZN7rocprim17ROCPRIM_400000_NS6detail17trampoline_kernelINS0_14default_configENS1_33run_length_encode_config_selectorIjjNS0_4plusIjEEEEZZNS1_33reduce_by_key_impl_wrapped_configILNS1_25lookback_scan_determinismE0ES3_S7_PKjNS0_17constant_iteratorIjlEEPjPlSF_S6_NS0_8equal_toIjEEEE10hipError_tPvRmT2_T3_mT4_T5_T6_T7_T8_P12ihipStream_tbENKUlT_T0_E_clISt17integral_constantIbLb1EESZ_EEDaSU_SV_EUlSU_E_NS1_11comp_targetILNS1_3genE5ELNS1_11target_archE942ELNS1_3gpuE9ELNS1_3repE0EEENS1_30default_config_static_selectorELNS0_4arch9wavefront6targetE1EEEvT1_, .Lfunc_end659-_ZN7rocprim17ROCPRIM_400000_NS6detail17trampoline_kernelINS0_14default_configENS1_33run_length_encode_config_selectorIjjNS0_4plusIjEEEEZZNS1_33reduce_by_key_impl_wrapped_configILNS1_25lookback_scan_determinismE0ES3_S7_PKjNS0_17constant_iteratorIjlEEPjPlSF_S6_NS0_8equal_toIjEEEE10hipError_tPvRmT2_T3_mT4_T5_T6_T7_T8_P12ihipStream_tbENKUlT_T0_E_clISt17integral_constantIbLb1EESZ_EEDaSU_SV_EUlSU_E_NS1_11comp_targetILNS1_3genE5ELNS1_11target_archE942ELNS1_3gpuE9ELNS1_3repE0EEENS1_30default_config_static_selectorELNS0_4arch9wavefront6targetE1EEEvT1_
                                        ; -- End function
	.section	.AMDGPU.csdata,"",@progbits
; Kernel info:
; codeLenInByte = 14968
; NumSgprs: 72
; NumVgprs: 104
; NumAgprs: 0
; TotalNumVgprs: 104
; ScratchSize: 0
; MemoryBound: 0
; FloatMode: 240
; IeeeMode: 1
; LDSByteSize: 30720 bytes/workgroup (compile time only)
; SGPRBlocks: 8
; VGPRBlocks: 12
; NumSGPRsForWavesPerEU: 72
; NumVGPRsForWavesPerEU: 104
; AccumOffset: 104
; Occupancy: 4
; WaveLimiterHint : 1
; COMPUTE_PGM_RSRC2:SCRATCH_EN: 0
; COMPUTE_PGM_RSRC2:USER_SGPR: 2
; COMPUTE_PGM_RSRC2:TRAP_HANDLER: 0
; COMPUTE_PGM_RSRC2:TGID_X_EN: 1
; COMPUTE_PGM_RSRC2:TGID_Y_EN: 0
; COMPUTE_PGM_RSRC2:TGID_Z_EN: 0
; COMPUTE_PGM_RSRC2:TIDIG_COMP_CNT: 0
; COMPUTE_PGM_RSRC3_GFX90A:ACCUM_OFFSET: 25
; COMPUTE_PGM_RSRC3_GFX90A:TG_SPLIT: 0
	.section	.text._ZN7rocprim17ROCPRIM_400000_NS6detail17trampoline_kernelINS0_14default_configENS1_33run_length_encode_config_selectorIjjNS0_4plusIjEEEEZZNS1_33reduce_by_key_impl_wrapped_configILNS1_25lookback_scan_determinismE0ES3_S7_PKjNS0_17constant_iteratorIjlEEPjPlSF_S6_NS0_8equal_toIjEEEE10hipError_tPvRmT2_T3_mT4_T5_T6_T7_T8_P12ihipStream_tbENKUlT_T0_E_clISt17integral_constantIbLb1EESZ_EEDaSU_SV_EUlSU_E_NS1_11comp_targetILNS1_3genE4ELNS1_11target_archE910ELNS1_3gpuE8ELNS1_3repE0EEENS1_30default_config_static_selectorELNS0_4arch9wavefront6targetE1EEEvT1_,"axG",@progbits,_ZN7rocprim17ROCPRIM_400000_NS6detail17trampoline_kernelINS0_14default_configENS1_33run_length_encode_config_selectorIjjNS0_4plusIjEEEEZZNS1_33reduce_by_key_impl_wrapped_configILNS1_25lookback_scan_determinismE0ES3_S7_PKjNS0_17constant_iteratorIjlEEPjPlSF_S6_NS0_8equal_toIjEEEE10hipError_tPvRmT2_T3_mT4_T5_T6_T7_T8_P12ihipStream_tbENKUlT_T0_E_clISt17integral_constantIbLb1EESZ_EEDaSU_SV_EUlSU_E_NS1_11comp_targetILNS1_3genE4ELNS1_11target_archE910ELNS1_3gpuE8ELNS1_3repE0EEENS1_30default_config_static_selectorELNS0_4arch9wavefront6targetE1EEEvT1_,comdat
	.protected	_ZN7rocprim17ROCPRIM_400000_NS6detail17trampoline_kernelINS0_14default_configENS1_33run_length_encode_config_selectorIjjNS0_4plusIjEEEEZZNS1_33reduce_by_key_impl_wrapped_configILNS1_25lookback_scan_determinismE0ES3_S7_PKjNS0_17constant_iteratorIjlEEPjPlSF_S6_NS0_8equal_toIjEEEE10hipError_tPvRmT2_T3_mT4_T5_T6_T7_T8_P12ihipStream_tbENKUlT_T0_E_clISt17integral_constantIbLb1EESZ_EEDaSU_SV_EUlSU_E_NS1_11comp_targetILNS1_3genE4ELNS1_11target_archE910ELNS1_3gpuE8ELNS1_3repE0EEENS1_30default_config_static_selectorELNS0_4arch9wavefront6targetE1EEEvT1_ ; -- Begin function _ZN7rocprim17ROCPRIM_400000_NS6detail17trampoline_kernelINS0_14default_configENS1_33run_length_encode_config_selectorIjjNS0_4plusIjEEEEZZNS1_33reduce_by_key_impl_wrapped_configILNS1_25lookback_scan_determinismE0ES3_S7_PKjNS0_17constant_iteratorIjlEEPjPlSF_S6_NS0_8equal_toIjEEEE10hipError_tPvRmT2_T3_mT4_T5_T6_T7_T8_P12ihipStream_tbENKUlT_T0_E_clISt17integral_constantIbLb1EESZ_EEDaSU_SV_EUlSU_E_NS1_11comp_targetILNS1_3genE4ELNS1_11target_archE910ELNS1_3gpuE8ELNS1_3repE0EEENS1_30default_config_static_selectorELNS0_4arch9wavefront6targetE1EEEvT1_
	.globl	_ZN7rocprim17ROCPRIM_400000_NS6detail17trampoline_kernelINS0_14default_configENS1_33run_length_encode_config_selectorIjjNS0_4plusIjEEEEZZNS1_33reduce_by_key_impl_wrapped_configILNS1_25lookback_scan_determinismE0ES3_S7_PKjNS0_17constant_iteratorIjlEEPjPlSF_S6_NS0_8equal_toIjEEEE10hipError_tPvRmT2_T3_mT4_T5_T6_T7_T8_P12ihipStream_tbENKUlT_T0_E_clISt17integral_constantIbLb1EESZ_EEDaSU_SV_EUlSU_E_NS1_11comp_targetILNS1_3genE4ELNS1_11target_archE910ELNS1_3gpuE8ELNS1_3repE0EEENS1_30default_config_static_selectorELNS0_4arch9wavefront6targetE1EEEvT1_
	.p2align	8
	.type	_ZN7rocprim17ROCPRIM_400000_NS6detail17trampoline_kernelINS0_14default_configENS1_33run_length_encode_config_selectorIjjNS0_4plusIjEEEEZZNS1_33reduce_by_key_impl_wrapped_configILNS1_25lookback_scan_determinismE0ES3_S7_PKjNS0_17constant_iteratorIjlEEPjPlSF_S6_NS0_8equal_toIjEEEE10hipError_tPvRmT2_T3_mT4_T5_T6_T7_T8_P12ihipStream_tbENKUlT_T0_E_clISt17integral_constantIbLb1EESZ_EEDaSU_SV_EUlSU_E_NS1_11comp_targetILNS1_3genE4ELNS1_11target_archE910ELNS1_3gpuE8ELNS1_3repE0EEENS1_30default_config_static_selectorELNS0_4arch9wavefront6targetE1EEEvT1_,@function
_ZN7rocprim17ROCPRIM_400000_NS6detail17trampoline_kernelINS0_14default_configENS1_33run_length_encode_config_selectorIjjNS0_4plusIjEEEEZZNS1_33reduce_by_key_impl_wrapped_configILNS1_25lookback_scan_determinismE0ES3_S7_PKjNS0_17constant_iteratorIjlEEPjPlSF_S6_NS0_8equal_toIjEEEE10hipError_tPvRmT2_T3_mT4_T5_T6_T7_T8_P12ihipStream_tbENKUlT_T0_E_clISt17integral_constantIbLb1EESZ_EEDaSU_SV_EUlSU_E_NS1_11comp_targetILNS1_3genE4ELNS1_11target_archE910ELNS1_3gpuE8ELNS1_3repE0EEENS1_30default_config_static_selectorELNS0_4arch9wavefront6targetE1EEEvT1_: ; @_ZN7rocprim17ROCPRIM_400000_NS6detail17trampoline_kernelINS0_14default_configENS1_33run_length_encode_config_selectorIjjNS0_4plusIjEEEEZZNS1_33reduce_by_key_impl_wrapped_configILNS1_25lookback_scan_determinismE0ES3_S7_PKjNS0_17constant_iteratorIjlEEPjPlSF_S6_NS0_8equal_toIjEEEE10hipError_tPvRmT2_T3_mT4_T5_T6_T7_T8_P12ihipStream_tbENKUlT_T0_E_clISt17integral_constantIbLb1EESZ_EEDaSU_SV_EUlSU_E_NS1_11comp_targetILNS1_3genE4ELNS1_11target_archE910ELNS1_3gpuE8ELNS1_3repE0EEENS1_30default_config_static_selectorELNS0_4arch9wavefront6targetE1EEEvT1_
; %bb.0:
	.section	.rodata,"a",@progbits
	.p2align	6, 0x0
	.amdhsa_kernel _ZN7rocprim17ROCPRIM_400000_NS6detail17trampoline_kernelINS0_14default_configENS1_33run_length_encode_config_selectorIjjNS0_4plusIjEEEEZZNS1_33reduce_by_key_impl_wrapped_configILNS1_25lookback_scan_determinismE0ES3_S7_PKjNS0_17constant_iteratorIjlEEPjPlSF_S6_NS0_8equal_toIjEEEE10hipError_tPvRmT2_T3_mT4_T5_T6_T7_T8_P12ihipStream_tbENKUlT_T0_E_clISt17integral_constantIbLb1EESZ_EEDaSU_SV_EUlSU_E_NS1_11comp_targetILNS1_3genE4ELNS1_11target_archE910ELNS1_3gpuE8ELNS1_3repE0EEENS1_30default_config_static_selectorELNS0_4arch9wavefront6targetE1EEEvT1_
		.amdhsa_group_segment_fixed_size 0
		.amdhsa_private_segment_fixed_size 0
		.amdhsa_kernarg_size 128
		.amdhsa_user_sgpr_count 2
		.amdhsa_user_sgpr_dispatch_ptr 0
		.amdhsa_user_sgpr_queue_ptr 0
		.amdhsa_user_sgpr_kernarg_segment_ptr 1
		.amdhsa_user_sgpr_dispatch_id 0
		.amdhsa_user_sgpr_kernarg_preload_length 0
		.amdhsa_user_sgpr_kernarg_preload_offset 0
		.amdhsa_user_sgpr_private_segment_size 0
		.amdhsa_uses_dynamic_stack 0
		.amdhsa_enable_private_segment 0
		.amdhsa_system_sgpr_workgroup_id_x 1
		.amdhsa_system_sgpr_workgroup_id_y 0
		.amdhsa_system_sgpr_workgroup_id_z 0
		.amdhsa_system_sgpr_workgroup_info 0
		.amdhsa_system_vgpr_workitem_id 0
		.amdhsa_next_free_vgpr 1
		.amdhsa_next_free_sgpr 0
		.amdhsa_accum_offset 4
		.amdhsa_reserve_vcc 0
		.amdhsa_float_round_mode_32 0
		.amdhsa_float_round_mode_16_64 0
		.amdhsa_float_denorm_mode_32 3
		.amdhsa_float_denorm_mode_16_64 3
		.amdhsa_dx10_clamp 1
		.amdhsa_ieee_mode 1
		.amdhsa_fp16_overflow 0
		.amdhsa_tg_split 0
		.amdhsa_exception_fp_ieee_invalid_op 0
		.amdhsa_exception_fp_denorm_src 0
		.amdhsa_exception_fp_ieee_div_zero 0
		.amdhsa_exception_fp_ieee_overflow 0
		.amdhsa_exception_fp_ieee_underflow 0
		.amdhsa_exception_fp_ieee_inexact 0
		.amdhsa_exception_int_div_zero 0
	.end_amdhsa_kernel
	.section	.text._ZN7rocprim17ROCPRIM_400000_NS6detail17trampoline_kernelINS0_14default_configENS1_33run_length_encode_config_selectorIjjNS0_4plusIjEEEEZZNS1_33reduce_by_key_impl_wrapped_configILNS1_25lookback_scan_determinismE0ES3_S7_PKjNS0_17constant_iteratorIjlEEPjPlSF_S6_NS0_8equal_toIjEEEE10hipError_tPvRmT2_T3_mT4_T5_T6_T7_T8_P12ihipStream_tbENKUlT_T0_E_clISt17integral_constantIbLb1EESZ_EEDaSU_SV_EUlSU_E_NS1_11comp_targetILNS1_3genE4ELNS1_11target_archE910ELNS1_3gpuE8ELNS1_3repE0EEENS1_30default_config_static_selectorELNS0_4arch9wavefront6targetE1EEEvT1_,"axG",@progbits,_ZN7rocprim17ROCPRIM_400000_NS6detail17trampoline_kernelINS0_14default_configENS1_33run_length_encode_config_selectorIjjNS0_4plusIjEEEEZZNS1_33reduce_by_key_impl_wrapped_configILNS1_25lookback_scan_determinismE0ES3_S7_PKjNS0_17constant_iteratorIjlEEPjPlSF_S6_NS0_8equal_toIjEEEE10hipError_tPvRmT2_T3_mT4_T5_T6_T7_T8_P12ihipStream_tbENKUlT_T0_E_clISt17integral_constantIbLb1EESZ_EEDaSU_SV_EUlSU_E_NS1_11comp_targetILNS1_3genE4ELNS1_11target_archE910ELNS1_3gpuE8ELNS1_3repE0EEENS1_30default_config_static_selectorELNS0_4arch9wavefront6targetE1EEEvT1_,comdat
.Lfunc_end660:
	.size	_ZN7rocprim17ROCPRIM_400000_NS6detail17trampoline_kernelINS0_14default_configENS1_33run_length_encode_config_selectorIjjNS0_4plusIjEEEEZZNS1_33reduce_by_key_impl_wrapped_configILNS1_25lookback_scan_determinismE0ES3_S7_PKjNS0_17constant_iteratorIjlEEPjPlSF_S6_NS0_8equal_toIjEEEE10hipError_tPvRmT2_T3_mT4_T5_T6_T7_T8_P12ihipStream_tbENKUlT_T0_E_clISt17integral_constantIbLb1EESZ_EEDaSU_SV_EUlSU_E_NS1_11comp_targetILNS1_3genE4ELNS1_11target_archE910ELNS1_3gpuE8ELNS1_3repE0EEENS1_30default_config_static_selectorELNS0_4arch9wavefront6targetE1EEEvT1_, .Lfunc_end660-_ZN7rocprim17ROCPRIM_400000_NS6detail17trampoline_kernelINS0_14default_configENS1_33run_length_encode_config_selectorIjjNS0_4plusIjEEEEZZNS1_33reduce_by_key_impl_wrapped_configILNS1_25lookback_scan_determinismE0ES3_S7_PKjNS0_17constant_iteratorIjlEEPjPlSF_S6_NS0_8equal_toIjEEEE10hipError_tPvRmT2_T3_mT4_T5_T6_T7_T8_P12ihipStream_tbENKUlT_T0_E_clISt17integral_constantIbLb1EESZ_EEDaSU_SV_EUlSU_E_NS1_11comp_targetILNS1_3genE4ELNS1_11target_archE910ELNS1_3gpuE8ELNS1_3repE0EEENS1_30default_config_static_selectorELNS0_4arch9wavefront6targetE1EEEvT1_
                                        ; -- End function
	.section	.AMDGPU.csdata,"",@progbits
; Kernel info:
; codeLenInByte = 0
; NumSgprs: 6
; NumVgprs: 0
; NumAgprs: 0
; TotalNumVgprs: 0
; ScratchSize: 0
; MemoryBound: 0
; FloatMode: 240
; IeeeMode: 1
; LDSByteSize: 0 bytes/workgroup (compile time only)
; SGPRBlocks: 0
; VGPRBlocks: 0
; NumSGPRsForWavesPerEU: 6
; NumVGPRsForWavesPerEU: 1
; AccumOffset: 4
; Occupancy: 8
; WaveLimiterHint : 0
; COMPUTE_PGM_RSRC2:SCRATCH_EN: 0
; COMPUTE_PGM_RSRC2:USER_SGPR: 2
; COMPUTE_PGM_RSRC2:TRAP_HANDLER: 0
; COMPUTE_PGM_RSRC2:TGID_X_EN: 1
; COMPUTE_PGM_RSRC2:TGID_Y_EN: 0
; COMPUTE_PGM_RSRC2:TGID_Z_EN: 0
; COMPUTE_PGM_RSRC2:TIDIG_COMP_CNT: 0
; COMPUTE_PGM_RSRC3_GFX90A:ACCUM_OFFSET: 0
; COMPUTE_PGM_RSRC3_GFX90A:TG_SPLIT: 0
	.section	.text._ZN7rocprim17ROCPRIM_400000_NS6detail17trampoline_kernelINS0_14default_configENS1_33run_length_encode_config_selectorIjjNS0_4plusIjEEEEZZNS1_33reduce_by_key_impl_wrapped_configILNS1_25lookback_scan_determinismE0ES3_S7_PKjNS0_17constant_iteratorIjlEEPjPlSF_S6_NS0_8equal_toIjEEEE10hipError_tPvRmT2_T3_mT4_T5_T6_T7_T8_P12ihipStream_tbENKUlT_T0_E_clISt17integral_constantIbLb1EESZ_EEDaSU_SV_EUlSU_E_NS1_11comp_targetILNS1_3genE3ELNS1_11target_archE908ELNS1_3gpuE7ELNS1_3repE0EEENS1_30default_config_static_selectorELNS0_4arch9wavefront6targetE1EEEvT1_,"axG",@progbits,_ZN7rocprim17ROCPRIM_400000_NS6detail17trampoline_kernelINS0_14default_configENS1_33run_length_encode_config_selectorIjjNS0_4plusIjEEEEZZNS1_33reduce_by_key_impl_wrapped_configILNS1_25lookback_scan_determinismE0ES3_S7_PKjNS0_17constant_iteratorIjlEEPjPlSF_S6_NS0_8equal_toIjEEEE10hipError_tPvRmT2_T3_mT4_T5_T6_T7_T8_P12ihipStream_tbENKUlT_T0_E_clISt17integral_constantIbLb1EESZ_EEDaSU_SV_EUlSU_E_NS1_11comp_targetILNS1_3genE3ELNS1_11target_archE908ELNS1_3gpuE7ELNS1_3repE0EEENS1_30default_config_static_selectorELNS0_4arch9wavefront6targetE1EEEvT1_,comdat
	.protected	_ZN7rocprim17ROCPRIM_400000_NS6detail17trampoline_kernelINS0_14default_configENS1_33run_length_encode_config_selectorIjjNS0_4plusIjEEEEZZNS1_33reduce_by_key_impl_wrapped_configILNS1_25lookback_scan_determinismE0ES3_S7_PKjNS0_17constant_iteratorIjlEEPjPlSF_S6_NS0_8equal_toIjEEEE10hipError_tPvRmT2_T3_mT4_T5_T6_T7_T8_P12ihipStream_tbENKUlT_T0_E_clISt17integral_constantIbLb1EESZ_EEDaSU_SV_EUlSU_E_NS1_11comp_targetILNS1_3genE3ELNS1_11target_archE908ELNS1_3gpuE7ELNS1_3repE0EEENS1_30default_config_static_selectorELNS0_4arch9wavefront6targetE1EEEvT1_ ; -- Begin function _ZN7rocprim17ROCPRIM_400000_NS6detail17trampoline_kernelINS0_14default_configENS1_33run_length_encode_config_selectorIjjNS0_4plusIjEEEEZZNS1_33reduce_by_key_impl_wrapped_configILNS1_25lookback_scan_determinismE0ES3_S7_PKjNS0_17constant_iteratorIjlEEPjPlSF_S6_NS0_8equal_toIjEEEE10hipError_tPvRmT2_T3_mT4_T5_T6_T7_T8_P12ihipStream_tbENKUlT_T0_E_clISt17integral_constantIbLb1EESZ_EEDaSU_SV_EUlSU_E_NS1_11comp_targetILNS1_3genE3ELNS1_11target_archE908ELNS1_3gpuE7ELNS1_3repE0EEENS1_30default_config_static_selectorELNS0_4arch9wavefront6targetE1EEEvT1_
	.globl	_ZN7rocprim17ROCPRIM_400000_NS6detail17trampoline_kernelINS0_14default_configENS1_33run_length_encode_config_selectorIjjNS0_4plusIjEEEEZZNS1_33reduce_by_key_impl_wrapped_configILNS1_25lookback_scan_determinismE0ES3_S7_PKjNS0_17constant_iteratorIjlEEPjPlSF_S6_NS0_8equal_toIjEEEE10hipError_tPvRmT2_T3_mT4_T5_T6_T7_T8_P12ihipStream_tbENKUlT_T0_E_clISt17integral_constantIbLb1EESZ_EEDaSU_SV_EUlSU_E_NS1_11comp_targetILNS1_3genE3ELNS1_11target_archE908ELNS1_3gpuE7ELNS1_3repE0EEENS1_30default_config_static_selectorELNS0_4arch9wavefront6targetE1EEEvT1_
	.p2align	8
	.type	_ZN7rocprim17ROCPRIM_400000_NS6detail17trampoline_kernelINS0_14default_configENS1_33run_length_encode_config_selectorIjjNS0_4plusIjEEEEZZNS1_33reduce_by_key_impl_wrapped_configILNS1_25lookback_scan_determinismE0ES3_S7_PKjNS0_17constant_iteratorIjlEEPjPlSF_S6_NS0_8equal_toIjEEEE10hipError_tPvRmT2_T3_mT4_T5_T6_T7_T8_P12ihipStream_tbENKUlT_T0_E_clISt17integral_constantIbLb1EESZ_EEDaSU_SV_EUlSU_E_NS1_11comp_targetILNS1_3genE3ELNS1_11target_archE908ELNS1_3gpuE7ELNS1_3repE0EEENS1_30default_config_static_selectorELNS0_4arch9wavefront6targetE1EEEvT1_,@function
_ZN7rocprim17ROCPRIM_400000_NS6detail17trampoline_kernelINS0_14default_configENS1_33run_length_encode_config_selectorIjjNS0_4plusIjEEEEZZNS1_33reduce_by_key_impl_wrapped_configILNS1_25lookback_scan_determinismE0ES3_S7_PKjNS0_17constant_iteratorIjlEEPjPlSF_S6_NS0_8equal_toIjEEEE10hipError_tPvRmT2_T3_mT4_T5_T6_T7_T8_P12ihipStream_tbENKUlT_T0_E_clISt17integral_constantIbLb1EESZ_EEDaSU_SV_EUlSU_E_NS1_11comp_targetILNS1_3genE3ELNS1_11target_archE908ELNS1_3gpuE7ELNS1_3repE0EEENS1_30default_config_static_selectorELNS0_4arch9wavefront6targetE1EEEvT1_: ; @_ZN7rocprim17ROCPRIM_400000_NS6detail17trampoline_kernelINS0_14default_configENS1_33run_length_encode_config_selectorIjjNS0_4plusIjEEEEZZNS1_33reduce_by_key_impl_wrapped_configILNS1_25lookback_scan_determinismE0ES3_S7_PKjNS0_17constant_iteratorIjlEEPjPlSF_S6_NS0_8equal_toIjEEEE10hipError_tPvRmT2_T3_mT4_T5_T6_T7_T8_P12ihipStream_tbENKUlT_T0_E_clISt17integral_constantIbLb1EESZ_EEDaSU_SV_EUlSU_E_NS1_11comp_targetILNS1_3genE3ELNS1_11target_archE908ELNS1_3gpuE7ELNS1_3repE0EEENS1_30default_config_static_selectorELNS0_4arch9wavefront6targetE1EEEvT1_
; %bb.0:
	.section	.rodata,"a",@progbits
	.p2align	6, 0x0
	.amdhsa_kernel _ZN7rocprim17ROCPRIM_400000_NS6detail17trampoline_kernelINS0_14default_configENS1_33run_length_encode_config_selectorIjjNS0_4plusIjEEEEZZNS1_33reduce_by_key_impl_wrapped_configILNS1_25lookback_scan_determinismE0ES3_S7_PKjNS0_17constant_iteratorIjlEEPjPlSF_S6_NS0_8equal_toIjEEEE10hipError_tPvRmT2_T3_mT4_T5_T6_T7_T8_P12ihipStream_tbENKUlT_T0_E_clISt17integral_constantIbLb1EESZ_EEDaSU_SV_EUlSU_E_NS1_11comp_targetILNS1_3genE3ELNS1_11target_archE908ELNS1_3gpuE7ELNS1_3repE0EEENS1_30default_config_static_selectorELNS0_4arch9wavefront6targetE1EEEvT1_
		.amdhsa_group_segment_fixed_size 0
		.amdhsa_private_segment_fixed_size 0
		.amdhsa_kernarg_size 128
		.amdhsa_user_sgpr_count 2
		.amdhsa_user_sgpr_dispatch_ptr 0
		.amdhsa_user_sgpr_queue_ptr 0
		.amdhsa_user_sgpr_kernarg_segment_ptr 1
		.amdhsa_user_sgpr_dispatch_id 0
		.amdhsa_user_sgpr_kernarg_preload_length 0
		.amdhsa_user_sgpr_kernarg_preload_offset 0
		.amdhsa_user_sgpr_private_segment_size 0
		.amdhsa_uses_dynamic_stack 0
		.amdhsa_enable_private_segment 0
		.amdhsa_system_sgpr_workgroup_id_x 1
		.amdhsa_system_sgpr_workgroup_id_y 0
		.amdhsa_system_sgpr_workgroup_id_z 0
		.amdhsa_system_sgpr_workgroup_info 0
		.amdhsa_system_vgpr_workitem_id 0
		.amdhsa_next_free_vgpr 1
		.amdhsa_next_free_sgpr 0
		.amdhsa_accum_offset 4
		.amdhsa_reserve_vcc 0
		.amdhsa_float_round_mode_32 0
		.amdhsa_float_round_mode_16_64 0
		.amdhsa_float_denorm_mode_32 3
		.amdhsa_float_denorm_mode_16_64 3
		.amdhsa_dx10_clamp 1
		.amdhsa_ieee_mode 1
		.amdhsa_fp16_overflow 0
		.amdhsa_tg_split 0
		.amdhsa_exception_fp_ieee_invalid_op 0
		.amdhsa_exception_fp_denorm_src 0
		.amdhsa_exception_fp_ieee_div_zero 0
		.amdhsa_exception_fp_ieee_overflow 0
		.amdhsa_exception_fp_ieee_underflow 0
		.amdhsa_exception_fp_ieee_inexact 0
		.amdhsa_exception_int_div_zero 0
	.end_amdhsa_kernel
	.section	.text._ZN7rocprim17ROCPRIM_400000_NS6detail17trampoline_kernelINS0_14default_configENS1_33run_length_encode_config_selectorIjjNS0_4plusIjEEEEZZNS1_33reduce_by_key_impl_wrapped_configILNS1_25lookback_scan_determinismE0ES3_S7_PKjNS0_17constant_iteratorIjlEEPjPlSF_S6_NS0_8equal_toIjEEEE10hipError_tPvRmT2_T3_mT4_T5_T6_T7_T8_P12ihipStream_tbENKUlT_T0_E_clISt17integral_constantIbLb1EESZ_EEDaSU_SV_EUlSU_E_NS1_11comp_targetILNS1_3genE3ELNS1_11target_archE908ELNS1_3gpuE7ELNS1_3repE0EEENS1_30default_config_static_selectorELNS0_4arch9wavefront6targetE1EEEvT1_,"axG",@progbits,_ZN7rocprim17ROCPRIM_400000_NS6detail17trampoline_kernelINS0_14default_configENS1_33run_length_encode_config_selectorIjjNS0_4plusIjEEEEZZNS1_33reduce_by_key_impl_wrapped_configILNS1_25lookback_scan_determinismE0ES3_S7_PKjNS0_17constant_iteratorIjlEEPjPlSF_S6_NS0_8equal_toIjEEEE10hipError_tPvRmT2_T3_mT4_T5_T6_T7_T8_P12ihipStream_tbENKUlT_T0_E_clISt17integral_constantIbLb1EESZ_EEDaSU_SV_EUlSU_E_NS1_11comp_targetILNS1_3genE3ELNS1_11target_archE908ELNS1_3gpuE7ELNS1_3repE0EEENS1_30default_config_static_selectorELNS0_4arch9wavefront6targetE1EEEvT1_,comdat
.Lfunc_end661:
	.size	_ZN7rocprim17ROCPRIM_400000_NS6detail17trampoline_kernelINS0_14default_configENS1_33run_length_encode_config_selectorIjjNS0_4plusIjEEEEZZNS1_33reduce_by_key_impl_wrapped_configILNS1_25lookback_scan_determinismE0ES3_S7_PKjNS0_17constant_iteratorIjlEEPjPlSF_S6_NS0_8equal_toIjEEEE10hipError_tPvRmT2_T3_mT4_T5_T6_T7_T8_P12ihipStream_tbENKUlT_T0_E_clISt17integral_constantIbLb1EESZ_EEDaSU_SV_EUlSU_E_NS1_11comp_targetILNS1_3genE3ELNS1_11target_archE908ELNS1_3gpuE7ELNS1_3repE0EEENS1_30default_config_static_selectorELNS0_4arch9wavefront6targetE1EEEvT1_, .Lfunc_end661-_ZN7rocprim17ROCPRIM_400000_NS6detail17trampoline_kernelINS0_14default_configENS1_33run_length_encode_config_selectorIjjNS0_4plusIjEEEEZZNS1_33reduce_by_key_impl_wrapped_configILNS1_25lookback_scan_determinismE0ES3_S7_PKjNS0_17constant_iteratorIjlEEPjPlSF_S6_NS0_8equal_toIjEEEE10hipError_tPvRmT2_T3_mT4_T5_T6_T7_T8_P12ihipStream_tbENKUlT_T0_E_clISt17integral_constantIbLb1EESZ_EEDaSU_SV_EUlSU_E_NS1_11comp_targetILNS1_3genE3ELNS1_11target_archE908ELNS1_3gpuE7ELNS1_3repE0EEENS1_30default_config_static_selectorELNS0_4arch9wavefront6targetE1EEEvT1_
                                        ; -- End function
	.section	.AMDGPU.csdata,"",@progbits
; Kernel info:
; codeLenInByte = 0
; NumSgprs: 6
; NumVgprs: 0
; NumAgprs: 0
; TotalNumVgprs: 0
; ScratchSize: 0
; MemoryBound: 0
; FloatMode: 240
; IeeeMode: 1
; LDSByteSize: 0 bytes/workgroup (compile time only)
; SGPRBlocks: 0
; VGPRBlocks: 0
; NumSGPRsForWavesPerEU: 6
; NumVGPRsForWavesPerEU: 1
; AccumOffset: 4
; Occupancy: 8
; WaveLimiterHint : 0
; COMPUTE_PGM_RSRC2:SCRATCH_EN: 0
; COMPUTE_PGM_RSRC2:USER_SGPR: 2
; COMPUTE_PGM_RSRC2:TRAP_HANDLER: 0
; COMPUTE_PGM_RSRC2:TGID_X_EN: 1
; COMPUTE_PGM_RSRC2:TGID_Y_EN: 0
; COMPUTE_PGM_RSRC2:TGID_Z_EN: 0
; COMPUTE_PGM_RSRC2:TIDIG_COMP_CNT: 0
; COMPUTE_PGM_RSRC3_GFX90A:ACCUM_OFFSET: 0
; COMPUTE_PGM_RSRC3_GFX90A:TG_SPLIT: 0
	.section	.text._ZN7rocprim17ROCPRIM_400000_NS6detail17trampoline_kernelINS0_14default_configENS1_33run_length_encode_config_selectorIjjNS0_4plusIjEEEEZZNS1_33reduce_by_key_impl_wrapped_configILNS1_25lookback_scan_determinismE0ES3_S7_PKjNS0_17constant_iteratorIjlEEPjPlSF_S6_NS0_8equal_toIjEEEE10hipError_tPvRmT2_T3_mT4_T5_T6_T7_T8_P12ihipStream_tbENKUlT_T0_E_clISt17integral_constantIbLb1EESZ_EEDaSU_SV_EUlSU_E_NS1_11comp_targetILNS1_3genE2ELNS1_11target_archE906ELNS1_3gpuE6ELNS1_3repE0EEENS1_30default_config_static_selectorELNS0_4arch9wavefront6targetE1EEEvT1_,"axG",@progbits,_ZN7rocprim17ROCPRIM_400000_NS6detail17trampoline_kernelINS0_14default_configENS1_33run_length_encode_config_selectorIjjNS0_4plusIjEEEEZZNS1_33reduce_by_key_impl_wrapped_configILNS1_25lookback_scan_determinismE0ES3_S7_PKjNS0_17constant_iteratorIjlEEPjPlSF_S6_NS0_8equal_toIjEEEE10hipError_tPvRmT2_T3_mT4_T5_T6_T7_T8_P12ihipStream_tbENKUlT_T0_E_clISt17integral_constantIbLb1EESZ_EEDaSU_SV_EUlSU_E_NS1_11comp_targetILNS1_3genE2ELNS1_11target_archE906ELNS1_3gpuE6ELNS1_3repE0EEENS1_30default_config_static_selectorELNS0_4arch9wavefront6targetE1EEEvT1_,comdat
	.protected	_ZN7rocprim17ROCPRIM_400000_NS6detail17trampoline_kernelINS0_14default_configENS1_33run_length_encode_config_selectorIjjNS0_4plusIjEEEEZZNS1_33reduce_by_key_impl_wrapped_configILNS1_25lookback_scan_determinismE0ES3_S7_PKjNS0_17constant_iteratorIjlEEPjPlSF_S6_NS0_8equal_toIjEEEE10hipError_tPvRmT2_T3_mT4_T5_T6_T7_T8_P12ihipStream_tbENKUlT_T0_E_clISt17integral_constantIbLb1EESZ_EEDaSU_SV_EUlSU_E_NS1_11comp_targetILNS1_3genE2ELNS1_11target_archE906ELNS1_3gpuE6ELNS1_3repE0EEENS1_30default_config_static_selectorELNS0_4arch9wavefront6targetE1EEEvT1_ ; -- Begin function _ZN7rocprim17ROCPRIM_400000_NS6detail17trampoline_kernelINS0_14default_configENS1_33run_length_encode_config_selectorIjjNS0_4plusIjEEEEZZNS1_33reduce_by_key_impl_wrapped_configILNS1_25lookback_scan_determinismE0ES3_S7_PKjNS0_17constant_iteratorIjlEEPjPlSF_S6_NS0_8equal_toIjEEEE10hipError_tPvRmT2_T3_mT4_T5_T6_T7_T8_P12ihipStream_tbENKUlT_T0_E_clISt17integral_constantIbLb1EESZ_EEDaSU_SV_EUlSU_E_NS1_11comp_targetILNS1_3genE2ELNS1_11target_archE906ELNS1_3gpuE6ELNS1_3repE0EEENS1_30default_config_static_selectorELNS0_4arch9wavefront6targetE1EEEvT1_
	.globl	_ZN7rocprim17ROCPRIM_400000_NS6detail17trampoline_kernelINS0_14default_configENS1_33run_length_encode_config_selectorIjjNS0_4plusIjEEEEZZNS1_33reduce_by_key_impl_wrapped_configILNS1_25lookback_scan_determinismE0ES3_S7_PKjNS0_17constant_iteratorIjlEEPjPlSF_S6_NS0_8equal_toIjEEEE10hipError_tPvRmT2_T3_mT4_T5_T6_T7_T8_P12ihipStream_tbENKUlT_T0_E_clISt17integral_constantIbLb1EESZ_EEDaSU_SV_EUlSU_E_NS1_11comp_targetILNS1_3genE2ELNS1_11target_archE906ELNS1_3gpuE6ELNS1_3repE0EEENS1_30default_config_static_selectorELNS0_4arch9wavefront6targetE1EEEvT1_
	.p2align	8
	.type	_ZN7rocprim17ROCPRIM_400000_NS6detail17trampoline_kernelINS0_14default_configENS1_33run_length_encode_config_selectorIjjNS0_4plusIjEEEEZZNS1_33reduce_by_key_impl_wrapped_configILNS1_25lookback_scan_determinismE0ES3_S7_PKjNS0_17constant_iteratorIjlEEPjPlSF_S6_NS0_8equal_toIjEEEE10hipError_tPvRmT2_T3_mT4_T5_T6_T7_T8_P12ihipStream_tbENKUlT_T0_E_clISt17integral_constantIbLb1EESZ_EEDaSU_SV_EUlSU_E_NS1_11comp_targetILNS1_3genE2ELNS1_11target_archE906ELNS1_3gpuE6ELNS1_3repE0EEENS1_30default_config_static_selectorELNS0_4arch9wavefront6targetE1EEEvT1_,@function
_ZN7rocprim17ROCPRIM_400000_NS6detail17trampoline_kernelINS0_14default_configENS1_33run_length_encode_config_selectorIjjNS0_4plusIjEEEEZZNS1_33reduce_by_key_impl_wrapped_configILNS1_25lookback_scan_determinismE0ES3_S7_PKjNS0_17constant_iteratorIjlEEPjPlSF_S6_NS0_8equal_toIjEEEE10hipError_tPvRmT2_T3_mT4_T5_T6_T7_T8_P12ihipStream_tbENKUlT_T0_E_clISt17integral_constantIbLb1EESZ_EEDaSU_SV_EUlSU_E_NS1_11comp_targetILNS1_3genE2ELNS1_11target_archE906ELNS1_3gpuE6ELNS1_3repE0EEENS1_30default_config_static_selectorELNS0_4arch9wavefront6targetE1EEEvT1_: ; @_ZN7rocprim17ROCPRIM_400000_NS6detail17trampoline_kernelINS0_14default_configENS1_33run_length_encode_config_selectorIjjNS0_4plusIjEEEEZZNS1_33reduce_by_key_impl_wrapped_configILNS1_25lookback_scan_determinismE0ES3_S7_PKjNS0_17constant_iteratorIjlEEPjPlSF_S6_NS0_8equal_toIjEEEE10hipError_tPvRmT2_T3_mT4_T5_T6_T7_T8_P12ihipStream_tbENKUlT_T0_E_clISt17integral_constantIbLb1EESZ_EEDaSU_SV_EUlSU_E_NS1_11comp_targetILNS1_3genE2ELNS1_11target_archE906ELNS1_3gpuE6ELNS1_3repE0EEENS1_30default_config_static_selectorELNS0_4arch9wavefront6targetE1EEEvT1_
; %bb.0:
	.section	.rodata,"a",@progbits
	.p2align	6, 0x0
	.amdhsa_kernel _ZN7rocprim17ROCPRIM_400000_NS6detail17trampoline_kernelINS0_14default_configENS1_33run_length_encode_config_selectorIjjNS0_4plusIjEEEEZZNS1_33reduce_by_key_impl_wrapped_configILNS1_25lookback_scan_determinismE0ES3_S7_PKjNS0_17constant_iteratorIjlEEPjPlSF_S6_NS0_8equal_toIjEEEE10hipError_tPvRmT2_T3_mT4_T5_T6_T7_T8_P12ihipStream_tbENKUlT_T0_E_clISt17integral_constantIbLb1EESZ_EEDaSU_SV_EUlSU_E_NS1_11comp_targetILNS1_3genE2ELNS1_11target_archE906ELNS1_3gpuE6ELNS1_3repE0EEENS1_30default_config_static_selectorELNS0_4arch9wavefront6targetE1EEEvT1_
		.amdhsa_group_segment_fixed_size 0
		.amdhsa_private_segment_fixed_size 0
		.amdhsa_kernarg_size 128
		.amdhsa_user_sgpr_count 2
		.amdhsa_user_sgpr_dispatch_ptr 0
		.amdhsa_user_sgpr_queue_ptr 0
		.amdhsa_user_sgpr_kernarg_segment_ptr 1
		.amdhsa_user_sgpr_dispatch_id 0
		.amdhsa_user_sgpr_kernarg_preload_length 0
		.amdhsa_user_sgpr_kernarg_preload_offset 0
		.amdhsa_user_sgpr_private_segment_size 0
		.amdhsa_uses_dynamic_stack 0
		.amdhsa_enable_private_segment 0
		.amdhsa_system_sgpr_workgroup_id_x 1
		.amdhsa_system_sgpr_workgroup_id_y 0
		.amdhsa_system_sgpr_workgroup_id_z 0
		.amdhsa_system_sgpr_workgroup_info 0
		.amdhsa_system_vgpr_workitem_id 0
		.amdhsa_next_free_vgpr 1
		.amdhsa_next_free_sgpr 0
		.amdhsa_accum_offset 4
		.amdhsa_reserve_vcc 0
		.amdhsa_float_round_mode_32 0
		.amdhsa_float_round_mode_16_64 0
		.amdhsa_float_denorm_mode_32 3
		.amdhsa_float_denorm_mode_16_64 3
		.amdhsa_dx10_clamp 1
		.amdhsa_ieee_mode 1
		.amdhsa_fp16_overflow 0
		.amdhsa_tg_split 0
		.amdhsa_exception_fp_ieee_invalid_op 0
		.amdhsa_exception_fp_denorm_src 0
		.amdhsa_exception_fp_ieee_div_zero 0
		.amdhsa_exception_fp_ieee_overflow 0
		.amdhsa_exception_fp_ieee_underflow 0
		.amdhsa_exception_fp_ieee_inexact 0
		.amdhsa_exception_int_div_zero 0
	.end_amdhsa_kernel
	.section	.text._ZN7rocprim17ROCPRIM_400000_NS6detail17trampoline_kernelINS0_14default_configENS1_33run_length_encode_config_selectorIjjNS0_4plusIjEEEEZZNS1_33reduce_by_key_impl_wrapped_configILNS1_25lookback_scan_determinismE0ES3_S7_PKjNS0_17constant_iteratorIjlEEPjPlSF_S6_NS0_8equal_toIjEEEE10hipError_tPvRmT2_T3_mT4_T5_T6_T7_T8_P12ihipStream_tbENKUlT_T0_E_clISt17integral_constantIbLb1EESZ_EEDaSU_SV_EUlSU_E_NS1_11comp_targetILNS1_3genE2ELNS1_11target_archE906ELNS1_3gpuE6ELNS1_3repE0EEENS1_30default_config_static_selectorELNS0_4arch9wavefront6targetE1EEEvT1_,"axG",@progbits,_ZN7rocprim17ROCPRIM_400000_NS6detail17trampoline_kernelINS0_14default_configENS1_33run_length_encode_config_selectorIjjNS0_4plusIjEEEEZZNS1_33reduce_by_key_impl_wrapped_configILNS1_25lookback_scan_determinismE0ES3_S7_PKjNS0_17constant_iteratorIjlEEPjPlSF_S6_NS0_8equal_toIjEEEE10hipError_tPvRmT2_T3_mT4_T5_T6_T7_T8_P12ihipStream_tbENKUlT_T0_E_clISt17integral_constantIbLb1EESZ_EEDaSU_SV_EUlSU_E_NS1_11comp_targetILNS1_3genE2ELNS1_11target_archE906ELNS1_3gpuE6ELNS1_3repE0EEENS1_30default_config_static_selectorELNS0_4arch9wavefront6targetE1EEEvT1_,comdat
.Lfunc_end662:
	.size	_ZN7rocprim17ROCPRIM_400000_NS6detail17trampoline_kernelINS0_14default_configENS1_33run_length_encode_config_selectorIjjNS0_4plusIjEEEEZZNS1_33reduce_by_key_impl_wrapped_configILNS1_25lookback_scan_determinismE0ES3_S7_PKjNS0_17constant_iteratorIjlEEPjPlSF_S6_NS0_8equal_toIjEEEE10hipError_tPvRmT2_T3_mT4_T5_T6_T7_T8_P12ihipStream_tbENKUlT_T0_E_clISt17integral_constantIbLb1EESZ_EEDaSU_SV_EUlSU_E_NS1_11comp_targetILNS1_3genE2ELNS1_11target_archE906ELNS1_3gpuE6ELNS1_3repE0EEENS1_30default_config_static_selectorELNS0_4arch9wavefront6targetE1EEEvT1_, .Lfunc_end662-_ZN7rocprim17ROCPRIM_400000_NS6detail17trampoline_kernelINS0_14default_configENS1_33run_length_encode_config_selectorIjjNS0_4plusIjEEEEZZNS1_33reduce_by_key_impl_wrapped_configILNS1_25lookback_scan_determinismE0ES3_S7_PKjNS0_17constant_iteratorIjlEEPjPlSF_S6_NS0_8equal_toIjEEEE10hipError_tPvRmT2_T3_mT4_T5_T6_T7_T8_P12ihipStream_tbENKUlT_T0_E_clISt17integral_constantIbLb1EESZ_EEDaSU_SV_EUlSU_E_NS1_11comp_targetILNS1_3genE2ELNS1_11target_archE906ELNS1_3gpuE6ELNS1_3repE0EEENS1_30default_config_static_selectorELNS0_4arch9wavefront6targetE1EEEvT1_
                                        ; -- End function
	.section	.AMDGPU.csdata,"",@progbits
; Kernel info:
; codeLenInByte = 0
; NumSgprs: 6
; NumVgprs: 0
; NumAgprs: 0
; TotalNumVgprs: 0
; ScratchSize: 0
; MemoryBound: 0
; FloatMode: 240
; IeeeMode: 1
; LDSByteSize: 0 bytes/workgroup (compile time only)
; SGPRBlocks: 0
; VGPRBlocks: 0
; NumSGPRsForWavesPerEU: 6
; NumVGPRsForWavesPerEU: 1
; AccumOffset: 4
; Occupancy: 8
; WaveLimiterHint : 0
; COMPUTE_PGM_RSRC2:SCRATCH_EN: 0
; COMPUTE_PGM_RSRC2:USER_SGPR: 2
; COMPUTE_PGM_RSRC2:TRAP_HANDLER: 0
; COMPUTE_PGM_RSRC2:TGID_X_EN: 1
; COMPUTE_PGM_RSRC2:TGID_Y_EN: 0
; COMPUTE_PGM_RSRC2:TGID_Z_EN: 0
; COMPUTE_PGM_RSRC2:TIDIG_COMP_CNT: 0
; COMPUTE_PGM_RSRC3_GFX90A:ACCUM_OFFSET: 0
; COMPUTE_PGM_RSRC3_GFX90A:TG_SPLIT: 0
	.section	.text._ZN7rocprim17ROCPRIM_400000_NS6detail17trampoline_kernelINS0_14default_configENS1_33run_length_encode_config_selectorIjjNS0_4plusIjEEEEZZNS1_33reduce_by_key_impl_wrapped_configILNS1_25lookback_scan_determinismE0ES3_S7_PKjNS0_17constant_iteratorIjlEEPjPlSF_S6_NS0_8equal_toIjEEEE10hipError_tPvRmT2_T3_mT4_T5_T6_T7_T8_P12ihipStream_tbENKUlT_T0_E_clISt17integral_constantIbLb1EESZ_EEDaSU_SV_EUlSU_E_NS1_11comp_targetILNS1_3genE10ELNS1_11target_archE1201ELNS1_3gpuE5ELNS1_3repE0EEENS1_30default_config_static_selectorELNS0_4arch9wavefront6targetE1EEEvT1_,"axG",@progbits,_ZN7rocprim17ROCPRIM_400000_NS6detail17trampoline_kernelINS0_14default_configENS1_33run_length_encode_config_selectorIjjNS0_4plusIjEEEEZZNS1_33reduce_by_key_impl_wrapped_configILNS1_25lookback_scan_determinismE0ES3_S7_PKjNS0_17constant_iteratorIjlEEPjPlSF_S6_NS0_8equal_toIjEEEE10hipError_tPvRmT2_T3_mT4_T5_T6_T7_T8_P12ihipStream_tbENKUlT_T0_E_clISt17integral_constantIbLb1EESZ_EEDaSU_SV_EUlSU_E_NS1_11comp_targetILNS1_3genE10ELNS1_11target_archE1201ELNS1_3gpuE5ELNS1_3repE0EEENS1_30default_config_static_selectorELNS0_4arch9wavefront6targetE1EEEvT1_,comdat
	.protected	_ZN7rocprim17ROCPRIM_400000_NS6detail17trampoline_kernelINS0_14default_configENS1_33run_length_encode_config_selectorIjjNS0_4plusIjEEEEZZNS1_33reduce_by_key_impl_wrapped_configILNS1_25lookback_scan_determinismE0ES3_S7_PKjNS0_17constant_iteratorIjlEEPjPlSF_S6_NS0_8equal_toIjEEEE10hipError_tPvRmT2_T3_mT4_T5_T6_T7_T8_P12ihipStream_tbENKUlT_T0_E_clISt17integral_constantIbLb1EESZ_EEDaSU_SV_EUlSU_E_NS1_11comp_targetILNS1_3genE10ELNS1_11target_archE1201ELNS1_3gpuE5ELNS1_3repE0EEENS1_30default_config_static_selectorELNS0_4arch9wavefront6targetE1EEEvT1_ ; -- Begin function _ZN7rocprim17ROCPRIM_400000_NS6detail17trampoline_kernelINS0_14default_configENS1_33run_length_encode_config_selectorIjjNS0_4plusIjEEEEZZNS1_33reduce_by_key_impl_wrapped_configILNS1_25lookback_scan_determinismE0ES3_S7_PKjNS0_17constant_iteratorIjlEEPjPlSF_S6_NS0_8equal_toIjEEEE10hipError_tPvRmT2_T3_mT4_T5_T6_T7_T8_P12ihipStream_tbENKUlT_T0_E_clISt17integral_constantIbLb1EESZ_EEDaSU_SV_EUlSU_E_NS1_11comp_targetILNS1_3genE10ELNS1_11target_archE1201ELNS1_3gpuE5ELNS1_3repE0EEENS1_30default_config_static_selectorELNS0_4arch9wavefront6targetE1EEEvT1_
	.globl	_ZN7rocprim17ROCPRIM_400000_NS6detail17trampoline_kernelINS0_14default_configENS1_33run_length_encode_config_selectorIjjNS0_4plusIjEEEEZZNS1_33reduce_by_key_impl_wrapped_configILNS1_25lookback_scan_determinismE0ES3_S7_PKjNS0_17constant_iteratorIjlEEPjPlSF_S6_NS0_8equal_toIjEEEE10hipError_tPvRmT2_T3_mT4_T5_T6_T7_T8_P12ihipStream_tbENKUlT_T0_E_clISt17integral_constantIbLb1EESZ_EEDaSU_SV_EUlSU_E_NS1_11comp_targetILNS1_3genE10ELNS1_11target_archE1201ELNS1_3gpuE5ELNS1_3repE0EEENS1_30default_config_static_selectorELNS0_4arch9wavefront6targetE1EEEvT1_
	.p2align	8
	.type	_ZN7rocprim17ROCPRIM_400000_NS6detail17trampoline_kernelINS0_14default_configENS1_33run_length_encode_config_selectorIjjNS0_4plusIjEEEEZZNS1_33reduce_by_key_impl_wrapped_configILNS1_25lookback_scan_determinismE0ES3_S7_PKjNS0_17constant_iteratorIjlEEPjPlSF_S6_NS0_8equal_toIjEEEE10hipError_tPvRmT2_T3_mT4_T5_T6_T7_T8_P12ihipStream_tbENKUlT_T0_E_clISt17integral_constantIbLb1EESZ_EEDaSU_SV_EUlSU_E_NS1_11comp_targetILNS1_3genE10ELNS1_11target_archE1201ELNS1_3gpuE5ELNS1_3repE0EEENS1_30default_config_static_selectorELNS0_4arch9wavefront6targetE1EEEvT1_,@function
_ZN7rocprim17ROCPRIM_400000_NS6detail17trampoline_kernelINS0_14default_configENS1_33run_length_encode_config_selectorIjjNS0_4plusIjEEEEZZNS1_33reduce_by_key_impl_wrapped_configILNS1_25lookback_scan_determinismE0ES3_S7_PKjNS0_17constant_iteratorIjlEEPjPlSF_S6_NS0_8equal_toIjEEEE10hipError_tPvRmT2_T3_mT4_T5_T6_T7_T8_P12ihipStream_tbENKUlT_T0_E_clISt17integral_constantIbLb1EESZ_EEDaSU_SV_EUlSU_E_NS1_11comp_targetILNS1_3genE10ELNS1_11target_archE1201ELNS1_3gpuE5ELNS1_3repE0EEENS1_30default_config_static_selectorELNS0_4arch9wavefront6targetE1EEEvT1_: ; @_ZN7rocprim17ROCPRIM_400000_NS6detail17trampoline_kernelINS0_14default_configENS1_33run_length_encode_config_selectorIjjNS0_4plusIjEEEEZZNS1_33reduce_by_key_impl_wrapped_configILNS1_25lookback_scan_determinismE0ES3_S7_PKjNS0_17constant_iteratorIjlEEPjPlSF_S6_NS0_8equal_toIjEEEE10hipError_tPvRmT2_T3_mT4_T5_T6_T7_T8_P12ihipStream_tbENKUlT_T0_E_clISt17integral_constantIbLb1EESZ_EEDaSU_SV_EUlSU_E_NS1_11comp_targetILNS1_3genE10ELNS1_11target_archE1201ELNS1_3gpuE5ELNS1_3repE0EEENS1_30default_config_static_selectorELNS0_4arch9wavefront6targetE1EEEvT1_
; %bb.0:
	.section	.rodata,"a",@progbits
	.p2align	6, 0x0
	.amdhsa_kernel _ZN7rocprim17ROCPRIM_400000_NS6detail17trampoline_kernelINS0_14default_configENS1_33run_length_encode_config_selectorIjjNS0_4plusIjEEEEZZNS1_33reduce_by_key_impl_wrapped_configILNS1_25lookback_scan_determinismE0ES3_S7_PKjNS0_17constant_iteratorIjlEEPjPlSF_S6_NS0_8equal_toIjEEEE10hipError_tPvRmT2_T3_mT4_T5_T6_T7_T8_P12ihipStream_tbENKUlT_T0_E_clISt17integral_constantIbLb1EESZ_EEDaSU_SV_EUlSU_E_NS1_11comp_targetILNS1_3genE10ELNS1_11target_archE1201ELNS1_3gpuE5ELNS1_3repE0EEENS1_30default_config_static_selectorELNS0_4arch9wavefront6targetE1EEEvT1_
		.amdhsa_group_segment_fixed_size 0
		.amdhsa_private_segment_fixed_size 0
		.amdhsa_kernarg_size 128
		.amdhsa_user_sgpr_count 2
		.amdhsa_user_sgpr_dispatch_ptr 0
		.amdhsa_user_sgpr_queue_ptr 0
		.amdhsa_user_sgpr_kernarg_segment_ptr 1
		.amdhsa_user_sgpr_dispatch_id 0
		.amdhsa_user_sgpr_kernarg_preload_length 0
		.amdhsa_user_sgpr_kernarg_preload_offset 0
		.amdhsa_user_sgpr_private_segment_size 0
		.amdhsa_uses_dynamic_stack 0
		.amdhsa_enable_private_segment 0
		.amdhsa_system_sgpr_workgroup_id_x 1
		.amdhsa_system_sgpr_workgroup_id_y 0
		.amdhsa_system_sgpr_workgroup_id_z 0
		.amdhsa_system_sgpr_workgroup_info 0
		.amdhsa_system_vgpr_workitem_id 0
		.amdhsa_next_free_vgpr 1
		.amdhsa_next_free_sgpr 0
		.amdhsa_accum_offset 4
		.amdhsa_reserve_vcc 0
		.amdhsa_float_round_mode_32 0
		.amdhsa_float_round_mode_16_64 0
		.amdhsa_float_denorm_mode_32 3
		.amdhsa_float_denorm_mode_16_64 3
		.amdhsa_dx10_clamp 1
		.amdhsa_ieee_mode 1
		.amdhsa_fp16_overflow 0
		.amdhsa_tg_split 0
		.amdhsa_exception_fp_ieee_invalid_op 0
		.amdhsa_exception_fp_denorm_src 0
		.amdhsa_exception_fp_ieee_div_zero 0
		.amdhsa_exception_fp_ieee_overflow 0
		.amdhsa_exception_fp_ieee_underflow 0
		.amdhsa_exception_fp_ieee_inexact 0
		.amdhsa_exception_int_div_zero 0
	.end_amdhsa_kernel
	.section	.text._ZN7rocprim17ROCPRIM_400000_NS6detail17trampoline_kernelINS0_14default_configENS1_33run_length_encode_config_selectorIjjNS0_4plusIjEEEEZZNS1_33reduce_by_key_impl_wrapped_configILNS1_25lookback_scan_determinismE0ES3_S7_PKjNS0_17constant_iteratorIjlEEPjPlSF_S6_NS0_8equal_toIjEEEE10hipError_tPvRmT2_T3_mT4_T5_T6_T7_T8_P12ihipStream_tbENKUlT_T0_E_clISt17integral_constantIbLb1EESZ_EEDaSU_SV_EUlSU_E_NS1_11comp_targetILNS1_3genE10ELNS1_11target_archE1201ELNS1_3gpuE5ELNS1_3repE0EEENS1_30default_config_static_selectorELNS0_4arch9wavefront6targetE1EEEvT1_,"axG",@progbits,_ZN7rocprim17ROCPRIM_400000_NS6detail17trampoline_kernelINS0_14default_configENS1_33run_length_encode_config_selectorIjjNS0_4plusIjEEEEZZNS1_33reduce_by_key_impl_wrapped_configILNS1_25lookback_scan_determinismE0ES3_S7_PKjNS0_17constant_iteratorIjlEEPjPlSF_S6_NS0_8equal_toIjEEEE10hipError_tPvRmT2_T3_mT4_T5_T6_T7_T8_P12ihipStream_tbENKUlT_T0_E_clISt17integral_constantIbLb1EESZ_EEDaSU_SV_EUlSU_E_NS1_11comp_targetILNS1_3genE10ELNS1_11target_archE1201ELNS1_3gpuE5ELNS1_3repE0EEENS1_30default_config_static_selectorELNS0_4arch9wavefront6targetE1EEEvT1_,comdat
.Lfunc_end663:
	.size	_ZN7rocprim17ROCPRIM_400000_NS6detail17trampoline_kernelINS0_14default_configENS1_33run_length_encode_config_selectorIjjNS0_4plusIjEEEEZZNS1_33reduce_by_key_impl_wrapped_configILNS1_25lookback_scan_determinismE0ES3_S7_PKjNS0_17constant_iteratorIjlEEPjPlSF_S6_NS0_8equal_toIjEEEE10hipError_tPvRmT2_T3_mT4_T5_T6_T7_T8_P12ihipStream_tbENKUlT_T0_E_clISt17integral_constantIbLb1EESZ_EEDaSU_SV_EUlSU_E_NS1_11comp_targetILNS1_3genE10ELNS1_11target_archE1201ELNS1_3gpuE5ELNS1_3repE0EEENS1_30default_config_static_selectorELNS0_4arch9wavefront6targetE1EEEvT1_, .Lfunc_end663-_ZN7rocprim17ROCPRIM_400000_NS6detail17trampoline_kernelINS0_14default_configENS1_33run_length_encode_config_selectorIjjNS0_4plusIjEEEEZZNS1_33reduce_by_key_impl_wrapped_configILNS1_25lookback_scan_determinismE0ES3_S7_PKjNS0_17constant_iteratorIjlEEPjPlSF_S6_NS0_8equal_toIjEEEE10hipError_tPvRmT2_T3_mT4_T5_T6_T7_T8_P12ihipStream_tbENKUlT_T0_E_clISt17integral_constantIbLb1EESZ_EEDaSU_SV_EUlSU_E_NS1_11comp_targetILNS1_3genE10ELNS1_11target_archE1201ELNS1_3gpuE5ELNS1_3repE0EEENS1_30default_config_static_selectorELNS0_4arch9wavefront6targetE1EEEvT1_
                                        ; -- End function
	.section	.AMDGPU.csdata,"",@progbits
; Kernel info:
; codeLenInByte = 0
; NumSgprs: 6
; NumVgprs: 0
; NumAgprs: 0
; TotalNumVgprs: 0
; ScratchSize: 0
; MemoryBound: 0
; FloatMode: 240
; IeeeMode: 1
; LDSByteSize: 0 bytes/workgroup (compile time only)
; SGPRBlocks: 0
; VGPRBlocks: 0
; NumSGPRsForWavesPerEU: 6
; NumVGPRsForWavesPerEU: 1
; AccumOffset: 4
; Occupancy: 8
; WaveLimiterHint : 0
; COMPUTE_PGM_RSRC2:SCRATCH_EN: 0
; COMPUTE_PGM_RSRC2:USER_SGPR: 2
; COMPUTE_PGM_RSRC2:TRAP_HANDLER: 0
; COMPUTE_PGM_RSRC2:TGID_X_EN: 1
; COMPUTE_PGM_RSRC2:TGID_Y_EN: 0
; COMPUTE_PGM_RSRC2:TGID_Z_EN: 0
; COMPUTE_PGM_RSRC2:TIDIG_COMP_CNT: 0
; COMPUTE_PGM_RSRC3_GFX90A:ACCUM_OFFSET: 0
; COMPUTE_PGM_RSRC3_GFX90A:TG_SPLIT: 0
	.section	.text._ZN7rocprim17ROCPRIM_400000_NS6detail17trampoline_kernelINS0_14default_configENS1_33run_length_encode_config_selectorIjjNS0_4plusIjEEEEZZNS1_33reduce_by_key_impl_wrapped_configILNS1_25lookback_scan_determinismE0ES3_S7_PKjNS0_17constant_iteratorIjlEEPjPlSF_S6_NS0_8equal_toIjEEEE10hipError_tPvRmT2_T3_mT4_T5_T6_T7_T8_P12ihipStream_tbENKUlT_T0_E_clISt17integral_constantIbLb1EESZ_EEDaSU_SV_EUlSU_E_NS1_11comp_targetILNS1_3genE10ELNS1_11target_archE1200ELNS1_3gpuE4ELNS1_3repE0EEENS1_30default_config_static_selectorELNS0_4arch9wavefront6targetE1EEEvT1_,"axG",@progbits,_ZN7rocprim17ROCPRIM_400000_NS6detail17trampoline_kernelINS0_14default_configENS1_33run_length_encode_config_selectorIjjNS0_4plusIjEEEEZZNS1_33reduce_by_key_impl_wrapped_configILNS1_25lookback_scan_determinismE0ES3_S7_PKjNS0_17constant_iteratorIjlEEPjPlSF_S6_NS0_8equal_toIjEEEE10hipError_tPvRmT2_T3_mT4_T5_T6_T7_T8_P12ihipStream_tbENKUlT_T0_E_clISt17integral_constantIbLb1EESZ_EEDaSU_SV_EUlSU_E_NS1_11comp_targetILNS1_3genE10ELNS1_11target_archE1200ELNS1_3gpuE4ELNS1_3repE0EEENS1_30default_config_static_selectorELNS0_4arch9wavefront6targetE1EEEvT1_,comdat
	.protected	_ZN7rocprim17ROCPRIM_400000_NS6detail17trampoline_kernelINS0_14default_configENS1_33run_length_encode_config_selectorIjjNS0_4plusIjEEEEZZNS1_33reduce_by_key_impl_wrapped_configILNS1_25lookback_scan_determinismE0ES3_S7_PKjNS0_17constant_iteratorIjlEEPjPlSF_S6_NS0_8equal_toIjEEEE10hipError_tPvRmT2_T3_mT4_T5_T6_T7_T8_P12ihipStream_tbENKUlT_T0_E_clISt17integral_constantIbLb1EESZ_EEDaSU_SV_EUlSU_E_NS1_11comp_targetILNS1_3genE10ELNS1_11target_archE1200ELNS1_3gpuE4ELNS1_3repE0EEENS1_30default_config_static_selectorELNS0_4arch9wavefront6targetE1EEEvT1_ ; -- Begin function _ZN7rocprim17ROCPRIM_400000_NS6detail17trampoline_kernelINS0_14default_configENS1_33run_length_encode_config_selectorIjjNS0_4plusIjEEEEZZNS1_33reduce_by_key_impl_wrapped_configILNS1_25lookback_scan_determinismE0ES3_S7_PKjNS0_17constant_iteratorIjlEEPjPlSF_S6_NS0_8equal_toIjEEEE10hipError_tPvRmT2_T3_mT4_T5_T6_T7_T8_P12ihipStream_tbENKUlT_T0_E_clISt17integral_constantIbLb1EESZ_EEDaSU_SV_EUlSU_E_NS1_11comp_targetILNS1_3genE10ELNS1_11target_archE1200ELNS1_3gpuE4ELNS1_3repE0EEENS1_30default_config_static_selectorELNS0_4arch9wavefront6targetE1EEEvT1_
	.globl	_ZN7rocprim17ROCPRIM_400000_NS6detail17trampoline_kernelINS0_14default_configENS1_33run_length_encode_config_selectorIjjNS0_4plusIjEEEEZZNS1_33reduce_by_key_impl_wrapped_configILNS1_25lookback_scan_determinismE0ES3_S7_PKjNS0_17constant_iteratorIjlEEPjPlSF_S6_NS0_8equal_toIjEEEE10hipError_tPvRmT2_T3_mT4_T5_T6_T7_T8_P12ihipStream_tbENKUlT_T0_E_clISt17integral_constantIbLb1EESZ_EEDaSU_SV_EUlSU_E_NS1_11comp_targetILNS1_3genE10ELNS1_11target_archE1200ELNS1_3gpuE4ELNS1_3repE0EEENS1_30default_config_static_selectorELNS0_4arch9wavefront6targetE1EEEvT1_
	.p2align	8
	.type	_ZN7rocprim17ROCPRIM_400000_NS6detail17trampoline_kernelINS0_14default_configENS1_33run_length_encode_config_selectorIjjNS0_4plusIjEEEEZZNS1_33reduce_by_key_impl_wrapped_configILNS1_25lookback_scan_determinismE0ES3_S7_PKjNS0_17constant_iteratorIjlEEPjPlSF_S6_NS0_8equal_toIjEEEE10hipError_tPvRmT2_T3_mT4_T5_T6_T7_T8_P12ihipStream_tbENKUlT_T0_E_clISt17integral_constantIbLb1EESZ_EEDaSU_SV_EUlSU_E_NS1_11comp_targetILNS1_3genE10ELNS1_11target_archE1200ELNS1_3gpuE4ELNS1_3repE0EEENS1_30default_config_static_selectorELNS0_4arch9wavefront6targetE1EEEvT1_,@function
_ZN7rocprim17ROCPRIM_400000_NS6detail17trampoline_kernelINS0_14default_configENS1_33run_length_encode_config_selectorIjjNS0_4plusIjEEEEZZNS1_33reduce_by_key_impl_wrapped_configILNS1_25lookback_scan_determinismE0ES3_S7_PKjNS0_17constant_iteratorIjlEEPjPlSF_S6_NS0_8equal_toIjEEEE10hipError_tPvRmT2_T3_mT4_T5_T6_T7_T8_P12ihipStream_tbENKUlT_T0_E_clISt17integral_constantIbLb1EESZ_EEDaSU_SV_EUlSU_E_NS1_11comp_targetILNS1_3genE10ELNS1_11target_archE1200ELNS1_3gpuE4ELNS1_3repE0EEENS1_30default_config_static_selectorELNS0_4arch9wavefront6targetE1EEEvT1_: ; @_ZN7rocprim17ROCPRIM_400000_NS6detail17trampoline_kernelINS0_14default_configENS1_33run_length_encode_config_selectorIjjNS0_4plusIjEEEEZZNS1_33reduce_by_key_impl_wrapped_configILNS1_25lookback_scan_determinismE0ES3_S7_PKjNS0_17constant_iteratorIjlEEPjPlSF_S6_NS0_8equal_toIjEEEE10hipError_tPvRmT2_T3_mT4_T5_T6_T7_T8_P12ihipStream_tbENKUlT_T0_E_clISt17integral_constantIbLb1EESZ_EEDaSU_SV_EUlSU_E_NS1_11comp_targetILNS1_3genE10ELNS1_11target_archE1200ELNS1_3gpuE4ELNS1_3repE0EEENS1_30default_config_static_selectorELNS0_4arch9wavefront6targetE1EEEvT1_
; %bb.0:
	.section	.rodata,"a",@progbits
	.p2align	6, 0x0
	.amdhsa_kernel _ZN7rocprim17ROCPRIM_400000_NS6detail17trampoline_kernelINS0_14default_configENS1_33run_length_encode_config_selectorIjjNS0_4plusIjEEEEZZNS1_33reduce_by_key_impl_wrapped_configILNS1_25lookback_scan_determinismE0ES3_S7_PKjNS0_17constant_iteratorIjlEEPjPlSF_S6_NS0_8equal_toIjEEEE10hipError_tPvRmT2_T3_mT4_T5_T6_T7_T8_P12ihipStream_tbENKUlT_T0_E_clISt17integral_constantIbLb1EESZ_EEDaSU_SV_EUlSU_E_NS1_11comp_targetILNS1_3genE10ELNS1_11target_archE1200ELNS1_3gpuE4ELNS1_3repE0EEENS1_30default_config_static_selectorELNS0_4arch9wavefront6targetE1EEEvT1_
		.amdhsa_group_segment_fixed_size 0
		.amdhsa_private_segment_fixed_size 0
		.amdhsa_kernarg_size 128
		.amdhsa_user_sgpr_count 2
		.amdhsa_user_sgpr_dispatch_ptr 0
		.amdhsa_user_sgpr_queue_ptr 0
		.amdhsa_user_sgpr_kernarg_segment_ptr 1
		.amdhsa_user_sgpr_dispatch_id 0
		.amdhsa_user_sgpr_kernarg_preload_length 0
		.amdhsa_user_sgpr_kernarg_preload_offset 0
		.amdhsa_user_sgpr_private_segment_size 0
		.amdhsa_uses_dynamic_stack 0
		.amdhsa_enable_private_segment 0
		.amdhsa_system_sgpr_workgroup_id_x 1
		.amdhsa_system_sgpr_workgroup_id_y 0
		.amdhsa_system_sgpr_workgroup_id_z 0
		.amdhsa_system_sgpr_workgroup_info 0
		.amdhsa_system_vgpr_workitem_id 0
		.amdhsa_next_free_vgpr 1
		.amdhsa_next_free_sgpr 0
		.amdhsa_accum_offset 4
		.amdhsa_reserve_vcc 0
		.amdhsa_float_round_mode_32 0
		.amdhsa_float_round_mode_16_64 0
		.amdhsa_float_denorm_mode_32 3
		.amdhsa_float_denorm_mode_16_64 3
		.amdhsa_dx10_clamp 1
		.amdhsa_ieee_mode 1
		.amdhsa_fp16_overflow 0
		.amdhsa_tg_split 0
		.amdhsa_exception_fp_ieee_invalid_op 0
		.amdhsa_exception_fp_denorm_src 0
		.amdhsa_exception_fp_ieee_div_zero 0
		.amdhsa_exception_fp_ieee_overflow 0
		.amdhsa_exception_fp_ieee_underflow 0
		.amdhsa_exception_fp_ieee_inexact 0
		.amdhsa_exception_int_div_zero 0
	.end_amdhsa_kernel
	.section	.text._ZN7rocprim17ROCPRIM_400000_NS6detail17trampoline_kernelINS0_14default_configENS1_33run_length_encode_config_selectorIjjNS0_4plusIjEEEEZZNS1_33reduce_by_key_impl_wrapped_configILNS1_25lookback_scan_determinismE0ES3_S7_PKjNS0_17constant_iteratorIjlEEPjPlSF_S6_NS0_8equal_toIjEEEE10hipError_tPvRmT2_T3_mT4_T5_T6_T7_T8_P12ihipStream_tbENKUlT_T0_E_clISt17integral_constantIbLb1EESZ_EEDaSU_SV_EUlSU_E_NS1_11comp_targetILNS1_3genE10ELNS1_11target_archE1200ELNS1_3gpuE4ELNS1_3repE0EEENS1_30default_config_static_selectorELNS0_4arch9wavefront6targetE1EEEvT1_,"axG",@progbits,_ZN7rocprim17ROCPRIM_400000_NS6detail17trampoline_kernelINS0_14default_configENS1_33run_length_encode_config_selectorIjjNS0_4plusIjEEEEZZNS1_33reduce_by_key_impl_wrapped_configILNS1_25lookback_scan_determinismE0ES3_S7_PKjNS0_17constant_iteratorIjlEEPjPlSF_S6_NS0_8equal_toIjEEEE10hipError_tPvRmT2_T3_mT4_T5_T6_T7_T8_P12ihipStream_tbENKUlT_T0_E_clISt17integral_constantIbLb1EESZ_EEDaSU_SV_EUlSU_E_NS1_11comp_targetILNS1_3genE10ELNS1_11target_archE1200ELNS1_3gpuE4ELNS1_3repE0EEENS1_30default_config_static_selectorELNS0_4arch9wavefront6targetE1EEEvT1_,comdat
.Lfunc_end664:
	.size	_ZN7rocprim17ROCPRIM_400000_NS6detail17trampoline_kernelINS0_14default_configENS1_33run_length_encode_config_selectorIjjNS0_4plusIjEEEEZZNS1_33reduce_by_key_impl_wrapped_configILNS1_25lookback_scan_determinismE0ES3_S7_PKjNS0_17constant_iteratorIjlEEPjPlSF_S6_NS0_8equal_toIjEEEE10hipError_tPvRmT2_T3_mT4_T5_T6_T7_T8_P12ihipStream_tbENKUlT_T0_E_clISt17integral_constantIbLb1EESZ_EEDaSU_SV_EUlSU_E_NS1_11comp_targetILNS1_3genE10ELNS1_11target_archE1200ELNS1_3gpuE4ELNS1_3repE0EEENS1_30default_config_static_selectorELNS0_4arch9wavefront6targetE1EEEvT1_, .Lfunc_end664-_ZN7rocprim17ROCPRIM_400000_NS6detail17trampoline_kernelINS0_14default_configENS1_33run_length_encode_config_selectorIjjNS0_4plusIjEEEEZZNS1_33reduce_by_key_impl_wrapped_configILNS1_25lookback_scan_determinismE0ES3_S7_PKjNS0_17constant_iteratorIjlEEPjPlSF_S6_NS0_8equal_toIjEEEE10hipError_tPvRmT2_T3_mT4_T5_T6_T7_T8_P12ihipStream_tbENKUlT_T0_E_clISt17integral_constantIbLb1EESZ_EEDaSU_SV_EUlSU_E_NS1_11comp_targetILNS1_3genE10ELNS1_11target_archE1200ELNS1_3gpuE4ELNS1_3repE0EEENS1_30default_config_static_selectorELNS0_4arch9wavefront6targetE1EEEvT1_
                                        ; -- End function
	.section	.AMDGPU.csdata,"",@progbits
; Kernel info:
; codeLenInByte = 0
; NumSgprs: 6
; NumVgprs: 0
; NumAgprs: 0
; TotalNumVgprs: 0
; ScratchSize: 0
; MemoryBound: 0
; FloatMode: 240
; IeeeMode: 1
; LDSByteSize: 0 bytes/workgroup (compile time only)
; SGPRBlocks: 0
; VGPRBlocks: 0
; NumSGPRsForWavesPerEU: 6
; NumVGPRsForWavesPerEU: 1
; AccumOffset: 4
; Occupancy: 8
; WaveLimiterHint : 0
; COMPUTE_PGM_RSRC2:SCRATCH_EN: 0
; COMPUTE_PGM_RSRC2:USER_SGPR: 2
; COMPUTE_PGM_RSRC2:TRAP_HANDLER: 0
; COMPUTE_PGM_RSRC2:TGID_X_EN: 1
; COMPUTE_PGM_RSRC2:TGID_Y_EN: 0
; COMPUTE_PGM_RSRC2:TGID_Z_EN: 0
; COMPUTE_PGM_RSRC2:TIDIG_COMP_CNT: 0
; COMPUTE_PGM_RSRC3_GFX90A:ACCUM_OFFSET: 0
; COMPUTE_PGM_RSRC3_GFX90A:TG_SPLIT: 0
	.section	.text._ZN7rocprim17ROCPRIM_400000_NS6detail17trampoline_kernelINS0_14default_configENS1_33run_length_encode_config_selectorIjjNS0_4plusIjEEEEZZNS1_33reduce_by_key_impl_wrapped_configILNS1_25lookback_scan_determinismE0ES3_S7_PKjNS0_17constant_iteratorIjlEEPjPlSF_S6_NS0_8equal_toIjEEEE10hipError_tPvRmT2_T3_mT4_T5_T6_T7_T8_P12ihipStream_tbENKUlT_T0_E_clISt17integral_constantIbLb1EESZ_EEDaSU_SV_EUlSU_E_NS1_11comp_targetILNS1_3genE9ELNS1_11target_archE1100ELNS1_3gpuE3ELNS1_3repE0EEENS1_30default_config_static_selectorELNS0_4arch9wavefront6targetE1EEEvT1_,"axG",@progbits,_ZN7rocprim17ROCPRIM_400000_NS6detail17trampoline_kernelINS0_14default_configENS1_33run_length_encode_config_selectorIjjNS0_4plusIjEEEEZZNS1_33reduce_by_key_impl_wrapped_configILNS1_25lookback_scan_determinismE0ES3_S7_PKjNS0_17constant_iteratorIjlEEPjPlSF_S6_NS0_8equal_toIjEEEE10hipError_tPvRmT2_T3_mT4_T5_T6_T7_T8_P12ihipStream_tbENKUlT_T0_E_clISt17integral_constantIbLb1EESZ_EEDaSU_SV_EUlSU_E_NS1_11comp_targetILNS1_3genE9ELNS1_11target_archE1100ELNS1_3gpuE3ELNS1_3repE0EEENS1_30default_config_static_selectorELNS0_4arch9wavefront6targetE1EEEvT1_,comdat
	.protected	_ZN7rocprim17ROCPRIM_400000_NS6detail17trampoline_kernelINS0_14default_configENS1_33run_length_encode_config_selectorIjjNS0_4plusIjEEEEZZNS1_33reduce_by_key_impl_wrapped_configILNS1_25lookback_scan_determinismE0ES3_S7_PKjNS0_17constant_iteratorIjlEEPjPlSF_S6_NS0_8equal_toIjEEEE10hipError_tPvRmT2_T3_mT4_T5_T6_T7_T8_P12ihipStream_tbENKUlT_T0_E_clISt17integral_constantIbLb1EESZ_EEDaSU_SV_EUlSU_E_NS1_11comp_targetILNS1_3genE9ELNS1_11target_archE1100ELNS1_3gpuE3ELNS1_3repE0EEENS1_30default_config_static_selectorELNS0_4arch9wavefront6targetE1EEEvT1_ ; -- Begin function _ZN7rocprim17ROCPRIM_400000_NS6detail17trampoline_kernelINS0_14default_configENS1_33run_length_encode_config_selectorIjjNS0_4plusIjEEEEZZNS1_33reduce_by_key_impl_wrapped_configILNS1_25lookback_scan_determinismE0ES3_S7_PKjNS0_17constant_iteratorIjlEEPjPlSF_S6_NS0_8equal_toIjEEEE10hipError_tPvRmT2_T3_mT4_T5_T6_T7_T8_P12ihipStream_tbENKUlT_T0_E_clISt17integral_constantIbLb1EESZ_EEDaSU_SV_EUlSU_E_NS1_11comp_targetILNS1_3genE9ELNS1_11target_archE1100ELNS1_3gpuE3ELNS1_3repE0EEENS1_30default_config_static_selectorELNS0_4arch9wavefront6targetE1EEEvT1_
	.globl	_ZN7rocprim17ROCPRIM_400000_NS6detail17trampoline_kernelINS0_14default_configENS1_33run_length_encode_config_selectorIjjNS0_4plusIjEEEEZZNS1_33reduce_by_key_impl_wrapped_configILNS1_25lookback_scan_determinismE0ES3_S7_PKjNS0_17constant_iteratorIjlEEPjPlSF_S6_NS0_8equal_toIjEEEE10hipError_tPvRmT2_T3_mT4_T5_T6_T7_T8_P12ihipStream_tbENKUlT_T0_E_clISt17integral_constantIbLb1EESZ_EEDaSU_SV_EUlSU_E_NS1_11comp_targetILNS1_3genE9ELNS1_11target_archE1100ELNS1_3gpuE3ELNS1_3repE0EEENS1_30default_config_static_selectorELNS0_4arch9wavefront6targetE1EEEvT1_
	.p2align	8
	.type	_ZN7rocprim17ROCPRIM_400000_NS6detail17trampoline_kernelINS0_14default_configENS1_33run_length_encode_config_selectorIjjNS0_4plusIjEEEEZZNS1_33reduce_by_key_impl_wrapped_configILNS1_25lookback_scan_determinismE0ES3_S7_PKjNS0_17constant_iteratorIjlEEPjPlSF_S6_NS0_8equal_toIjEEEE10hipError_tPvRmT2_T3_mT4_T5_T6_T7_T8_P12ihipStream_tbENKUlT_T0_E_clISt17integral_constantIbLb1EESZ_EEDaSU_SV_EUlSU_E_NS1_11comp_targetILNS1_3genE9ELNS1_11target_archE1100ELNS1_3gpuE3ELNS1_3repE0EEENS1_30default_config_static_selectorELNS0_4arch9wavefront6targetE1EEEvT1_,@function
_ZN7rocprim17ROCPRIM_400000_NS6detail17trampoline_kernelINS0_14default_configENS1_33run_length_encode_config_selectorIjjNS0_4plusIjEEEEZZNS1_33reduce_by_key_impl_wrapped_configILNS1_25lookback_scan_determinismE0ES3_S7_PKjNS0_17constant_iteratorIjlEEPjPlSF_S6_NS0_8equal_toIjEEEE10hipError_tPvRmT2_T3_mT4_T5_T6_T7_T8_P12ihipStream_tbENKUlT_T0_E_clISt17integral_constantIbLb1EESZ_EEDaSU_SV_EUlSU_E_NS1_11comp_targetILNS1_3genE9ELNS1_11target_archE1100ELNS1_3gpuE3ELNS1_3repE0EEENS1_30default_config_static_selectorELNS0_4arch9wavefront6targetE1EEEvT1_: ; @_ZN7rocprim17ROCPRIM_400000_NS6detail17trampoline_kernelINS0_14default_configENS1_33run_length_encode_config_selectorIjjNS0_4plusIjEEEEZZNS1_33reduce_by_key_impl_wrapped_configILNS1_25lookback_scan_determinismE0ES3_S7_PKjNS0_17constant_iteratorIjlEEPjPlSF_S6_NS0_8equal_toIjEEEE10hipError_tPvRmT2_T3_mT4_T5_T6_T7_T8_P12ihipStream_tbENKUlT_T0_E_clISt17integral_constantIbLb1EESZ_EEDaSU_SV_EUlSU_E_NS1_11comp_targetILNS1_3genE9ELNS1_11target_archE1100ELNS1_3gpuE3ELNS1_3repE0EEENS1_30default_config_static_selectorELNS0_4arch9wavefront6targetE1EEEvT1_
; %bb.0:
	.section	.rodata,"a",@progbits
	.p2align	6, 0x0
	.amdhsa_kernel _ZN7rocprim17ROCPRIM_400000_NS6detail17trampoline_kernelINS0_14default_configENS1_33run_length_encode_config_selectorIjjNS0_4plusIjEEEEZZNS1_33reduce_by_key_impl_wrapped_configILNS1_25lookback_scan_determinismE0ES3_S7_PKjNS0_17constant_iteratorIjlEEPjPlSF_S6_NS0_8equal_toIjEEEE10hipError_tPvRmT2_T3_mT4_T5_T6_T7_T8_P12ihipStream_tbENKUlT_T0_E_clISt17integral_constantIbLb1EESZ_EEDaSU_SV_EUlSU_E_NS1_11comp_targetILNS1_3genE9ELNS1_11target_archE1100ELNS1_3gpuE3ELNS1_3repE0EEENS1_30default_config_static_selectorELNS0_4arch9wavefront6targetE1EEEvT1_
		.amdhsa_group_segment_fixed_size 0
		.amdhsa_private_segment_fixed_size 0
		.amdhsa_kernarg_size 128
		.amdhsa_user_sgpr_count 2
		.amdhsa_user_sgpr_dispatch_ptr 0
		.amdhsa_user_sgpr_queue_ptr 0
		.amdhsa_user_sgpr_kernarg_segment_ptr 1
		.amdhsa_user_sgpr_dispatch_id 0
		.amdhsa_user_sgpr_kernarg_preload_length 0
		.amdhsa_user_sgpr_kernarg_preload_offset 0
		.amdhsa_user_sgpr_private_segment_size 0
		.amdhsa_uses_dynamic_stack 0
		.amdhsa_enable_private_segment 0
		.amdhsa_system_sgpr_workgroup_id_x 1
		.amdhsa_system_sgpr_workgroup_id_y 0
		.amdhsa_system_sgpr_workgroup_id_z 0
		.amdhsa_system_sgpr_workgroup_info 0
		.amdhsa_system_vgpr_workitem_id 0
		.amdhsa_next_free_vgpr 1
		.amdhsa_next_free_sgpr 0
		.amdhsa_accum_offset 4
		.amdhsa_reserve_vcc 0
		.amdhsa_float_round_mode_32 0
		.amdhsa_float_round_mode_16_64 0
		.amdhsa_float_denorm_mode_32 3
		.amdhsa_float_denorm_mode_16_64 3
		.amdhsa_dx10_clamp 1
		.amdhsa_ieee_mode 1
		.amdhsa_fp16_overflow 0
		.amdhsa_tg_split 0
		.amdhsa_exception_fp_ieee_invalid_op 0
		.amdhsa_exception_fp_denorm_src 0
		.amdhsa_exception_fp_ieee_div_zero 0
		.amdhsa_exception_fp_ieee_overflow 0
		.amdhsa_exception_fp_ieee_underflow 0
		.amdhsa_exception_fp_ieee_inexact 0
		.amdhsa_exception_int_div_zero 0
	.end_amdhsa_kernel
	.section	.text._ZN7rocprim17ROCPRIM_400000_NS6detail17trampoline_kernelINS0_14default_configENS1_33run_length_encode_config_selectorIjjNS0_4plusIjEEEEZZNS1_33reduce_by_key_impl_wrapped_configILNS1_25lookback_scan_determinismE0ES3_S7_PKjNS0_17constant_iteratorIjlEEPjPlSF_S6_NS0_8equal_toIjEEEE10hipError_tPvRmT2_T3_mT4_T5_T6_T7_T8_P12ihipStream_tbENKUlT_T0_E_clISt17integral_constantIbLb1EESZ_EEDaSU_SV_EUlSU_E_NS1_11comp_targetILNS1_3genE9ELNS1_11target_archE1100ELNS1_3gpuE3ELNS1_3repE0EEENS1_30default_config_static_selectorELNS0_4arch9wavefront6targetE1EEEvT1_,"axG",@progbits,_ZN7rocprim17ROCPRIM_400000_NS6detail17trampoline_kernelINS0_14default_configENS1_33run_length_encode_config_selectorIjjNS0_4plusIjEEEEZZNS1_33reduce_by_key_impl_wrapped_configILNS1_25lookback_scan_determinismE0ES3_S7_PKjNS0_17constant_iteratorIjlEEPjPlSF_S6_NS0_8equal_toIjEEEE10hipError_tPvRmT2_T3_mT4_T5_T6_T7_T8_P12ihipStream_tbENKUlT_T0_E_clISt17integral_constantIbLb1EESZ_EEDaSU_SV_EUlSU_E_NS1_11comp_targetILNS1_3genE9ELNS1_11target_archE1100ELNS1_3gpuE3ELNS1_3repE0EEENS1_30default_config_static_selectorELNS0_4arch9wavefront6targetE1EEEvT1_,comdat
.Lfunc_end665:
	.size	_ZN7rocprim17ROCPRIM_400000_NS6detail17trampoline_kernelINS0_14default_configENS1_33run_length_encode_config_selectorIjjNS0_4plusIjEEEEZZNS1_33reduce_by_key_impl_wrapped_configILNS1_25lookback_scan_determinismE0ES3_S7_PKjNS0_17constant_iteratorIjlEEPjPlSF_S6_NS0_8equal_toIjEEEE10hipError_tPvRmT2_T3_mT4_T5_T6_T7_T8_P12ihipStream_tbENKUlT_T0_E_clISt17integral_constantIbLb1EESZ_EEDaSU_SV_EUlSU_E_NS1_11comp_targetILNS1_3genE9ELNS1_11target_archE1100ELNS1_3gpuE3ELNS1_3repE0EEENS1_30default_config_static_selectorELNS0_4arch9wavefront6targetE1EEEvT1_, .Lfunc_end665-_ZN7rocprim17ROCPRIM_400000_NS6detail17trampoline_kernelINS0_14default_configENS1_33run_length_encode_config_selectorIjjNS0_4plusIjEEEEZZNS1_33reduce_by_key_impl_wrapped_configILNS1_25lookback_scan_determinismE0ES3_S7_PKjNS0_17constant_iteratorIjlEEPjPlSF_S6_NS0_8equal_toIjEEEE10hipError_tPvRmT2_T3_mT4_T5_T6_T7_T8_P12ihipStream_tbENKUlT_T0_E_clISt17integral_constantIbLb1EESZ_EEDaSU_SV_EUlSU_E_NS1_11comp_targetILNS1_3genE9ELNS1_11target_archE1100ELNS1_3gpuE3ELNS1_3repE0EEENS1_30default_config_static_selectorELNS0_4arch9wavefront6targetE1EEEvT1_
                                        ; -- End function
	.section	.AMDGPU.csdata,"",@progbits
; Kernel info:
; codeLenInByte = 0
; NumSgprs: 6
; NumVgprs: 0
; NumAgprs: 0
; TotalNumVgprs: 0
; ScratchSize: 0
; MemoryBound: 0
; FloatMode: 240
; IeeeMode: 1
; LDSByteSize: 0 bytes/workgroup (compile time only)
; SGPRBlocks: 0
; VGPRBlocks: 0
; NumSGPRsForWavesPerEU: 6
; NumVGPRsForWavesPerEU: 1
; AccumOffset: 4
; Occupancy: 8
; WaveLimiterHint : 0
; COMPUTE_PGM_RSRC2:SCRATCH_EN: 0
; COMPUTE_PGM_RSRC2:USER_SGPR: 2
; COMPUTE_PGM_RSRC2:TRAP_HANDLER: 0
; COMPUTE_PGM_RSRC2:TGID_X_EN: 1
; COMPUTE_PGM_RSRC2:TGID_Y_EN: 0
; COMPUTE_PGM_RSRC2:TGID_Z_EN: 0
; COMPUTE_PGM_RSRC2:TIDIG_COMP_CNT: 0
; COMPUTE_PGM_RSRC3_GFX90A:ACCUM_OFFSET: 0
; COMPUTE_PGM_RSRC3_GFX90A:TG_SPLIT: 0
	.section	.text._ZN7rocprim17ROCPRIM_400000_NS6detail17trampoline_kernelINS0_14default_configENS1_33run_length_encode_config_selectorIjjNS0_4plusIjEEEEZZNS1_33reduce_by_key_impl_wrapped_configILNS1_25lookback_scan_determinismE0ES3_S7_PKjNS0_17constant_iteratorIjlEEPjPlSF_S6_NS0_8equal_toIjEEEE10hipError_tPvRmT2_T3_mT4_T5_T6_T7_T8_P12ihipStream_tbENKUlT_T0_E_clISt17integral_constantIbLb1EESZ_EEDaSU_SV_EUlSU_E_NS1_11comp_targetILNS1_3genE8ELNS1_11target_archE1030ELNS1_3gpuE2ELNS1_3repE0EEENS1_30default_config_static_selectorELNS0_4arch9wavefront6targetE1EEEvT1_,"axG",@progbits,_ZN7rocprim17ROCPRIM_400000_NS6detail17trampoline_kernelINS0_14default_configENS1_33run_length_encode_config_selectorIjjNS0_4plusIjEEEEZZNS1_33reduce_by_key_impl_wrapped_configILNS1_25lookback_scan_determinismE0ES3_S7_PKjNS0_17constant_iteratorIjlEEPjPlSF_S6_NS0_8equal_toIjEEEE10hipError_tPvRmT2_T3_mT4_T5_T6_T7_T8_P12ihipStream_tbENKUlT_T0_E_clISt17integral_constantIbLb1EESZ_EEDaSU_SV_EUlSU_E_NS1_11comp_targetILNS1_3genE8ELNS1_11target_archE1030ELNS1_3gpuE2ELNS1_3repE0EEENS1_30default_config_static_selectorELNS0_4arch9wavefront6targetE1EEEvT1_,comdat
	.protected	_ZN7rocprim17ROCPRIM_400000_NS6detail17trampoline_kernelINS0_14default_configENS1_33run_length_encode_config_selectorIjjNS0_4plusIjEEEEZZNS1_33reduce_by_key_impl_wrapped_configILNS1_25lookback_scan_determinismE0ES3_S7_PKjNS0_17constant_iteratorIjlEEPjPlSF_S6_NS0_8equal_toIjEEEE10hipError_tPvRmT2_T3_mT4_T5_T6_T7_T8_P12ihipStream_tbENKUlT_T0_E_clISt17integral_constantIbLb1EESZ_EEDaSU_SV_EUlSU_E_NS1_11comp_targetILNS1_3genE8ELNS1_11target_archE1030ELNS1_3gpuE2ELNS1_3repE0EEENS1_30default_config_static_selectorELNS0_4arch9wavefront6targetE1EEEvT1_ ; -- Begin function _ZN7rocprim17ROCPRIM_400000_NS6detail17trampoline_kernelINS0_14default_configENS1_33run_length_encode_config_selectorIjjNS0_4plusIjEEEEZZNS1_33reduce_by_key_impl_wrapped_configILNS1_25lookback_scan_determinismE0ES3_S7_PKjNS0_17constant_iteratorIjlEEPjPlSF_S6_NS0_8equal_toIjEEEE10hipError_tPvRmT2_T3_mT4_T5_T6_T7_T8_P12ihipStream_tbENKUlT_T0_E_clISt17integral_constantIbLb1EESZ_EEDaSU_SV_EUlSU_E_NS1_11comp_targetILNS1_3genE8ELNS1_11target_archE1030ELNS1_3gpuE2ELNS1_3repE0EEENS1_30default_config_static_selectorELNS0_4arch9wavefront6targetE1EEEvT1_
	.globl	_ZN7rocprim17ROCPRIM_400000_NS6detail17trampoline_kernelINS0_14default_configENS1_33run_length_encode_config_selectorIjjNS0_4plusIjEEEEZZNS1_33reduce_by_key_impl_wrapped_configILNS1_25lookback_scan_determinismE0ES3_S7_PKjNS0_17constant_iteratorIjlEEPjPlSF_S6_NS0_8equal_toIjEEEE10hipError_tPvRmT2_T3_mT4_T5_T6_T7_T8_P12ihipStream_tbENKUlT_T0_E_clISt17integral_constantIbLb1EESZ_EEDaSU_SV_EUlSU_E_NS1_11comp_targetILNS1_3genE8ELNS1_11target_archE1030ELNS1_3gpuE2ELNS1_3repE0EEENS1_30default_config_static_selectorELNS0_4arch9wavefront6targetE1EEEvT1_
	.p2align	8
	.type	_ZN7rocprim17ROCPRIM_400000_NS6detail17trampoline_kernelINS0_14default_configENS1_33run_length_encode_config_selectorIjjNS0_4plusIjEEEEZZNS1_33reduce_by_key_impl_wrapped_configILNS1_25lookback_scan_determinismE0ES3_S7_PKjNS0_17constant_iteratorIjlEEPjPlSF_S6_NS0_8equal_toIjEEEE10hipError_tPvRmT2_T3_mT4_T5_T6_T7_T8_P12ihipStream_tbENKUlT_T0_E_clISt17integral_constantIbLb1EESZ_EEDaSU_SV_EUlSU_E_NS1_11comp_targetILNS1_3genE8ELNS1_11target_archE1030ELNS1_3gpuE2ELNS1_3repE0EEENS1_30default_config_static_selectorELNS0_4arch9wavefront6targetE1EEEvT1_,@function
_ZN7rocprim17ROCPRIM_400000_NS6detail17trampoline_kernelINS0_14default_configENS1_33run_length_encode_config_selectorIjjNS0_4plusIjEEEEZZNS1_33reduce_by_key_impl_wrapped_configILNS1_25lookback_scan_determinismE0ES3_S7_PKjNS0_17constant_iteratorIjlEEPjPlSF_S6_NS0_8equal_toIjEEEE10hipError_tPvRmT2_T3_mT4_T5_T6_T7_T8_P12ihipStream_tbENKUlT_T0_E_clISt17integral_constantIbLb1EESZ_EEDaSU_SV_EUlSU_E_NS1_11comp_targetILNS1_3genE8ELNS1_11target_archE1030ELNS1_3gpuE2ELNS1_3repE0EEENS1_30default_config_static_selectorELNS0_4arch9wavefront6targetE1EEEvT1_: ; @_ZN7rocprim17ROCPRIM_400000_NS6detail17trampoline_kernelINS0_14default_configENS1_33run_length_encode_config_selectorIjjNS0_4plusIjEEEEZZNS1_33reduce_by_key_impl_wrapped_configILNS1_25lookback_scan_determinismE0ES3_S7_PKjNS0_17constant_iteratorIjlEEPjPlSF_S6_NS0_8equal_toIjEEEE10hipError_tPvRmT2_T3_mT4_T5_T6_T7_T8_P12ihipStream_tbENKUlT_T0_E_clISt17integral_constantIbLb1EESZ_EEDaSU_SV_EUlSU_E_NS1_11comp_targetILNS1_3genE8ELNS1_11target_archE1030ELNS1_3gpuE2ELNS1_3repE0EEENS1_30default_config_static_selectorELNS0_4arch9wavefront6targetE1EEEvT1_
; %bb.0:
	.section	.rodata,"a",@progbits
	.p2align	6, 0x0
	.amdhsa_kernel _ZN7rocprim17ROCPRIM_400000_NS6detail17trampoline_kernelINS0_14default_configENS1_33run_length_encode_config_selectorIjjNS0_4plusIjEEEEZZNS1_33reduce_by_key_impl_wrapped_configILNS1_25lookback_scan_determinismE0ES3_S7_PKjNS0_17constant_iteratorIjlEEPjPlSF_S6_NS0_8equal_toIjEEEE10hipError_tPvRmT2_T3_mT4_T5_T6_T7_T8_P12ihipStream_tbENKUlT_T0_E_clISt17integral_constantIbLb1EESZ_EEDaSU_SV_EUlSU_E_NS1_11comp_targetILNS1_3genE8ELNS1_11target_archE1030ELNS1_3gpuE2ELNS1_3repE0EEENS1_30default_config_static_selectorELNS0_4arch9wavefront6targetE1EEEvT1_
		.amdhsa_group_segment_fixed_size 0
		.amdhsa_private_segment_fixed_size 0
		.amdhsa_kernarg_size 128
		.amdhsa_user_sgpr_count 2
		.amdhsa_user_sgpr_dispatch_ptr 0
		.amdhsa_user_sgpr_queue_ptr 0
		.amdhsa_user_sgpr_kernarg_segment_ptr 1
		.amdhsa_user_sgpr_dispatch_id 0
		.amdhsa_user_sgpr_kernarg_preload_length 0
		.amdhsa_user_sgpr_kernarg_preload_offset 0
		.amdhsa_user_sgpr_private_segment_size 0
		.amdhsa_uses_dynamic_stack 0
		.amdhsa_enable_private_segment 0
		.amdhsa_system_sgpr_workgroup_id_x 1
		.amdhsa_system_sgpr_workgroup_id_y 0
		.amdhsa_system_sgpr_workgroup_id_z 0
		.amdhsa_system_sgpr_workgroup_info 0
		.amdhsa_system_vgpr_workitem_id 0
		.amdhsa_next_free_vgpr 1
		.amdhsa_next_free_sgpr 0
		.amdhsa_accum_offset 4
		.amdhsa_reserve_vcc 0
		.amdhsa_float_round_mode_32 0
		.amdhsa_float_round_mode_16_64 0
		.amdhsa_float_denorm_mode_32 3
		.amdhsa_float_denorm_mode_16_64 3
		.amdhsa_dx10_clamp 1
		.amdhsa_ieee_mode 1
		.amdhsa_fp16_overflow 0
		.amdhsa_tg_split 0
		.amdhsa_exception_fp_ieee_invalid_op 0
		.amdhsa_exception_fp_denorm_src 0
		.amdhsa_exception_fp_ieee_div_zero 0
		.amdhsa_exception_fp_ieee_overflow 0
		.amdhsa_exception_fp_ieee_underflow 0
		.amdhsa_exception_fp_ieee_inexact 0
		.amdhsa_exception_int_div_zero 0
	.end_amdhsa_kernel
	.section	.text._ZN7rocprim17ROCPRIM_400000_NS6detail17trampoline_kernelINS0_14default_configENS1_33run_length_encode_config_selectorIjjNS0_4plusIjEEEEZZNS1_33reduce_by_key_impl_wrapped_configILNS1_25lookback_scan_determinismE0ES3_S7_PKjNS0_17constant_iteratorIjlEEPjPlSF_S6_NS0_8equal_toIjEEEE10hipError_tPvRmT2_T3_mT4_T5_T6_T7_T8_P12ihipStream_tbENKUlT_T0_E_clISt17integral_constantIbLb1EESZ_EEDaSU_SV_EUlSU_E_NS1_11comp_targetILNS1_3genE8ELNS1_11target_archE1030ELNS1_3gpuE2ELNS1_3repE0EEENS1_30default_config_static_selectorELNS0_4arch9wavefront6targetE1EEEvT1_,"axG",@progbits,_ZN7rocprim17ROCPRIM_400000_NS6detail17trampoline_kernelINS0_14default_configENS1_33run_length_encode_config_selectorIjjNS0_4plusIjEEEEZZNS1_33reduce_by_key_impl_wrapped_configILNS1_25lookback_scan_determinismE0ES3_S7_PKjNS0_17constant_iteratorIjlEEPjPlSF_S6_NS0_8equal_toIjEEEE10hipError_tPvRmT2_T3_mT4_T5_T6_T7_T8_P12ihipStream_tbENKUlT_T0_E_clISt17integral_constantIbLb1EESZ_EEDaSU_SV_EUlSU_E_NS1_11comp_targetILNS1_3genE8ELNS1_11target_archE1030ELNS1_3gpuE2ELNS1_3repE0EEENS1_30default_config_static_selectorELNS0_4arch9wavefront6targetE1EEEvT1_,comdat
.Lfunc_end666:
	.size	_ZN7rocprim17ROCPRIM_400000_NS6detail17trampoline_kernelINS0_14default_configENS1_33run_length_encode_config_selectorIjjNS0_4plusIjEEEEZZNS1_33reduce_by_key_impl_wrapped_configILNS1_25lookback_scan_determinismE0ES3_S7_PKjNS0_17constant_iteratorIjlEEPjPlSF_S6_NS0_8equal_toIjEEEE10hipError_tPvRmT2_T3_mT4_T5_T6_T7_T8_P12ihipStream_tbENKUlT_T0_E_clISt17integral_constantIbLb1EESZ_EEDaSU_SV_EUlSU_E_NS1_11comp_targetILNS1_3genE8ELNS1_11target_archE1030ELNS1_3gpuE2ELNS1_3repE0EEENS1_30default_config_static_selectorELNS0_4arch9wavefront6targetE1EEEvT1_, .Lfunc_end666-_ZN7rocprim17ROCPRIM_400000_NS6detail17trampoline_kernelINS0_14default_configENS1_33run_length_encode_config_selectorIjjNS0_4plusIjEEEEZZNS1_33reduce_by_key_impl_wrapped_configILNS1_25lookback_scan_determinismE0ES3_S7_PKjNS0_17constant_iteratorIjlEEPjPlSF_S6_NS0_8equal_toIjEEEE10hipError_tPvRmT2_T3_mT4_T5_T6_T7_T8_P12ihipStream_tbENKUlT_T0_E_clISt17integral_constantIbLb1EESZ_EEDaSU_SV_EUlSU_E_NS1_11comp_targetILNS1_3genE8ELNS1_11target_archE1030ELNS1_3gpuE2ELNS1_3repE0EEENS1_30default_config_static_selectorELNS0_4arch9wavefront6targetE1EEEvT1_
                                        ; -- End function
	.section	.AMDGPU.csdata,"",@progbits
; Kernel info:
; codeLenInByte = 0
; NumSgprs: 6
; NumVgprs: 0
; NumAgprs: 0
; TotalNumVgprs: 0
; ScratchSize: 0
; MemoryBound: 0
; FloatMode: 240
; IeeeMode: 1
; LDSByteSize: 0 bytes/workgroup (compile time only)
; SGPRBlocks: 0
; VGPRBlocks: 0
; NumSGPRsForWavesPerEU: 6
; NumVGPRsForWavesPerEU: 1
; AccumOffset: 4
; Occupancy: 8
; WaveLimiterHint : 0
; COMPUTE_PGM_RSRC2:SCRATCH_EN: 0
; COMPUTE_PGM_RSRC2:USER_SGPR: 2
; COMPUTE_PGM_RSRC2:TRAP_HANDLER: 0
; COMPUTE_PGM_RSRC2:TGID_X_EN: 1
; COMPUTE_PGM_RSRC2:TGID_Y_EN: 0
; COMPUTE_PGM_RSRC2:TGID_Z_EN: 0
; COMPUTE_PGM_RSRC2:TIDIG_COMP_CNT: 0
; COMPUTE_PGM_RSRC3_GFX90A:ACCUM_OFFSET: 0
; COMPUTE_PGM_RSRC3_GFX90A:TG_SPLIT: 0
	.section	.text._ZN7rocprim17ROCPRIM_400000_NS6detail17trampoline_kernelINS0_14default_configENS1_33run_length_encode_config_selectorIjjNS0_4plusIjEEEEZZNS1_33reduce_by_key_impl_wrapped_configILNS1_25lookback_scan_determinismE0ES3_S7_PKjNS0_17constant_iteratorIjlEEPjPlSF_S6_NS0_8equal_toIjEEEE10hipError_tPvRmT2_T3_mT4_T5_T6_T7_T8_P12ihipStream_tbENKUlT_T0_E_clISt17integral_constantIbLb1EESY_IbLb0EEEEDaSU_SV_EUlSU_E_NS1_11comp_targetILNS1_3genE0ELNS1_11target_archE4294967295ELNS1_3gpuE0ELNS1_3repE0EEENS1_30default_config_static_selectorELNS0_4arch9wavefront6targetE1EEEvT1_,"axG",@progbits,_ZN7rocprim17ROCPRIM_400000_NS6detail17trampoline_kernelINS0_14default_configENS1_33run_length_encode_config_selectorIjjNS0_4plusIjEEEEZZNS1_33reduce_by_key_impl_wrapped_configILNS1_25lookback_scan_determinismE0ES3_S7_PKjNS0_17constant_iteratorIjlEEPjPlSF_S6_NS0_8equal_toIjEEEE10hipError_tPvRmT2_T3_mT4_T5_T6_T7_T8_P12ihipStream_tbENKUlT_T0_E_clISt17integral_constantIbLb1EESY_IbLb0EEEEDaSU_SV_EUlSU_E_NS1_11comp_targetILNS1_3genE0ELNS1_11target_archE4294967295ELNS1_3gpuE0ELNS1_3repE0EEENS1_30default_config_static_selectorELNS0_4arch9wavefront6targetE1EEEvT1_,comdat
	.protected	_ZN7rocprim17ROCPRIM_400000_NS6detail17trampoline_kernelINS0_14default_configENS1_33run_length_encode_config_selectorIjjNS0_4plusIjEEEEZZNS1_33reduce_by_key_impl_wrapped_configILNS1_25lookback_scan_determinismE0ES3_S7_PKjNS0_17constant_iteratorIjlEEPjPlSF_S6_NS0_8equal_toIjEEEE10hipError_tPvRmT2_T3_mT4_T5_T6_T7_T8_P12ihipStream_tbENKUlT_T0_E_clISt17integral_constantIbLb1EESY_IbLb0EEEEDaSU_SV_EUlSU_E_NS1_11comp_targetILNS1_3genE0ELNS1_11target_archE4294967295ELNS1_3gpuE0ELNS1_3repE0EEENS1_30default_config_static_selectorELNS0_4arch9wavefront6targetE1EEEvT1_ ; -- Begin function _ZN7rocprim17ROCPRIM_400000_NS6detail17trampoline_kernelINS0_14default_configENS1_33run_length_encode_config_selectorIjjNS0_4plusIjEEEEZZNS1_33reduce_by_key_impl_wrapped_configILNS1_25lookback_scan_determinismE0ES3_S7_PKjNS0_17constant_iteratorIjlEEPjPlSF_S6_NS0_8equal_toIjEEEE10hipError_tPvRmT2_T3_mT4_T5_T6_T7_T8_P12ihipStream_tbENKUlT_T0_E_clISt17integral_constantIbLb1EESY_IbLb0EEEEDaSU_SV_EUlSU_E_NS1_11comp_targetILNS1_3genE0ELNS1_11target_archE4294967295ELNS1_3gpuE0ELNS1_3repE0EEENS1_30default_config_static_selectorELNS0_4arch9wavefront6targetE1EEEvT1_
	.globl	_ZN7rocprim17ROCPRIM_400000_NS6detail17trampoline_kernelINS0_14default_configENS1_33run_length_encode_config_selectorIjjNS0_4plusIjEEEEZZNS1_33reduce_by_key_impl_wrapped_configILNS1_25lookback_scan_determinismE0ES3_S7_PKjNS0_17constant_iteratorIjlEEPjPlSF_S6_NS0_8equal_toIjEEEE10hipError_tPvRmT2_T3_mT4_T5_T6_T7_T8_P12ihipStream_tbENKUlT_T0_E_clISt17integral_constantIbLb1EESY_IbLb0EEEEDaSU_SV_EUlSU_E_NS1_11comp_targetILNS1_3genE0ELNS1_11target_archE4294967295ELNS1_3gpuE0ELNS1_3repE0EEENS1_30default_config_static_selectorELNS0_4arch9wavefront6targetE1EEEvT1_
	.p2align	8
	.type	_ZN7rocprim17ROCPRIM_400000_NS6detail17trampoline_kernelINS0_14default_configENS1_33run_length_encode_config_selectorIjjNS0_4plusIjEEEEZZNS1_33reduce_by_key_impl_wrapped_configILNS1_25lookback_scan_determinismE0ES3_S7_PKjNS0_17constant_iteratorIjlEEPjPlSF_S6_NS0_8equal_toIjEEEE10hipError_tPvRmT2_T3_mT4_T5_T6_T7_T8_P12ihipStream_tbENKUlT_T0_E_clISt17integral_constantIbLb1EESY_IbLb0EEEEDaSU_SV_EUlSU_E_NS1_11comp_targetILNS1_3genE0ELNS1_11target_archE4294967295ELNS1_3gpuE0ELNS1_3repE0EEENS1_30default_config_static_selectorELNS0_4arch9wavefront6targetE1EEEvT1_,@function
_ZN7rocprim17ROCPRIM_400000_NS6detail17trampoline_kernelINS0_14default_configENS1_33run_length_encode_config_selectorIjjNS0_4plusIjEEEEZZNS1_33reduce_by_key_impl_wrapped_configILNS1_25lookback_scan_determinismE0ES3_S7_PKjNS0_17constant_iteratorIjlEEPjPlSF_S6_NS0_8equal_toIjEEEE10hipError_tPvRmT2_T3_mT4_T5_T6_T7_T8_P12ihipStream_tbENKUlT_T0_E_clISt17integral_constantIbLb1EESY_IbLb0EEEEDaSU_SV_EUlSU_E_NS1_11comp_targetILNS1_3genE0ELNS1_11target_archE4294967295ELNS1_3gpuE0ELNS1_3repE0EEENS1_30default_config_static_selectorELNS0_4arch9wavefront6targetE1EEEvT1_: ; @_ZN7rocprim17ROCPRIM_400000_NS6detail17trampoline_kernelINS0_14default_configENS1_33run_length_encode_config_selectorIjjNS0_4plusIjEEEEZZNS1_33reduce_by_key_impl_wrapped_configILNS1_25lookback_scan_determinismE0ES3_S7_PKjNS0_17constant_iteratorIjlEEPjPlSF_S6_NS0_8equal_toIjEEEE10hipError_tPvRmT2_T3_mT4_T5_T6_T7_T8_P12ihipStream_tbENKUlT_T0_E_clISt17integral_constantIbLb1EESY_IbLb0EEEEDaSU_SV_EUlSU_E_NS1_11comp_targetILNS1_3genE0ELNS1_11target_archE4294967295ELNS1_3gpuE0ELNS1_3repE0EEENS1_30default_config_static_selectorELNS0_4arch9wavefront6targetE1EEEvT1_
; %bb.0:
	.section	.rodata,"a",@progbits
	.p2align	6, 0x0
	.amdhsa_kernel _ZN7rocprim17ROCPRIM_400000_NS6detail17trampoline_kernelINS0_14default_configENS1_33run_length_encode_config_selectorIjjNS0_4plusIjEEEEZZNS1_33reduce_by_key_impl_wrapped_configILNS1_25lookback_scan_determinismE0ES3_S7_PKjNS0_17constant_iteratorIjlEEPjPlSF_S6_NS0_8equal_toIjEEEE10hipError_tPvRmT2_T3_mT4_T5_T6_T7_T8_P12ihipStream_tbENKUlT_T0_E_clISt17integral_constantIbLb1EESY_IbLb0EEEEDaSU_SV_EUlSU_E_NS1_11comp_targetILNS1_3genE0ELNS1_11target_archE4294967295ELNS1_3gpuE0ELNS1_3repE0EEENS1_30default_config_static_selectorELNS0_4arch9wavefront6targetE1EEEvT1_
		.amdhsa_group_segment_fixed_size 0
		.amdhsa_private_segment_fixed_size 0
		.amdhsa_kernarg_size 128
		.amdhsa_user_sgpr_count 2
		.amdhsa_user_sgpr_dispatch_ptr 0
		.amdhsa_user_sgpr_queue_ptr 0
		.amdhsa_user_sgpr_kernarg_segment_ptr 1
		.amdhsa_user_sgpr_dispatch_id 0
		.amdhsa_user_sgpr_kernarg_preload_length 0
		.amdhsa_user_sgpr_kernarg_preload_offset 0
		.amdhsa_user_sgpr_private_segment_size 0
		.amdhsa_uses_dynamic_stack 0
		.amdhsa_enable_private_segment 0
		.amdhsa_system_sgpr_workgroup_id_x 1
		.amdhsa_system_sgpr_workgroup_id_y 0
		.amdhsa_system_sgpr_workgroup_id_z 0
		.amdhsa_system_sgpr_workgroup_info 0
		.amdhsa_system_vgpr_workitem_id 0
		.amdhsa_next_free_vgpr 1
		.amdhsa_next_free_sgpr 0
		.amdhsa_accum_offset 4
		.amdhsa_reserve_vcc 0
		.amdhsa_float_round_mode_32 0
		.amdhsa_float_round_mode_16_64 0
		.amdhsa_float_denorm_mode_32 3
		.amdhsa_float_denorm_mode_16_64 3
		.amdhsa_dx10_clamp 1
		.amdhsa_ieee_mode 1
		.amdhsa_fp16_overflow 0
		.amdhsa_tg_split 0
		.amdhsa_exception_fp_ieee_invalid_op 0
		.amdhsa_exception_fp_denorm_src 0
		.amdhsa_exception_fp_ieee_div_zero 0
		.amdhsa_exception_fp_ieee_overflow 0
		.amdhsa_exception_fp_ieee_underflow 0
		.amdhsa_exception_fp_ieee_inexact 0
		.amdhsa_exception_int_div_zero 0
	.end_amdhsa_kernel
	.section	.text._ZN7rocprim17ROCPRIM_400000_NS6detail17trampoline_kernelINS0_14default_configENS1_33run_length_encode_config_selectorIjjNS0_4plusIjEEEEZZNS1_33reduce_by_key_impl_wrapped_configILNS1_25lookback_scan_determinismE0ES3_S7_PKjNS0_17constant_iteratorIjlEEPjPlSF_S6_NS0_8equal_toIjEEEE10hipError_tPvRmT2_T3_mT4_T5_T6_T7_T8_P12ihipStream_tbENKUlT_T0_E_clISt17integral_constantIbLb1EESY_IbLb0EEEEDaSU_SV_EUlSU_E_NS1_11comp_targetILNS1_3genE0ELNS1_11target_archE4294967295ELNS1_3gpuE0ELNS1_3repE0EEENS1_30default_config_static_selectorELNS0_4arch9wavefront6targetE1EEEvT1_,"axG",@progbits,_ZN7rocprim17ROCPRIM_400000_NS6detail17trampoline_kernelINS0_14default_configENS1_33run_length_encode_config_selectorIjjNS0_4plusIjEEEEZZNS1_33reduce_by_key_impl_wrapped_configILNS1_25lookback_scan_determinismE0ES3_S7_PKjNS0_17constant_iteratorIjlEEPjPlSF_S6_NS0_8equal_toIjEEEE10hipError_tPvRmT2_T3_mT4_T5_T6_T7_T8_P12ihipStream_tbENKUlT_T0_E_clISt17integral_constantIbLb1EESY_IbLb0EEEEDaSU_SV_EUlSU_E_NS1_11comp_targetILNS1_3genE0ELNS1_11target_archE4294967295ELNS1_3gpuE0ELNS1_3repE0EEENS1_30default_config_static_selectorELNS0_4arch9wavefront6targetE1EEEvT1_,comdat
.Lfunc_end667:
	.size	_ZN7rocprim17ROCPRIM_400000_NS6detail17trampoline_kernelINS0_14default_configENS1_33run_length_encode_config_selectorIjjNS0_4plusIjEEEEZZNS1_33reduce_by_key_impl_wrapped_configILNS1_25lookback_scan_determinismE0ES3_S7_PKjNS0_17constant_iteratorIjlEEPjPlSF_S6_NS0_8equal_toIjEEEE10hipError_tPvRmT2_T3_mT4_T5_T6_T7_T8_P12ihipStream_tbENKUlT_T0_E_clISt17integral_constantIbLb1EESY_IbLb0EEEEDaSU_SV_EUlSU_E_NS1_11comp_targetILNS1_3genE0ELNS1_11target_archE4294967295ELNS1_3gpuE0ELNS1_3repE0EEENS1_30default_config_static_selectorELNS0_4arch9wavefront6targetE1EEEvT1_, .Lfunc_end667-_ZN7rocprim17ROCPRIM_400000_NS6detail17trampoline_kernelINS0_14default_configENS1_33run_length_encode_config_selectorIjjNS0_4plusIjEEEEZZNS1_33reduce_by_key_impl_wrapped_configILNS1_25lookback_scan_determinismE0ES3_S7_PKjNS0_17constant_iteratorIjlEEPjPlSF_S6_NS0_8equal_toIjEEEE10hipError_tPvRmT2_T3_mT4_T5_T6_T7_T8_P12ihipStream_tbENKUlT_T0_E_clISt17integral_constantIbLb1EESY_IbLb0EEEEDaSU_SV_EUlSU_E_NS1_11comp_targetILNS1_3genE0ELNS1_11target_archE4294967295ELNS1_3gpuE0ELNS1_3repE0EEENS1_30default_config_static_selectorELNS0_4arch9wavefront6targetE1EEEvT1_
                                        ; -- End function
	.section	.AMDGPU.csdata,"",@progbits
; Kernel info:
; codeLenInByte = 0
; NumSgprs: 6
; NumVgprs: 0
; NumAgprs: 0
; TotalNumVgprs: 0
; ScratchSize: 0
; MemoryBound: 0
; FloatMode: 240
; IeeeMode: 1
; LDSByteSize: 0 bytes/workgroup (compile time only)
; SGPRBlocks: 0
; VGPRBlocks: 0
; NumSGPRsForWavesPerEU: 6
; NumVGPRsForWavesPerEU: 1
; AccumOffset: 4
; Occupancy: 8
; WaveLimiterHint : 0
; COMPUTE_PGM_RSRC2:SCRATCH_EN: 0
; COMPUTE_PGM_RSRC2:USER_SGPR: 2
; COMPUTE_PGM_RSRC2:TRAP_HANDLER: 0
; COMPUTE_PGM_RSRC2:TGID_X_EN: 1
; COMPUTE_PGM_RSRC2:TGID_Y_EN: 0
; COMPUTE_PGM_RSRC2:TGID_Z_EN: 0
; COMPUTE_PGM_RSRC2:TIDIG_COMP_CNT: 0
; COMPUTE_PGM_RSRC3_GFX90A:ACCUM_OFFSET: 0
; COMPUTE_PGM_RSRC3_GFX90A:TG_SPLIT: 0
	.section	.text._ZN7rocprim17ROCPRIM_400000_NS6detail17trampoline_kernelINS0_14default_configENS1_33run_length_encode_config_selectorIjjNS0_4plusIjEEEEZZNS1_33reduce_by_key_impl_wrapped_configILNS1_25lookback_scan_determinismE0ES3_S7_PKjNS0_17constant_iteratorIjlEEPjPlSF_S6_NS0_8equal_toIjEEEE10hipError_tPvRmT2_T3_mT4_T5_T6_T7_T8_P12ihipStream_tbENKUlT_T0_E_clISt17integral_constantIbLb1EESY_IbLb0EEEEDaSU_SV_EUlSU_E_NS1_11comp_targetILNS1_3genE5ELNS1_11target_archE942ELNS1_3gpuE9ELNS1_3repE0EEENS1_30default_config_static_selectorELNS0_4arch9wavefront6targetE1EEEvT1_,"axG",@progbits,_ZN7rocprim17ROCPRIM_400000_NS6detail17trampoline_kernelINS0_14default_configENS1_33run_length_encode_config_selectorIjjNS0_4plusIjEEEEZZNS1_33reduce_by_key_impl_wrapped_configILNS1_25lookback_scan_determinismE0ES3_S7_PKjNS0_17constant_iteratorIjlEEPjPlSF_S6_NS0_8equal_toIjEEEE10hipError_tPvRmT2_T3_mT4_T5_T6_T7_T8_P12ihipStream_tbENKUlT_T0_E_clISt17integral_constantIbLb1EESY_IbLb0EEEEDaSU_SV_EUlSU_E_NS1_11comp_targetILNS1_3genE5ELNS1_11target_archE942ELNS1_3gpuE9ELNS1_3repE0EEENS1_30default_config_static_selectorELNS0_4arch9wavefront6targetE1EEEvT1_,comdat
	.protected	_ZN7rocprim17ROCPRIM_400000_NS6detail17trampoline_kernelINS0_14default_configENS1_33run_length_encode_config_selectorIjjNS0_4plusIjEEEEZZNS1_33reduce_by_key_impl_wrapped_configILNS1_25lookback_scan_determinismE0ES3_S7_PKjNS0_17constant_iteratorIjlEEPjPlSF_S6_NS0_8equal_toIjEEEE10hipError_tPvRmT2_T3_mT4_T5_T6_T7_T8_P12ihipStream_tbENKUlT_T0_E_clISt17integral_constantIbLb1EESY_IbLb0EEEEDaSU_SV_EUlSU_E_NS1_11comp_targetILNS1_3genE5ELNS1_11target_archE942ELNS1_3gpuE9ELNS1_3repE0EEENS1_30default_config_static_selectorELNS0_4arch9wavefront6targetE1EEEvT1_ ; -- Begin function _ZN7rocprim17ROCPRIM_400000_NS6detail17trampoline_kernelINS0_14default_configENS1_33run_length_encode_config_selectorIjjNS0_4plusIjEEEEZZNS1_33reduce_by_key_impl_wrapped_configILNS1_25lookback_scan_determinismE0ES3_S7_PKjNS0_17constant_iteratorIjlEEPjPlSF_S6_NS0_8equal_toIjEEEE10hipError_tPvRmT2_T3_mT4_T5_T6_T7_T8_P12ihipStream_tbENKUlT_T0_E_clISt17integral_constantIbLb1EESY_IbLb0EEEEDaSU_SV_EUlSU_E_NS1_11comp_targetILNS1_3genE5ELNS1_11target_archE942ELNS1_3gpuE9ELNS1_3repE0EEENS1_30default_config_static_selectorELNS0_4arch9wavefront6targetE1EEEvT1_
	.globl	_ZN7rocprim17ROCPRIM_400000_NS6detail17trampoline_kernelINS0_14default_configENS1_33run_length_encode_config_selectorIjjNS0_4plusIjEEEEZZNS1_33reduce_by_key_impl_wrapped_configILNS1_25lookback_scan_determinismE0ES3_S7_PKjNS0_17constant_iteratorIjlEEPjPlSF_S6_NS0_8equal_toIjEEEE10hipError_tPvRmT2_T3_mT4_T5_T6_T7_T8_P12ihipStream_tbENKUlT_T0_E_clISt17integral_constantIbLb1EESY_IbLb0EEEEDaSU_SV_EUlSU_E_NS1_11comp_targetILNS1_3genE5ELNS1_11target_archE942ELNS1_3gpuE9ELNS1_3repE0EEENS1_30default_config_static_selectorELNS0_4arch9wavefront6targetE1EEEvT1_
	.p2align	8
	.type	_ZN7rocprim17ROCPRIM_400000_NS6detail17trampoline_kernelINS0_14default_configENS1_33run_length_encode_config_selectorIjjNS0_4plusIjEEEEZZNS1_33reduce_by_key_impl_wrapped_configILNS1_25lookback_scan_determinismE0ES3_S7_PKjNS0_17constant_iteratorIjlEEPjPlSF_S6_NS0_8equal_toIjEEEE10hipError_tPvRmT2_T3_mT4_T5_T6_T7_T8_P12ihipStream_tbENKUlT_T0_E_clISt17integral_constantIbLb1EESY_IbLb0EEEEDaSU_SV_EUlSU_E_NS1_11comp_targetILNS1_3genE5ELNS1_11target_archE942ELNS1_3gpuE9ELNS1_3repE0EEENS1_30default_config_static_selectorELNS0_4arch9wavefront6targetE1EEEvT1_,@function
_ZN7rocprim17ROCPRIM_400000_NS6detail17trampoline_kernelINS0_14default_configENS1_33run_length_encode_config_selectorIjjNS0_4plusIjEEEEZZNS1_33reduce_by_key_impl_wrapped_configILNS1_25lookback_scan_determinismE0ES3_S7_PKjNS0_17constant_iteratorIjlEEPjPlSF_S6_NS0_8equal_toIjEEEE10hipError_tPvRmT2_T3_mT4_T5_T6_T7_T8_P12ihipStream_tbENKUlT_T0_E_clISt17integral_constantIbLb1EESY_IbLb0EEEEDaSU_SV_EUlSU_E_NS1_11comp_targetILNS1_3genE5ELNS1_11target_archE942ELNS1_3gpuE9ELNS1_3repE0EEENS1_30default_config_static_selectorELNS0_4arch9wavefront6targetE1EEEvT1_: ; @_ZN7rocprim17ROCPRIM_400000_NS6detail17trampoline_kernelINS0_14default_configENS1_33run_length_encode_config_selectorIjjNS0_4plusIjEEEEZZNS1_33reduce_by_key_impl_wrapped_configILNS1_25lookback_scan_determinismE0ES3_S7_PKjNS0_17constant_iteratorIjlEEPjPlSF_S6_NS0_8equal_toIjEEEE10hipError_tPvRmT2_T3_mT4_T5_T6_T7_T8_P12ihipStream_tbENKUlT_T0_E_clISt17integral_constantIbLb1EESY_IbLb0EEEEDaSU_SV_EUlSU_E_NS1_11comp_targetILNS1_3genE5ELNS1_11target_archE942ELNS1_3gpuE9ELNS1_3repE0EEENS1_30default_config_static_selectorELNS0_4arch9wavefront6targetE1EEEvT1_
; %bb.0:
	s_load_dwordx8 s[36:43], s[0:1], 0x40
	s_load_dwordx4 s[4:7], s[0:1], 0x0
	s_load_dword s3, s[0:1], 0x10
	s_load_dwordx4 s[44:47], s[0:1], 0x60
	s_mov_b64 s[12:13], -1
	s_waitcnt lgkmcnt(0)
	s_mul_i32 s8, s40, s39
	s_mul_hi_u32 s9, s40, s38
	s_add_i32 s8, s9, s8
	s_mul_i32 s9, s41, s38
	s_add_i32 s8, s8, s9
	s_lshl_b64 s[6:7], s[6:7], 2
	s_add_u32 s6, s4, s6
	s_addc_u32 s7, s5, s7
	s_mul_i32 s4, s2, 0x1e00
	s_mov_b32 s5, 0
	s_lshl_b64 s[4:5], s[4:5], 2
	s_add_u32 s4, s6, s4
	s_mul_i32 s9, s40, s38
	s_addc_u32 s5, s7, s5
	s_add_u32 s6, s9, s2
	s_addc_u32 s7, s8, 0
	s_add_u32 s8, s42, -1
	s_addc_u32 s9, s43, -1
	s_cmp_eq_u64 s[6:7], s[8:9]
	s_cselect_b64 s[34:35], -1, 0
	s_cmp_lg_u64 s[6:7], s[8:9]
	s_cselect_b64 s[10:11], -1, 0
	s_mul_i32 s33, s8, 0xffffe200
	s_and_b64 vcc, exec, s[34:35]
	s_cbranch_vccnz .LBB668_2
; %bb.1:
	v_lshlrev_b32_e32 v2, 2, v0
	v_mov_b32_e32 v3, 0
	v_lshl_add_u64 v[4:5], s[4:5], 0, v[2:3]
	v_add_co_u32_e32 v6, vcc, 0x1000, v4
	global_load_dword v1, v2, s[4:5]
	global_load_dword v3, v2, s[4:5] offset:2048
	v_addc_co_u32_e32 v7, vcc, 0, v5, vcc
	v_add_co_u32_e32 v8, vcc, 0x2000, v4
	s_nop 1
	v_addc_co_u32_e32 v9, vcc, 0, v5, vcc
	v_add_co_u32_e32 v10, vcc, 0x3000, v4
	s_mov_b64 s[8:9], -1
	s_nop 0
	v_addc_co_u32_e32 v11, vcc, 0, v5, vcc
	v_add_co_u32_e32 v12, vcc, 0x4000, v4
	s_nop 1
	v_addc_co_u32_e32 v13, vcc, 0, v5, vcc
	global_load_dword v14, v[6:7], off
	global_load_dword v15, v[6:7], off offset:2048
	global_load_dword v16, v[8:9], off
	global_load_dword v17, v[8:9], off offset:2048
	;; [unrolled: 2-line block ×4, first 2 shown]
	v_add_co_u32_e32 v6, vcc, 0x5000, v4
	s_nop 1
	v_addc_co_u32_e32 v7, vcc, 0, v5, vcc
	v_add_co_u32_e32 v8, vcc, 0x6000, v4
	s_nop 1
	v_addc_co_u32_e32 v9, vcc, 0, v5, vcc
	global_load_dword v10, v[6:7], off
	global_load_dword v11, v[6:7], off offset:2048
	global_load_dword v12, v[8:9], off
	global_load_dword v13, v[8:9], off offset:2048
	v_add_co_u32_e32 v4, vcc, 0x7000, v4
	s_nop 1
	v_addc_co_u32_e32 v5, vcc, 0, v5, vcc
	global_load_dword v4, v[4:5], off
	v_mad_u32_u24 v5, v0, 56, v2
	s_waitcnt vmcnt(13)
	ds_write2st64_b32 v2, v1, v3 offset1:8
	s_waitcnt vmcnt(11)
	ds_write2st64_b32 v2, v14, v15 offset0:16 offset1:24
	s_waitcnt vmcnt(9)
	ds_write2st64_b32 v2, v16, v17 offset0:32 offset1:40
	;; [unrolled: 2-line block ×6, first 2 shown]
	s_waitcnt vmcnt(0)
	ds_write_b32 v2, v4 offset:28672
	s_waitcnt lgkmcnt(0)
	s_barrier
	ds_read2_b32 v[20:21], v5 offset1:1
	ds_read2_b32 v[18:19], v5 offset0:2 offset1:3
	ds_read2_b32 v[16:17], v5 offset0:4 offset1:5
	ds_read2_b32 v[14:15], v5 offset0:6 offset1:7
	ds_read2_b32 v[12:13], v5 offset0:8 offset1:9
	ds_read2_b32 v[10:11], v5 offset0:10 offset1:11
	ds_read2_b32 v[8:9], v5 offset0:12 offset1:13
	ds_read_b32 v1, v5 offset:56
	s_waitcnt lgkmcnt(7)
	v_mov_b32_e32 v22, v20
	s_waitcnt lgkmcnt(6)
	v_mov_b32_e32 v23, v18
	;; [unrolled: 2-line block ×7, first 2 shown]
	s_add_i32 s33, s33, s44
	s_cbranch_execz .LBB668_3
	s_branch .LBB668_34
.LBB668_2:
	s_mov_b64 s[8:9], 0
                                        ; implicit-def: $vgpr1
                                        ; implicit-def: $vgpr8
                                        ; implicit-def: $vgpr10
                                        ; implicit-def: $vgpr12
                                        ; implicit-def: $vgpr14
                                        ; implicit-def: $vgpr16
                                        ; implicit-def: $vgpr18
                                        ; implicit-def: $vgpr20
                                        ; implicit-def: $vgpr2_vgpr3
                                        ; implicit-def: $vgpr4_vgpr5
                                        ; implicit-def: $vgpr22_vgpr23
                                        ; implicit-def: $vgpr6_vgpr7
	s_add_i32 s33, s33, s44
	s_andn2_b64 vcc, exec, s[12:13]
	s_cbranch_vccnz .LBB668_34
.LBB668_3:
	v_cmp_gt_u32_e32 vcc, s33, v0
                                        ; implicit-def: $vgpr1
	s_and_saveexec_b64 s[8:9], vcc
	s_cbranch_execz .LBB668_5
; %bb.4:
	s_waitcnt lgkmcnt(0)
	v_lshlrev_b32_e32 v1, 2, v0
	global_load_dword v1, v1, s[4:5]
.LBB668_5:
	s_or_b64 exec, exec, s[8:9]
	v_or_b32_e32 v2, 0x200, v0
	v_cmp_gt_u32_e32 vcc, s33, v2
                                        ; implicit-def: $vgpr2
	s_and_saveexec_b64 s[8:9], vcc
	s_cbranch_execz .LBB668_7
; %bb.6:
	v_lshlrev_b32_e32 v2, 2, v0
	global_load_dword v2, v2, s[4:5] offset:2048
.LBB668_7:
	s_or_b64 exec, exec, s[8:9]
	v_or_b32_e32 v4, 0x400, v0
	v_cmp_gt_u32_e32 vcc, s33, v4
                                        ; implicit-def: $vgpr3
	s_and_saveexec_b64 s[8:9], vcc
	s_cbranch_execz .LBB668_9
; %bb.8:
	v_lshlrev_b32_e32 v3, 2, v4
	global_load_dword v3, v3, s[4:5]
.LBB668_9:
	s_or_b64 exec, exec, s[8:9]
	v_or_b32_e32 v5, 0x600, v0
	v_cmp_gt_u32_e32 vcc, s33, v5
                                        ; implicit-def: $vgpr4
	s_and_saveexec_b64 s[8:9], vcc
	s_cbranch_execz .LBB668_11
; %bb.10:
	v_lshlrev_b32_e32 v4, 2, v5
	global_load_dword v4, v4, s[4:5]
.LBB668_11:
	s_or_b64 exec, exec, s[8:9]
	v_or_b32_e32 v6, 0x800, v0
	v_cmp_gt_u32_e32 vcc, s33, v6
                                        ; implicit-def: $vgpr5
	s_and_saveexec_b64 s[8:9], vcc
	s_cbranch_execz .LBB668_13
; %bb.12:
	v_lshlrev_b32_e32 v5, 2, v6
	global_load_dword v5, v5, s[4:5]
.LBB668_13:
	s_or_b64 exec, exec, s[8:9]
	v_or_b32_e32 v7, 0xa00, v0
	v_cmp_gt_u32_e32 vcc, s33, v7
                                        ; implicit-def: $vgpr6
	s_and_saveexec_b64 s[8:9], vcc
	s_cbranch_execz .LBB668_15
; %bb.14:
	v_lshlrev_b32_e32 v6, 2, v7
	global_load_dword v6, v6, s[4:5]
.LBB668_15:
	s_or_b64 exec, exec, s[8:9]
	v_or_b32_e32 v8, 0xc00, v0
	v_cmp_gt_u32_e32 vcc, s33, v8
                                        ; implicit-def: $vgpr7
	s_and_saveexec_b64 s[8:9], vcc
	s_cbranch_execz .LBB668_17
; %bb.16:
	v_lshlrev_b32_e32 v7, 2, v8
	global_load_dword v7, v7, s[4:5]
.LBB668_17:
	s_or_b64 exec, exec, s[8:9]
	v_or_b32_e32 v9, 0xe00, v0
	v_cmp_gt_u32_e32 vcc, s33, v9
                                        ; implicit-def: $vgpr8
	s_and_saveexec_b64 s[8:9], vcc
	s_cbranch_execz .LBB668_19
; %bb.18:
	v_lshlrev_b32_e32 v8, 2, v9
	global_load_dword v8, v8, s[4:5]
.LBB668_19:
	s_or_b64 exec, exec, s[8:9]
	v_or_b32_e32 v10, 0x1000, v0
	v_cmp_gt_u32_e32 vcc, s33, v10
                                        ; implicit-def: $vgpr9
	s_and_saveexec_b64 s[8:9], vcc
	s_cbranch_execz .LBB668_21
; %bb.20:
	v_lshlrev_b32_e32 v9, 2, v10
	global_load_dword v9, v9, s[4:5]
.LBB668_21:
	s_or_b64 exec, exec, s[8:9]
	v_or_b32_e32 v11, 0x1200, v0
	v_cmp_gt_u32_e32 vcc, s33, v11
                                        ; implicit-def: $vgpr10
	s_and_saveexec_b64 s[8:9], vcc
	s_cbranch_execz .LBB668_23
; %bb.22:
	v_lshlrev_b32_e32 v10, 2, v11
	global_load_dword v10, v10, s[4:5]
.LBB668_23:
	s_or_b64 exec, exec, s[8:9]
	v_or_b32_e32 v12, 0x1400, v0
	v_cmp_gt_u32_e32 vcc, s33, v12
                                        ; implicit-def: $vgpr11
	s_and_saveexec_b64 s[8:9], vcc
	s_cbranch_execz .LBB668_25
; %bb.24:
	v_lshlrev_b32_e32 v11, 2, v12
	global_load_dword v11, v11, s[4:5]
.LBB668_25:
	s_or_b64 exec, exec, s[8:9]
	v_or_b32_e32 v13, 0x1600, v0
	v_cmp_gt_u32_e32 vcc, s33, v13
                                        ; implicit-def: $vgpr12
	s_and_saveexec_b64 s[8:9], vcc
	s_cbranch_execz .LBB668_27
; %bb.26:
	v_lshlrev_b32_e32 v12, 2, v13
	global_load_dword v12, v12, s[4:5]
.LBB668_27:
	s_or_b64 exec, exec, s[8:9]
	v_or_b32_e32 v14, 0x1800, v0
	v_cmp_gt_u32_e32 vcc, s33, v14
                                        ; implicit-def: $vgpr13
	s_and_saveexec_b64 s[8:9], vcc
	s_cbranch_execz .LBB668_29
; %bb.28:
	v_lshlrev_b32_e32 v13, 2, v14
	global_load_dword v13, v13, s[4:5]
.LBB668_29:
	s_or_b64 exec, exec, s[8:9]
	v_or_b32_e32 v15, 0x1a00, v0
	v_cmp_gt_u32_e32 vcc, s33, v15
                                        ; implicit-def: $vgpr14
	s_and_saveexec_b64 s[8:9], vcc
	s_cbranch_execz .LBB668_31
; %bb.30:
	v_lshlrev_b32_e32 v14, 2, v15
	global_load_dword v14, v14, s[4:5]
.LBB668_31:
	s_or_b64 exec, exec, s[8:9]
	v_or_b32_e32 v16, 0x1c00, v0
	v_cmp_gt_u32_e32 vcc, s33, v16
                                        ; implicit-def: $vgpr15
	s_and_saveexec_b64 s[8:9], vcc
	s_cbranch_execz .LBB668_33
; %bb.32:
	v_lshlrev_b32_e32 v15, 2, v16
	global_load_dword v15, v15, s[4:5]
.LBB668_33:
	s_or_b64 exec, exec, s[8:9]
	v_lshlrev_b32_e32 v16, 2, v0
	s_waitcnt vmcnt(0) lgkmcnt(0)
	ds_write2st64_b32 v16, v1, v2 offset1:8
	ds_write2st64_b32 v16, v3, v4 offset0:16 offset1:24
	ds_write2st64_b32 v16, v5, v6 offset0:32 offset1:40
	;; [unrolled: 1-line block ×6, first 2 shown]
	ds_write_b32 v16, v15 offset:28672
	v_mad_u32_u24 v1, v0, 56, v16
	s_waitcnt lgkmcnt(0)
	s_barrier
	ds_read2_b32 v[20:21], v1 offset1:1
	ds_read2_b32 v[18:19], v1 offset0:2 offset1:3
	ds_read2_b32 v[16:17], v1 offset0:4 offset1:5
	;; [unrolled: 1-line block ×6, first 2 shown]
	ds_read_b32 v1, v1 offset:56
	v_mad_u32_u24 v2, v0, 15, 14
	v_cmp_gt_u32_e64 s[8:9], s33, v2
	s_waitcnt lgkmcnt(7)
	v_mov_b32_e32 v22, v20
	s_waitcnt lgkmcnt(6)
	v_mov_b32_e32 v23, v18
	;; [unrolled: 2-line block ×7, first 2 shown]
.LBB668_34:
	v_mov_b32_e32 v52, s3
                                        ; implicit-def: $vgpr53
	s_and_saveexec_b64 s[12:13], s[8:9]
; %bb.35:
	v_mov_b32_e32 v53, s3
; %bb.36:
	s_or_b64 exec, exec, s[12:13]
	s_load_dwordx2 s[50:51], s[0:1], 0x70
	s_cmp_eq_u64 s[6:7], 0
	s_cselect_b64 s[48:49], -1, 0
	s_cmp_lg_u64 s[6:7], 0
	s_mov_b64 s[8:9], 0
	s_cselect_b64 s[12:13], -1, 0
	s_and_b64 vcc, exec, s[10:11]
	s_waitcnt lgkmcnt(0)
	s_barrier
	s_cbranch_vccz .LBB668_42
; %bb.37:
	s_and_b64 vcc, exec, s[12:13]
	s_cbranch_vccz .LBB668_43
; %bb.38:
	s_add_u32 s8, s4, -4
	s_addc_u32 s9, s5, -1
	s_load_dword s3, s[8:9], 0x0
	v_lshlrev_b32_e32 v24, 2, v0
	v_cmp_ne_u32_e32 vcc, 0, v0
	ds_write_b32 v24, v1
	s_waitcnt lgkmcnt(0)
	v_mov_b32_e32 v7, s3
	s_barrier
	s_and_saveexec_b64 s[8:9], vcc
	s_cbranch_execz .LBB668_40
; %bb.39:
	v_add_u32_e32 v7, -4, v24
	ds_read_b32 v7, v7
.LBB668_40:
	s_or_b64 exec, exec, s[8:9]
	v_cmp_ne_u32_e32 vcc, v22, v21
	s_waitcnt lgkmcnt(0)
	v_cmp_ne_u32_e64 s[10:11], v7, v20
	v_cndmask_b32_e64 v69, 0, 1, vcc
	v_cmp_ne_u32_e32 vcc, v23, v21
	s_mov_b64 s[8:9], -1
	s_nop 0
	v_cndmask_b32_e64 v68, 0, 1, vcc
	v_cmp_ne_u32_e32 vcc, v23, v19
	s_nop 1
	v_cndmask_b32_e64 v67, 0, 1, vcc
	v_cmp_ne_u32_e32 vcc, v4, v19
	;; [unrolled: 3-line block ×12, first 2 shown]
	s_nop 1
	v_cndmask_b32_e64 v56, 0, 1, vcc
.LBB668_41:
                                        ; implicit-def: $sgpr3
	s_branch .LBB668_55
.LBB668_42:
                                        ; implicit-def: $sgpr10_sgpr11
                                        ; implicit-def: $vgpr56
                                        ; implicit-def: $vgpr57
                                        ; implicit-def: $vgpr58
                                        ; implicit-def: $vgpr59
                                        ; implicit-def: $vgpr60
                                        ; implicit-def: $vgpr61
                                        ; implicit-def: $vgpr62
                                        ; implicit-def: $vgpr63
                                        ; implicit-def: $vgpr64
                                        ; implicit-def: $vgpr65
                                        ; implicit-def: $vgpr66
                                        ; implicit-def: $vgpr67
                                        ; implicit-def: $vgpr68
                                        ; implicit-def: $vgpr69
                                        ; implicit-def: $sgpr3
	s_cbranch_execnz .LBB668_47
	s_branch .LBB668_55
.LBB668_43:
                                        ; implicit-def: $sgpr10_sgpr11
                                        ; implicit-def: $vgpr56
                                        ; implicit-def: $vgpr57
                                        ; implicit-def: $vgpr58
                                        ; implicit-def: $vgpr59
                                        ; implicit-def: $vgpr60
                                        ; implicit-def: $vgpr61
                                        ; implicit-def: $vgpr62
                                        ; implicit-def: $vgpr63
                                        ; implicit-def: $vgpr64
                                        ; implicit-def: $vgpr65
                                        ; implicit-def: $vgpr66
                                        ; implicit-def: $vgpr67
                                        ; implicit-def: $vgpr68
                                        ; implicit-def: $vgpr69
	s_cbranch_execz .LBB668_41
; %bb.44:
	v_cmp_ne_u32_e32 vcc, v21, v22
	v_lshlrev_b32_e32 v7, 2, v0
	ds_write_b32 v7, v1
	v_cndmask_b32_e64 v69, 0, 1, vcc
	v_cmp_ne_u32_e32 vcc, v21, v23
	s_waitcnt lgkmcnt(0)
	s_barrier
	v_cndmask_b32_e64 v68, 0, 1, vcc
	v_cmp_ne_u32_e32 vcc, v23, v19
	s_waitcnt lgkmcnt(0)
                                        ; implicit-def: $sgpr10_sgpr11
	s_nop 0
	v_cndmask_b32_e64 v67, 0, 1, vcc
	v_cmp_ne_u32_e32 vcc, v4, v19
	s_nop 1
	v_cndmask_b32_e64 v66, 0, 1, vcc
	v_cmp_ne_u32_e32 vcc, v17, v4
	;; [unrolled: 3-line block ×12, first 2 shown]
	s_and_saveexec_b64 s[14:15], vcc
	s_xor_b64 s[14:15], exec, s[14:15]
	s_cbranch_execz .LBB668_46
; %bb.45:
	v_add_u32_e32 v2, -4, v7
	ds_read_b32 v2, v2
	s_or_b64 s[8:9], s[8:9], exec
	s_waitcnt lgkmcnt(0)
	v_cmp_ne_u32_e32 vcc, v2, v20
	s_and_b64 s[10:11], vcc, exec
.LBB668_46:
	s_or_b64 exec, exec, s[14:15]
	s_mov_b32 s3, 1
	s_branch .LBB668_55
.LBB668_47:
	s_mul_i32 s3, s7, 0xffffe200
	s_mul_hi_u32 s7, s6, 0xffffe200
	s_sub_i32 s7, s7, s6
	s_add_i32 s7, s7, s3
	s_mul_i32 s3, s6, 0xffffe200
	s_add_u32 s6, s3, s44
	s_addc_u32 s7, s7, s45
	s_and_b64 vcc, exec, s[12:13]
	s_cbranch_vccz .LBB668_52
; %bb.48:
	s_add_u32 s4, s4, -4
	s_addc_u32 s5, s5, -1
	v_mad_u32_u24 v4, v0, 15, 14
	v_mov_b32_e32 v5, 0
	s_load_dword s3, s[4:5], 0x0
	v_cmp_gt_u64_e32 vcc, s[6:7], v[4:5]
	v_cmp_ne_u32_e64 s[4:5], v9, v1
	v_mad_u32_u24 v4, v0, 15, 13
	s_and_b64 s[8:9], vcc, s[4:5]
	v_cmp_gt_u64_e32 vcc, s[6:7], v[4:5]
	v_cmp_ne_u32_e64 s[4:5], v8, v9
	v_mad_u32_u24 v4, v0, 15, 12
	s_and_b64 s[10:11], vcc, s[4:5]
	;; [unrolled: 4-line block ×13, first 2 shown]
	v_cmp_gt_u64_e32 vcc, s[6:7], v[4:5]
	v_cmp_ne_u32_e64 s[4:5], v20, v21
	v_lshlrev_b32_e32 v3, 2, v0
	v_mul_u32_u24_e32 v2, 15, v0
	s_and_b64 s[4:5], vcc, s[4:5]
	v_cmp_ne_u32_e32 vcc, 0, v0
	s_waitcnt lgkmcnt(0)
	v_mov_b32_e32 v4, s3
	ds_write_b32 v3, v1
	s_waitcnt lgkmcnt(0)
	s_barrier
	s_and_saveexec_b64 s[42:43], vcc
	s_cbranch_execz .LBB668_50
; %bb.49:
	v_add_u32_e32 v3, -4, v3
	ds_read_b32 v4, v3
.LBB668_50:
	s_or_b64 exec, exec, s[42:43]
	v_mov_b32_e32 v3, v5
	v_cndmask_b32_e64 v69, 0, 1, s[4:5]
	v_cmp_gt_u64_e32 vcc, s[6:7], v[2:3]
	s_waitcnt lgkmcnt(0)
	v_cmp_ne_u32_e64 s[4:5], v4, v20
	v_cndmask_b32_e64 v56, 0, 1, s[8:9]
	v_cndmask_b32_e64 v57, 0, 1, s[10:11]
	;; [unrolled: 1-line block ×13, first 2 shown]
	s_and_b64 s[10:11], vcc, s[4:5]
	s_mov_b64 s[8:9], -1
.LBB668_51:
                                        ; implicit-def: $sgpr3
	v_mov_b32_e32 v70, s3
	s_and_saveexec_b64 s[4:5], s[8:9]
	s_cbranch_execnz .LBB668_56
	s_branch .LBB668_57
.LBB668_52:
                                        ; implicit-def: $sgpr10_sgpr11
                                        ; implicit-def: $vgpr56
                                        ; implicit-def: $vgpr57
                                        ; implicit-def: $vgpr58
                                        ; implicit-def: $vgpr59
                                        ; implicit-def: $vgpr60
                                        ; implicit-def: $vgpr61
                                        ; implicit-def: $vgpr62
                                        ; implicit-def: $vgpr63
                                        ; implicit-def: $vgpr64
                                        ; implicit-def: $vgpr65
                                        ; implicit-def: $vgpr66
                                        ; implicit-def: $vgpr67
                                        ; implicit-def: $vgpr68
                                        ; implicit-def: $vgpr69
	s_cbranch_execz .LBB668_51
; %bb.53:
	v_mad_u32_u24 v2, v0, 15, 14
	v_mov_b32_e32 v3, 0
	v_cmp_gt_u64_e32 vcc, s[6:7], v[2:3]
	v_cmp_ne_u32_e64 s[4:5], v9, v1
	s_and_b64 s[4:5], vcc, s[4:5]
	v_mad_u32_u24 v2, v0, 15, 13
	v_cndmask_b32_e64 v56, 0, 1, s[4:5]
	v_cmp_gt_u64_e32 vcc, s[6:7], v[2:3]
	v_cmp_ne_u32_e64 s[4:5], v8, v9
	s_and_b64 s[4:5], vcc, s[4:5]
	v_mad_u32_u24 v2, v0, 15, 12
	v_cndmask_b32_e64 v57, 0, 1, s[4:5]
	v_cmp_gt_u64_e32 vcc, s[6:7], v[2:3]
	v_cmp_ne_u32_e64 s[4:5], v11, v8
	s_and_b64 s[4:5], vcc, s[4:5]
	v_mad_u32_u24 v2, v0, 15, 11
	v_cndmask_b32_e64 v58, 0, 1, s[4:5]
	v_cmp_gt_u64_e32 vcc, s[6:7], v[2:3]
	v_cmp_ne_u32_e64 s[4:5], v10, v11
	s_and_b64 s[4:5], vcc, s[4:5]
	v_mad_u32_u24 v2, v0, 15, 10
	v_cndmask_b32_e64 v59, 0, 1, s[4:5]
	v_cmp_gt_u64_e32 vcc, s[6:7], v[2:3]
	v_cmp_ne_u32_e64 s[4:5], v13, v10
	s_and_b64 s[4:5], vcc, s[4:5]
	v_mad_u32_u24 v2, v0, 15, 9
	v_cndmask_b32_e64 v60, 0, 1, s[4:5]
	v_cmp_gt_u64_e32 vcc, s[6:7], v[2:3]
	v_cmp_ne_u32_e64 s[4:5], v12, v13
	s_and_b64 s[4:5], vcc, s[4:5]
	v_mad_u32_u24 v2, v0, 15, 8
	v_cndmask_b32_e64 v61, 0, 1, s[4:5]
	v_cmp_gt_u64_e32 vcc, s[6:7], v[2:3]
	v_cmp_ne_u32_e64 s[4:5], v15, v12
	s_and_b64 s[4:5], vcc, s[4:5]
	v_mad_u32_u24 v2, v0, 15, 7
	v_cndmask_b32_e64 v62, 0, 1, s[4:5]
	v_cmp_gt_u64_e32 vcc, s[6:7], v[2:3]
	v_cmp_ne_u32_e64 s[4:5], v14, v15
	s_and_b64 s[4:5], vcc, s[4:5]
	v_mad_u32_u24 v2, v0, 15, 6
	v_cndmask_b32_e64 v63, 0, 1, s[4:5]
	v_cmp_gt_u64_e32 vcc, s[6:7], v[2:3]
	v_cmp_ne_u32_e64 s[4:5], v17, v14
	s_and_b64 s[4:5], vcc, s[4:5]
	v_mad_u32_u24 v2, v0, 15, 5
	v_cndmask_b32_e64 v64, 0, 1, s[4:5]
	v_cmp_gt_u64_e32 vcc, s[6:7], v[2:3]
	v_cmp_ne_u32_e64 s[4:5], v16, v17
	s_and_b64 s[4:5], vcc, s[4:5]
	v_mad_u32_u24 v2, v0, 15, 4
	v_cndmask_b32_e64 v65, 0, 1, s[4:5]
	v_cmp_gt_u64_e32 vcc, s[6:7], v[2:3]
	v_cmp_ne_u32_e64 s[4:5], v19, v16
	s_and_b64 s[4:5], vcc, s[4:5]
	v_mad_u32_u24 v2, v0, 15, 3
	v_cndmask_b32_e64 v66, 0, 1, s[4:5]
	v_cmp_gt_u64_e32 vcc, s[6:7], v[2:3]
	v_cmp_ne_u32_e64 s[4:5], v18, v19
	s_and_b64 s[4:5], vcc, s[4:5]
	v_mad_u32_u24 v2, v0, 15, 2
	v_cndmask_b32_e64 v67, 0, 1, s[4:5]
	v_cmp_gt_u64_e32 vcc, s[6:7], v[2:3]
	v_cmp_ne_u32_e64 s[4:5], v21, v18
	s_and_b64 s[4:5], vcc, s[4:5]
	v_mad_u32_u24 v2, v0, 15, 1
	v_cndmask_b32_e64 v68, 0, 1, s[4:5]
	v_cmp_gt_u64_e32 vcc, s[6:7], v[2:3]
	v_cmp_ne_u32_e64 s[4:5], v20, v21
	s_and_b64 s[4:5], vcc, s[4:5]
	v_lshlrev_b32_e32 v4, 2, v0
	s_mov_b32 s3, 1
	v_cndmask_b32_e64 v69, 0, 1, s[4:5]
	v_cmp_ne_u32_e32 vcc, 0, v0
	ds_write_b32 v4, v1
	s_waitcnt lgkmcnt(0)
	s_barrier
	s_waitcnt lgkmcnt(0)
                                        ; implicit-def: $sgpr10_sgpr11
	s_and_saveexec_b64 s[12:13], vcc
	s_cbranch_execz .LBB668_150
; %bb.54:
	v_add_u32_e32 v2, -4, v4
	ds_read_b32 v4, v2
	v_mul_u32_u24_e32 v2, 15, v0
	v_cmp_gt_u64_e32 vcc, s[6:7], v[2:3]
	s_or_b64 s[8:9], s[8:9], exec
	s_waitcnt lgkmcnt(0)
	v_cmp_ne_u32_e64 s[4:5], v4, v20
	s_and_b64 s[4:5], vcc, s[4:5]
	s_and_b64 s[10:11], s[4:5], exec
	s_or_b64 exec, exec, s[12:13]
.LBB668_55:
	v_mov_b32_e32 v70, s3
	s_and_saveexec_b64 s[4:5], s[8:9]
.LBB668_56:
	v_cndmask_b32_e64 v70, 0, 1, s[10:11]
.LBB668_57:
	s_or_b64 exec, exec, s[4:5]
	s_load_dwordx4 s[40:43], s[0:1], 0x20
	s_load_dwordx2 s[44:45], s[0:1], 0x30
	s_cmp_eq_u64 s[38:39], 0
	v_add3_u32 v2, v69, v70, v68
	s_cselect_b64 s[38:39], -1, 0
	s_cmp_lg_u32 s2, 0
	v_cmp_eq_u32_e64 s[24:25], 0, v69
	v_cmp_eq_u32_e64 s[22:23], 0, v68
	;; [unrolled: 1-line block ×3, first 2 shown]
	v_add3_u32 v72, v2, v67, v66
	v_cmp_eq_u32_e64 s[18:19], 0, v66
	v_cmp_eq_u32_e64 s[16:17], 0, v65
	;; [unrolled: 1-line block ×10, first 2 shown]
	v_cmp_eq_u32_e32 vcc, 0, v56
	v_mbcnt_lo_u32_b32 v71, -1, 0
	v_lshrrev_b32_e32 v54, 6, v0
	v_or_b32_e32 v55, 63, v0
	s_cbranch_scc0 .LBB668_88
; %bb.58:
	v_cndmask_b32_e64 v2, 0, v52, s[24:25]
	v_add_u32_e32 v2, v2, v52
	v_cndmask_b32_e64 v2, 0, v2, s[22:23]
	v_add_u32_e32 v2, v2, v52
	;; [unrolled: 2-line block ×11, first 2 shown]
	v_cndmask_b32_e64 v2, 0, v2, s[28:29]
	v_add3_u32 v3, v72, v65, v64
	v_add_u32_e32 v2, v2, v52
	v_add3_u32 v3, v3, v63, v62
	v_cndmask_b32_e64 v2, 0, v2, s[0:1]
	v_add3_u32 v3, v3, v61, v60
	v_add_u32_e32 v2, v2, v52
	v_add3_u32 v3, v3, v59, v58
	v_cndmask_b32_e32 v2, 0, v2, vcc
	v_add3_u32 v3, v3, v57, v56
	v_add_u32_e32 v2, v2, v53
	v_mbcnt_hi_u32_b32 v25, -1, v71
	v_and_b32_e32 v4, 15, v25
	v_mov_b32_dpp v6, v2 row_shr:1 row_mask:0xf bank_mask:0xf
	v_cmp_eq_u32_e32 vcc, 0, v3
	v_mov_b32_dpp v5, v3 row_shr:1 row_mask:0xf bank_mask:0xf
	v_cmp_lt_u32_e64 s[26:27], 1, v4
	v_cndmask_b32_e32 v6, 0, v6, vcc
	v_cmp_eq_u32_e32 vcc, 0, v4
	s_nop 1
	v_cndmask_b32_e64 v5, v5, 0, vcc
	v_add_u32_e32 v3, v5, v3
	v_cndmask_b32_e64 v5, v6, 0, vcc
	v_add_u32_e32 v2, v5, v2
	v_cmp_eq_u32_e32 vcc, 0, v3
	v_mov_b32_dpp v5, v3 row_shr:2 row_mask:0xf bank_mask:0xf
	v_mov_b32_dpp v6, v2 row_shr:2 row_mask:0xf bank_mask:0xf
	v_cndmask_b32_e64 v5, 0, v5, s[26:27]
	s_and_b64 vcc, s[26:27], vcc
	v_cndmask_b32_e32 v6, 0, v6, vcc
	v_add_u32_e32 v3, v3, v5
	v_add_u32_e32 v2, v6, v2
	v_cmp_eq_u32_e32 vcc, 0, v3
	v_mov_b32_dpp v5, v3 row_shr:4 row_mask:0xf bank_mask:0xf
	v_cmp_lt_u32_e64 s[26:27], 3, v4
	v_mov_b32_dpp v6, v2 row_shr:4 row_mask:0xf bank_mask:0xf
	s_and_b64 vcc, s[26:27], vcc
	v_cndmask_b32_e64 v5, 0, v5, s[26:27]
	v_cndmask_b32_e32 v6, 0, v6, vcc
	v_add_u32_e32 v3, v5, v3
	v_add_u32_e32 v2, v2, v6
	v_cmp_eq_u32_e32 vcc, 0, v3
	v_cmp_lt_u32_e64 s[26:27], 7, v4
	v_mov_b32_dpp v5, v3 row_shr:8 row_mask:0xf bank_mask:0xf
	v_mov_b32_dpp v6, v2 row_shr:8 row_mask:0xf bank_mask:0xf
	s_and_b64 vcc, s[26:27], vcc
	v_cndmask_b32_e64 v4, 0, v5, s[26:27]
	v_cndmask_b32_e32 v5, 0, v6, vcc
	v_add_u32_e32 v2, v5, v2
	v_add_u32_e32 v3, v4, v3
	v_bfe_i32 v6, v25, 4, 1
	v_mov_b32_dpp v5, v2 row_bcast:15 row_mask:0xf bank_mask:0xf
	v_mov_b32_dpp v4, v3 row_bcast:15 row_mask:0xf bank_mask:0xf
	v_cmp_eq_u32_e32 vcc, 0, v3
	v_and_b32_e32 v4, v6, v4
	v_add_u32_e32 v3, v4, v3
	v_cndmask_b32_e32 v5, 0, v5, vcc
	v_and_b32_e32 v4, v6, v5
	v_add_u32_e32 v4, v4, v2
	v_mov_b32_dpp v2, v3 row_bcast:31 row_mask:0xf bank_mask:0xf
	v_cmp_eq_u32_e32 vcc, 0, v3
	v_cmp_lt_u32_e64 s[26:27], 31, v25
	v_mov_b32_dpp v5, v4 row_bcast:31 row_mask:0xf bank_mask:0xf
	s_and_b64 vcc, s[26:27], vcc
	v_cndmask_b32_e64 v2, 0, v2, s[26:27]
	v_add_u32_e32 v2, v2, v3
	v_cndmask_b32_e32 v3, 0, v5, vcc
	v_add_u32_e32 v3, v3, v4
	v_cmp_eq_u32_e32 vcc, v55, v0
	v_lshlrev_b32_e32 v4, 3, v54
	s_and_saveexec_b64 s[26:27], vcc
	s_cbranch_execz .LBB668_60
; %bb.59:
	ds_write_b64 v4, v[2:3] offset:4112
.LBB668_60:
	s_or_b64 exec, exec, s[26:27]
	v_cmp_gt_u32_e32 vcc, 8, v0
	s_waitcnt lgkmcnt(0)
	s_barrier
	s_and_saveexec_b64 s[30:31], vcc
	s_cbranch_execz .LBB668_62
; %bb.61:
	v_lshlrev_b32_e32 v5, 3, v0
	ds_read_b64 v[6:7], v5 offset:4112
	v_and_b32_e32 v22, 7, v25
	v_cmp_lt_u32_e64 s[26:27], 1, v22
	s_waitcnt lgkmcnt(0)
	v_mov_b32_dpp v24, v7 row_shr:1 row_mask:0xf bank_mask:0xf
	v_cmp_eq_u32_e32 vcc, 0, v6
	v_mov_b32_dpp v23, v6 row_shr:1 row_mask:0xf bank_mask:0xf
	s_nop 0
	v_cndmask_b32_e32 v24, 0, v24, vcc
	v_cmp_eq_u32_e32 vcc, 0, v22
	s_nop 1
	v_cndmask_b32_e64 v23, v23, 0, vcc
	v_add_u32_e32 v6, v23, v6
	v_cndmask_b32_e64 v23, v24, 0, vcc
	v_add_u32_e32 v7, v23, v7
	v_cmp_eq_u32_e32 vcc, 0, v6
	v_mov_b32_dpp v23, v6 row_shr:2 row_mask:0xf bank_mask:0xf
	v_mov_b32_dpp v24, v7 row_shr:2 row_mask:0xf bank_mask:0xf
	v_cndmask_b32_e64 v23, 0, v23, s[26:27]
	s_and_b64 vcc, s[26:27], vcc
	v_cndmask_b32_e32 v24, 0, v24, vcc
	v_add_u32_e32 v6, v23, v6
	v_add_u32_e32 v7, v24, v7
	v_cmp_eq_u32_e32 vcc, 0, v6
	v_mov_b32_dpp v23, v6 row_shr:4 row_mask:0xf bank_mask:0xf
	v_cmp_lt_u32_e64 s[26:27], 3, v22
	v_mov_b32_dpp v24, v7 row_shr:4 row_mask:0xf bank_mask:0xf
	s_and_b64 vcc, s[26:27], vcc
	v_cndmask_b32_e64 v22, 0, v23, s[26:27]
	v_add_u32_e32 v6, v22, v6
	v_cndmask_b32_e32 v22, 0, v24, vcc
	v_add_u32_e32 v7, v22, v7
	ds_write_b64 v5, v[6:7] offset:4112
.LBB668_62:
	s_or_b64 exec, exec, s[30:31]
	v_cmp_gt_u32_e32 vcc, 64, v0
	v_cmp_lt_u32_e64 s[26:27], 63, v0
	v_mov_b32_e32 v22, 0
	v_mov_b32_e32 v23, 0
	s_waitcnt lgkmcnt(0)
	s_barrier
	s_and_saveexec_b64 s[30:31], s[26:27]
	s_cbranch_execz .LBB668_64
; %bb.63:
	ds_read_b64 v[22:23], v4 offset:4104
	v_cmp_eq_u32_e64 s[26:27], 0, v2
	s_waitcnt lgkmcnt(0)
	v_add_u32_e32 v4, v22, v2
	v_cndmask_b32_e64 v2, 0, v23, s[26:27]
	v_add_u32_e32 v3, v2, v3
	v_mov_b32_e32 v2, v4
.LBB668_64:
	s_or_b64 exec, exec, s[30:31]
	v_add_u32_e32 v4, -1, v25
	v_and_b32_e32 v5, 64, v25
	v_cmp_lt_i32_e64 s[26:27], v4, v5
	s_nop 1
	v_cndmask_b32_e64 v4, v4, v25, s[26:27]
	v_lshlrev_b32_e32 v4, 2, v4
	ds_bpermute_b32 v30, v4, v2
	ds_bpermute_b32 v31, v4, v3
	v_cmp_eq_u32_e64 s[26:27], 0, v25
	s_and_saveexec_b64 s[52:53], vcc
	s_cbranch_execz .LBB668_87
; %bb.65:
	v_mov_b32_e32 v7, 0
	ds_read_b64 v[2:3], v7 offset:4168
	s_waitcnt lgkmcnt(0)
	v_readfirstlane_b32 s3, v2
	v_readfirstlane_b32 s56, v3
	s_and_saveexec_b64 s[30:31], s[26:27]
	s_cbranch_execz .LBB668_67
; %bb.66:
	s_add_i32 s54, s2, 64
	s_mov_b32 s55, 0
	s_lshl_b64 s[58:59], s[54:55], 4
	s_add_u32 s58, s36, s58
	s_addc_u32 s59, s37, s59
	s_and_b32 s61, s56, 0xff000000
	s_mov_b32 s60, s55
	s_and_b32 s63, s56, 0xff0000
	s_mov_b32 s62, s55
	s_or_b64 s[60:61], s[62:63], s[60:61]
	s_and_b32 s63, s56, 0xff00
	s_or_b64 s[60:61], s[60:61], s[62:63]
	s_and_b32 s63, s56, 0xff
	s_or_b64 s[54:55], s[60:61], s[62:63]
	v_mov_b32_e32 v4, s3
	v_mov_b32_e32 v5, s55
	v_mov_b32_e32 v6, 1
	v_mov_b64_e32 v[2:3], s[58:59]
	;;#ASMSTART
	global_store_dwordx4 v[2:3], v[4:7] off sc1	
s_waitcnt vmcnt(0)
	;;#ASMEND
.LBB668_67:
	s_or_b64 exec, exec, s[30:31]
	v_xad_u32 v24, v25, -1, s2
	v_add_u32_e32 v6, 64, v24
	v_lshl_add_u64 v[26:27], v[6:7], 4, s[36:37]
	;;#ASMSTART
	global_load_dwordx4 v[2:5], v[26:27] off sc1	
s_waitcnt vmcnt(0)
	;;#ASMEND
	s_nop 0
	v_and_b32_e32 v5, 0xff, v3
	v_and_b32_e32 v6, 0xff00, v3
	v_or3_b32 v2, v2, 0, 0
	v_and_b32_e32 v28, 0xff000000, v3
	v_or3_b32 v5, 0, v5, v6
	;; [unrolled: 2-line block ×3, first 2 shown]
	v_or3_b32 v2, v2, 0, 0
	v_cmp_eq_u16_sdwa s[54:55], v4, v7 src0_sel:BYTE_0 src1_sel:DWORD
	s_and_saveexec_b64 s[30:31], s[54:55]
	s_cbranch_execz .LBB668_73
; %bb.68:
	s_mov_b32 s57, 1
	s_mov_b64 s[54:55], 0
	v_mov_b32_e32 v6, 0
.LBB668_69:                             ; =>This Loop Header: Depth=1
                                        ;     Child Loop BB668_70 Depth 2
	s_max_u32 s58, s57, 1
.LBB668_70:                             ;   Parent Loop BB668_69 Depth=1
                                        ; =>  This Inner Loop Header: Depth=2
	s_add_i32 s58, s58, -1
	s_cmp_eq_u32 s58, 0
	s_sleep 1
	s_cbranch_scc0 .LBB668_70
; %bb.71:                               ;   in Loop: Header=BB668_69 Depth=1
	s_cmp_lt_u32 s57, 32
	s_cselect_b64 s[58:59], -1, 0
	s_cmp_lg_u64 s[58:59], 0
	s_addc_u32 s57, s57, 0
	;;#ASMSTART
	global_load_dwordx4 v[2:5], v[26:27] off sc1	
s_waitcnt vmcnt(0)
	;;#ASMEND
	s_nop 0
	v_cmp_ne_u16_sdwa s[58:59], v4, v6 src0_sel:BYTE_0 src1_sel:DWORD
	s_or_b64 s[54:55], s[58:59], s[54:55]
	s_andn2_b64 exec, exec, s[54:55]
	s_cbranch_execnz .LBB668_69
; %bb.72:
	s_or_b64 exec, exec, s[54:55]
.LBB668_73:
	s_or_b64 exec, exec, s[30:31]
	v_mov_b32_e32 v32, 2
	v_cmp_eq_u16_sdwa s[30:31], v4, v32 src0_sel:BYTE_0 src1_sel:DWORD
	v_lshlrev_b64 v[26:27], v25, -1
	v_and_b32_e32 v33, 63, v25
	v_and_b32_e32 v5, s31, v27
	v_or_b32_e32 v5, 0x80000000, v5
	v_cmp_ne_u32_e32 vcc, 63, v33
	v_and_b32_e32 v6, s30, v26
	v_ffbl_b32_e32 v5, v5
	v_addc_co_u32_e32 v7, vcc, 0, v25, vcc
	v_add_u32_e32 v5, 32, v5
	v_ffbl_b32_e32 v6, v6
	v_lshlrev_b32_e32 v34, 2, v7
	v_min_u32_e32 v5, v6, v5
	ds_bpermute_b32 v6, v34, v3
	v_cmp_eq_u32_e32 vcc, 0, v2
	v_cmp_lt_u32_e64 s[30:31], v33, v5
	ds_bpermute_b32 v7, v34, v2
	s_and_b64 vcc, s[30:31], vcc
	s_waitcnt lgkmcnt(1)
	v_cndmask_b32_e32 v6, 0, v6, vcc
	v_cmp_gt_u32_e32 vcc, 62, v33
	v_add_u32_e32 v3, v6, v3
	s_waitcnt lgkmcnt(0)
	v_cndmask_b32_e64 v7, 0, v7, s[30:31]
	v_cndmask_b32_e64 v6, 0, 1, vcc
	v_lshlrev_b32_e32 v6, 1, v6
	v_add_lshl_u32 v35, v6, v25, 2
	ds_bpermute_b32 v6, v35, v3
	v_add_u32_e32 v2, v7, v2
	ds_bpermute_b32 v7, v35, v2
	v_add_u32_e32 v36, 2, v33
	v_cmp_eq_u32_e32 vcc, 0, v2
	v_add_u32_e32 v38, 4, v33
	v_add_u32_e32 v40, 8, v33
	s_waitcnt lgkmcnt(1)
	v_cndmask_b32_e32 v6, 0, v6, vcc
	v_cmp_gt_u32_e32 vcc, v36, v5
	v_add_u32_e32 v42, 16, v33
	v_add_u32_e32 v44, 32, v33
	v_cndmask_b32_e64 v6, v6, 0, vcc
	v_add_u32_e32 v3, v6, v3
	s_waitcnt lgkmcnt(0)
	v_cndmask_b32_e64 v6, v7, 0, vcc
	v_cmp_gt_u32_e32 vcc, 60, v33
	v_add_u32_e32 v2, v2, v6
	s_nop 0
	v_cndmask_b32_e64 v7, 0, 1, vcc
	v_lshlrev_b32_e32 v7, 2, v7
	v_add_lshl_u32 v37, v7, v25, 2
	ds_bpermute_b32 v7, v37, v3
	ds_bpermute_b32 v6, v37, v2
	v_cmp_eq_u32_e32 vcc, 0, v2
	s_waitcnt lgkmcnt(1)
	s_nop 0
	v_cndmask_b32_e32 v7, 0, v7, vcc
	v_cmp_gt_u32_e32 vcc, v38, v5
	s_nop 1
	v_cndmask_b32_e64 v7, v7, 0, vcc
	s_waitcnt lgkmcnt(0)
	v_cndmask_b32_e64 v6, v6, 0, vcc
	v_cmp_gt_u32_e32 vcc, 56, v33
	v_add_u32_e32 v3, v3, v7
	v_add_u32_e32 v2, v2, v6
	v_cndmask_b32_e64 v7, 0, 1, vcc
	v_lshlrev_b32_e32 v7, 3, v7
	v_add_lshl_u32 v39, v7, v25, 2
	ds_bpermute_b32 v7, v39, v3
	ds_bpermute_b32 v6, v39, v2
	v_cmp_eq_u32_e32 vcc, 0, v2
	s_waitcnt lgkmcnt(1)
	s_nop 0
	v_cndmask_b32_e32 v7, 0, v7, vcc
	v_cmp_gt_u32_e32 vcc, v40, v5
	s_nop 1
	v_cndmask_b32_e64 v7, v7, 0, vcc
	s_waitcnt lgkmcnt(0)
	v_cndmask_b32_e64 v6, v6, 0, vcc
	v_cmp_gt_u32_e32 vcc, 48, v33
	v_add_u32_e32 v3, v3, v7
	v_add_u32_e32 v2, v2, v6
	;; [unrolled: 17-line block ×3, first 2 shown]
	v_cndmask_b32_e64 v7, 0, 1, vcc
	v_lshlrev_b32_e32 v7, 5, v7
	v_add_lshl_u32 v43, v7, v25, 2
	ds_bpermute_b32 v7, v43, v3
	ds_bpermute_b32 v6, v43, v2
	v_cmp_eq_u32_e32 vcc, 0, v2
	v_mov_b32_e32 v25, 0
	s_waitcnt lgkmcnt(1)
	v_cndmask_b32_e32 v7, 0, v7, vcc
	v_cmp_gt_u32_e32 vcc, v44, v5
	s_nop 1
	v_cndmask_b32_e64 v5, v7, 0, vcc
	v_add_u32_e32 v3, v5, v3
	s_waitcnt lgkmcnt(0)
	v_cndmask_b32_e64 v5, v6, 0, vcc
	v_add_u32_e32 v2, v5, v2
	s_branch .LBB668_75
.LBB668_74:                             ;   in Loop: Header=BB668_75 Depth=1
	s_or_b64 exec, exec, s[30:31]
	v_cmp_eq_u16_sdwa s[30:31], v4, v32 src0_sel:BYTE_0 src1_sel:DWORD
	v_cmp_eq_u32_e32 vcc, 0, v2
	ds_bpermute_b32 v29, v34, v2
	v_and_b32_e32 v5, s31, v27
	v_or_b32_e32 v5, 0x80000000, v5
	v_and_b32_e32 v28, s30, v26
	v_ffbl_b32_e32 v5, v5
	v_add_u32_e32 v5, 32, v5
	v_ffbl_b32_e32 v28, v28
	v_min_u32_e32 v5, v28, v5
	ds_bpermute_b32 v28, v34, v3
	v_cmp_lt_u32_e64 s[30:31], v33, v5
	s_and_b64 vcc, s[30:31], vcc
	v_subrev_u32_e32 v24, 64, v24
	s_waitcnt lgkmcnt(1)
	v_cndmask_b32_e64 v29, 0, v29, s[30:31]
	s_waitcnt lgkmcnt(0)
	v_cndmask_b32_e32 v28, 0, v28, vcc
	v_add_u32_e32 v3, v28, v3
	ds_bpermute_b32 v28, v35, v3
	v_add_u32_e32 v2, v29, v2
	v_cmp_eq_u32_e32 vcc, 0, v2
	ds_bpermute_b32 v29, v35, v2
	s_waitcnt lgkmcnt(1)
	v_cndmask_b32_e32 v28, 0, v28, vcc
	v_cmp_gt_u32_e32 vcc, v36, v5
	s_nop 1
	v_cndmask_b32_e64 v28, v28, 0, vcc
	v_add_u32_e32 v3, v28, v3
	ds_bpermute_b32 v28, v37, v3
	s_waitcnt lgkmcnt(1)
	v_cndmask_b32_e64 v29, v29, 0, vcc
	v_add_u32_e32 v2, v2, v29
	v_cmp_eq_u32_e32 vcc, 0, v2
	ds_bpermute_b32 v29, v37, v2
	s_waitcnt lgkmcnt(1)
	v_cndmask_b32_e32 v28, 0, v28, vcc
	v_cmp_gt_u32_e32 vcc, v38, v5
	s_nop 1
	v_cndmask_b32_e64 v28, v28, 0, vcc
	v_add_u32_e32 v3, v3, v28
	ds_bpermute_b32 v28, v39, v3
	s_waitcnt lgkmcnt(1)
	v_cndmask_b32_e64 v29, v29, 0, vcc
	v_add_u32_e32 v2, v2, v29
	ds_bpermute_b32 v29, v39, v2
	v_cmp_eq_u32_e32 vcc, 0, v2
	s_waitcnt lgkmcnt(1)
	s_nop 0
	v_cndmask_b32_e32 v28, 0, v28, vcc
	v_cmp_gt_u32_e32 vcc, v40, v5
	s_nop 1
	v_cndmask_b32_e64 v28, v28, 0, vcc
	v_add_u32_e32 v3, v3, v28
	ds_bpermute_b32 v28, v41, v3
	s_waitcnt lgkmcnt(1)
	v_cndmask_b32_e64 v29, v29, 0, vcc
	v_add_u32_e32 v2, v2, v29
	ds_bpermute_b32 v29, v41, v2
	v_cmp_eq_u32_e32 vcc, 0, v2
	s_waitcnt lgkmcnt(1)
	s_nop 0
	;; [unrolled: 13-line block ×3, first 2 shown]
	v_cndmask_b32_e32 v28, 0, v28, vcc
	v_cmp_gt_u32_e32 vcc, v44, v5
	s_nop 1
	v_cndmask_b32_e64 v5, v28, 0, vcc
	v_add_u32_e32 v3, v5, v3
	s_waitcnt lgkmcnt(0)
	v_cndmask_b32_e64 v5, v29, 0, vcc
	v_cmp_eq_u32_e32 vcc, 0, v6
	v_add3_u32 v2, v2, v6, v5
	s_nop 0
	v_cndmask_b32_e32 v3, 0, v3, vcc
	v_add_u32_e32 v3, v3, v7
.LBB668_75:                             ; =>This Loop Header: Depth=1
                                        ;     Child Loop BB668_78 Depth 2
                                        ;       Child Loop BB668_79 Depth 3
	v_cmp_ne_u16_sdwa s[30:31], v4, v32 src0_sel:BYTE_0 src1_sel:DWORD
	v_mov_b32_e32 v7, v3
	v_mov_b32_e32 v6, v2
	v_cndmask_b32_e64 v3, 0, 1, s[30:31]
	;;#ASMSTART
	;;#ASMEND
	s_nop 0
	v_cmp_ne_u32_e32 vcc, 0, v3
	s_cmp_lg_u64 vcc, exec
	s_cbranch_scc1 .LBB668_82
; %bb.76:                               ;   in Loop: Header=BB668_75 Depth=1
	v_lshl_add_u64 v[28:29], v[24:25], 4, s[36:37]
	;;#ASMSTART
	global_load_dwordx4 v[2:5], v[28:29] off sc1	
s_waitcnt vmcnt(0)
	;;#ASMEND
	s_nop 0
	v_and_b32_e32 v5, 0xff, v3
	v_and_b32_e32 v45, 0xff00, v3
	v_or3_b32 v2, v2, 0, 0
	v_and_b32_e32 v46, 0xff000000, v3
	v_or3_b32 v5, 0, v5, v45
	v_and_b32_e32 v3, 0xff0000, v3
	v_or3_b32 v3, v5, v3, v46
	v_or3_b32 v2, v2, 0, 0
	v_cmp_eq_u16_sdwa s[54:55], v4, v25 src0_sel:BYTE_0 src1_sel:DWORD
	s_and_saveexec_b64 s[30:31], s[54:55]
	s_cbranch_execz .LBB668_74
; %bb.77:                               ;   in Loop: Header=BB668_75 Depth=1
	s_mov_b32 s57, 1
	s_mov_b64 s[54:55], 0
.LBB668_78:                             ;   Parent Loop BB668_75 Depth=1
                                        ; =>  This Loop Header: Depth=2
                                        ;       Child Loop BB668_79 Depth 3
	s_max_u32 s58, s57, 1
.LBB668_79:                             ;   Parent Loop BB668_75 Depth=1
                                        ;     Parent Loop BB668_78 Depth=2
                                        ; =>    This Inner Loop Header: Depth=3
	s_add_i32 s58, s58, -1
	s_cmp_eq_u32 s58, 0
	s_sleep 1
	s_cbranch_scc0 .LBB668_79
; %bb.80:                               ;   in Loop: Header=BB668_78 Depth=2
	s_cmp_lt_u32 s57, 32
	s_cselect_b64 s[58:59], -1, 0
	s_cmp_lg_u64 s[58:59], 0
	s_addc_u32 s57, s57, 0
	;;#ASMSTART
	global_load_dwordx4 v[2:5], v[28:29] off sc1	
s_waitcnt vmcnt(0)
	;;#ASMEND
	s_nop 0
	v_cmp_ne_u16_sdwa s[58:59], v4, v25 src0_sel:BYTE_0 src1_sel:DWORD
	s_or_b64 s[54:55], s[58:59], s[54:55]
	s_andn2_b64 exec, exec, s[54:55]
	s_cbranch_execnz .LBB668_78
; %bb.81:                               ;   in Loop: Header=BB668_75 Depth=1
	s_or_b64 exec, exec, s[54:55]
	s_branch .LBB668_74
.LBB668_82:                             ;   in Loop: Header=BB668_75 Depth=1
                                        ; implicit-def: $vgpr3
                                        ; implicit-def: $vgpr2
                                        ; implicit-def: $vgpr4
	s_cbranch_execz .LBB668_75
; %bb.83:
	s_and_saveexec_b64 s[30:31], s[26:27]
	s_cbranch_execz .LBB668_85
; %bb.84:
	s_cmp_eq_u32 s3, 0
	s_cselect_b64 vcc, -1, 0
	s_mov_b32 s55, 0
	v_cndmask_b32_e32 v2, 0, v7, vcc
	s_add_i32 s54, s2, 64
	v_add_u32_e32 v2, s56, v2
	s_lshl_b64 s[54:55], s[54:55], 4
	s_add_u32 s54, s36, s54
	v_and_b32_e32 v3, 0xff000000, v2
	v_and_b32_e32 v4, 0xff0000, v2
	s_addc_u32 s55, s37, s55
	v_or_b32_e32 v3, v4, v3
	v_and_b32_e32 v4, 0xff00, v2
	v_and_b32_e32 v2, 0xff, v2
	v_add_u32_e32 v24, s3, v6
	v_mov_b32_e32 v27, 0
	v_or3_b32 v25, v3, v4, v2
	v_mov_b32_e32 v26, 2
	v_mov_b64_e32 v[2:3], s[54:55]
	;;#ASMSTART
	global_store_dwordx4 v[2:3], v[24:27] off sc1	
s_waitcnt vmcnt(0)
	;;#ASMEND
	v_mov_b32_e32 v4, s3
	v_mov_b32_e32 v5, s56
	ds_write_b128 v27, v[4:7] offset:4096
.LBB668_85:
	s_or_b64 exec, exec, s[30:31]
	v_cmp_eq_u32_e32 vcc, 0, v0
	s_and_b64 exec, exec, vcc
	s_cbranch_execz .LBB668_87
; %bb.86:
	v_mov_b32_e32 v2, 0
	ds_write_b64 v2, v[6:7] offset:4168
.LBB668_87:
	s_or_b64 exec, exec, s[52:53]
	v_mov_b32_e32 v4, 0
	s_waitcnt lgkmcnt(0)
	s_barrier
	ds_read_b64 v[2:3], v4 offset:4168
	v_cndmask_b32_e64 v6, v30, v22, s[26:27]
	v_cmp_eq_u32_e32 vcc, 0, v6
	v_cndmask_b32_e64 v5, v31, v23, s[26:27]
	s_waitcnt lgkmcnt(0)
	v_cndmask_b32_e32 v7, 0, v3, vcc
	v_add_u32_e32 v5, v7, v5
	v_cmp_eq_u32_e32 vcc, 0, v0
	s_barrier
	s_nop 0
	v_cndmask_b32_e32 v51, v5, v3, vcc
	v_cndmask_b32_e64 v3, v6, 0, vcc
	v_cmp_eq_u32_e32 vcc, 0, v70
	v_add_u32_e32 v50, v2, v3
	v_add_u32_e32 v48, v50, v70
	v_cndmask_b32_e32 v2, 0, v51, vcc
	v_add_u32_e32 v49, v2, v52
	v_cndmask_b32_e64 v2, 0, v49, s[24:25]
	v_add_u32_e32 v47, v2, v52
	v_cndmask_b32_e64 v2, 0, v47, s[22:23]
	;; [unrolled: 2-line block ×8, first 2 shown]
	v_add_u32_e32 v33, v2, v52
	v_add_u32_e32 v46, v48, v69
	v_cndmask_b32_e64 v2, 0, v33, s[8:9]
	v_add_u32_e32 v44, v46, v68
	v_add_u32_e32 v31, v2, v52
	v_add_u32_e32 v42, v44, v67
	v_cndmask_b32_e64 v2, 0, v31, s[6:7]
	v_add_u32_e32 v40, v42, v66
	;; [unrolled: 4-line block ×3, first 2 shown]
	v_add_u32_e32 v27, v2, v52
	ds_read_b128 v[2:5], v4 offset:4096
	v_add_u32_e32 v34, v36, v63
	v_add_u32_e32 v32, v34, v62
	;; [unrolled: 1-line block ×4, first 2 shown]
	v_cndmask_b32_e64 v6, 0, v27, s[28:29]
	v_add_u32_e32 v26, v28, v59
	v_add_u32_e32 v23, v6, v52
	s_waitcnt lgkmcnt(0)
	v_cmp_eq_u32_e32 vcc, 0, v2
	v_add_u32_e32 v22, v26, v58
	v_cndmask_b32_e64 v6, 0, v23, s[0:1]
	v_cndmask_b32_e32 v5, 0, v5, vcc
	v_add_u32_e32 v24, v22, v57
	v_add_u32_e32 v25, v6, v52
	v_add_u32_e32 v6, v5, v3
	s_branch .LBB668_100
.LBB668_88:
                                        ; implicit-def: $vgpr2
                                        ; implicit-def: $vgpr6
                                        ; implicit-def: $vgpr24_vgpr25
                                        ; implicit-def: $vgpr22_vgpr23
                                        ; implicit-def: $vgpr26_vgpr27
                                        ; implicit-def: $vgpr28_vgpr29
                                        ; implicit-def: $vgpr50_vgpr51
                                        ; implicit-def: $vgpr48_vgpr49
                                        ; implicit-def: $vgpr46_vgpr47
                                        ; implicit-def: $vgpr44_vgpr45
                                        ; implicit-def: $vgpr42_vgpr43
                                        ; implicit-def: $vgpr40_vgpr41
                                        ; implicit-def: $vgpr38_vgpr39
                                        ; implicit-def: $vgpr36_vgpr37
                                        ; implicit-def: $vgpr34_vgpr35
                                        ; implicit-def: $vgpr32_vgpr33
                                        ; implicit-def: $vgpr30_vgpr31
	s_cbranch_execz .LBB668_100
; %bb.89:
	s_and_b64 s[0:1], s[38:39], exec
	s_cselect_b32 s1, 0, s51
	s_cselect_b32 s0, 0, s50
	s_cmp_eq_u64 s[0:1], 0
	v_mov_b32_e32 v6, v52
	s_cbranch_scc1 .LBB668_91
; %bb.90:
	v_mov_b32_e32 v2, 0
	global_load_dword v6, v2, s[0:1]
.LBB668_91:
	v_cmp_eq_u32_e64 s[0:1], 0, v69
	v_cmp_eq_u32_e64 s[2:3], 0, v68
	v_cmp_eq_u32_e64 s[4:5], 0, v67
	v_cndmask_b32_e64 v2, 0, v52, s[0:1]
	v_add_u32_e32 v2, v2, v52
	v_cndmask_b32_e64 v2, 0, v2, s[2:3]
	v_add_u32_e32 v2, v2, v52
	v_cndmask_b32_e64 v2, 0, v2, s[4:5]
	v_add_u32_e32 v2, v2, v52
	v_cmp_eq_u32_e64 s[6:7], 0, v66
	v_cmp_eq_u32_e64 s[8:9], 0, v65
	v_cmp_eq_u32_e64 s[10:11], 0, v64
	v_cndmask_b32_e64 v2, 0, v2, s[6:7]
	v_add_u32_e32 v2, v2, v52
	v_cndmask_b32_e64 v2, 0, v2, s[8:9]
	v_add_u32_e32 v2, v2, v52
	v_cndmask_b32_e64 v2, 0, v2, s[10:11]
	v_add_u32_e32 v2, v2, v52
	;; [unrolled: 9-line block ×3, first 2 shown]
	v_cmp_eq_u32_e64 s[18:19], 0, v60
	v_cmp_eq_u32_e64 s[20:21], 0, v59
	;; [unrolled: 1-line block ×3, first 2 shown]
	v_cndmask_b32_e64 v2, 0, v2, s[18:19]
	v_add_u32_e32 v2, v2, v52
	v_cndmask_b32_e64 v2, 0, v2, s[20:21]
	v_add_u32_e32 v2, v2, v52
	v_cndmask_b32_e64 v2, 0, v2, s[22:23]
	v_add3_u32 v3, v72, v65, v64
	v_add_u32_e32 v2, v2, v52
	v_cmp_eq_u32_e32 vcc, 0, v57
	v_add3_u32 v3, v3, v63, v62
	v_add3_u32 v3, v3, v61, v60
	v_cndmask_b32_e32 v2, 0, v2, vcc
	v_add_u32_e32 v2, v2, v52
	v_cmp_eq_u32_e64 s[24:25], 0, v56
	v_add3_u32 v3, v3, v59, v58
	v_add3_u32 v3, v3, v57, v56
	v_cndmask_b32_e64 v2, 0, v2, s[24:25]
	v_add_u32_e32 v2, v2, v53
	v_mbcnt_hi_u32_b32 v7, -1, v71
	v_and_b32_e32 v4, 15, v7
	v_mov_b32_dpp v22, v2 row_shr:1 row_mask:0xf bank_mask:0xf
	v_cmp_eq_u32_e64 s[24:25], 0, v3
	v_mov_b32_dpp v5, v3 row_shr:1 row_mask:0xf bank_mask:0xf
	v_cmp_lt_u32_e64 s[26:27], 1, v4
	v_cndmask_b32_e64 v22, 0, v22, s[24:25]
	v_cmp_eq_u32_e64 s[24:25], 0, v4
	s_nop 1
	v_cndmask_b32_e64 v5, v5, 0, s[24:25]
	v_add_u32_e32 v3, v5, v3
	v_cndmask_b32_e64 v5, v22, 0, s[24:25]
	v_add_u32_e32 v2, v5, v2
	v_cmp_eq_u32_e64 s[24:25], 0, v3
	v_mov_b32_dpp v5, v3 row_shr:2 row_mask:0xf bank_mask:0xf
	v_mov_b32_dpp v22, v2 row_shr:2 row_mask:0xf bank_mask:0xf
	v_cndmask_b32_e64 v5, 0, v5, s[26:27]
	s_and_b64 s[24:25], s[26:27], s[24:25]
	v_cndmask_b32_e64 v22, 0, v22, s[24:25]
	v_add_u32_e32 v3, v3, v5
	v_add_u32_e32 v2, v22, v2
	v_cmp_eq_u32_e64 s[24:25], 0, v3
	v_mov_b32_dpp v5, v3 row_shr:4 row_mask:0xf bank_mask:0xf
	v_cmp_lt_u32_e64 s[26:27], 3, v4
	v_mov_b32_dpp v22, v2 row_shr:4 row_mask:0xf bank_mask:0xf
	s_and_b64 s[24:25], s[26:27], s[24:25]
	v_cndmask_b32_e64 v5, 0, v5, s[26:27]
	v_cndmask_b32_e64 v22, 0, v22, s[24:25]
	v_add_u32_e32 v3, v5, v3
	v_add_u32_e32 v2, v2, v22
	v_cmp_eq_u32_e64 s[24:25], 0, v3
	v_cmp_lt_u32_e64 s[26:27], 7, v4
	v_mov_b32_dpp v5, v3 row_shr:8 row_mask:0xf bank_mask:0xf
	v_mov_b32_dpp v22, v2 row_shr:8 row_mask:0xf bank_mask:0xf
	s_and_b64 s[24:25], s[26:27], s[24:25]
	v_cndmask_b32_e64 v4, 0, v5, s[26:27]
	v_cndmask_b32_e64 v5, 0, v22, s[24:25]
	v_add_u32_e32 v2, v5, v2
	v_add_u32_e32 v3, v4, v3
	v_bfe_i32 v22, v7, 4, 1
	v_mov_b32_dpp v5, v2 row_bcast:15 row_mask:0xf bank_mask:0xf
	v_mov_b32_dpp v4, v3 row_bcast:15 row_mask:0xf bank_mask:0xf
	v_cmp_eq_u32_e64 s[24:25], 0, v3
	v_and_b32_e32 v4, v22, v4
	v_add_u32_e32 v3, v4, v3
	v_cndmask_b32_e64 v5, 0, v5, s[24:25]
	v_and_b32_e32 v4, v22, v5
	v_add_u32_e32 v4, v4, v2
	v_mov_b32_dpp v2, v3 row_bcast:31 row_mask:0xf bank_mask:0xf
	v_cmp_eq_u32_e64 s[24:25], 0, v3
	v_cmp_lt_u32_e64 s[26:27], 31, v7
	v_mov_b32_dpp v5, v4 row_bcast:31 row_mask:0xf bank_mask:0xf
	s_and_b64 s[24:25], s[26:27], s[24:25]
	v_cndmask_b32_e64 v2, 0, v2, s[26:27]
	v_add_u32_e32 v2, v2, v3
	v_cndmask_b32_e64 v3, 0, v5, s[24:25]
	v_add_u32_e32 v3, v3, v4
	v_cmp_eq_u32_e64 s[24:25], v55, v0
	s_and_saveexec_b64 s[26:27], s[24:25]
	s_cbranch_execz .LBB668_93
; %bb.92:
	v_lshlrev_b32_e32 v4, 3, v54
	ds_write_b64 v4, v[2:3] offset:4112
.LBB668_93:
	s_or_b64 exec, exec, s[26:27]
	v_cmp_gt_u32_e64 s[24:25], 8, v0
	s_waitcnt lgkmcnt(0)
	s_barrier
	s_and_saveexec_b64 s[28:29], s[24:25]
	s_cbranch_execz .LBB668_95
; %bb.94:
	v_lshlrev_b32_e32 v22, 3, v0
	ds_read_b64 v[4:5], v22 offset:4112
	v_and_b32_e32 v23, 7, v7
	v_cmp_lt_u32_e64 s[26:27], 1, v23
	s_waitcnt lgkmcnt(0)
	v_mov_b32_dpp v25, v5 row_shr:1 row_mask:0xf bank_mask:0xf
	v_cmp_eq_u32_e64 s[24:25], 0, v4
	v_mov_b32_dpp v24, v4 row_shr:1 row_mask:0xf bank_mask:0xf
	s_nop 0
	v_cndmask_b32_e64 v25, 0, v25, s[24:25]
	v_cmp_eq_u32_e64 s[24:25], 0, v23
	s_nop 1
	v_cndmask_b32_e64 v24, v24, 0, s[24:25]
	v_add_u32_e32 v4, v24, v4
	v_cndmask_b32_e64 v24, v25, 0, s[24:25]
	v_add_u32_e32 v5, v24, v5
	v_cmp_eq_u32_e64 s[24:25], 0, v4
	v_mov_b32_dpp v24, v4 row_shr:2 row_mask:0xf bank_mask:0xf
	v_mov_b32_dpp v25, v5 row_shr:2 row_mask:0xf bank_mask:0xf
	v_cndmask_b32_e64 v24, 0, v24, s[26:27]
	s_and_b64 s[24:25], s[26:27], s[24:25]
	v_cndmask_b32_e64 v25, 0, v25, s[24:25]
	v_add_u32_e32 v4, v24, v4
	v_add_u32_e32 v5, v25, v5
	v_cmp_eq_u32_e64 s[24:25], 0, v4
	v_mov_b32_dpp v24, v4 row_shr:4 row_mask:0xf bank_mask:0xf
	v_cmp_lt_u32_e64 s[26:27], 3, v23
	v_mov_b32_dpp v25, v5 row_shr:4 row_mask:0xf bank_mask:0xf
	s_and_b64 s[24:25], s[26:27], s[24:25]
	v_cndmask_b32_e64 v23, 0, v24, s[26:27]
	v_add_u32_e32 v4, v23, v4
	v_cndmask_b32_e64 v23, 0, v25, s[24:25]
	v_add_u32_e32 v5, v23, v5
	ds_write_b64 v22, v[4:5] offset:4112
.LBB668_95:
	s_or_b64 exec, exec, s[28:29]
	v_cmp_lt_u32_e64 s[24:25], 63, v0
	v_mov_b32_e32 v23, 0
	v_mov_b32_e32 v4, 0
	s_waitcnt vmcnt(0)
	v_mov_b32_e32 v5, v6
	s_waitcnt lgkmcnt(0)
	s_barrier
	s_and_saveexec_b64 s[26:27], s[24:25]
	s_cbranch_execz .LBB668_97
; %bb.96:
	v_lshlrev_b32_e32 v4, 3, v54
	ds_read_b64 v[4:5], v4 offset:4104
	s_waitcnt lgkmcnt(0)
	v_cmp_eq_u32_e64 s[24:25], 0, v4
	s_nop 1
	v_cndmask_b32_e64 v22, 0, v6, s[24:25]
	v_add_u32_e32 v5, v22, v5
.LBB668_97:
	s_or_b64 exec, exec, s[26:27]
	v_cmp_eq_u32_e64 s[24:25], 0, v2
	v_add_u32_e32 v22, v4, v2
	v_and_b32_e32 v24, 64, v7
	v_cndmask_b32_e64 v2, 0, v5, s[24:25]
	v_add_u32_e32 v2, v2, v3
	v_add_u32_e32 v3, -1, v7
	v_cmp_lt_i32_e64 s[24:25], v3, v24
	v_cmp_eq_u32_e64 s[26:27], 0, v70
	s_nop 0
	v_cndmask_b32_e64 v3, v3, v7, s[24:25]
	v_lshlrev_b32_e32 v3, 2, v3
	ds_bpermute_b32 v22, v3, v22
	ds_bpermute_b32 v2, v3, v2
	v_cmp_eq_u32_e64 s[24:25], 0, v7
	s_waitcnt lgkmcnt(1)
	s_nop 0
	v_cndmask_b32_e64 v3, v22, v4, s[24:25]
	s_waitcnt lgkmcnt(0)
	v_cndmask_b32_e64 v2, v2, v5, s[24:25]
	v_cmp_eq_u32_e64 s[24:25], 0, v0
	s_nop 1
	v_cndmask_b32_e64 v51, v2, v6, s[24:25]
	v_cndmask_b32_e64 v2, 0, v51, s[26:27]
	v_add_u32_e32 v49, v2, v52
	v_cndmask_b32_e64 v2, 0, v49, s[0:1]
	v_add_u32_e32 v47, v2, v52
	;; [unrolled: 2-line block ×8, first 2 shown]
	v_cndmask_b32_e64 v50, v3, 0, s[24:25]
	v_cndmask_b32_e64 v2, 0, v35, s[14:15]
	v_add_u32_e32 v48, v50, v70
	v_add_u32_e32 v33, v2, v52
	v_add_u32_e32 v46, v48, v69
	v_cndmask_b32_e64 v2, 0, v33, s[16:17]
	v_add_u32_e32 v44, v46, v68
	v_add_u32_e32 v31, v2, v52
	v_add_u32_e32 v42, v44, v67
	;; [unrolled: 4-line block ×3, first 2 shown]
	v_cndmask_b32_e64 v2, 0, v29, s[20:21]
	v_add_u32_e32 v36, v38, v64
	v_add_u32_e32 v27, v2, v52
	ds_read_b64 v[2:3], v23 offset:4168
	v_add_u32_e32 v34, v36, v63
	v_add_u32_e32 v32, v34, v62
	;; [unrolled: 1-line block ×3, first 2 shown]
	v_cndmask_b32_e64 v4, 0, v27, s[22:23]
	v_add_u32_e32 v28, v30, v60
	v_add_u32_e32 v23, v4, v52
	;; [unrolled: 1-line block ×3, first 2 shown]
	v_cndmask_b32_e32 v4, 0, v23, vcc
	s_waitcnt lgkmcnt(0)
	v_cmp_eq_u32_e32 vcc, 0, v2
	v_add_u32_e32 v22, v26, v58
	v_add_u32_e32 v25, v4, v52
	v_cndmask_b32_e32 v4, 0, v6, vcc
	v_add_u32_e32 v24, v22, v57
	v_add_u32_e32 v6, v4, v3
	s_and_saveexec_b64 s[0:1], s[24:25]
	s_cbranch_execz .LBB668_99
; %bb.98:
	s_add_u32 s2, s36, 0x400
	v_and_b32_e32 v3, 0xff000000, v6
	v_and_b32_e32 v4, 0xff0000, v6
	s_addc_u32 s3, s37, 0
	v_or_b32_e32 v3, v4, v3
	v_and_b32_e32 v4, 0xff00, v6
	v_and_b32_e32 v7, 0xff, v6
	v_mov_b32_e32 v5, 0
	v_or3_b32 v3, v3, v4, v7
	v_mov_b32_e32 v4, 2
	v_mov_b64_e32 v[52:53], s[2:3]
	;;#ASMSTART
	global_store_dwordx4 v[52:53], v[2:5] off sc1	
s_waitcnt vmcnt(0)
	;;#ASMEND
.LBB668_99:
	s_or_b64 exec, exec, s[0:1]
	v_mov_b32_e32 v4, 0
.LBB668_100:
	s_and_b64 s[0:1], s[38:39], exec
	s_cselect_b32 s1, 0, s47
	s_cselect_b32 s0, 0, s46
	s_cmp_eq_u64 s[0:1], 0
	v_mov_b64_e32 v[52:53], 0
	s_waitcnt lgkmcnt(0)
	s_barrier
	s_cbranch_scc1 .LBB668_102
; %bb.101:
	v_mov_b32_e32 v3, 0
	global_load_dwordx2 v[52:53], v3, s[0:1]
.LBB668_102:
	v_cmp_eq_u32_e32 vcc, 0, v70
	s_waitcnt vmcnt(0)
	v_lshlrev_b64 v[54:55], 2, v[52:53]
	v_mov_b32_e32 v5, 0
	v_cndmask_b32_e64 v3, 1, 2, vcc
	v_cmp_eq_u32_e32 vcc, 0, v69
	s_movk_i32 s30, 0x200
	v_lshl_add_u64 v[54:55], s[40:41], 0, v[54:55]
	v_cndmask_b32_e64 v7, 1, 2, vcc
	v_cmp_eq_u32_e32 vcc, 0, v68
	v_and_b32_e32 v3, v7, v3
	v_lshlrev_b64 v[72:73], 2, v[4:5]
	v_cndmask_b32_e64 v7, 1, 2, vcc
	v_cmp_eq_u32_e32 vcc, 0, v67
	v_and_b32_e32 v3, v3, v7
	v_lshl_add_u64 v[54:55], v[54:55], 0, v[72:73]
	v_cndmask_b32_e64 v7, 1, 2, vcc
	v_cmp_eq_u32_e32 vcc, 0, v66
	v_and_b32_e32 v3, v3, v7
	v_cmp_ne_u32_e64 s[28:29], 0, v70
	v_cndmask_b32_e64 v7, 1, 2, vcc
	v_cmp_eq_u32_e32 vcc, 0, v65
	v_and_b32_e32 v3, v3, v7
	v_cmp_ne_u32_e64 s[26:27], 0, v69
	v_cndmask_b32_e64 v7, 1, 2, vcc
	v_cmp_eq_u32_e32 vcc, 0, v64
	v_and_b32_e32 v3, v3, v7
	v_cmp_ne_u32_e64 s[24:25], 0, v68
	v_cndmask_b32_e64 v7, 1, 2, vcc
	v_cmp_eq_u32_e32 vcc, 0, v63
	v_and_b32_e32 v3, v3, v7
	v_cmp_ne_u32_e64 s[22:23], 0, v67
	v_cndmask_b32_e64 v7, 1, 2, vcc
	v_cmp_eq_u32_e32 vcc, 0, v62
	v_and_b32_e32 v3, v3, v7
	v_cmp_ne_u32_e64 s[20:21], 0, v66
	v_cndmask_b32_e64 v7, 1, 2, vcc
	v_cmp_eq_u32_e32 vcc, 0, v61
	v_and_b32_e32 v3, v3, v7
	v_cmp_ne_u32_e64 s[18:19], 0, v65
	v_cndmask_b32_e64 v7, 1, 2, vcc
	v_cmp_eq_u32_e32 vcc, 0, v60
	v_and_b32_e32 v3, v3, v7
	v_cmp_ne_u32_e64 s[16:17], 0, v64
	v_cndmask_b32_e64 v7, 1, 2, vcc
	v_cmp_eq_u32_e32 vcc, 0, v59
	v_and_b32_e32 v3, v3, v7
	v_cmp_ne_u32_e64 s[14:15], 0, v63
	v_cndmask_b32_e64 v7, 1, 2, vcc
	v_cmp_eq_u32_e32 vcc, 0, v58
	v_and_b32_e32 v3, v3, v7
	v_cmp_ne_u32_e64 s[12:13], 0, v62
	v_cndmask_b32_e64 v7, 1, 2, vcc
	v_cmp_eq_u32_e32 vcc, 0, v57
	v_and_b32_e32 v3, v3, v7
	v_cmp_ne_u32_e64 s[10:11], 0, v61
	v_cndmask_b32_e64 v7, 1, 2, vcc
	v_cmp_eq_u32_e32 vcc, 0, v56
	v_and_b32_e32 v3, v3, v7
	v_cmp_ne_u32_e64 s[8:9], 0, v60
	v_cndmask_b32_e64 v7, 1, 2, vcc
	v_and_b32_e32 v3, v3, v7
	v_cmp_gt_u32_e32 vcc, s30, v2
	v_cmp_ne_u32_e64 s[6:7], 0, v59
	v_cmp_ne_u32_e64 s[4:5], 0, v58
	;; [unrolled: 1-line block ×4, first 2 shown]
	s_mov_b64 s[36:37], -1
	v_cmp_gt_i16_e64 s[30:31], 2, v3
	s_cbranch_vccz .LBB668_109
; %bb.103:
	s_and_saveexec_b64 s[36:37], s[30:31]
	s_cbranch_execz .LBB668_108
; %bb.104:
	v_cmp_ne_u16_e32 vcc, 1, v3
	s_mov_b64 s[38:39], 0
	s_and_saveexec_b64 s[30:31], vcc
	s_xor_b64 s[30:31], exec, s[30:31]
	s_cbranch_execnz .LBB668_151
; %bb.105:
	s_andn2_saveexec_b64 s[30:31], s[30:31]
	s_cbranch_execnz .LBB668_167
.LBB668_106:
	s_or_b64 exec, exec, s[30:31]
	s_and_b64 exec, exec, s[38:39]
	s_cbranch_execz .LBB668_108
.LBB668_107:
	v_sub_u32_e32 v72, v24, v4
	v_mov_b32_e32 v73, 0
	v_lshl_add_u64 v[72:73], v[72:73], 2, v[54:55]
	global_store_dword v[72:73], v1, off
.LBB668_108:
	s_or_b64 exec, exec, s[36:37]
	s_mov_b64 s[36:37], 0
.LBB668_109:
	s_and_b64 vcc, exec, s[36:37]
	s_cbranch_vccz .LBB668_129
; %bb.110:
	v_cmp_gt_i16_e32 vcc, 2, v3
	s_and_saveexec_b64 s[30:31], vcc
	s_cbranch_execz .LBB668_115
; %bb.111:
	v_cmp_ne_u16_e32 vcc, 1, v3
	s_mov_b64 s[38:39], 0
	s_and_saveexec_b64 s[36:37], vcc
	s_xor_b64 s[36:37], exec, s[36:37]
	s_cbranch_execnz .LBB668_168
; %bb.112:
	s_andn2_saveexec_b64 s[0:1], s[36:37]
	s_cbranch_execnz .LBB668_184
.LBB668_113:
	s_or_b64 exec, exec, s[0:1]
	s_and_b64 exec, exec, s[38:39]
	s_cbranch_execz .LBB668_115
.LBB668_114:
	v_sub_u32_e32 v3, v24, v4
	v_lshlrev_b32_e32 v3, 2, v3
	ds_write_b32 v3, v1
.LBB668_115:
	s_or_b64 exec, exec, s[30:31]
	v_cmp_lt_u32_e32 vcc, v0, v2
	s_waitcnt lgkmcnt(0)
	s_barrier
	s_and_saveexec_b64 s[0:1], vcc
	s_cbranch_execz .LBB668_128
; %bb.116:
	v_xad_u32 v1, v0, -1, v2
	s_movk_i32 s2, 0x1ff
	v_cmp_lt_u32_e32 vcc, s2, v1
	s_mov_b64 s[4:5], -1
	v_mov_b32_e32 v8, v0
	s_and_saveexec_b64 s[2:3], vcc
	s_cbranch_execz .LBB668_125
; %bb.117:
	v_lshrrev_b32_e32 v3, 9, v1
	v_add_u32_e32 v8, -1, v3
	v_or_b32_e32 v1, 0x200, v0
	v_lshrrev_b32_e32 v7, 1, v8
	v_add_u32_e32 v7, 1, v7
	v_cmp_lt_u32_e32 vcc, 13, v8
	v_mov_b32_e32 v14, 0
	v_mov_b64_e32 v[8:9], v[0:1]
	s_and_saveexec_b64 s[4:5], vcc
	s_cbranch_execz .LBB668_121
; %bb.118:
	v_and_b32_e32 v12, -8, v7
	v_lshlrev_b32_e32 v13, 2, v0
	s_mov_b32 s8, 0
	s_mov_b64 s[6:7], 0
	v_mov_b32_e32 v11, 0
	v_mov_b64_e32 v[8:9], v[0:1]
.LBB668_119:                            ; =>This Inner Loop Header: Depth=1
	ds_read2st64_b32 v[16:17], v13 offset1:8
	v_mov_b32_e32 v10, v8
	ds_read2st64_b32 v[76:77], v13 offset0:48 offset1:56
	v_lshl_add_u64 v[94:95], v[10:11], 2, v[54:55]
	v_mov_b32_e32 v10, v9
	ds_read2st64_b32 v[18:19], v13 offset0:16 offset1:24
	ds_read2st64_b32 v[80:81], v13 offset0:64 offset1:72
	v_lshl_add_u64 v[98:99], v[10:11], 2, v[54:55]
	v_add_u32_e32 v10, 0x400, v8
	ds_read2st64_b32 v[84:85], v13 offset0:80 offset1:88
	v_lshl_add_u64 v[100:101], v[10:11], 2, v[54:55]
	v_add_u32_e32 v10, 0x800, v8
	v_add_u32_e32 v14, 0x400, v9
	v_mov_b32_e32 v15, v11
	v_add_u32_e32 v20, 0x800, v9
	ds_read2st64_b32 v[72:73], v13 offset0:32 offset1:40
	v_mov_b32_e32 v21, v11
	ds_read2st64_b32 v[88:89], v13 offset0:96 offset1:104
	v_lshl_add_u64 v[102:103], v[10:11], 2, v[54:55]
	v_add_u32_e32 v10, 0xc00, v8
	v_add_u32_e32 v74, 0xc00, v9
	v_mov_b32_e32 v75, v11
	ds_read2st64_b32 v[92:93], v13 offset0:112 offset1:120
	v_lshl_add_u64 v[96:97], v[14:15], 2, v[54:55]
	v_lshl_add_u64 v[20:21], v[20:21], 2, v[54:55]
	s_waitcnt lgkmcnt(7)
	global_store_dword v[94:95], v16, off
	global_store_dword v[98:99], v17, off
	s_waitcnt lgkmcnt(5)
	global_store_dword v[100:101], v18, off
	global_store_dword v[96:97], v19, off
	;; [unrolled: 3-line block ×3, first 2 shown]
	v_lshl_add_u64 v[16:17], v[10:11], 2, v[54:55]
	v_add_u32_e32 v10, 0x1000, v8
	v_add_u32_e32 v78, 0x1000, v9
	v_mov_b32_e32 v79, v11
	v_lshl_add_u64 v[74:75], v[74:75], 2, v[54:55]
	global_store_dword v[16:17], v76, off
	global_store_dword v[74:75], v77, off
	v_lshl_add_u64 v[16:17], v[10:11], 2, v[54:55]
	v_add_u32_e32 v10, 0x1400, v8
	v_add_u32_e32 v82, 0x1400, v9
	v_mov_b32_e32 v83, v11
	v_add_u32_e32 v12, -8, v12
	v_lshl_add_u64 v[78:79], v[78:79], 2, v[54:55]
	global_store_dword v[16:17], v80, off
	global_store_dword v[78:79], v81, off
	v_lshl_add_u64 v[16:17], v[10:11], 2, v[54:55]
	v_add_u32_e32 v10, 0x1800, v8
	v_add_u32_e32 v86, 0x1800, v9
	v_mov_b32_e32 v87, v11
	s_add_i32 s8, s8, 16
	v_lshl_add_u64 v[82:83], v[82:83], 2, v[54:55]
	v_cmp_eq_u32_e32 vcc, 0, v12
	global_store_dword v[16:17], v84, off
	global_store_dword v[82:83], v85, off
	v_lshl_add_u64 v[16:17], v[10:11], 2, v[54:55]
	v_add_u32_e32 v10, 0x1c00, v8
	v_add_u32_e32 v90, 0x1c00, v9
	v_mov_b32_e32 v91, v11
	v_add_u32_e32 v13, 0x8000, v13
	v_lshl_add_u64 v[86:87], v[86:87], 2, v[54:55]
	v_add_u32_e32 v9, 0x2000, v9
	v_mov_b32_e32 v14, s8
	s_or_b64 s[6:7], vcc, s[6:7]
	v_add_u32_e32 v8, 0x2000, v8
	s_waitcnt lgkmcnt(1)
	global_store_dword v[16:17], v88, off
	global_store_dword v[86:87], v89, off
	v_lshl_add_u64 v[16:17], v[10:11], 2, v[54:55]
	v_lshl_add_u64 v[90:91], v[90:91], 2, v[54:55]
	s_waitcnt lgkmcnt(0)
	global_store_dword v[16:17], v92, off
	global_store_dword v[90:91], v93, off
	s_andn2_b64 exec, exec, s[6:7]
	s_cbranch_execnz .LBB668_119
; %bb.120:
	s_or_b64 exec, exec, s[6:7]
.LBB668_121:
	s_or_b64 exec, exec, s[4:5]
	v_and_b32_e32 v1, 7, v7
	v_cmp_ne_u32_e32 vcc, 0, v1
	s_and_saveexec_b64 s[4:5], vcc
	s_cbranch_execz .LBB668_124
; %bb.122:
	v_lshlrev_b32_e32 v7, 2, v0
	v_lshl_or_b32 v7, v14, 11, v7
	s_mov_b64 s[6:7], 0
	v_mov_b32_e32 v11, 0
.LBB668_123:                            ; =>This Inner Loop Header: Depth=1
	ds_read2st64_b32 v[12:13], v7 offset1:8
	v_add_u32_e32 v1, -1, v1
	v_mov_b32_e32 v10, v8
	v_cmp_eq_u32_e32 vcc, 0, v1
	v_add_u32_e32 v8, 0x400, v8
	v_add_u32_e32 v7, 0x1000, v7
	v_lshl_add_u64 v[14:15], v[10:11], 2, v[54:55]
	v_mov_b32_e32 v10, v9
	v_add_u32_e32 v9, 0x400, v9
	s_or_b64 s[6:7], vcc, s[6:7]
	v_lshl_add_u64 v[16:17], v[10:11], 2, v[54:55]
	s_waitcnt lgkmcnt(0)
	global_store_dword v[14:15], v12, off
	global_store_dword v[16:17], v13, off
	s_andn2_b64 exec, exec, s[6:7]
	s_cbranch_execnz .LBB668_123
.LBB668_124:
	s_or_b64 exec, exec, s[4:5]
	v_add_u32_e32 v1, 1, v3
	v_and_b32_e32 v3, 0xfffffe, v1
	v_cmp_ne_u32_e32 vcc, v1, v3
	v_lshl_or_b32 v8, v3, 9, v0
	s_orn2_b64 s[4:5], vcc, exec
.LBB668_125:
	s_or_b64 exec, exec, s[2:3]
	s_and_b64 exec, exec, s[4:5]
	s_cbranch_execz .LBB668_128
; %bb.126:
	v_lshlrev_b32_e32 v1, 2, v8
	s_mov_b64 s[2:3], 0
	v_mov_b32_e32 v9, 0
.LBB668_127:                            ; =>This Inner Loop Header: Depth=1
	ds_read_b32 v3, v1
	v_lshl_add_u64 v[10:11], v[8:9], 2, v[54:55]
	v_add_u32_e32 v8, 0x200, v8
	v_cmp_ge_u32_e32 vcc, v8, v2
	v_add_u32_e32 v1, 0x800, v1
	s_or_b64 s[2:3], vcc, s[2:3]
	s_waitcnt lgkmcnt(0)
	global_store_dword v[10:11], v3, off
	s_andn2_b64 exec, exec, s[2:3]
	s_cbranch_execnz .LBB668_127
.LBB668_128:
	s_or_b64 exec, exec, s[0:1]
.LBB668_129:
	s_cmpk_lg_i32 s33, 0x1e00
	s_cselect_b64 s[0:1], -1, 0
	v_cndmask_b32_e64 v16, 0, 1, s[48:49]
	s_and_b64 s[0:1], s[34:35], s[0:1]
	v_cmp_eq_u32_e32 vcc, 0, v0
	v_sub_u32_e32 v1, v2, v16
	v_cndmask_b32_e64 v3, 0, 1, s[0:1]
	s_and_b64 s[0:1], vcc, s[48:49]
	v_add_u32_e32 v1, v1, v3
	v_cndmask_b32_e64 v3, v70, 0, s[0:1]
	s_mul_hi_u32 s0, s33, 0x88888889
	s_lshr_b32 s0, s0, 3
	v_mad_i32_i24 v7, v0, -15, s33
	v_cmp_eq_u32_e32 vcc, s0, v0
	v_cmp_ne_u32_e64 s[0:1], 0, v7
	s_and_b64 vcc, s[34:35], vcc
	s_mov_b32 s2, 0
	v_cndmask_b32_e64 v8, 1, v3, s[0:1]
	v_cmp_ne_u32_e64 s[0:1], 1, v7
	s_movk_i32 s30, 0x200
	s_mov_b64 s[36:37], -1
	v_cndmask_b32_e64 v9, 1, v69, s[0:1]
	v_cmp_ne_u32_e64 s[0:1], 2, v7
	s_barrier
	s_nop 0
	v_cndmask_b32_e64 v10, 1, v68, s[0:1]
	v_cmp_ne_u32_e64 s[0:1], 3, v7
	s_nop 1
	v_cndmask_b32_e64 v11, 1, v67, s[0:1]
	v_cmp_ne_u32_e64 s[0:1], 4, v7
	;; [unrolled: 3-line block ×7, first 2 shown]
	v_cndmask_b32_e32 v55, v62, v17, vcc
	v_cndmask_b32_e32 v62, v69, v9, vcc
	v_cndmask_b32_e64 v18, 1, v61, s[0:1]
	v_cmp_ne_u32_e64 s[0:1], 10, v7
	v_cndmask_b32_e32 v18, v61, v18, vcc
	v_cndmask_b32_e32 v61, v68, v10, vcc
	v_cndmask_b32_e64 v19, 1, v60, s[0:1]
	v_cmp_ne_u32_e64 s[0:1], 11, v7
	;; [unrolled: 4-line block ×5, first 2 shown]
	v_cndmask_b32_e32 v54, v57, v54, vcc
	v_cndmask_b32_e32 v57, v64, v14, vcc
	v_cndmask_b32_e64 v7, 1, v56, s[0:1]
	v_cndmask_b32_e32 v7, v56, v7, vcc
	v_cndmask_b32_e32 v56, v63, v15, vcc
	;; [unrolled: 1-line block ×3, first 2 shown]
	v_mov_b32_e32 v17, s2
	v_cmp_eq_u32_e32 vcc, 0, v63
	v_lshl_add_u64 v[14:15], v[16:17], 0, -1
	v_add_u32_e32 v3, v4, v16
	v_cndmask_b32_e64 v16, 1, 2, vcc
	v_cmp_eq_u32_e32 vcc, 0, v62
	v_lshlrev_b64 v[10:11], 3, v[52:53]
	v_cmp_ne_u32_e64 s[0:1], 0, v7
	v_cndmask_b32_e64 v17, 1, 2, vcc
	v_cmp_eq_u32_e32 vcc, 0, v61
	v_and_b32_e32 v16, v17, v16
	v_lshl_add_u64 v[8:9], s[42:43], 0, v[10:11]
	v_cndmask_b32_e64 v17, 1, 2, vcc
	v_cmp_eq_u32_e32 vcc, 0, v60
	v_and_b32_e32 v16, v16, v17
	v_lshlrev_b64 v[12:13], 3, v[4:5]
	v_cndmask_b32_e64 v17, 1, 2, vcc
	v_cmp_eq_u32_e32 vcc, 0, v59
	v_and_b32_e32 v16, v16, v17
	v_lshl_add_u64 v[8:9], v[8:9], 0, v[12:13]
	v_cndmask_b32_e64 v17, 1, 2, vcc
	v_cmp_eq_u32_e32 vcc, 0, v58
	v_and_b32_e32 v16, v16, v17
	v_cmp_ne_u32_e64 s[28:29], 0, v63
	v_cndmask_b32_e64 v17, 1, 2, vcc
	v_cmp_eq_u32_e32 vcc, 0, v57
	v_and_b32_e32 v16, v16, v17
	v_cmp_ne_u32_e64 s[26:27], 0, v62
	;; [unrolled: 4-line block ×10, first 2 shown]
	v_cndmask_b32_e64 v7, 1, 2, vcc
	v_and_b32_e32 v7, v16, v7
	v_cmp_gt_u32_e32 vcc, s30, v1
	v_cmp_ne_u32_e64 s[8:9], 0, v19
	v_cmp_ne_u32_e64 s[6:7], 0, v20
	v_cmp_ne_u32_e64 s[4:5], 0, v21
	v_cmp_ne_u32_e64 s[2:3], 0, v54
	v_cmp_gt_i16_e64 s[30:31], 2, v7
	s_cbranch_vccz .LBB668_136
; %bb.130:
	s_and_saveexec_b64 s[36:37], s[30:31]
	s_cbranch_execz .LBB668_135
; %bb.131:
	v_lshlrev_b64 v[16:17], 3, v[14:15]
	v_lshl_add_u64 v[16:17], v[8:9], 0, v[16:17]
	v_cmp_ne_u16_e32 vcc, 1, v7
	s_mov_b64 s[38:39], 0
	s_and_saveexec_b64 s[30:31], vcc
	s_xor_b64 s[30:31], exec, s[30:31]
	s_cbranch_execnz .LBB668_185
; %bb.132:
	s_andn2_saveexec_b64 s[30:31], s[30:31]
	s_cbranch_execnz .LBB668_201
.LBB668_133:
	s_or_b64 exec, exec, s[30:31]
	s_and_b64 exec, exec, s[38:39]
	s_cbranch_execz .LBB668_135
.LBB668_134:
	v_mov_b32_e32 v19, 0
	v_sub_u32_e32 v20, v24, v3
	v_mov_b32_e32 v21, v19
	v_mov_b32_e32 v18, v25
	v_lshl_add_u64 v[16:17], v[20:21], 3, v[16:17]
	global_store_dwordx2 v[16:17], v[18:19], off
.LBB668_135:
	s_or_b64 exec, exec, s[36:37]
	s_mov_b64 s[36:37], 0
.LBB668_136:
	s_and_b64 vcc, exec, s[36:37]
	s_cbranch_vccz .LBB668_146
; %bb.137:
	v_cmp_gt_i16_e32 vcc, 2, v7
	s_and_saveexec_b64 s[30:31], vcc
	s_cbranch_execz .LBB668_142
; %bb.138:
	v_cmp_ne_u16_e32 vcc, 1, v7
	s_mov_b64 s[38:39], 0
	s_and_saveexec_b64 s[36:37], vcc
	s_xor_b64 s[36:37], exec, s[36:37]
	s_cbranch_execnz .LBB668_202
; %bb.139:
	s_andn2_saveexec_b64 s[0:1], s[36:37]
	s_cbranch_execnz .LBB668_218
.LBB668_140:
	s_or_b64 exec, exec, s[0:1]
	s_and_b64 exec, exec, s[38:39]
	s_cbranch_execz .LBB668_142
.LBB668_141:
	v_sub_u32_e32 v3, v24, v3
	v_lshlrev_b32_e32 v3, 2, v3
	ds_write_b32 v3, v25
.LBB668_142:
	s_or_b64 exec, exec, s[30:31]
	v_cmp_lt_u32_e32 vcc, v0, v1
	s_waitcnt lgkmcnt(0)
	s_barrier
	s_and_saveexec_b64 s[0:1], vcc
	s_cbranch_execz .LBB668_145
; %bb.143:
	v_lshlrev_b64 v[14:15], 3, v[14:15]
	v_lshl_add_u64 v[10:11], v[10:11], 0, v[14:15]
	v_lshl_add_u64 v[12:13], v[10:11], 0, v[12:13]
	v_lshlrev_b32_e32 v10, 3, v0
	v_mov_b32_e32 v11, 0
	v_lshl_add_u64 v[12:13], s[42:43], 0, v[12:13]
	v_lshlrev_b32_e32 v3, 2, v0
	v_lshl_add_u64 v[12:13], v[12:13], 0, v[10:11]
	s_mov_b64 s[2:3], 0
	s_mov_b64 s[4:5], 0x1000
	v_mov_b32_e32 v7, v0
.LBB668_144:                            ; =>This Inner Loop Header: Depth=1
	ds_read_b32 v10, v3
	v_add_u32_e32 v7, 0x200, v7
	v_cmp_ge_u32_e32 vcc, v7, v1
	v_add_u32_e32 v3, 0x800, v3
	s_or_b64 s[2:3], vcc, s[2:3]
	s_waitcnt lgkmcnt(0)
	global_store_dwordx2 v[12:13], v[10:11], off
	v_lshl_add_u64 v[12:13], v[12:13], 0, s[4:5]
	s_andn2_b64 exec, exec, s[2:3]
	s_cbranch_execnz .LBB668_144
.LBB668_145:
	s_or_b64 exec, exec, s[0:1]
.LBB668_146:
	s_movk_i32 s0, 0x1ff
	v_cmp_eq_u32_e32 vcc, s0, v0
	s_and_b64 s[0:1], vcc, s[34:35]
	s_and_saveexec_b64 s[2:3], s[0:1]
	s_cbranch_execz .LBB668_149
; %bb.147:
	v_mov_b32_e32 v3, 0
	v_lshl_add_u64 v[0:1], v[2:3], 0, v[4:5]
	v_lshl_add_u64 v[0:1], v[0:1], 0, v[52:53]
	s_cmpk_lg_i32 s33, 0x1e00
	global_store_dwordx2 v3, v[0:1], s[44:45]
	s_cbranch_scc1 .LBB668_149
; %bb.148:
	v_lshlrev_b64 v[0:1], 3, v[2:3]
	v_mov_b32_e32 v7, v3
	v_lshl_add_u64 v[0:1], v[8:9], 0, v[0:1]
	global_store_dwordx2 v[0:1], v[6:7], off offset:-8
.LBB668_149:
	s_endpgm
.LBB668_150:
	s_or_b64 exec, exec, s[12:13]
	v_mov_b32_e32 v70, s3
	s_and_saveexec_b64 s[4:5], s[8:9]
	s_cbranch_execnz .LBB668_56
	s_branch .LBB668_57
.LBB668_151:
	s_and_saveexec_b64 s[38:39], s[28:29]
	s_cbranch_execnz .LBB668_219
; %bb.152:
	s_or_b64 exec, exec, s[38:39]
	s_and_saveexec_b64 s[38:39], s[26:27]
	s_cbranch_execnz .LBB668_220
.LBB668_153:
	s_or_b64 exec, exec, s[38:39]
	s_and_saveexec_b64 s[38:39], s[24:25]
	s_cbranch_execnz .LBB668_221
.LBB668_154:
	s_or_b64 exec, exec, s[38:39]
	s_and_saveexec_b64 s[38:39], s[22:23]
	s_cbranch_execnz .LBB668_222
.LBB668_155:
	s_or_b64 exec, exec, s[38:39]
	s_and_saveexec_b64 s[38:39], s[20:21]
	s_cbranch_execnz .LBB668_223
.LBB668_156:
	s_or_b64 exec, exec, s[38:39]
	s_and_saveexec_b64 s[38:39], s[18:19]
	s_cbranch_execnz .LBB668_224
.LBB668_157:
	s_or_b64 exec, exec, s[38:39]
	s_and_saveexec_b64 s[38:39], s[16:17]
	s_cbranch_execnz .LBB668_225
.LBB668_158:
	s_or_b64 exec, exec, s[38:39]
	s_and_saveexec_b64 s[38:39], s[14:15]
	s_cbranch_execnz .LBB668_226
.LBB668_159:
	s_or_b64 exec, exec, s[38:39]
	s_and_saveexec_b64 s[38:39], s[12:13]
	s_cbranch_execnz .LBB668_227
.LBB668_160:
	s_or_b64 exec, exec, s[38:39]
	s_and_saveexec_b64 s[38:39], s[10:11]
	s_cbranch_execnz .LBB668_228
.LBB668_161:
	s_or_b64 exec, exec, s[38:39]
	s_and_saveexec_b64 s[38:39], s[8:9]
	s_cbranch_execnz .LBB668_229
.LBB668_162:
	s_or_b64 exec, exec, s[38:39]
	s_and_saveexec_b64 s[38:39], s[6:7]
	s_cbranch_execnz .LBB668_230
.LBB668_163:
	s_or_b64 exec, exec, s[38:39]
	s_and_saveexec_b64 s[38:39], s[4:5]
	s_cbranch_execnz .LBB668_231
.LBB668_164:
	s_or_b64 exec, exec, s[38:39]
	s_and_saveexec_b64 s[38:39], s[2:3]
	s_cbranch_execz .LBB668_166
.LBB668_165:
	v_sub_u32_e32 v72, v22, v4
	v_mov_b32_e32 v73, 0
	v_lshl_add_u64 v[72:73], v[72:73], 2, v[54:55]
	global_store_dword v[72:73], v9, off
.LBB668_166:
	s_or_b64 exec, exec, s[38:39]
	s_and_b64 s[38:39], s[0:1], exec
	s_andn2_saveexec_b64 s[30:31], s[30:31]
	s_cbranch_execz .LBB668_106
.LBB668_167:
	v_sub_u32_e32 v72, v50, v4
	v_mov_b32_e32 v73, 0
	v_lshl_add_u64 v[74:75], v[72:73], 2, v[54:55]
	v_sub_u32_e32 v72, v48, v4
	global_store_dword v[74:75], v20, off
	v_lshl_add_u64 v[74:75], v[72:73], 2, v[54:55]
	v_sub_u32_e32 v72, v46, v4
	global_store_dword v[74:75], v21, off
	;; [unrolled: 3-line block ×12, first 2 shown]
	v_lshl_add_u64 v[74:75], v[72:73], 2, v[54:55]
	v_sub_u32_e32 v72, v22, v4
	v_lshl_add_u64 v[72:73], v[72:73], 2, v[54:55]
	s_or_b64 s[38:39], s[38:39], exec
	global_store_dword v[74:75], v8, off
	global_store_dword v[72:73], v9, off
	s_or_b64 exec, exec, s[30:31]
	s_and_b64 exec, exec, s[38:39]
	s_cbranch_execnz .LBB668_107
	s_branch .LBB668_108
.LBB668_168:
	s_and_saveexec_b64 s[38:39], s[28:29]
	s_cbranch_execnz .LBB668_232
; %bb.169:
	s_or_b64 exec, exec, s[38:39]
	s_and_saveexec_b64 s[28:29], s[26:27]
	s_cbranch_execnz .LBB668_233
.LBB668_170:
	s_or_b64 exec, exec, s[28:29]
	s_and_saveexec_b64 s[26:27], s[24:25]
	s_cbranch_execnz .LBB668_234
.LBB668_171:
	s_or_b64 exec, exec, s[26:27]
	s_and_saveexec_b64 s[24:25], s[22:23]
	s_cbranch_execnz .LBB668_235
.LBB668_172:
	s_or_b64 exec, exec, s[24:25]
	s_and_saveexec_b64 s[22:23], s[20:21]
	s_cbranch_execnz .LBB668_236
.LBB668_173:
	s_or_b64 exec, exec, s[22:23]
	s_and_saveexec_b64 s[20:21], s[18:19]
	s_cbranch_execnz .LBB668_237
.LBB668_174:
	s_or_b64 exec, exec, s[20:21]
	s_and_saveexec_b64 s[18:19], s[16:17]
	s_cbranch_execnz .LBB668_238
.LBB668_175:
	s_or_b64 exec, exec, s[18:19]
	s_and_saveexec_b64 s[16:17], s[14:15]
	s_cbranch_execnz .LBB668_239
.LBB668_176:
	s_or_b64 exec, exec, s[16:17]
	s_and_saveexec_b64 s[14:15], s[12:13]
	s_cbranch_execnz .LBB668_240
.LBB668_177:
	s_or_b64 exec, exec, s[14:15]
	s_and_saveexec_b64 s[12:13], s[10:11]
	s_cbranch_execnz .LBB668_241
.LBB668_178:
	s_or_b64 exec, exec, s[12:13]
	s_and_saveexec_b64 s[10:11], s[8:9]
	s_cbranch_execnz .LBB668_242
.LBB668_179:
	s_or_b64 exec, exec, s[10:11]
	s_and_saveexec_b64 s[8:9], s[6:7]
	s_cbranch_execnz .LBB668_243
.LBB668_180:
	s_or_b64 exec, exec, s[8:9]
	s_and_saveexec_b64 s[6:7], s[4:5]
	s_cbranch_execnz .LBB668_244
.LBB668_181:
	s_or_b64 exec, exec, s[6:7]
	s_and_saveexec_b64 s[4:5], s[2:3]
	s_cbranch_execz .LBB668_183
.LBB668_182:
	v_sub_u32_e32 v3, v22, v4
	v_lshlrev_b32_e32 v3, 2, v3
	ds_write_b32 v3, v9
.LBB668_183:
	s_or_b64 exec, exec, s[4:5]
	s_and_b64 s[38:39], s[0:1], exec
                                        ; implicit-def: $vgpr9
                                        ; implicit-def: $vgpr11
                                        ; implicit-def: $vgpr13
                                        ; implicit-def: $vgpr15
                                        ; implicit-def: $vgpr17
                                        ; implicit-def: $vgpr19
                                        ; implicit-def: $vgpr21
	s_andn2_saveexec_b64 s[0:1], s[36:37]
	s_cbranch_execz .LBB668_113
.LBB668_184:
	v_sub_u32_e32 v3, v50, v4
	v_lshlrev_b32_e32 v3, 2, v3
	ds_write_b32 v3, v20
	v_sub_u32_e32 v3, v48, v4
	v_lshlrev_b32_e32 v3, 2, v3
	ds_write_b32 v3, v21
	;; [unrolled: 3-line block ×13, first 2 shown]
	v_sub_u32_e32 v3, v22, v4
	v_lshlrev_b32_e32 v3, 2, v3
	s_or_b64 s[38:39], s[38:39], exec
	ds_write_b32 v3, v9
	s_or_b64 exec, exec, s[0:1]
	s_and_b64 exec, exec, s[38:39]
	s_cbranch_execnz .LBB668_114
	s_branch .LBB668_115
.LBB668_185:
	s_and_saveexec_b64 s[38:39], s[28:29]
	s_cbranch_execnz .LBB668_245
; %bb.186:
	s_or_b64 exec, exec, s[38:39]
	s_and_saveexec_b64 s[38:39], s[26:27]
	s_cbranch_execnz .LBB668_246
.LBB668_187:
	s_or_b64 exec, exec, s[38:39]
	s_and_saveexec_b64 s[38:39], s[24:25]
	s_cbranch_execnz .LBB668_247
.LBB668_188:
	s_or_b64 exec, exec, s[38:39]
	s_and_saveexec_b64 s[38:39], s[22:23]
	s_cbranch_execnz .LBB668_248
.LBB668_189:
	s_or_b64 exec, exec, s[38:39]
	s_and_saveexec_b64 s[38:39], s[20:21]
	s_cbranch_execnz .LBB668_249
.LBB668_190:
	s_or_b64 exec, exec, s[38:39]
	s_and_saveexec_b64 s[38:39], s[18:19]
	s_cbranch_execnz .LBB668_250
.LBB668_191:
	s_or_b64 exec, exec, s[38:39]
	s_and_saveexec_b64 s[38:39], s[16:17]
	s_cbranch_execnz .LBB668_251
.LBB668_192:
	s_or_b64 exec, exec, s[38:39]
	s_and_saveexec_b64 s[38:39], s[14:15]
	s_cbranch_execnz .LBB668_252
.LBB668_193:
	s_or_b64 exec, exec, s[38:39]
	s_and_saveexec_b64 s[38:39], s[12:13]
	s_cbranch_execnz .LBB668_253
.LBB668_194:
	s_or_b64 exec, exec, s[38:39]
	s_and_saveexec_b64 s[38:39], s[10:11]
	s_cbranch_execnz .LBB668_254
.LBB668_195:
	s_or_b64 exec, exec, s[38:39]
	s_and_saveexec_b64 s[38:39], s[8:9]
	s_cbranch_execnz .LBB668_255
.LBB668_196:
	s_or_b64 exec, exec, s[38:39]
	s_and_saveexec_b64 s[38:39], s[6:7]
	s_cbranch_execnz .LBB668_256
.LBB668_197:
	s_or_b64 exec, exec, s[38:39]
	s_and_saveexec_b64 s[38:39], s[4:5]
	s_cbranch_execnz .LBB668_257
.LBB668_198:
	s_or_b64 exec, exec, s[38:39]
	s_and_saveexec_b64 s[38:39], s[2:3]
	s_cbranch_execz .LBB668_200
.LBB668_199:
	v_sub_u32_e32 v18, v22, v3
	v_mov_b32_e32 v19, 0
	v_lshl_add_u64 v[20:21], v[18:19], 3, v[16:17]
	v_mov_b32_e32 v18, v23
	global_store_dwordx2 v[20:21], v[18:19], off
.LBB668_200:
	s_or_b64 exec, exec, s[38:39]
	s_and_b64 s[38:39], s[0:1], exec
	s_andn2_saveexec_b64 s[30:31], s[30:31]
	s_cbranch_execz .LBB668_133
.LBB668_201:
	v_mov_b32_e32 v19, 0
	v_sub_u32_e32 v20, v50, v3
	v_mov_b32_e32 v21, v19
	v_mov_b32_e32 v18, v51
	v_lshl_add_u64 v[20:21], v[20:21], 3, v[16:17]
	global_store_dwordx2 v[20:21], v[18:19], off
	v_sub_u32_e32 v20, v48, v3
	v_mov_b32_e32 v21, v19
	v_mov_b32_e32 v18, v49
	v_lshl_add_u64 v[20:21], v[20:21], 3, v[16:17]
	global_store_dwordx2 v[20:21], v[18:19], off
	;; [unrolled: 5-line block ×13, first 2 shown]
	v_sub_u32_e32 v20, v22, v3
	v_mov_b32_e32 v21, v19
	v_mov_b32_e32 v18, v23
	v_lshl_add_u64 v[20:21], v[20:21], 3, v[16:17]
	s_or_b64 s[38:39], s[38:39], exec
	global_store_dwordx2 v[20:21], v[18:19], off
	s_or_b64 exec, exec, s[30:31]
	s_and_b64 exec, exec, s[38:39]
	s_cbranch_execnz .LBB668_134
	s_branch .LBB668_135
.LBB668_202:
	s_and_saveexec_b64 s[38:39], s[28:29]
	s_cbranch_execnz .LBB668_258
; %bb.203:
	s_or_b64 exec, exec, s[38:39]
	s_and_saveexec_b64 s[28:29], s[26:27]
	s_cbranch_execnz .LBB668_259
.LBB668_204:
	s_or_b64 exec, exec, s[28:29]
	s_and_saveexec_b64 s[26:27], s[24:25]
	s_cbranch_execnz .LBB668_260
.LBB668_205:
	s_or_b64 exec, exec, s[26:27]
	s_and_saveexec_b64 s[24:25], s[22:23]
	s_cbranch_execnz .LBB668_261
.LBB668_206:
	s_or_b64 exec, exec, s[24:25]
	s_and_saveexec_b64 s[22:23], s[20:21]
	s_cbranch_execnz .LBB668_262
.LBB668_207:
	s_or_b64 exec, exec, s[22:23]
	s_and_saveexec_b64 s[20:21], s[18:19]
	s_cbranch_execnz .LBB668_263
.LBB668_208:
	s_or_b64 exec, exec, s[20:21]
	s_and_saveexec_b64 s[18:19], s[16:17]
	s_cbranch_execnz .LBB668_264
.LBB668_209:
	s_or_b64 exec, exec, s[18:19]
	s_and_saveexec_b64 s[16:17], s[14:15]
	s_cbranch_execnz .LBB668_265
.LBB668_210:
	s_or_b64 exec, exec, s[16:17]
	s_and_saveexec_b64 s[14:15], s[12:13]
	s_cbranch_execnz .LBB668_266
.LBB668_211:
	s_or_b64 exec, exec, s[14:15]
	s_and_saveexec_b64 s[12:13], s[10:11]
	s_cbranch_execnz .LBB668_267
.LBB668_212:
	s_or_b64 exec, exec, s[12:13]
	s_and_saveexec_b64 s[10:11], s[8:9]
	s_cbranch_execnz .LBB668_268
.LBB668_213:
	s_or_b64 exec, exec, s[10:11]
	s_and_saveexec_b64 s[8:9], s[6:7]
	s_cbranch_execnz .LBB668_269
.LBB668_214:
	s_or_b64 exec, exec, s[8:9]
	s_and_saveexec_b64 s[6:7], s[4:5]
	s_cbranch_execnz .LBB668_270
.LBB668_215:
	s_or_b64 exec, exec, s[6:7]
	s_and_saveexec_b64 s[4:5], s[2:3]
	s_cbranch_execz .LBB668_217
.LBB668_216:
	v_sub_u32_e32 v7, v22, v3
	v_lshlrev_b32_e32 v7, 2, v7
	ds_write_b32 v7, v23
.LBB668_217:
	s_or_b64 exec, exec, s[4:5]
	s_and_b64 s[38:39], s[0:1], exec
                                        ; implicit-def: $vgpr22_vgpr23
                                        ; implicit-def: $vgpr26_vgpr27
                                        ; implicit-def: $vgpr28_vgpr29
                                        ; implicit-def: $vgpr50_vgpr51
                                        ; implicit-def: $vgpr48_vgpr49
                                        ; implicit-def: $vgpr46_vgpr47
                                        ; implicit-def: $vgpr44_vgpr45
                                        ; implicit-def: $vgpr42_vgpr43
                                        ; implicit-def: $vgpr40_vgpr41
                                        ; implicit-def: $vgpr38_vgpr39
                                        ; implicit-def: $vgpr36_vgpr37
                                        ; implicit-def: $vgpr34_vgpr35
                                        ; implicit-def: $vgpr32_vgpr33
                                        ; implicit-def: $vgpr30_vgpr31
	s_andn2_saveexec_b64 s[0:1], s[36:37]
	s_cbranch_execz .LBB668_140
.LBB668_218:
	v_sub_u32_e32 v7, v50, v3
	v_lshlrev_b32_e32 v7, 2, v7
	ds_write_b32 v7, v51
	v_sub_u32_e32 v7, v48, v3
	v_lshlrev_b32_e32 v7, 2, v7
	ds_write_b32 v7, v49
	;; [unrolled: 3-line block ×13, first 2 shown]
	v_sub_u32_e32 v7, v22, v3
	v_lshlrev_b32_e32 v7, 2, v7
	s_or_b64 s[38:39], s[38:39], exec
	ds_write_b32 v7, v23
	s_or_b64 exec, exec, s[0:1]
	s_and_b64 exec, exec, s[38:39]
	s_cbranch_execnz .LBB668_141
	s_branch .LBB668_142
.LBB668_219:
	v_sub_u32_e32 v72, v50, v4
	v_mov_b32_e32 v73, 0
	v_lshl_add_u64 v[72:73], v[72:73], 2, v[54:55]
	global_store_dword v[72:73], v20, off
	s_or_b64 exec, exec, s[38:39]
	s_and_saveexec_b64 s[38:39], s[26:27]
	s_cbranch_execz .LBB668_153
.LBB668_220:
	v_sub_u32_e32 v72, v48, v4
	v_mov_b32_e32 v73, 0
	v_lshl_add_u64 v[72:73], v[72:73], 2, v[54:55]
	global_store_dword v[72:73], v21, off
	s_or_b64 exec, exec, s[38:39]
	s_and_saveexec_b64 s[38:39], s[24:25]
	s_cbranch_execz .LBB668_154
.LBB668_221:
	v_sub_u32_e32 v72, v46, v4
	v_mov_b32_e32 v73, 0
	v_lshl_add_u64 v[72:73], v[72:73], 2, v[54:55]
	global_store_dword v[72:73], v18, off
	s_or_b64 exec, exec, s[38:39]
	s_and_saveexec_b64 s[38:39], s[22:23]
	s_cbranch_execz .LBB668_155
.LBB668_222:
	v_sub_u32_e32 v72, v44, v4
	v_mov_b32_e32 v73, 0
	v_lshl_add_u64 v[72:73], v[72:73], 2, v[54:55]
	global_store_dword v[72:73], v19, off
	s_or_b64 exec, exec, s[38:39]
	s_and_saveexec_b64 s[38:39], s[20:21]
	s_cbranch_execz .LBB668_156
.LBB668_223:
	v_sub_u32_e32 v72, v42, v4
	v_mov_b32_e32 v73, 0
	v_lshl_add_u64 v[72:73], v[72:73], 2, v[54:55]
	global_store_dword v[72:73], v16, off
	s_or_b64 exec, exec, s[38:39]
	s_and_saveexec_b64 s[38:39], s[18:19]
	s_cbranch_execz .LBB668_157
.LBB668_224:
	v_sub_u32_e32 v72, v40, v4
	v_mov_b32_e32 v73, 0
	v_lshl_add_u64 v[72:73], v[72:73], 2, v[54:55]
	global_store_dword v[72:73], v17, off
	s_or_b64 exec, exec, s[38:39]
	s_and_saveexec_b64 s[38:39], s[16:17]
	s_cbranch_execz .LBB668_158
.LBB668_225:
	v_sub_u32_e32 v72, v38, v4
	v_mov_b32_e32 v73, 0
	v_lshl_add_u64 v[72:73], v[72:73], 2, v[54:55]
	global_store_dword v[72:73], v14, off
	s_or_b64 exec, exec, s[38:39]
	s_and_saveexec_b64 s[38:39], s[14:15]
	s_cbranch_execz .LBB668_159
.LBB668_226:
	v_sub_u32_e32 v72, v36, v4
	v_mov_b32_e32 v73, 0
	v_lshl_add_u64 v[72:73], v[72:73], 2, v[54:55]
	global_store_dword v[72:73], v15, off
	s_or_b64 exec, exec, s[38:39]
	s_and_saveexec_b64 s[38:39], s[12:13]
	s_cbranch_execz .LBB668_160
.LBB668_227:
	v_sub_u32_e32 v72, v34, v4
	v_mov_b32_e32 v73, 0
	v_lshl_add_u64 v[72:73], v[72:73], 2, v[54:55]
	global_store_dword v[72:73], v12, off
	s_or_b64 exec, exec, s[38:39]
	s_and_saveexec_b64 s[38:39], s[10:11]
	s_cbranch_execz .LBB668_161
.LBB668_228:
	v_sub_u32_e32 v72, v32, v4
	v_mov_b32_e32 v73, 0
	v_lshl_add_u64 v[72:73], v[72:73], 2, v[54:55]
	global_store_dword v[72:73], v13, off
	s_or_b64 exec, exec, s[38:39]
	s_and_saveexec_b64 s[38:39], s[8:9]
	s_cbranch_execz .LBB668_162
.LBB668_229:
	v_sub_u32_e32 v72, v30, v4
	v_mov_b32_e32 v73, 0
	v_lshl_add_u64 v[72:73], v[72:73], 2, v[54:55]
	global_store_dword v[72:73], v10, off
	s_or_b64 exec, exec, s[38:39]
	s_and_saveexec_b64 s[38:39], s[6:7]
	s_cbranch_execz .LBB668_163
.LBB668_230:
	v_sub_u32_e32 v72, v28, v4
	v_mov_b32_e32 v73, 0
	v_lshl_add_u64 v[72:73], v[72:73], 2, v[54:55]
	global_store_dword v[72:73], v11, off
	s_or_b64 exec, exec, s[38:39]
	s_and_saveexec_b64 s[38:39], s[4:5]
	s_cbranch_execz .LBB668_164
.LBB668_231:
	v_sub_u32_e32 v72, v26, v4
	v_mov_b32_e32 v73, 0
	v_lshl_add_u64 v[72:73], v[72:73], 2, v[54:55]
	global_store_dword v[72:73], v8, off
	s_or_b64 exec, exec, s[38:39]
	s_and_saveexec_b64 s[38:39], s[2:3]
	s_cbranch_execnz .LBB668_165
	s_branch .LBB668_166
.LBB668_232:
	v_sub_u32_e32 v3, v50, v4
	v_lshlrev_b32_e32 v3, 2, v3
	ds_write_b32 v3, v20
	s_or_b64 exec, exec, s[38:39]
	s_and_saveexec_b64 s[28:29], s[26:27]
	s_cbranch_execz .LBB668_170
.LBB668_233:
	v_sub_u32_e32 v3, v48, v4
	v_lshlrev_b32_e32 v3, 2, v3
	ds_write_b32 v3, v21
	s_or_b64 exec, exec, s[28:29]
	s_and_saveexec_b64 s[26:27], s[24:25]
	s_cbranch_execz .LBB668_171
.LBB668_234:
	v_sub_u32_e32 v3, v46, v4
	v_lshlrev_b32_e32 v3, 2, v3
	ds_write_b32 v3, v18
	s_or_b64 exec, exec, s[26:27]
	s_and_saveexec_b64 s[24:25], s[22:23]
	s_cbranch_execz .LBB668_172
.LBB668_235:
	v_sub_u32_e32 v3, v44, v4
	v_lshlrev_b32_e32 v3, 2, v3
	ds_write_b32 v3, v19
	s_or_b64 exec, exec, s[24:25]
	s_and_saveexec_b64 s[22:23], s[20:21]
	s_cbranch_execz .LBB668_173
.LBB668_236:
	v_sub_u32_e32 v3, v42, v4
	v_lshlrev_b32_e32 v3, 2, v3
	ds_write_b32 v3, v16
	s_or_b64 exec, exec, s[22:23]
	s_and_saveexec_b64 s[20:21], s[18:19]
	s_cbranch_execz .LBB668_174
.LBB668_237:
	v_sub_u32_e32 v3, v40, v4
	v_lshlrev_b32_e32 v3, 2, v3
	ds_write_b32 v3, v17
	s_or_b64 exec, exec, s[20:21]
	s_and_saveexec_b64 s[18:19], s[16:17]
	s_cbranch_execz .LBB668_175
.LBB668_238:
	v_sub_u32_e32 v3, v38, v4
	v_lshlrev_b32_e32 v3, 2, v3
	ds_write_b32 v3, v14
	s_or_b64 exec, exec, s[18:19]
	s_and_saveexec_b64 s[16:17], s[14:15]
	s_cbranch_execz .LBB668_176
.LBB668_239:
	v_sub_u32_e32 v3, v36, v4
	v_lshlrev_b32_e32 v3, 2, v3
	ds_write_b32 v3, v15
	s_or_b64 exec, exec, s[16:17]
	s_and_saveexec_b64 s[14:15], s[12:13]
	s_cbranch_execz .LBB668_177
.LBB668_240:
	v_sub_u32_e32 v3, v34, v4
	v_lshlrev_b32_e32 v3, 2, v3
	ds_write_b32 v3, v12
	s_or_b64 exec, exec, s[14:15]
	s_and_saveexec_b64 s[12:13], s[10:11]
	s_cbranch_execz .LBB668_178
.LBB668_241:
	v_sub_u32_e32 v3, v32, v4
	v_lshlrev_b32_e32 v3, 2, v3
	ds_write_b32 v3, v13
	s_or_b64 exec, exec, s[12:13]
	s_and_saveexec_b64 s[10:11], s[8:9]
	s_cbranch_execz .LBB668_179
.LBB668_242:
	v_sub_u32_e32 v3, v30, v4
	v_lshlrev_b32_e32 v3, 2, v3
	ds_write_b32 v3, v10
	s_or_b64 exec, exec, s[10:11]
	s_and_saveexec_b64 s[8:9], s[6:7]
	s_cbranch_execz .LBB668_180
.LBB668_243:
	v_sub_u32_e32 v3, v28, v4
	v_lshlrev_b32_e32 v3, 2, v3
	ds_write_b32 v3, v11
	s_or_b64 exec, exec, s[8:9]
	s_and_saveexec_b64 s[6:7], s[4:5]
	s_cbranch_execz .LBB668_181
.LBB668_244:
	v_sub_u32_e32 v3, v26, v4
	v_lshlrev_b32_e32 v3, 2, v3
	ds_write_b32 v3, v8
	s_or_b64 exec, exec, s[6:7]
	s_and_saveexec_b64 s[4:5], s[2:3]
	s_cbranch_execnz .LBB668_182
	s_branch .LBB668_183
.LBB668_245:
	v_sub_u32_e32 v18, v50, v3
	v_mov_b32_e32 v19, 0
	v_lshl_add_u64 v[20:21], v[18:19], 3, v[16:17]
	v_mov_b32_e32 v18, v51
	global_store_dwordx2 v[20:21], v[18:19], off
	s_or_b64 exec, exec, s[38:39]
	s_and_saveexec_b64 s[38:39], s[26:27]
	s_cbranch_execz .LBB668_187
.LBB668_246:
	v_sub_u32_e32 v18, v48, v3
	v_mov_b32_e32 v19, 0
	v_lshl_add_u64 v[20:21], v[18:19], 3, v[16:17]
	v_mov_b32_e32 v18, v49
	global_store_dwordx2 v[20:21], v[18:19], off
	s_or_b64 exec, exec, s[38:39]
	s_and_saveexec_b64 s[38:39], s[24:25]
	s_cbranch_execz .LBB668_188
.LBB668_247:
	v_sub_u32_e32 v18, v46, v3
	v_mov_b32_e32 v19, 0
	v_lshl_add_u64 v[20:21], v[18:19], 3, v[16:17]
	v_mov_b32_e32 v18, v47
	global_store_dwordx2 v[20:21], v[18:19], off
	s_or_b64 exec, exec, s[38:39]
	s_and_saveexec_b64 s[38:39], s[22:23]
	s_cbranch_execz .LBB668_189
.LBB668_248:
	v_sub_u32_e32 v18, v44, v3
	v_mov_b32_e32 v19, 0
	v_lshl_add_u64 v[20:21], v[18:19], 3, v[16:17]
	v_mov_b32_e32 v18, v45
	global_store_dwordx2 v[20:21], v[18:19], off
	s_or_b64 exec, exec, s[38:39]
	s_and_saveexec_b64 s[38:39], s[20:21]
	s_cbranch_execz .LBB668_190
.LBB668_249:
	v_sub_u32_e32 v18, v42, v3
	v_mov_b32_e32 v19, 0
	v_lshl_add_u64 v[20:21], v[18:19], 3, v[16:17]
	v_mov_b32_e32 v18, v43
	global_store_dwordx2 v[20:21], v[18:19], off
	s_or_b64 exec, exec, s[38:39]
	s_and_saveexec_b64 s[38:39], s[18:19]
	s_cbranch_execz .LBB668_191
.LBB668_250:
	v_sub_u32_e32 v18, v40, v3
	v_mov_b32_e32 v19, 0
	v_lshl_add_u64 v[20:21], v[18:19], 3, v[16:17]
	v_mov_b32_e32 v18, v41
	global_store_dwordx2 v[20:21], v[18:19], off
	s_or_b64 exec, exec, s[38:39]
	s_and_saveexec_b64 s[38:39], s[16:17]
	s_cbranch_execz .LBB668_192
.LBB668_251:
	v_sub_u32_e32 v18, v38, v3
	v_mov_b32_e32 v19, 0
	v_lshl_add_u64 v[20:21], v[18:19], 3, v[16:17]
	v_mov_b32_e32 v18, v39
	global_store_dwordx2 v[20:21], v[18:19], off
	s_or_b64 exec, exec, s[38:39]
	s_and_saveexec_b64 s[38:39], s[14:15]
	s_cbranch_execz .LBB668_193
.LBB668_252:
	v_sub_u32_e32 v18, v36, v3
	v_mov_b32_e32 v19, 0
	v_lshl_add_u64 v[20:21], v[18:19], 3, v[16:17]
	v_mov_b32_e32 v18, v37
	global_store_dwordx2 v[20:21], v[18:19], off
	s_or_b64 exec, exec, s[38:39]
	s_and_saveexec_b64 s[38:39], s[12:13]
	s_cbranch_execz .LBB668_194
.LBB668_253:
	v_sub_u32_e32 v18, v34, v3
	v_mov_b32_e32 v19, 0
	v_lshl_add_u64 v[20:21], v[18:19], 3, v[16:17]
	v_mov_b32_e32 v18, v35
	global_store_dwordx2 v[20:21], v[18:19], off
	s_or_b64 exec, exec, s[38:39]
	s_and_saveexec_b64 s[38:39], s[10:11]
	s_cbranch_execz .LBB668_195
.LBB668_254:
	v_sub_u32_e32 v18, v32, v3
	v_mov_b32_e32 v19, 0
	v_lshl_add_u64 v[20:21], v[18:19], 3, v[16:17]
	v_mov_b32_e32 v18, v33
	global_store_dwordx2 v[20:21], v[18:19], off
	s_or_b64 exec, exec, s[38:39]
	s_and_saveexec_b64 s[38:39], s[8:9]
	s_cbranch_execz .LBB668_196
.LBB668_255:
	v_sub_u32_e32 v18, v30, v3
	v_mov_b32_e32 v19, 0
	v_lshl_add_u64 v[20:21], v[18:19], 3, v[16:17]
	v_mov_b32_e32 v18, v31
	global_store_dwordx2 v[20:21], v[18:19], off
	s_or_b64 exec, exec, s[38:39]
	s_and_saveexec_b64 s[38:39], s[6:7]
	s_cbranch_execz .LBB668_197
.LBB668_256:
	v_sub_u32_e32 v18, v28, v3
	v_mov_b32_e32 v19, 0
	v_lshl_add_u64 v[20:21], v[18:19], 3, v[16:17]
	v_mov_b32_e32 v18, v29
	global_store_dwordx2 v[20:21], v[18:19], off
	s_or_b64 exec, exec, s[38:39]
	s_and_saveexec_b64 s[38:39], s[4:5]
	s_cbranch_execz .LBB668_198
.LBB668_257:
	v_sub_u32_e32 v18, v26, v3
	v_mov_b32_e32 v19, 0
	v_lshl_add_u64 v[20:21], v[18:19], 3, v[16:17]
	v_mov_b32_e32 v18, v27
	global_store_dwordx2 v[20:21], v[18:19], off
	s_or_b64 exec, exec, s[38:39]
	s_and_saveexec_b64 s[38:39], s[2:3]
	s_cbranch_execnz .LBB668_199
	s_branch .LBB668_200
.LBB668_258:
	v_sub_u32_e32 v7, v50, v3
	v_lshlrev_b32_e32 v7, 2, v7
	ds_write_b32 v7, v51
	s_or_b64 exec, exec, s[38:39]
	s_and_saveexec_b64 s[28:29], s[26:27]
	s_cbranch_execz .LBB668_204
.LBB668_259:
	v_sub_u32_e32 v7, v48, v3
	v_lshlrev_b32_e32 v7, 2, v7
	ds_write_b32 v7, v49
	s_or_b64 exec, exec, s[28:29]
	s_and_saveexec_b64 s[26:27], s[24:25]
	s_cbranch_execz .LBB668_205
.LBB668_260:
	v_sub_u32_e32 v7, v46, v3
	v_lshlrev_b32_e32 v7, 2, v7
	ds_write_b32 v7, v47
	s_or_b64 exec, exec, s[26:27]
	s_and_saveexec_b64 s[24:25], s[22:23]
	s_cbranch_execz .LBB668_206
.LBB668_261:
	v_sub_u32_e32 v7, v44, v3
	v_lshlrev_b32_e32 v7, 2, v7
	ds_write_b32 v7, v45
	s_or_b64 exec, exec, s[24:25]
	s_and_saveexec_b64 s[22:23], s[20:21]
	s_cbranch_execz .LBB668_207
.LBB668_262:
	v_sub_u32_e32 v7, v42, v3
	v_lshlrev_b32_e32 v7, 2, v7
	ds_write_b32 v7, v43
	s_or_b64 exec, exec, s[22:23]
	s_and_saveexec_b64 s[20:21], s[18:19]
	s_cbranch_execz .LBB668_208
.LBB668_263:
	v_sub_u32_e32 v7, v40, v3
	v_lshlrev_b32_e32 v7, 2, v7
	ds_write_b32 v7, v41
	s_or_b64 exec, exec, s[20:21]
	s_and_saveexec_b64 s[18:19], s[16:17]
	s_cbranch_execz .LBB668_209
.LBB668_264:
	v_sub_u32_e32 v7, v38, v3
	v_lshlrev_b32_e32 v7, 2, v7
	ds_write_b32 v7, v39
	s_or_b64 exec, exec, s[18:19]
	s_and_saveexec_b64 s[16:17], s[14:15]
	s_cbranch_execz .LBB668_210
.LBB668_265:
	v_sub_u32_e32 v7, v36, v3
	v_lshlrev_b32_e32 v7, 2, v7
	ds_write_b32 v7, v37
	s_or_b64 exec, exec, s[16:17]
	s_and_saveexec_b64 s[14:15], s[12:13]
	s_cbranch_execz .LBB668_211
.LBB668_266:
	v_sub_u32_e32 v7, v34, v3
	v_lshlrev_b32_e32 v7, 2, v7
	ds_write_b32 v7, v35
	s_or_b64 exec, exec, s[14:15]
	s_and_saveexec_b64 s[12:13], s[10:11]
	s_cbranch_execz .LBB668_212
.LBB668_267:
	v_sub_u32_e32 v7, v32, v3
	v_lshlrev_b32_e32 v7, 2, v7
	ds_write_b32 v7, v33
	s_or_b64 exec, exec, s[12:13]
	s_and_saveexec_b64 s[10:11], s[8:9]
	s_cbranch_execz .LBB668_213
.LBB668_268:
	v_sub_u32_e32 v7, v30, v3
	v_lshlrev_b32_e32 v7, 2, v7
	ds_write_b32 v7, v31
	s_or_b64 exec, exec, s[10:11]
	s_and_saveexec_b64 s[8:9], s[6:7]
	s_cbranch_execz .LBB668_214
.LBB668_269:
	v_sub_u32_e32 v7, v28, v3
	v_lshlrev_b32_e32 v7, 2, v7
	ds_write_b32 v7, v29
	s_or_b64 exec, exec, s[8:9]
	s_and_saveexec_b64 s[6:7], s[4:5]
	s_cbranch_execz .LBB668_215
.LBB668_270:
	v_sub_u32_e32 v7, v26, v3
	v_lshlrev_b32_e32 v7, 2, v7
	ds_write_b32 v7, v27
	s_or_b64 exec, exec, s[6:7]
	s_and_saveexec_b64 s[4:5], s[2:3]
	s_cbranch_execnz .LBB668_216
	s_branch .LBB668_217
	.section	.rodata,"a",@progbits
	.p2align	6, 0x0
	.amdhsa_kernel _ZN7rocprim17ROCPRIM_400000_NS6detail17trampoline_kernelINS0_14default_configENS1_33run_length_encode_config_selectorIjjNS0_4plusIjEEEEZZNS1_33reduce_by_key_impl_wrapped_configILNS1_25lookback_scan_determinismE0ES3_S7_PKjNS0_17constant_iteratorIjlEEPjPlSF_S6_NS0_8equal_toIjEEEE10hipError_tPvRmT2_T3_mT4_T5_T6_T7_T8_P12ihipStream_tbENKUlT_T0_E_clISt17integral_constantIbLb1EESY_IbLb0EEEEDaSU_SV_EUlSU_E_NS1_11comp_targetILNS1_3genE5ELNS1_11target_archE942ELNS1_3gpuE9ELNS1_3repE0EEENS1_30default_config_static_selectorELNS0_4arch9wavefront6targetE1EEEvT1_
		.amdhsa_group_segment_fixed_size 30720
		.amdhsa_private_segment_fixed_size 0
		.amdhsa_kernarg_size 128
		.amdhsa_user_sgpr_count 2
		.amdhsa_user_sgpr_dispatch_ptr 0
		.amdhsa_user_sgpr_queue_ptr 0
		.amdhsa_user_sgpr_kernarg_segment_ptr 1
		.amdhsa_user_sgpr_dispatch_id 0
		.amdhsa_user_sgpr_kernarg_preload_length 0
		.amdhsa_user_sgpr_kernarg_preload_offset 0
		.amdhsa_user_sgpr_private_segment_size 0
		.amdhsa_uses_dynamic_stack 0
		.amdhsa_enable_private_segment 0
		.amdhsa_system_sgpr_workgroup_id_x 1
		.amdhsa_system_sgpr_workgroup_id_y 0
		.amdhsa_system_sgpr_workgroup_id_z 0
		.amdhsa_system_sgpr_workgroup_info 0
		.amdhsa_system_vgpr_workitem_id 0
		.amdhsa_next_free_vgpr 104
		.amdhsa_next_free_sgpr 64
		.amdhsa_accum_offset 104
		.amdhsa_reserve_vcc 1
		.amdhsa_float_round_mode_32 0
		.amdhsa_float_round_mode_16_64 0
		.amdhsa_float_denorm_mode_32 3
		.amdhsa_float_denorm_mode_16_64 3
		.amdhsa_dx10_clamp 1
		.amdhsa_ieee_mode 1
		.amdhsa_fp16_overflow 0
		.amdhsa_tg_split 0
		.amdhsa_exception_fp_ieee_invalid_op 0
		.amdhsa_exception_fp_denorm_src 0
		.amdhsa_exception_fp_ieee_div_zero 0
		.amdhsa_exception_fp_ieee_overflow 0
		.amdhsa_exception_fp_ieee_underflow 0
		.amdhsa_exception_fp_ieee_inexact 0
		.amdhsa_exception_int_div_zero 0
	.end_amdhsa_kernel
	.section	.text._ZN7rocprim17ROCPRIM_400000_NS6detail17trampoline_kernelINS0_14default_configENS1_33run_length_encode_config_selectorIjjNS0_4plusIjEEEEZZNS1_33reduce_by_key_impl_wrapped_configILNS1_25lookback_scan_determinismE0ES3_S7_PKjNS0_17constant_iteratorIjlEEPjPlSF_S6_NS0_8equal_toIjEEEE10hipError_tPvRmT2_T3_mT4_T5_T6_T7_T8_P12ihipStream_tbENKUlT_T0_E_clISt17integral_constantIbLb1EESY_IbLb0EEEEDaSU_SV_EUlSU_E_NS1_11comp_targetILNS1_3genE5ELNS1_11target_archE942ELNS1_3gpuE9ELNS1_3repE0EEENS1_30default_config_static_selectorELNS0_4arch9wavefront6targetE1EEEvT1_,"axG",@progbits,_ZN7rocprim17ROCPRIM_400000_NS6detail17trampoline_kernelINS0_14default_configENS1_33run_length_encode_config_selectorIjjNS0_4plusIjEEEEZZNS1_33reduce_by_key_impl_wrapped_configILNS1_25lookback_scan_determinismE0ES3_S7_PKjNS0_17constant_iteratorIjlEEPjPlSF_S6_NS0_8equal_toIjEEEE10hipError_tPvRmT2_T3_mT4_T5_T6_T7_T8_P12ihipStream_tbENKUlT_T0_E_clISt17integral_constantIbLb1EESY_IbLb0EEEEDaSU_SV_EUlSU_E_NS1_11comp_targetILNS1_3genE5ELNS1_11target_archE942ELNS1_3gpuE9ELNS1_3repE0EEENS1_30default_config_static_selectorELNS0_4arch9wavefront6targetE1EEEvT1_,comdat
.Lfunc_end668:
	.size	_ZN7rocprim17ROCPRIM_400000_NS6detail17trampoline_kernelINS0_14default_configENS1_33run_length_encode_config_selectorIjjNS0_4plusIjEEEEZZNS1_33reduce_by_key_impl_wrapped_configILNS1_25lookback_scan_determinismE0ES3_S7_PKjNS0_17constant_iteratorIjlEEPjPlSF_S6_NS0_8equal_toIjEEEE10hipError_tPvRmT2_T3_mT4_T5_T6_T7_T8_P12ihipStream_tbENKUlT_T0_E_clISt17integral_constantIbLb1EESY_IbLb0EEEEDaSU_SV_EUlSU_E_NS1_11comp_targetILNS1_3genE5ELNS1_11target_archE942ELNS1_3gpuE9ELNS1_3repE0EEENS1_30default_config_static_selectorELNS0_4arch9wavefront6targetE1EEEvT1_, .Lfunc_end668-_ZN7rocprim17ROCPRIM_400000_NS6detail17trampoline_kernelINS0_14default_configENS1_33run_length_encode_config_selectorIjjNS0_4plusIjEEEEZZNS1_33reduce_by_key_impl_wrapped_configILNS1_25lookback_scan_determinismE0ES3_S7_PKjNS0_17constant_iteratorIjlEEPjPlSF_S6_NS0_8equal_toIjEEEE10hipError_tPvRmT2_T3_mT4_T5_T6_T7_T8_P12ihipStream_tbENKUlT_T0_E_clISt17integral_constantIbLb1EESY_IbLb0EEEEDaSU_SV_EUlSU_E_NS1_11comp_targetILNS1_3genE5ELNS1_11target_archE942ELNS1_3gpuE9ELNS1_3repE0EEENS1_30default_config_static_selectorELNS0_4arch9wavefront6targetE1EEEvT1_
                                        ; -- End function
	.section	.AMDGPU.csdata,"",@progbits
; Kernel info:
; codeLenInByte = 14696
; NumSgprs: 70
; NumVgprs: 104
; NumAgprs: 0
; TotalNumVgprs: 104
; ScratchSize: 0
; MemoryBound: 0
; FloatMode: 240
; IeeeMode: 1
; LDSByteSize: 30720 bytes/workgroup (compile time only)
; SGPRBlocks: 8
; VGPRBlocks: 12
; NumSGPRsForWavesPerEU: 70
; NumVGPRsForWavesPerEU: 104
; AccumOffset: 104
; Occupancy: 4
; WaveLimiterHint : 1
; COMPUTE_PGM_RSRC2:SCRATCH_EN: 0
; COMPUTE_PGM_RSRC2:USER_SGPR: 2
; COMPUTE_PGM_RSRC2:TRAP_HANDLER: 0
; COMPUTE_PGM_RSRC2:TGID_X_EN: 1
; COMPUTE_PGM_RSRC2:TGID_Y_EN: 0
; COMPUTE_PGM_RSRC2:TGID_Z_EN: 0
; COMPUTE_PGM_RSRC2:TIDIG_COMP_CNT: 0
; COMPUTE_PGM_RSRC3_GFX90A:ACCUM_OFFSET: 25
; COMPUTE_PGM_RSRC3_GFX90A:TG_SPLIT: 0
	.section	.text._ZN7rocprim17ROCPRIM_400000_NS6detail17trampoline_kernelINS0_14default_configENS1_33run_length_encode_config_selectorIjjNS0_4plusIjEEEEZZNS1_33reduce_by_key_impl_wrapped_configILNS1_25lookback_scan_determinismE0ES3_S7_PKjNS0_17constant_iteratorIjlEEPjPlSF_S6_NS0_8equal_toIjEEEE10hipError_tPvRmT2_T3_mT4_T5_T6_T7_T8_P12ihipStream_tbENKUlT_T0_E_clISt17integral_constantIbLb1EESY_IbLb0EEEEDaSU_SV_EUlSU_E_NS1_11comp_targetILNS1_3genE4ELNS1_11target_archE910ELNS1_3gpuE8ELNS1_3repE0EEENS1_30default_config_static_selectorELNS0_4arch9wavefront6targetE1EEEvT1_,"axG",@progbits,_ZN7rocprim17ROCPRIM_400000_NS6detail17trampoline_kernelINS0_14default_configENS1_33run_length_encode_config_selectorIjjNS0_4plusIjEEEEZZNS1_33reduce_by_key_impl_wrapped_configILNS1_25lookback_scan_determinismE0ES3_S7_PKjNS0_17constant_iteratorIjlEEPjPlSF_S6_NS0_8equal_toIjEEEE10hipError_tPvRmT2_T3_mT4_T5_T6_T7_T8_P12ihipStream_tbENKUlT_T0_E_clISt17integral_constantIbLb1EESY_IbLb0EEEEDaSU_SV_EUlSU_E_NS1_11comp_targetILNS1_3genE4ELNS1_11target_archE910ELNS1_3gpuE8ELNS1_3repE0EEENS1_30default_config_static_selectorELNS0_4arch9wavefront6targetE1EEEvT1_,comdat
	.protected	_ZN7rocprim17ROCPRIM_400000_NS6detail17trampoline_kernelINS0_14default_configENS1_33run_length_encode_config_selectorIjjNS0_4plusIjEEEEZZNS1_33reduce_by_key_impl_wrapped_configILNS1_25lookback_scan_determinismE0ES3_S7_PKjNS0_17constant_iteratorIjlEEPjPlSF_S6_NS0_8equal_toIjEEEE10hipError_tPvRmT2_T3_mT4_T5_T6_T7_T8_P12ihipStream_tbENKUlT_T0_E_clISt17integral_constantIbLb1EESY_IbLb0EEEEDaSU_SV_EUlSU_E_NS1_11comp_targetILNS1_3genE4ELNS1_11target_archE910ELNS1_3gpuE8ELNS1_3repE0EEENS1_30default_config_static_selectorELNS0_4arch9wavefront6targetE1EEEvT1_ ; -- Begin function _ZN7rocprim17ROCPRIM_400000_NS6detail17trampoline_kernelINS0_14default_configENS1_33run_length_encode_config_selectorIjjNS0_4plusIjEEEEZZNS1_33reduce_by_key_impl_wrapped_configILNS1_25lookback_scan_determinismE0ES3_S7_PKjNS0_17constant_iteratorIjlEEPjPlSF_S6_NS0_8equal_toIjEEEE10hipError_tPvRmT2_T3_mT4_T5_T6_T7_T8_P12ihipStream_tbENKUlT_T0_E_clISt17integral_constantIbLb1EESY_IbLb0EEEEDaSU_SV_EUlSU_E_NS1_11comp_targetILNS1_3genE4ELNS1_11target_archE910ELNS1_3gpuE8ELNS1_3repE0EEENS1_30default_config_static_selectorELNS0_4arch9wavefront6targetE1EEEvT1_
	.globl	_ZN7rocprim17ROCPRIM_400000_NS6detail17trampoline_kernelINS0_14default_configENS1_33run_length_encode_config_selectorIjjNS0_4plusIjEEEEZZNS1_33reduce_by_key_impl_wrapped_configILNS1_25lookback_scan_determinismE0ES3_S7_PKjNS0_17constant_iteratorIjlEEPjPlSF_S6_NS0_8equal_toIjEEEE10hipError_tPvRmT2_T3_mT4_T5_T6_T7_T8_P12ihipStream_tbENKUlT_T0_E_clISt17integral_constantIbLb1EESY_IbLb0EEEEDaSU_SV_EUlSU_E_NS1_11comp_targetILNS1_3genE4ELNS1_11target_archE910ELNS1_3gpuE8ELNS1_3repE0EEENS1_30default_config_static_selectorELNS0_4arch9wavefront6targetE1EEEvT1_
	.p2align	8
	.type	_ZN7rocprim17ROCPRIM_400000_NS6detail17trampoline_kernelINS0_14default_configENS1_33run_length_encode_config_selectorIjjNS0_4plusIjEEEEZZNS1_33reduce_by_key_impl_wrapped_configILNS1_25lookback_scan_determinismE0ES3_S7_PKjNS0_17constant_iteratorIjlEEPjPlSF_S6_NS0_8equal_toIjEEEE10hipError_tPvRmT2_T3_mT4_T5_T6_T7_T8_P12ihipStream_tbENKUlT_T0_E_clISt17integral_constantIbLb1EESY_IbLb0EEEEDaSU_SV_EUlSU_E_NS1_11comp_targetILNS1_3genE4ELNS1_11target_archE910ELNS1_3gpuE8ELNS1_3repE0EEENS1_30default_config_static_selectorELNS0_4arch9wavefront6targetE1EEEvT1_,@function
_ZN7rocprim17ROCPRIM_400000_NS6detail17trampoline_kernelINS0_14default_configENS1_33run_length_encode_config_selectorIjjNS0_4plusIjEEEEZZNS1_33reduce_by_key_impl_wrapped_configILNS1_25lookback_scan_determinismE0ES3_S7_PKjNS0_17constant_iteratorIjlEEPjPlSF_S6_NS0_8equal_toIjEEEE10hipError_tPvRmT2_T3_mT4_T5_T6_T7_T8_P12ihipStream_tbENKUlT_T0_E_clISt17integral_constantIbLb1EESY_IbLb0EEEEDaSU_SV_EUlSU_E_NS1_11comp_targetILNS1_3genE4ELNS1_11target_archE910ELNS1_3gpuE8ELNS1_3repE0EEENS1_30default_config_static_selectorELNS0_4arch9wavefront6targetE1EEEvT1_: ; @_ZN7rocprim17ROCPRIM_400000_NS6detail17trampoline_kernelINS0_14default_configENS1_33run_length_encode_config_selectorIjjNS0_4plusIjEEEEZZNS1_33reduce_by_key_impl_wrapped_configILNS1_25lookback_scan_determinismE0ES3_S7_PKjNS0_17constant_iteratorIjlEEPjPlSF_S6_NS0_8equal_toIjEEEE10hipError_tPvRmT2_T3_mT4_T5_T6_T7_T8_P12ihipStream_tbENKUlT_T0_E_clISt17integral_constantIbLb1EESY_IbLb0EEEEDaSU_SV_EUlSU_E_NS1_11comp_targetILNS1_3genE4ELNS1_11target_archE910ELNS1_3gpuE8ELNS1_3repE0EEENS1_30default_config_static_selectorELNS0_4arch9wavefront6targetE1EEEvT1_
; %bb.0:
	.section	.rodata,"a",@progbits
	.p2align	6, 0x0
	.amdhsa_kernel _ZN7rocprim17ROCPRIM_400000_NS6detail17trampoline_kernelINS0_14default_configENS1_33run_length_encode_config_selectorIjjNS0_4plusIjEEEEZZNS1_33reduce_by_key_impl_wrapped_configILNS1_25lookback_scan_determinismE0ES3_S7_PKjNS0_17constant_iteratorIjlEEPjPlSF_S6_NS0_8equal_toIjEEEE10hipError_tPvRmT2_T3_mT4_T5_T6_T7_T8_P12ihipStream_tbENKUlT_T0_E_clISt17integral_constantIbLb1EESY_IbLb0EEEEDaSU_SV_EUlSU_E_NS1_11comp_targetILNS1_3genE4ELNS1_11target_archE910ELNS1_3gpuE8ELNS1_3repE0EEENS1_30default_config_static_selectorELNS0_4arch9wavefront6targetE1EEEvT1_
		.amdhsa_group_segment_fixed_size 0
		.amdhsa_private_segment_fixed_size 0
		.amdhsa_kernarg_size 128
		.amdhsa_user_sgpr_count 2
		.amdhsa_user_sgpr_dispatch_ptr 0
		.amdhsa_user_sgpr_queue_ptr 0
		.amdhsa_user_sgpr_kernarg_segment_ptr 1
		.amdhsa_user_sgpr_dispatch_id 0
		.amdhsa_user_sgpr_kernarg_preload_length 0
		.amdhsa_user_sgpr_kernarg_preload_offset 0
		.amdhsa_user_sgpr_private_segment_size 0
		.amdhsa_uses_dynamic_stack 0
		.amdhsa_enable_private_segment 0
		.amdhsa_system_sgpr_workgroup_id_x 1
		.amdhsa_system_sgpr_workgroup_id_y 0
		.amdhsa_system_sgpr_workgroup_id_z 0
		.amdhsa_system_sgpr_workgroup_info 0
		.amdhsa_system_vgpr_workitem_id 0
		.amdhsa_next_free_vgpr 1
		.amdhsa_next_free_sgpr 0
		.amdhsa_accum_offset 4
		.amdhsa_reserve_vcc 0
		.amdhsa_float_round_mode_32 0
		.amdhsa_float_round_mode_16_64 0
		.amdhsa_float_denorm_mode_32 3
		.amdhsa_float_denorm_mode_16_64 3
		.amdhsa_dx10_clamp 1
		.amdhsa_ieee_mode 1
		.amdhsa_fp16_overflow 0
		.amdhsa_tg_split 0
		.amdhsa_exception_fp_ieee_invalid_op 0
		.amdhsa_exception_fp_denorm_src 0
		.amdhsa_exception_fp_ieee_div_zero 0
		.amdhsa_exception_fp_ieee_overflow 0
		.amdhsa_exception_fp_ieee_underflow 0
		.amdhsa_exception_fp_ieee_inexact 0
		.amdhsa_exception_int_div_zero 0
	.end_amdhsa_kernel
	.section	.text._ZN7rocprim17ROCPRIM_400000_NS6detail17trampoline_kernelINS0_14default_configENS1_33run_length_encode_config_selectorIjjNS0_4plusIjEEEEZZNS1_33reduce_by_key_impl_wrapped_configILNS1_25lookback_scan_determinismE0ES3_S7_PKjNS0_17constant_iteratorIjlEEPjPlSF_S6_NS0_8equal_toIjEEEE10hipError_tPvRmT2_T3_mT4_T5_T6_T7_T8_P12ihipStream_tbENKUlT_T0_E_clISt17integral_constantIbLb1EESY_IbLb0EEEEDaSU_SV_EUlSU_E_NS1_11comp_targetILNS1_3genE4ELNS1_11target_archE910ELNS1_3gpuE8ELNS1_3repE0EEENS1_30default_config_static_selectorELNS0_4arch9wavefront6targetE1EEEvT1_,"axG",@progbits,_ZN7rocprim17ROCPRIM_400000_NS6detail17trampoline_kernelINS0_14default_configENS1_33run_length_encode_config_selectorIjjNS0_4plusIjEEEEZZNS1_33reduce_by_key_impl_wrapped_configILNS1_25lookback_scan_determinismE0ES3_S7_PKjNS0_17constant_iteratorIjlEEPjPlSF_S6_NS0_8equal_toIjEEEE10hipError_tPvRmT2_T3_mT4_T5_T6_T7_T8_P12ihipStream_tbENKUlT_T0_E_clISt17integral_constantIbLb1EESY_IbLb0EEEEDaSU_SV_EUlSU_E_NS1_11comp_targetILNS1_3genE4ELNS1_11target_archE910ELNS1_3gpuE8ELNS1_3repE0EEENS1_30default_config_static_selectorELNS0_4arch9wavefront6targetE1EEEvT1_,comdat
.Lfunc_end669:
	.size	_ZN7rocprim17ROCPRIM_400000_NS6detail17trampoline_kernelINS0_14default_configENS1_33run_length_encode_config_selectorIjjNS0_4plusIjEEEEZZNS1_33reduce_by_key_impl_wrapped_configILNS1_25lookback_scan_determinismE0ES3_S7_PKjNS0_17constant_iteratorIjlEEPjPlSF_S6_NS0_8equal_toIjEEEE10hipError_tPvRmT2_T3_mT4_T5_T6_T7_T8_P12ihipStream_tbENKUlT_T0_E_clISt17integral_constantIbLb1EESY_IbLb0EEEEDaSU_SV_EUlSU_E_NS1_11comp_targetILNS1_3genE4ELNS1_11target_archE910ELNS1_3gpuE8ELNS1_3repE0EEENS1_30default_config_static_selectorELNS0_4arch9wavefront6targetE1EEEvT1_, .Lfunc_end669-_ZN7rocprim17ROCPRIM_400000_NS6detail17trampoline_kernelINS0_14default_configENS1_33run_length_encode_config_selectorIjjNS0_4plusIjEEEEZZNS1_33reduce_by_key_impl_wrapped_configILNS1_25lookback_scan_determinismE0ES3_S7_PKjNS0_17constant_iteratorIjlEEPjPlSF_S6_NS0_8equal_toIjEEEE10hipError_tPvRmT2_T3_mT4_T5_T6_T7_T8_P12ihipStream_tbENKUlT_T0_E_clISt17integral_constantIbLb1EESY_IbLb0EEEEDaSU_SV_EUlSU_E_NS1_11comp_targetILNS1_3genE4ELNS1_11target_archE910ELNS1_3gpuE8ELNS1_3repE0EEENS1_30default_config_static_selectorELNS0_4arch9wavefront6targetE1EEEvT1_
                                        ; -- End function
	.section	.AMDGPU.csdata,"",@progbits
; Kernel info:
; codeLenInByte = 0
; NumSgprs: 6
; NumVgprs: 0
; NumAgprs: 0
; TotalNumVgprs: 0
; ScratchSize: 0
; MemoryBound: 0
; FloatMode: 240
; IeeeMode: 1
; LDSByteSize: 0 bytes/workgroup (compile time only)
; SGPRBlocks: 0
; VGPRBlocks: 0
; NumSGPRsForWavesPerEU: 6
; NumVGPRsForWavesPerEU: 1
; AccumOffset: 4
; Occupancy: 8
; WaveLimiterHint : 0
; COMPUTE_PGM_RSRC2:SCRATCH_EN: 0
; COMPUTE_PGM_RSRC2:USER_SGPR: 2
; COMPUTE_PGM_RSRC2:TRAP_HANDLER: 0
; COMPUTE_PGM_RSRC2:TGID_X_EN: 1
; COMPUTE_PGM_RSRC2:TGID_Y_EN: 0
; COMPUTE_PGM_RSRC2:TGID_Z_EN: 0
; COMPUTE_PGM_RSRC2:TIDIG_COMP_CNT: 0
; COMPUTE_PGM_RSRC3_GFX90A:ACCUM_OFFSET: 0
; COMPUTE_PGM_RSRC3_GFX90A:TG_SPLIT: 0
	.section	.text._ZN7rocprim17ROCPRIM_400000_NS6detail17trampoline_kernelINS0_14default_configENS1_33run_length_encode_config_selectorIjjNS0_4plusIjEEEEZZNS1_33reduce_by_key_impl_wrapped_configILNS1_25lookback_scan_determinismE0ES3_S7_PKjNS0_17constant_iteratorIjlEEPjPlSF_S6_NS0_8equal_toIjEEEE10hipError_tPvRmT2_T3_mT4_T5_T6_T7_T8_P12ihipStream_tbENKUlT_T0_E_clISt17integral_constantIbLb1EESY_IbLb0EEEEDaSU_SV_EUlSU_E_NS1_11comp_targetILNS1_3genE3ELNS1_11target_archE908ELNS1_3gpuE7ELNS1_3repE0EEENS1_30default_config_static_selectorELNS0_4arch9wavefront6targetE1EEEvT1_,"axG",@progbits,_ZN7rocprim17ROCPRIM_400000_NS6detail17trampoline_kernelINS0_14default_configENS1_33run_length_encode_config_selectorIjjNS0_4plusIjEEEEZZNS1_33reduce_by_key_impl_wrapped_configILNS1_25lookback_scan_determinismE0ES3_S7_PKjNS0_17constant_iteratorIjlEEPjPlSF_S6_NS0_8equal_toIjEEEE10hipError_tPvRmT2_T3_mT4_T5_T6_T7_T8_P12ihipStream_tbENKUlT_T0_E_clISt17integral_constantIbLb1EESY_IbLb0EEEEDaSU_SV_EUlSU_E_NS1_11comp_targetILNS1_3genE3ELNS1_11target_archE908ELNS1_3gpuE7ELNS1_3repE0EEENS1_30default_config_static_selectorELNS0_4arch9wavefront6targetE1EEEvT1_,comdat
	.protected	_ZN7rocprim17ROCPRIM_400000_NS6detail17trampoline_kernelINS0_14default_configENS1_33run_length_encode_config_selectorIjjNS0_4plusIjEEEEZZNS1_33reduce_by_key_impl_wrapped_configILNS1_25lookback_scan_determinismE0ES3_S7_PKjNS0_17constant_iteratorIjlEEPjPlSF_S6_NS0_8equal_toIjEEEE10hipError_tPvRmT2_T3_mT4_T5_T6_T7_T8_P12ihipStream_tbENKUlT_T0_E_clISt17integral_constantIbLb1EESY_IbLb0EEEEDaSU_SV_EUlSU_E_NS1_11comp_targetILNS1_3genE3ELNS1_11target_archE908ELNS1_3gpuE7ELNS1_3repE0EEENS1_30default_config_static_selectorELNS0_4arch9wavefront6targetE1EEEvT1_ ; -- Begin function _ZN7rocprim17ROCPRIM_400000_NS6detail17trampoline_kernelINS0_14default_configENS1_33run_length_encode_config_selectorIjjNS0_4plusIjEEEEZZNS1_33reduce_by_key_impl_wrapped_configILNS1_25lookback_scan_determinismE0ES3_S7_PKjNS0_17constant_iteratorIjlEEPjPlSF_S6_NS0_8equal_toIjEEEE10hipError_tPvRmT2_T3_mT4_T5_T6_T7_T8_P12ihipStream_tbENKUlT_T0_E_clISt17integral_constantIbLb1EESY_IbLb0EEEEDaSU_SV_EUlSU_E_NS1_11comp_targetILNS1_3genE3ELNS1_11target_archE908ELNS1_3gpuE7ELNS1_3repE0EEENS1_30default_config_static_selectorELNS0_4arch9wavefront6targetE1EEEvT1_
	.globl	_ZN7rocprim17ROCPRIM_400000_NS6detail17trampoline_kernelINS0_14default_configENS1_33run_length_encode_config_selectorIjjNS0_4plusIjEEEEZZNS1_33reduce_by_key_impl_wrapped_configILNS1_25lookback_scan_determinismE0ES3_S7_PKjNS0_17constant_iteratorIjlEEPjPlSF_S6_NS0_8equal_toIjEEEE10hipError_tPvRmT2_T3_mT4_T5_T6_T7_T8_P12ihipStream_tbENKUlT_T0_E_clISt17integral_constantIbLb1EESY_IbLb0EEEEDaSU_SV_EUlSU_E_NS1_11comp_targetILNS1_3genE3ELNS1_11target_archE908ELNS1_3gpuE7ELNS1_3repE0EEENS1_30default_config_static_selectorELNS0_4arch9wavefront6targetE1EEEvT1_
	.p2align	8
	.type	_ZN7rocprim17ROCPRIM_400000_NS6detail17trampoline_kernelINS0_14default_configENS1_33run_length_encode_config_selectorIjjNS0_4plusIjEEEEZZNS1_33reduce_by_key_impl_wrapped_configILNS1_25lookback_scan_determinismE0ES3_S7_PKjNS0_17constant_iteratorIjlEEPjPlSF_S6_NS0_8equal_toIjEEEE10hipError_tPvRmT2_T3_mT4_T5_T6_T7_T8_P12ihipStream_tbENKUlT_T0_E_clISt17integral_constantIbLb1EESY_IbLb0EEEEDaSU_SV_EUlSU_E_NS1_11comp_targetILNS1_3genE3ELNS1_11target_archE908ELNS1_3gpuE7ELNS1_3repE0EEENS1_30default_config_static_selectorELNS0_4arch9wavefront6targetE1EEEvT1_,@function
_ZN7rocprim17ROCPRIM_400000_NS6detail17trampoline_kernelINS0_14default_configENS1_33run_length_encode_config_selectorIjjNS0_4plusIjEEEEZZNS1_33reduce_by_key_impl_wrapped_configILNS1_25lookback_scan_determinismE0ES3_S7_PKjNS0_17constant_iteratorIjlEEPjPlSF_S6_NS0_8equal_toIjEEEE10hipError_tPvRmT2_T3_mT4_T5_T6_T7_T8_P12ihipStream_tbENKUlT_T0_E_clISt17integral_constantIbLb1EESY_IbLb0EEEEDaSU_SV_EUlSU_E_NS1_11comp_targetILNS1_3genE3ELNS1_11target_archE908ELNS1_3gpuE7ELNS1_3repE0EEENS1_30default_config_static_selectorELNS0_4arch9wavefront6targetE1EEEvT1_: ; @_ZN7rocprim17ROCPRIM_400000_NS6detail17trampoline_kernelINS0_14default_configENS1_33run_length_encode_config_selectorIjjNS0_4plusIjEEEEZZNS1_33reduce_by_key_impl_wrapped_configILNS1_25lookback_scan_determinismE0ES3_S7_PKjNS0_17constant_iteratorIjlEEPjPlSF_S6_NS0_8equal_toIjEEEE10hipError_tPvRmT2_T3_mT4_T5_T6_T7_T8_P12ihipStream_tbENKUlT_T0_E_clISt17integral_constantIbLb1EESY_IbLb0EEEEDaSU_SV_EUlSU_E_NS1_11comp_targetILNS1_3genE3ELNS1_11target_archE908ELNS1_3gpuE7ELNS1_3repE0EEENS1_30default_config_static_selectorELNS0_4arch9wavefront6targetE1EEEvT1_
; %bb.0:
	.section	.rodata,"a",@progbits
	.p2align	6, 0x0
	.amdhsa_kernel _ZN7rocprim17ROCPRIM_400000_NS6detail17trampoline_kernelINS0_14default_configENS1_33run_length_encode_config_selectorIjjNS0_4plusIjEEEEZZNS1_33reduce_by_key_impl_wrapped_configILNS1_25lookback_scan_determinismE0ES3_S7_PKjNS0_17constant_iteratorIjlEEPjPlSF_S6_NS0_8equal_toIjEEEE10hipError_tPvRmT2_T3_mT4_T5_T6_T7_T8_P12ihipStream_tbENKUlT_T0_E_clISt17integral_constantIbLb1EESY_IbLb0EEEEDaSU_SV_EUlSU_E_NS1_11comp_targetILNS1_3genE3ELNS1_11target_archE908ELNS1_3gpuE7ELNS1_3repE0EEENS1_30default_config_static_selectorELNS0_4arch9wavefront6targetE1EEEvT1_
		.amdhsa_group_segment_fixed_size 0
		.amdhsa_private_segment_fixed_size 0
		.amdhsa_kernarg_size 128
		.amdhsa_user_sgpr_count 2
		.amdhsa_user_sgpr_dispatch_ptr 0
		.amdhsa_user_sgpr_queue_ptr 0
		.amdhsa_user_sgpr_kernarg_segment_ptr 1
		.amdhsa_user_sgpr_dispatch_id 0
		.amdhsa_user_sgpr_kernarg_preload_length 0
		.amdhsa_user_sgpr_kernarg_preload_offset 0
		.amdhsa_user_sgpr_private_segment_size 0
		.amdhsa_uses_dynamic_stack 0
		.amdhsa_enable_private_segment 0
		.amdhsa_system_sgpr_workgroup_id_x 1
		.amdhsa_system_sgpr_workgroup_id_y 0
		.amdhsa_system_sgpr_workgroup_id_z 0
		.amdhsa_system_sgpr_workgroup_info 0
		.amdhsa_system_vgpr_workitem_id 0
		.amdhsa_next_free_vgpr 1
		.amdhsa_next_free_sgpr 0
		.amdhsa_accum_offset 4
		.amdhsa_reserve_vcc 0
		.amdhsa_float_round_mode_32 0
		.amdhsa_float_round_mode_16_64 0
		.amdhsa_float_denorm_mode_32 3
		.amdhsa_float_denorm_mode_16_64 3
		.amdhsa_dx10_clamp 1
		.amdhsa_ieee_mode 1
		.amdhsa_fp16_overflow 0
		.amdhsa_tg_split 0
		.amdhsa_exception_fp_ieee_invalid_op 0
		.amdhsa_exception_fp_denorm_src 0
		.amdhsa_exception_fp_ieee_div_zero 0
		.amdhsa_exception_fp_ieee_overflow 0
		.amdhsa_exception_fp_ieee_underflow 0
		.amdhsa_exception_fp_ieee_inexact 0
		.amdhsa_exception_int_div_zero 0
	.end_amdhsa_kernel
	.section	.text._ZN7rocprim17ROCPRIM_400000_NS6detail17trampoline_kernelINS0_14default_configENS1_33run_length_encode_config_selectorIjjNS0_4plusIjEEEEZZNS1_33reduce_by_key_impl_wrapped_configILNS1_25lookback_scan_determinismE0ES3_S7_PKjNS0_17constant_iteratorIjlEEPjPlSF_S6_NS0_8equal_toIjEEEE10hipError_tPvRmT2_T3_mT4_T5_T6_T7_T8_P12ihipStream_tbENKUlT_T0_E_clISt17integral_constantIbLb1EESY_IbLb0EEEEDaSU_SV_EUlSU_E_NS1_11comp_targetILNS1_3genE3ELNS1_11target_archE908ELNS1_3gpuE7ELNS1_3repE0EEENS1_30default_config_static_selectorELNS0_4arch9wavefront6targetE1EEEvT1_,"axG",@progbits,_ZN7rocprim17ROCPRIM_400000_NS6detail17trampoline_kernelINS0_14default_configENS1_33run_length_encode_config_selectorIjjNS0_4plusIjEEEEZZNS1_33reduce_by_key_impl_wrapped_configILNS1_25lookback_scan_determinismE0ES3_S7_PKjNS0_17constant_iteratorIjlEEPjPlSF_S6_NS0_8equal_toIjEEEE10hipError_tPvRmT2_T3_mT4_T5_T6_T7_T8_P12ihipStream_tbENKUlT_T0_E_clISt17integral_constantIbLb1EESY_IbLb0EEEEDaSU_SV_EUlSU_E_NS1_11comp_targetILNS1_3genE3ELNS1_11target_archE908ELNS1_3gpuE7ELNS1_3repE0EEENS1_30default_config_static_selectorELNS0_4arch9wavefront6targetE1EEEvT1_,comdat
.Lfunc_end670:
	.size	_ZN7rocprim17ROCPRIM_400000_NS6detail17trampoline_kernelINS0_14default_configENS1_33run_length_encode_config_selectorIjjNS0_4plusIjEEEEZZNS1_33reduce_by_key_impl_wrapped_configILNS1_25lookback_scan_determinismE0ES3_S7_PKjNS0_17constant_iteratorIjlEEPjPlSF_S6_NS0_8equal_toIjEEEE10hipError_tPvRmT2_T3_mT4_T5_T6_T7_T8_P12ihipStream_tbENKUlT_T0_E_clISt17integral_constantIbLb1EESY_IbLb0EEEEDaSU_SV_EUlSU_E_NS1_11comp_targetILNS1_3genE3ELNS1_11target_archE908ELNS1_3gpuE7ELNS1_3repE0EEENS1_30default_config_static_selectorELNS0_4arch9wavefront6targetE1EEEvT1_, .Lfunc_end670-_ZN7rocprim17ROCPRIM_400000_NS6detail17trampoline_kernelINS0_14default_configENS1_33run_length_encode_config_selectorIjjNS0_4plusIjEEEEZZNS1_33reduce_by_key_impl_wrapped_configILNS1_25lookback_scan_determinismE0ES3_S7_PKjNS0_17constant_iteratorIjlEEPjPlSF_S6_NS0_8equal_toIjEEEE10hipError_tPvRmT2_T3_mT4_T5_T6_T7_T8_P12ihipStream_tbENKUlT_T0_E_clISt17integral_constantIbLb1EESY_IbLb0EEEEDaSU_SV_EUlSU_E_NS1_11comp_targetILNS1_3genE3ELNS1_11target_archE908ELNS1_3gpuE7ELNS1_3repE0EEENS1_30default_config_static_selectorELNS0_4arch9wavefront6targetE1EEEvT1_
                                        ; -- End function
	.section	.AMDGPU.csdata,"",@progbits
; Kernel info:
; codeLenInByte = 0
; NumSgprs: 6
; NumVgprs: 0
; NumAgprs: 0
; TotalNumVgprs: 0
; ScratchSize: 0
; MemoryBound: 0
; FloatMode: 240
; IeeeMode: 1
; LDSByteSize: 0 bytes/workgroup (compile time only)
; SGPRBlocks: 0
; VGPRBlocks: 0
; NumSGPRsForWavesPerEU: 6
; NumVGPRsForWavesPerEU: 1
; AccumOffset: 4
; Occupancy: 8
; WaveLimiterHint : 0
; COMPUTE_PGM_RSRC2:SCRATCH_EN: 0
; COMPUTE_PGM_RSRC2:USER_SGPR: 2
; COMPUTE_PGM_RSRC2:TRAP_HANDLER: 0
; COMPUTE_PGM_RSRC2:TGID_X_EN: 1
; COMPUTE_PGM_RSRC2:TGID_Y_EN: 0
; COMPUTE_PGM_RSRC2:TGID_Z_EN: 0
; COMPUTE_PGM_RSRC2:TIDIG_COMP_CNT: 0
; COMPUTE_PGM_RSRC3_GFX90A:ACCUM_OFFSET: 0
; COMPUTE_PGM_RSRC3_GFX90A:TG_SPLIT: 0
	.section	.text._ZN7rocprim17ROCPRIM_400000_NS6detail17trampoline_kernelINS0_14default_configENS1_33run_length_encode_config_selectorIjjNS0_4plusIjEEEEZZNS1_33reduce_by_key_impl_wrapped_configILNS1_25lookback_scan_determinismE0ES3_S7_PKjNS0_17constant_iteratorIjlEEPjPlSF_S6_NS0_8equal_toIjEEEE10hipError_tPvRmT2_T3_mT4_T5_T6_T7_T8_P12ihipStream_tbENKUlT_T0_E_clISt17integral_constantIbLb1EESY_IbLb0EEEEDaSU_SV_EUlSU_E_NS1_11comp_targetILNS1_3genE2ELNS1_11target_archE906ELNS1_3gpuE6ELNS1_3repE0EEENS1_30default_config_static_selectorELNS0_4arch9wavefront6targetE1EEEvT1_,"axG",@progbits,_ZN7rocprim17ROCPRIM_400000_NS6detail17trampoline_kernelINS0_14default_configENS1_33run_length_encode_config_selectorIjjNS0_4plusIjEEEEZZNS1_33reduce_by_key_impl_wrapped_configILNS1_25lookback_scan_determinismE0ES3_S7_PKjNS0_17constant_iteratorIjlEEPjPlSF_S6_NS0_8equal_toIjEEEE10hipError_tPvRmT2_T3_mT4_T5_T6_T7_T8_P12ihipStream_tbENKUlT_T0_E_clISt17integral_constantIbLb1EESY_IbLb0EEEEDaSU_SV_EUlSU_E_NS1_11comp_targetILNS1_3genE2ELNS1_11target_archE906ELNS1_3gpuE6ELNS1_3repE0EEENS1_30default_config_static_selectorELNS0_4arch9wavefront6targetE1EEEvT1_,comdat
	.protected	_ZN7rocprim17ROCPRIM_400000_NS6detail17trampoline_kernelINS0_14default_configENS1_33run_length_encode_config_selectorIjjNS0_4plusIjEEEEZZNS1_33reduce_by_key_impl_wrapped_configILNS1_25lookback_scan_determinismE0ES3_S7_PKjNS0_17constant_iteratorIjlEEPjPlSF_S6_NS0_8equal_toIjEEEE10hipError_tPvRmT2_T3_mT4_T5_T6_T7_T8_P12ihipStream_tbENKUlT_T0_E_clISt17integral_constantIbLb1EESY_IbLb0EEEEDaSU_SV_EUlSU_E_NS1_11comp_targetILNS1_3genE2ELNS1_11target_archE906ELNS1_3gpuE6ELNS1_3repE0EEENS1_30default_config_static_selectorELNS0_4arch9wavefront6targetE1EEEvT1_ ; -- Begin function _ZN7rocprim17ROCPRIM_400000_NS6detail17trampoline_kernelINS0_14default_configENS1_33run_length_encode_config_selectorIjjNS0_4plusIjEEEEZZNS1_33reduce_by_key_impl_wrapped_configILNS1_25lookback_scan_determinismE0ES3_S7_PKjNS0_17constant_iteratorIjlEEPjPlSF_S6_NS0_8equal_toIjEEEE10hipError_tPvRmT2_T3_mT4_T5_T6_T7_T8_P12ihipStream_tbENKUlT_T0_E_clISt17integral_constantIbLb1EESY_IbLb0EEEEDaSU_SV_EUlSU_E_NS1_11comp_targetILNS1_3genE2ELNS1_11target_archE906ELNS1_3gpuE6ELNS1_3repE0EEENS1_30default_config_static_selectorELNS0_4arch9wavefront6targetE1EEEvT1_
	.globl	_ZN7rocprim17ROCPRIM_400000_NS6detail17trampoline_kernelINS0_14default_configENS1_33run_length_encode_config_selectorIjjNS0_4plusIjEEEEZZNS1_33reduce_by_key_impl_wrapped_configILNS1_25lookback_scan_determinismE0ES3_S7_PKjNS0_17constant_iteratorIjlEEPjPlSF_S6_NS0_8equal_toIjEEEE10hipError_tPvRmT2_T3_mT4_T5_T6_T7_T8_P12ihipStream_tbENKUlT_T0_E_clISt17integral_constantIbLb1EESY_IbLb0EEEEDaSU_SV_EUlSU_E_NS1_11comp_targetILNS1_3genE2ELNS1_11target_archE906ELNS1_3gpuE6ELNS1_3repE0EEENS1_30default_config_static_selectorELNS0_4arch9wavefront6targetE1EEEvT1_
	.p2align	8
	.type	_ZN7rocprim17ROCPRIM_400000_NS6detail17trampoline_kernelINS0_14default_configENS1_33run_length_encode_config_selectorIjjNS0_4plusIjEEEEZZNS1_33reduce_by_key_impl_wrapped_configILNS1_25lookback_scan_determinismE0ES3_S7_PKjNS0_17constant_iteratorIjlEEPjPlSF_S6_NS0_8equal_toIjEEEE10hipError_tPvRmT2_T3_mT4_T5_T6_T7_T8_P12ihipStream_tbENKUlT_T0_E_clISt17integral_constantIbLb1EESY_IbLb0EEEEDaSU_SV_EUlSU_E_NS1_11comp_targetILNS1_3genE2ELNS1_11target_archE906ELNS1_3gpuE6ELNS1_3repE0EEENS1_30default_config_static_selectorELNS0_4arch9wavefront6targetE1EEEvT1_,@function
_ZN7rocprim17ROCPRIM_400000_NS6detail17trampoline_kernelINS0_14default_configENS1_33run_length_encode_config_selectorIjjNS0_4plusIjEEEEZZNS1_33reduce_by_key_impl_wrapped_configILNS1_25lookback_scan_determinismE0ES3_S7_PKjNS0_17constant_iteratorIjlEEPjPlSF_S6_NS0_8equal_toIjEEEE10hipError_tPvRmT2_T3_mT4_T5_T6_T7_T8_P12ihipStream_tbENKUlT_T0_E_clISt17integral_constantIbLb1EESY_IbLb0EEEEDaSU_SV_EUlSU_E_NS1_11comp_targetILNS1_3genE2ELNS1_11target_archE906ELNS1_3gpuE6ELNS1_3repE0EEENS1_30default_config_static_selectorELNS0_4arch9wavefront6targetE1EEEvT1_: ; @_ZN7rocprim17ROCPRIM_400000_NS6detail17trampoline_kernelINS0_14default_configENS1_33run_length_encode_config_selectorIjjNS0_4plusIjEEEEZZNS1_33reduce_by_key_impl_wrapped_configILNS1_25lookback_scan_determinismE0ES3_S7_PKjNS0_17constant_iteratorIjlEEPjPlSF_S6_NS0_8equal_toIjEEEE10hipError_tPvRmT2_T3_mT4_T5_T6_T7_T8_P12ihipStream_tbENKUlT_T0_E_clISt17integral_constantIbLb1EESY_IbLb0EEEEDaSU_SV_EUlSU_E_NS1_11comp_targetILNS1_3genE2ELNS1_11target_archE906ELNS1_3gpuE6ELNS1_3repE0EEENS1_30default_config_static_selectorELNS0_4arch9wavefront6targetE1EEEvT1_
; %bb.0:
	.section	.rodata,"a",@progbits
	.p2align	6, 0x0
	.amdhsa_kernel _ZN7rocprim17ROCPRIM_400000_NS6detail17trampoline_kernelINS0_14default_configENS1_33run_length_encode_config_selectorIjjNS0_4plusIjEEEEZZNS1_33reduce_by_key_impl_wrapped_configILNS1_25lookback_scan_determinismE0ES3_S7_PKjNS0_17constant_iteratorIjlEEPjPlSF_S6_NS0_8equal_toIjEEEE10hipError_tPvRmT2_T3_mT4_T5_T6_T7_T8_P12ihipStream_tbENKUlT_T0_E_clISt17integral_constantIbLb1EESY_IbLb0EEEEDaSU_SV_EUlSU_E_NS1_11comp_targetILNS1_3genE2ELNS1_11target_archE906ELNS1_3gpuE6ELNS1_3repE0EEENS1_30default_config_static_selectorELNS0_4arch9wavefront6targetE1EEEvT1_
		.amdhsa_group_segment_fixed_size 0
		.amdhsa_private_segment_fixed_size 0
		.amdhsa_kernarg_size 128
		.amdhsa_user_sgpr_count 2
		.amdhsa_user_sgpr_dispatch_ptr 0
		.amdhsa_user_sgpr_queue_ptr 0
		.amdhsa_user_sgpr_kernarg_segment_ptr 1
		.amdhsa_user_sgpr_dispatch_id 0
		.amdhsa_user_sgpr_kernarg_preload_length 0
		.amdhsa_user_sgpr_kernarg_preload_offset 0
		.amdhsa_user_sgpr_private_segment_size 0
		.amdhsa_uses_dynamic_stack 0
		.amdhsa_enable_private_segment 0
		.amdhsa_system_sgpr_workgroup_id_x 1
		.amdhsa_system_sgpr_workgroup_id_y 0
		.amdhsa_system_sgpr_workgroup_id_z 0
		.amdhsa_system_sgpr_workgroup_info 0
		.amdhsa_system_vgpr_workitem_id 0
		.amdhsa_next_free_vgpr 1
		.amdhsa_next_free_sgpr 0
		.amdhsa_accum_offset 4
		.amdhsa_reserve_vcc 0
		.amdhsa_float_round_mode_32 0
		.amdhsa_float_round_mode_16_64 0
		.amdhsa_float_denorm_mode_32 3
		.amdhsa_float_denorm_mode_16_64 3
		.amdhsa_dx10_clamp 1
		.amdhsa_ieee_mode 1
		.amdhsa_fp16_overflow 0
		.amdhsa_tg_split 0
		.amdhsa_exception_fp_ieee_invalid_op 0
		.amdhsa_exception_fp_denorm_src 0
		.amdhsa_exception_fp_ieee_div_zero 0
		.amdhsa_exception_fp_ieee_overflow 0
		.amdhsa_exception_fp_ieee_underflow 0
		.amdhsa_exception_fp_ieee_inexact 0
		.amdhsa_exception_int_div_zero 0
	.end_amdhsa_kernel
	.section	.text._ZN7rocprim17ROCPRIM_400000_NS6detail17trampoline_kernelINS0_14default_configENS1_33run_length_encode_config_selectorIjjNS0_4plusIjEEEEZZNS1_33reduce_by_key_impl_wrapped_configILNS1_25lookback_scan_determinismE0ES3_S7_PKjNS0_17constant_iteratorIjlEEPjPlSF_S6_NS0_8equal_toIjEEEE10hipError_tPvRmT2_T3_mT4_T5_T6_T7_T8_P12ihipStream_tbENKUlT_T0_E_clISt17integral_constantIbLb1EESY_IbLb0EEEEDaSU_SV_EUlSU_E_NS1_11comp_targetILNS1_3genE2ELNS1_11target_archE906ELNS1_3gpuE6ELNS1_3repE0EEENS1_30default_config_static_selectorELNS0_4arch9wavefront6targetE1EEEvT1_,"axG",@progbits,_ZN7rocprim17ROCPRIM_400000_NS6detail17trampoline_kernelINS0_14default_configENS1_33run_length_encode_config_selectorIjjNS0_4plusIjEEEEZZNS1_33reduce_by_key_impl_wrapped_configILNS1_25lookback_scan_determinismE0ES3_S7_PKjNS0_17constant_iteratorIjlEEPjPlSF_S6_NS0_8equal_toIjEEEE10hipError_tPvRmT2_T3_mT4_T5_T6_T7_T8_P12ihipStream_tbENKUlT_T0_E_clISt17integral_constantIbLb1EESY_IbLb0EEEEDaSU_SV_EUlSU_E_NS1_11comp_targetILNS1_3genE2ELNS1_11target_archE906ELNS1_3gpuE6ELNS1_3repE0EEENS1_30default_config_static_selectorELNS0_4arch9wavefront6targetE1EEEvT1_,comdat
.Lfunc_end671:
	.size	_ZN7rocprim17ROCPRIM_400000_NS6detail17trampoline_kernelINS0_14default_configENS1_33run_length_encode_config_selectorIjjNS0_4plusIjEEEEZZNS1_33reduce_by_key_impl_wrapped_configILNS1_25lookback_scan_determinismE0ES3_S7_PKjNS0_17constant_iteratorIjlEEPjPlSF_S6_NS0_8equal_toIjEEEE10hipError_tPvRmT2_T3_mT4_T5_T6_T7_T8_P12ihipStream_tbENKUlT_T0_E_clISt17integral_constantIbLb1EESY_IbLb0EEEEDaSU_SV_EUlSU_E_NS1_11comp_targetILNS1_3genE2ELNS1_11target_archE906ELNS1_3gpuE6ELNS1_3repE0EEENS1_30default_config_static_selectorELNS0_4arch9wavefront6targetE1EEEvT1_, .Lfunc_end671-_ZN7rocprim17ROCPRIM_400000_NS6detail17trampoline_kernelINS0_14default_configENS1_33run_length_encode_config_selectorIjjNS0_4plusIjEEEEZZNS1_33reduce_by_key_impl_wrapped_configILNS1_25lookback_scan_determinismE0ES3_S7_PKjNS0_17constant_iteratorIjlEEPjPlSF_S6_NS0_8equal_toIjEEEE10hipError_tPvRmT2_T3_mT4_T5_T6_T7_T8_P12ihipStream_tbENKUlT_T0_E_clISt17integral_constantIbLb1EESY_IbLb0EEEEDaSU_SV_EUlSU_E_NS1_11comp_targetILNS1_3genE2ELNS1_11target_archE906ELNS1_3gpuE6ELNS1_3repE0EEENS1_30default_config_static_selectorELNS0_4arch9wavefront6targetE1EEEvT1_
                                        ; -- End function
	.section	.AMDGPU.csdata,"",@progbits
; Kernel info:
; codeLenInByte = 0
; NumSgprs: 6
; NumVgprs: 0
; NumAgprs: 0
; TotalNumVgprs: 0
; ScratchSize: 0
; MemoryBound: 0
; FloatMode: 240
; IeeeMode: 1
; LDSByteSize: 0 bytes/workgroup (compile time only)
; SGPRBlocks: 0
; VGPRBlocks: 0
; NumSGPRsForWavesPerEU: 6
; NumVGPRsForWavesPerEU: 1
; AccumOffset: 4
; Occupancy: 8
; WaveLimiterHint : 0
; COMPUTE_PGM_RSRC2:SCRATCH_EN: 0
; COMPUTE_PGM_RSRC2:USER_SGPR: 2
; COMPUTE_PGM_RSRC2:TRAP_HANDLER: 0
; COMPUTE_PGM_RSRC2:TGID_X_EN: 1
; COMPUTE_PGM_RSRC2:TGID_Y_EN: 0
; COMPUTE_PGM_RSRC2:TGID_Z_EN: 0
; COMPUTE_PGM_RSRC2:TIDIG_COMP_CNT: 0
; COMPUTE_PGM_RSRC3_GFX90A:ACCUM_OFFSET: 0
; COMPUTE_PGM_RSRC3_GFX90A:TG_SPLIT: 0
	.section	.text._ZN7rocprim17ROCPRIM_400000_NS6detail17trampoline_kernelINS0_14default_configENS1_33run_length_encode_config_selectorIjjNS0_4plusIjEEEEZZNS1_33reduce_by_key_impl_wrapped_configILNS1_25lookback_scan_determinismE0ES3_S7_PKjNS0_17constant_iteratorIjlEEPjPlSF_S6_NS0_8equal_toIjEEEE10hipError_tPvRmT2_T3_mT4_T5_T6_T7_T8_P12ihipStream_tbENKUlT_T0_E_clISt17integral_constantIbLb1EESY_IbLb0EEEEDaSU_SV_EUlSU_E_NS1_11comp_targetILNS1_3genE10ELNS1_11target_archE1201ELNS1_3gpuE5ELNS1_3repE0EEENS1_30default_config_static_selectorELNS0_4arch9wavefront6targetE1EEEvT1_,"axG",@progbits,_ZN7rocprim17ROCPRIM_400000_NS6detail17trampoline_kernelINS0_14default_configENS1_33run_length_encode_config_selectorIjjNS0_4plusIjEEEEZZNS1_33reduce_by_key_impl_wrapped_configILNS1_25lookback_scan_determinismE0ES3_S7_PKjNS0_17constant_iteratorIjlEEPjPlSF_S6_NS0_8equal_toIjEEEE10hipError_tPvRmT2_T3_mT4_T5_T6_T7_T8_P12ihipStream_tbENKUlT_T0_E_clISt17integral_constantIbLb1EESY_IbLb0EEEEDaSU_SV_EUlSU_E_NS1_11comp_targetILNS1_3genE10ELNS1_11target_archE1201ELNS1_3gpuE5ELNS1_3repE0EEENS1_30default_config_static_selectorELNS0_4arch9wavefront6targetE1EEEvT1_,comdat
	.protected	_ZN7rocprim17ROCPRIM_400000_NS6detail17trampoline_kernelINS0_14default_configENS1_33run_length_encode_config_selectorIjjNS0_4plusIjEEEEZZNS1_33reduce_by_key_impl_wrapped_configILNS1_25lookback_scan_determinismE0ES3_S7_PKjNS0_17constant_iteratorIjlEEPjPlSF_S6_NS0_8equal_toIjEEEE10hipError_tPvRmT2_T3_mT4_T5_T6_T7_T8_P12ihipStream_tbENKUlT_T0_E_clISt17integral_constantIbLb1EESY_IbLb0EEEEDaSU_SV_EUlSU_E_NS1_11comp_targetILNS1_3genE10ELNS1_11target_archE1201ELNS1_3gpuE5ELNS1_3repE0EEENS1_30default_config_static_selectorELNS0_4arch9wavefront6targetE1EEEvT1_ ; -- Begin function _ZN7rocprim17ROCPRIM_400000_NS6detail17trampoline_kernelINS0_14default_configENS1_33run_length_encode_config_selectorIjjNS0_4plusIjEEEEZZNS1_33reduce_by_key_impl_wrapped_configILNS1_25lookback_scan_determinismE0ES3_S7_PKjNS0_17constant_iteratorIjlEEPjPlSF_S6_NS0_8equal_toIjEEEE10hipError_tPvRmT2_T3_mT4_T5_T6_T7_T8_P12ihipStream_tbENKUlT_T0_E_clISt17integral_constantIbLb1EESY_IbLb0EEEEDaSU_SV_EUlSU_E_NS1_11comp_targetILNS1_3genE10ELNS1_11target_archE1201ELNS1_3gpuE5ELNS1_3repE0EEENS1_30default_config_static_selectorELNS0_4arch9wavefront6targetE1EEEvT1_
	.globl	_ZN7rocprim17ROCPRIM_400000_NS6detail17trampoline_kernelINS0_14default_configENS1_33run_length_encode_config_selectorIjjNS0_4plusIjEEEEZZNS1_33reduce_by_key_impl_wrapped_configILNS1_25lookback_scan_determinismE0ES3_S7_PKjNS0_17constant_iteratorIjlEEPjPlSF_S6_NS0_8equal_toIjEEEE10hipError_tPvRmT2_T3_mT4_T5_T6_T7_T8_P12ihipStream_tbENKUlT_T0_E_clISt17integral_constantIbLb1EESY_IbLb0EEEEDaSU_SV_EUlSU_E_NS1_11comp_targetILNS1_3genE10ELNS1_11target_archE1201ELNS1_3gpuE5ELNS1_3repE0EEENS1_30default_config_static_selectorELNS0_4arch9wavefront6targetE1EEEvT1_
	.p2align	8
	.type	_ZN7rocprim17ROCPRIM_400000_NS6detail17trampoline_kernelINS0_14default_configENS1_33run_length_encode_config_selectorIjjNS0_4plusIjEEEEZZNS1_33reduce_by_key_impl_wrapped_configILNS1_25lookback_scan_determinismE0ES3_S7_PKjNS0_17constant_iteratorIjlEEPjPlSF_S6_NS0_8equal_toIjEEEE10hipError_tPvRmT2_T3_mT4_T5_T6_T7_T8_P12ihipStream_tbENKUlT_T0_E_clISt17integral_constantIbLb1EESY_IbLb0EEEEDaSU_SV_EUlSU_E_NS1_11comp_targetILNS1_3genE10ELNS1_11target_archE1201ELNS1_3gpuE5ELNS1_3repE0EEENS1_30default_config_static_selectorELNS0_4arch9wavefront6targetE1EEEvT1_,@function
_ZN7rocprim17ROCPRIM_400000_NS6detail17trampoline_kernelINS0_14default_configENS1_33run_length_encode_config_selectorIjjNS0_4plusIjEEEEZZNS1_33reduce_by_key_impl_wrapped_configILNS1_25lookback_scan_determinismE0ES3_S7_PKjNS0_17constant_iteratorIjlEEPjPlSF_S6_NS0_8equal_toIjEEEE10hipError_tPvRmT2_T3_mT4_T5_T6_T7_T8_P12ihipStream_tbENKUlT_T0_E_clISt17integral_constantIbLb1EESY_IbLb0EEEEDaSU_SV_EUlSU_E_NS1_11comp_targetILNS1_3genE10ELNS1_11target_archE1201ELNS1_3gpuE5ELNS1_3repE0EEENS1_30default_config_static_selectorELNS0_4arch9wavefront6targetE1EEEvT1_: ; @_ZN7rocprim17ROCPRIM_400000_NS6detail17trampoline_kernelINS0_14default_configENS1_33run_length_encode_config_selectorIjjNS0_4plusIjEEEEZZNS1_33reduce_by_key_impl_wrapped_configILNS1_25lookback_scan_determinismE0ES3_S7_PKjNS0_17constant_iteratorIjlEEPjPlSF_S6_NS0_8equal_toIjEEEE10hipError_tPvRmT2_T3_mT4_T5_T6_T7_T8_P12ihipStream_tbENKUlT_T0_E_clISt17integral_constantIbLb1EESY_IbLb0EEEEDaSU_SV_EUlSU_E_NS1_11comp_targetILNS1_3genE10ELNS1_11target_archE1201ELNS1_3gpuE5ELNS1_3repE0EEENS1_30default_config_static_selectorELNS0_4arch9wavefront6targetE1EEEvT1_
; %bb.0:
	.section	.rodata,"a",@progbits
	.p2align	6, 0x0
	.amdhsa_kernel _ZN7rocprim17ROCPRIM_400000_NS6detail17trampoline_kernelINS0_14default_configENS1_33run_length_encode_config_selectorIjjNS0_4plusIjEEEEZZNS1_33reduce_by_key_impl_wrapped_configILNS1_25lookback_scan_determinismE0ES3_S7_PKjNS0_17constant_iteratorIjlEEPjPlSF_S6_NS0_8equal_toIjEEEE10hipError_tPvRmT2_T3_mT4_T5_T6_T7_T8_P12ihipStream_tbENKUlT_T0_E_clISt17integral_constantIbLb1EESY_IbLb0EEEEDaSU_SV_EUlSU_E_NS1_11comp_targetILNS1_3genE10ELNS1_11target_archE1201ELNS1_3gpuE5ELNS1_3repE0EEENS1_30default_config_static_selectorELNS0_4arch9wavefront6targetE1EEEvT1_
		.amdhsa_group_segment_fixed_size 0
		.amdhsa_private_segment_fixed_size 0
		.amdhsa_kernarg_size 128
		.amdhsa_user_sgpr_count 2
		.amdhsa_user_sgpr_dispatch_ptr 0
		.amdhsa_user_sgpr_queue_ptr 0
		.amdhsa_user_sgpr_kernarg_segment_ptr 1
		.amdhsa_user_sgpr_dispatch_id 0
		.amdhsa_user_sgpr_kernarg_preload_length 0
		.amdhsa_user_sgpr_kernarg_preload_offset 0
		.amdhsa_user_sgpr_private_segment_size 0
		.amdhsa_uses_dynamic_stack 0
		.amdhsa_enable_private_segment 0
		.amdhsa_system_sgpr_workgroup_id_x 1
		.amdhsa_system_sgpr_workgroup_id_y 0
		.amdhsa_system_sgpr_workgroup_id_z 0
		.amdhsa_system_sgpr_workgroup_info 0
		.amdhsa_system_vgpr_workitem_id 0
		.amdhsa_next_free_vgpr 1
		.amdhsa_next_free_sgpr 0
		.amdhsa_accum_offset 4
		.amdhsa_reserve_vcc 0
		.amdhsa_float_round_mode_32 0
		.amdhsa_float_round_mode_16_64 0
		.amdhsa_float_denorm_mode_32 3
		.amdhsa_float_denorm_mode_16_64 3
		.amdhsa_dx10_clamp 1
		.amdhsa_ieee_mode 1
		.amdhsa_fp16_overflow 0
		.amdhsa_tg_split 0
		.amdhsa_exception_fp_ieee_invalid_op 0
		.amdhsa_exception_fp_denorm_src 0
		.amdhsa_exception_fp_ieee_div_zero 0
		.amdhsa_exception_fp_ieee_overflow 0
		.amdhsa_exception_fp_ieee_underflow 0
		.amdhsa_exception_fp_ieee_inexact 0
		.amdhsa_exception_int_div_zero 0
	.end_amdhsa_kernel
	.section	.text._ZN7rocprim17ROCPRIM_400000_NS6detail17trampoline_kernelINS0_14default_configENS1_33run_length_encode_config_selectorIjjNS0_4plusIjEEEEZZNS1_33reduce_by_key_impl_wrapped_configILNS1_25lookback_scan_determinismE0ES3_S7_PKjNS0_17constant_iteratorIjlEEPjPlSF_S6_NS0_8equal_toIjEEEE10hipError_tPvRmT2_T3_mT4_T5_T6_T7_T8_P12ihipStream_tbENKUlT_T0_E_clISt17integral_constantIbLb1EESY_IbLb0EEEEDaSU_SV_EUlSU_E_NS1_11comp_targetILNS1_3genE10ELNS1_11target_archE1201ELNS1_3gpuE5ELNS1_3repE0EEENS1_30default_config_static_selectorELNS0_4arch9wavefront6targetE1EEEvT1_,"axG",@progbits,_ZN7rocprim17ROCPRIM_400000_NS6detail17trampoline_kernelINS0_14default_configENS1_33run_length_encode_config_selectorIjjNS0_4plusIjEEEEZZNS1_33reduce_by_key_impl_wrapped_configILNS1_25lookback_scan_determinismE0ES3_S7_PKjNS0_17constant_iteratorIjlEEPjPlSF_S6_NS0_8equal_toIjEEEE10hipError_tPvRmT2_T3_mT4_T5_T6_T7_T8_P12ihipStream_tbENKUlT_T0_E_clISt17integral_constantIbLb1EESY_IbLb0EEEEDaSU_SV_EUlSU_E_NS1_11comp_targetILNS1_3genE10ELNS1_11target_archE1201ELNS1_3gpuE5ELNS1_3repE0EEENS1_30default_config_static_selectorELNS0_4arch9wavefront6targetE1EEEvT1_,comdat
.Lfunc_end672:
	.size	_ZN7rocprim17ROCPRIM_400000_NS6detail17trampoline_kernelINS0_14default_configENS1_33run_length_encode_config_selectorIjjNS0_4plusIjEEEEZZNS1_33reduce_by_key_impl_wrapped_configILNS1_25lookback_scan_determinismE0ES3_S7_PKjNS0_17constant_iteratorIjlEEPjPlSF_S6_NS0_8equal_toIjEEEE10hipError_tPvRmT2_T3_mT4_T5_T6_T7_T8_P12ihipStream_tbENKUlT_T0_E_clISt17integral_constantIbLb1EESY_IbLb0EEEEDaSU_SV_EUlSU_E_NS1_11comp_targetILNS1_3genE10ELNS1_11target_archE1201ELNS1_3gpuE5ELNS1_3repE0EEENS1_30default_config_static_selectorELNS0_4arch9wavefront6targetE1EEEvT1_, .Lfunc_end672-_ZN7rocprim17ROCPRIM_400000_NS6detail17trampoline_kernelINS0_14default_configENS1_33run_length_encode_config_selectorIjjNS0_4plusIjEEEEZZNS1_33reduce_by_key_impl_wrapped_configILNS1_25lookback_scan_determinismE0ES3_S7_PKjNS0_17constant_iteratorIjlEEPjPlSF_S6_NS0_8equal_toIjEEEE10hipError_tPvRmT2_T3_mT4_T5_T6_T7_T8_P12ihipStream_tbENKUlT_T0_E_clISt17integral_constantIbLb1EESY_IbLb0EEEEDaSU_SV_EUlSU_E_NS1_11comp_targetILNS1_3genE10ELNS1_11target_archE1201ELNS1_3gpuE5ELNS1_3repE0EEENS1_30default_config_static_selectorELNS0_4arch9wavefront6targetE1EEEvT1_
                                        ; -- End function
	.section	.AMDGPU.csdata,"",@progbits
; Kernel info:
; codeLenInByte = 0
; NumSgprs: 6
; NumVgprs: 0
; NumAgprs: 0
; TotalNumVgprs: 0
; ScratchSize: 0
; MemoryBound: 0
; FloatMode: 240
; IeeeMode: 1
; LDSByteSize: 0 bytes/workgroup (compile time only)
; SGPRBlocks: 0
; VGPRBlocks: 0
; NumSGPRsForWavesPerEU: 6
; NumVGPRsForWavesPerEU: 1
; AccumOffset: 4
; Occupancy: 8
; WaveLimiterHint : 0
; COMPUTE_PGM_RSRC2:SCRATCH_EN: 0
; COMPUTE_PGM_RSRC2:USER_SGPR: 2
; COMPUTE_PGM_RSRC2:TRAP_HANDLER: 0
; COMPUTE_PGM_RSRC2:TGID_X_EN: 1
; COMPUTE_PGM_RSRC2:TGID_Y_EN: 0
; COMPUTE_PGM_RSRC2:TGID_Z_EN: 0
; COMPUTE_PGM_RSRC2:TIDIG_COMP_CNT: 0
; COMPUTE_PGM_RSRC3_GFX90A:ACCUM_OFFSET: 0
; COMPUTE_PGM_RSRC3_GFX90A:TG_SPLIT: 0
	.section	.text._ZN7rocprim17ROCPRIM_400000_NS6detail17trampoline_kernelINS0_14default_configENS1_33run_length_encode_config_selectorIjjNS0_4plusIjEEEEZZNS1_33reduce_by_key_impl_wrapped_configILNS1_25lookback_scan_determinismE0ES3_S7_PKjNS0_17constant_iteratorIjlEEPjPlSF_S6_NS0_8equal_toIjEEEE10hipError_tPvRmT2_T3_mT4_T5_T6_T7_T8_P12ihipStream_tbENKUlT_T0_E_clISt17integral_constantIbLb1EESY_IbLb0EEEEDaSU_SV_EUlSU_E_NS1_11comp_targetILNS1_3genE10ELNS1_11target_archE1200ELNS1_3gpuE4ELNS1_3repE0EEENS1_30default_config_static_selectorELNS0_4arch9wavefront6targetE1EEEvT1_,"axG",@progbits,_ZN7rocprim17ROCPRIM_400000_NS6detail17trampoline_kernelINS0_14default_configENS1_33run_length_encode_config_selectorIjjNS0_4plusIjEEEEZZNS1_33reduce_by_key_impl_wrapped_configILNS1_25lookback_scan_determinismE0ES3_S7_PKjNS0_17constant_iteratorIjlEEPjPlSF_S6_NS0_8equal_toIjEEEE10hipError_tPvRmT2_T3_mT4_T5_T6_T7_T8_P12ihipStream_tbENKUlT_T0_E_clISt17integral_constantIbLb1EESY_IbLb0EEEEDaSU_SV_EUlSU_E_NS1_11comp_targetILNS1_3genE10ELNS1_11target_archE1200ELNS1_3gpuE4ELNS1_3repE0EEENS1_30default_config_static_selectorELNS0_4arch9wavefront6targetE1EEEvT1_,comdat
	.protected	_ZN7rocprim17ROCPRIM_400000_NS6detail17trampoline_kernelINS0_14default_configENS1_33run_length_encode_config_selectorIjjNS0_4plusIjEEEEZZNS1_33reduce_by_key_impl_wrapped_configILNS1_25lookback_scan_determinismE0ES3_S7_PKjNS0_17constant_iteratorIjlEEPjPlSF_S6_NS0_8equal_toIjEEEE10hipError_tPvRmT2_T3_mT4_T5_T6_T7_T8_P12ihipStream_tbENKUlT_T0_E_clISt17integral_constantIbLb1EESY_IbLb0EEEEDaSU_SV_EUlSU_E_NS1_11comp_targetILNS1_3genE10ELNS1_11target_archE1200ELNS1_3gpuE4ELNS1_3repE0EEENS1_30default_config_static_selectorELNS0_4arch9wavefront6targetE1EEEvT1_ ; -- Begin function _ZN7rocprim17ROCPRIM_400000_NS6detail17trampoline_kernelINS0_14default_configENS1_33run_length_encode_config_selectorIjjNS0_4plusIjEEEEZZNS1_33reduce_by_key_impl_wrapped_configILNS1_25lookback_scan_determinismE0ES3_S7_PKjNS0_17constant_iteratorIjlEEPjPlSF_S6_NS0_8equal_toIjEEEE10hipError_tPvRmT2_T3_mT4_T5_T6_T7_T8_P12ihipStream_tbENKUlT_T0_E_clISt17integral_constantIbLb1EESY_IbLb0EEEEDaSU_SV_EUlSU_E_NS1_11comp_targetILNS1_3genE10ELNS1_11target_archE1200ELNS1_3gpuE4ELNS1_3repE0EEENS1_30default_config_static_selectorELNS0_4arch9wavefront6targetE1EEEvT1_
	.globl	_ZN7rocprim17ROCPRIM_400000_NS6detail17trampoline_kernelINS0_14default_configENS1_33run_length_encode_config_selectorIjjNS0_4plusIjEEEEZZNS1_33reduce_by_key_impl_wrapped_configILNS1_25lookback_scan_determinismE0ES3_S7_PKjNS0_17constant_iteratorIjlEEPjPlSF_S6_NS0_8equal_toIjEEEE10hipError_tPvRmT2_T3_mT4_T5_T6_T7_T8_P12ihipStream_tbENKUlT_T0_E_clISt17integral_constantIbLb1EESY_IbLb0EEEEDaSU_SV_EUlSU_E_NS1_11comp_targetILNS1_3genE10ELNS1_11target_archE1200ELNS1_3gpuE4ELNS1_3repE0EEENS1_30default_config_static_selectorELNS0_4arch9wavefront6targetE1EEEvT1_
	.p2align	8
	.type	_ZN7rocprim17ROCPRIM_400000_NS6detail17trampoline_kernelINS0_14default_configENS1_33run_length_encode_config_selectorIjjNS0_4plusIjEEEEZZNS1_33reduce_by_key_impl_wrapped_configILNS1_25lookback_scan_determinismE0ES3_S7_PKjNS0_17constant_iteratorIjlEEPjPlSF_S6_NS0_8equal_toIjEEEE10hipError_tPvRmT2_T3_mT4_T5_T6_T7_T8_P12ihipStream_tbENKUlT_T0_E_clISt17integral_constantIbLb1EESY_IbLb0EEEEDaSU_SV_EUlSU_E_NS1_11comp_targetILNS1_3genE10ELNS1_11target_archE1200ELNS1_3gpuE4ELNS1_3repE0EEENS1_30default_config_static_selectorELNS0_4arch9wavefront6targetE1EEEvT1_,@function
_ZN7rocprim17ROCPRIM_400000_NS6detail17trampoline_kernelINS0_14default_configENS1_33run_length_encode_config_selectorIjjNS0_4plusIjEEEEZZNS1_33reduce_by_key_impl_wrapped_configILNS1_25lookback_scan_determinismE0ES3_S7_PKjNS0_17constant_iteratorIjlEEPjPlSF_S6_NS0_8equal_toIjEEEE10hipError_tPvRmT2_T3_mT4_T5_T6_T7_T8_P12ihipStream_tbENKUlT_T0_E_clISt17integral_constantIbLb1EESY_IbLb0EEEEDaSU_SV_EUlSU_E_NS1_11comp_targetILNS1_3genE10ELNS1_11target_archE1200ELNS1_3gpuE4ELNS1_3repE0EEENS1_30default_config_static_selectorELNS0_4arch9wavefront6targetE1EEEvT1_: ; @_ZN7rocprim17ROCPRIM_400000_NS6detail17trampoline_kernelINS0_14default_configENS1_33run_length_encode_config_selectorIjjNS0_4plusIjEEEEZZNS1_33reduce_by_key_impl_wrapped_configILNS1_25lookback_scan_determinismE0ES3_S7_PKjNS0_17constant_iteratorIjlEEPjPlSF_S6_NS0_8equal_toIjEEEE10hipError_tPvRmT2_T3_mT4_T5_T6_T7_T8_P12ihipStream_tbENKUlT_T0_E_clISt17integral_constantIbLb1EESY_IbLb0EEEEDaSU_SV_EUlSU_E_NS1_11comp_targetILNS1_3genE10ELNS1_11target_archE1200ELNS1_3gpuE4ELNS1_3repE0EEENS1_30default_config_static_selectorELNS0_4arch9wavefront6targetE1EEEvT1_
; %bb.0:
	.section	.rodata,"a",@progbits
	.p2align	6, 0x0
	.amdhsa_kernel _ZN7rocprim17ROCPRIM_400000_NS6detail17trampoline_kernelINS0_14default_configENS1_33run_length_encode_config_selectorIjjNS0_4plusIjEEEEZZNS1_33reduce_by_key_impl_wrapped_configILNS1_25lookback_scan_determinismE0ES3_S7_PKjNS0_17constant_iteratorIjlEEPjPlSF_S6_NS0_8equal_toIjEEEE10hipError_tPvRmT2_T3_mT4_T5_T6_T7_T8_P12ihipStream_tbENKUlT_T0_E_clISt17integral_constantIbLb1EESY_IbLb0EEEEDaSU_SV_EUlSU_E_NS1_11comp_targetILNS1_3genE10ELNS1_11target_archE1200ELNS1_3gpuE4ELNS1_3repE0EEENS1_30default_config_static_selectorELNS0_4arch9wavefront6targetE1EEEvT1_
		.amdhsa_group_segment_fixed_size 0
		.amdhsa_private_segment_fixed_size 0
		.amdhsa_kernarg_size 128
		.amdhsa_user_sgpr_count 2
		.amdhsa_user_sgpr_dispatch_ptr 0
		.amdhsa_user_sgpr_queue_ptr 0
		.amdhsa_user_sgpr_kernarg_segment_ptr 1
		.amdhsa_user_sgpr_dispatch_id 0
		.amdhsa_user_sgpr_kernarg_preload_length 0
		.amdhsa_user_sgpr_kernarg_preload_offset 0
		.amdhsa_user_sgpr_private_segment_size 0
		.amdhsa_uses_dynamic_stack 0
		.amdhsa_enable_private_segment 0
		.amdhsa_system_sgpr_workgroup_id_x 1
		.amdhsa_system_sgpr_workgroup_id_y 0
		.amdhsa_system_sgpr_workgroup_id_z 0
		.amdhsa_system_sgpr_workgroup_info 0
		.amdhsa_system_vgpr_workitem_id 0
		.amdhsa_next_free_vgpr 1
		.amdhsa_next_free_sgpr 0
		.amdhsa_accum_offset 4
		.amdhsa_reserve_vcc 0
		.amdhsa_float_round_mode_32 0
		.amdhsa_float_round_mode_16_64 0
		.amdhsa_float_denorm_mode_32 3
		.amdhsa_float_denorm_mode_16_64 3
		.amdhsa_dx10_clamp 1
		.amdhsa_ieee_mode 1
		.amdhsa_fp16_overflow 0
		.amdhsa_tg_split 0
		.amdhsa_exception_fp_ieee_invalid_op 0
		.amdhsa_exception_fp_denorm_src 0
		.amdhsa_exception_fp_ieee_div_zero 0
		.amdhsa_exception_fp_ieee_overflow 0
		.amdhsa_exception_fp_ieee_underflow 0
		.amdhsa_exception_fp_ieee_inexact 0
		.amdhsa_exception_int_div_zero 0
	.end_amdhsa_kernel
	.section	.text._ZN7rocprim17ROCPRIM_400000_NS6detail17trampoline_kernelINS0_14default_configENS1_33run_length_encode_config_selectorIjjNS0_4plusIjEEEEZZNS1_33reduce_by_key_impl_wrapped_configILNS1_25lookback_scan_determinismE0ES3_S7_PKjNS0_17constant_iteratorIjlEEPjPlSF_S6_NS0_8equal_toIjEEEE10hipError_tPvRmT2_T3_mT4_T5_T6_T7_T8_P12ihipStream_tbENKUlT_T0_E_clISt17integral_constantIbLb1EESY_IbLb0EEEEDaSU_SV_EUlSU_E_NS1_11comp_targetILNS1_3genE10ELNS1_11target_archE1200ELNS1_3gpuE4ELNS1_3repE0EEENS1_30default_config_static_selectorELNS0_4arch9wavefront6targetE1EEEvT1_,"axG",@progbits,_ZN7rocprim17ROCPRIM_400000_NS6detail17trampoline_kernelINS0_14default_configENS1_33run_length_encode_config_selectorIjjNS0_4plusIjEEEEZZNS1_33reduce_by_key_impl_wrapped_configILNS1_25lookback_scan_determinismE0ES3_S7_PKjNS0_17constant_iteratorIjlEEPjPlSF_S6_NS0_8equal_toIjEEEE10hipError_tPvRmT2_T3_mT4_T5_T6_T7_T8_P12ihipStream_tbENKUlT_T0_E_clISt17integral_constantIbLb1EESY_IbLb0EEEEDaSU_SV_EUlSU_E_NS1_11comp_targetILNS1_3genE10ELNS1_11target_archE1200ELNS1_3gpuE4ELNS1_3repE0EEENS1_30default_config_static_selectorELNS0_4arch9wavefront6targetE1EEEvT1_,comdat
.Lfunc_end673:
	.size	_ZN7rocprim17ROCPRIM_400000_NS6detail17trampoline_kernelINS0_14default_configENS1_33run_length_encode_config_selectorIjjNS0_4plusIjEEEEZZNS1_33reduce_by_key_impl_wrapped_configILNS1_25lookback_scan_determinismE0ES3_S7_PKjNS0_17constant_iteratorIjlEEPjPlSF_S6_NS0_8equal_toIjEEEE10hipError_tPvRmT2_T3_mT4_T5_T6_T7_T8_P12ihipStream_tbENKUlT_T0_E_clISt17integral_constantIbLb1EESY_IbLb0EEEEDaSU_SV_EUlSU_E_NS1_11comp_targetILNS1_3genE10ELNS1_11target_archE1200ELNS1_3gpuE4ELNS1_3repE0EEENS1_30default_config_static_selectorELNS0_4arch9wavefront6targetE1EEEvT1_, .Lfunc_end673-_ZN7rocprim17ROCPRIM_400000_NS6detail17trampoline_kernelINS0_14default_configENS1_33run_length_encode_config_selectorIjjNS0_4plusIjEEEEZZNS1_33reduce_by_key_impl_wrapped_configILNS1_25lookback_scan_determinismE0ES3_S7_PKjNS0_17constant_iteratorIjlEEPjPlSF_S6_NS0_8equal_toIjEEEE10hipError_tPvRmT2_T3_mT4_T5_T6_T7_T8_P12ihipStream_tbENKUlT_T0_E_clISt17integral_constantIbLb1EESY_IbLb0EEEEDaSU_SV_EUlSU_E_NS1_11comp_targetILNS1_3genE10ELNS1_11target_archE1200ELNS1_3gpuE4ELNS1_3repE0EEENS1_30default_config_static_selectorELNS0_4arch9wavefront6targetE1EEEvT1_
                                        ; -- End function
	.section	.AMDGPU.csdata,"",@progbits
; Kernel info:
; codeLenInByte = 0
; NumSgprs: 6
; NumVgprs: 0
; NumAgprs: 0
; TotalNumVgprs: 0
; ScratchSize: 0
; MemoryBound: 0
; FloatMode: 240
; IeeeMode: 1
; LDSByteSize: 0 bytes/workgroup (compile time only)
; SGPRBlocks: 0
; VGPRBlocks: 0
; NumSGPRsForWavesPerEU: 6
; NumVGPRsForWavesPerEU: 1
; AccumOffset: 4
; Occupancy: 8
; WaveLimiterHint : 0
; COMPUTE_PGM_RSRC2:SCRATCH_EN: 0
; COMPUTE_PGM_RSRC2:USER_SGPR: 2
; COMPUTE_PGM_RSRC2:TRAP_HANDLER: 0
; COMPUTE_PGM_RSRC2:TGID_X_EN: 1
; COMPUTE_PGM_RSRC2:TGID_Y_EN: 0
; COMPUTE_PGM_RSRC2:TGID_Z_EN: 0
; COMPUTE_PGM_RSRC2:TIDIG_COMP_CNT: 0
; COMPUTE_PGM_RSRC3_GFX90A:ACCUM_OFFSET: 0
; COMPUTE_PGM_RSRC3_GFX90A:TG_SPLIT: 0
	.section	.text._ZN7rocprim17ROCPRIM_400000_NS6detail17trampoline_kernelINS0_14default_configENS1_33run_length_encode_config_selectorIjjNS0_4plusIjEEEEZZNS1_33reduce_by_key_impl_wrapped_configILNS1_25lookback_scan_determinismE0ES3_S7_PKjNS0_17constant_iteratorIjlEEPjPlSF_S6_NS0_8equal_toIjEEEE10hipError_tPvRmT2_T3_mT4_T5_T6_T7_T8_P12ihipStream_tbENKUlT_T0_E_clISt17integral_constantIbLb1EESY_IbLb0EEEEDaSU_SV_EUlSU_E_NS1_11comp_targetILNS1_3genE9ELNS1_11target_archE1100ELNS1_3gpuE3ELNS1_3repE0EEENS1_30default_config_static_selectorELNS0_4arch9wavefront6targetE1EEEvT1_,"axG",@progbits,_ZN7rocprim17ROCPRIM_400000_NS6detail17trampoline_kernelINS0_14default_configENS1_33run_length_encode_config_selectorIjjNS0_4plusIjEEEEZZNS1_33reduce_by_key_impl_wrapped_configILNS1_25lookback_scan_determinismE0ES3_S7_PKjNS0_17constant_iteratorIjlEEPjPlSF_S6_NS0_8equal_toIjEEEE10hipError_tPvRmT2_T3_mT4_T5_T6_T7_T8_P12ihipStream_tbENKUlT_T0_E_clISt17integral_constantIbLb1EESY_IbLb0EEEEDaSU_SV_EUlSU_E_NS1_11comp_targetILNS1_3genE9ELNS1_11target_archE1100ELNS1_3gpuE3ELNS1_3repE0EEENS1_30default_config_static_selectorELNS0_4arch9wavefront6targetE1EEEvT1_,comdat
	.protected	_ZN7rocprim17ROCPRIM_400000_NS6detail17trampoline_kernelINS0_14default_configENS1_33run_length_encode_config_selectorIjjNS0_4plusIjEEEEZZNS1_33reduce_by_key_impl_wrapped_configILNS1_25lookback_scan_determinismE0ES3_S7_PKjNS0_17constant_iteratorIjlEEPjPlSF_S6_NS0_8equal_toIjEEEE10hipError_tPvRmT2_T3_mT4_T5_T6_T7_T8_P12ihipStream_tbENKUlT_T0_E_clISt17integral_constantIbLb1EESY_IbLb0EEEEDaSU_SV_EUlSU_E_NS1_11comp_targetILNS1_3genE9ELNS1_11target_archE1100ELNS1_3gpuE3ELNS1_3repE0EEENS1_30default_config_static_selectorELNS0_4arch9wavefront6targetE1EEEvT1_ ; -- Begin function _ZN7rocprim17ROCPRIM_400000_NS6detail17trampoline_kernelINS0_14default_configENS1_33run_length_encode_config_selectorIjjNS0_4plusIjEEEEZZNS1_33reduce_by_key_impl_wrapped_configILNS1_25lookback_scan_determinismE0ES3_S7_PKjNS0_17constant_iteratorIjlEEPjPlSF_S6_NS0_8equal_toIjEEEE10hipError_tPvRmT2_T3_mT4_T5_T6_T7_T8_P12ihipStream_tbENKUlT_T0_E_clISt17integral_constantIbLb1EESY_IbLb0EEEEDaSU_SV_EUlSU_E_NS1_11comp_targetILNS1_3genE9ELNS1_11target_archE1100ELNS1_3gpuE3ELNS1_3repE0EEENS1_30default_config_static_selectorELNS0_4arch9wavefront6targetE1EEEvT1_
	.globl	_ZN7rocprim17ROCPRIM_400000_NS6detail17trampoline_kernelINS0_14default_configENS1_33run_length_encode_config_selectorIjjNS0_4plusIjEEEEZZNS1_33reduce_by_key_impl_wrapped_configILNS1_25lookback_scan_determinismE0ES3_S7_PKjNS0_17constant_iteratorIjlEEPjPlSF_S6_NS0_8equal_toIjEEEE10hipError_tPvRmT2_T3_mT4_T5_T6_T7_T8_P12ihipStream_tbENKUlT_T0_E_clISt17integral_constantIbLb1EESY_IbLb0EEEEDaSU_SV_EUlSU_E_NS1_11comp_targetILNS1_3genE9ELNS1_11target_archE1100ELNS1_3gpuE3ELNS1_3repE0EEENS1_30default_config_static_selectorELNS0_4arch9wavefront6targetE1EEEvT1_
	.p2align	8
	.type	_ZN7rocprim17ROCPRIM_400000_NS6detail17trampoline_kernelINS0_14default_configENS1_33run_length_encode_config_selectorIjjNS0_4plusIjEEEEZZNS1_33reduce_by_key_impl_wrapped_configILNS1_25lookback_scan_determinismE0ES3_S7_PKjNS0_17constant_iteratorIjlEEPjPlSF_S6_NS0_8equal_toIjEEEE10hipError_tPvRmT2_T3_mT4_T5_T6_T7_T8_P12ihipStream_tbENKUlT_T0_E_clISt17integral_constantIbLb1EESY_IbLb0EEEEDaSU_SV_EUlSU_E_NS1_11comp_targetILNS1_3genE9ELNS1_11target_archE1100ELNS1_3gpuE3ELNS1_3repE0EEENS1_30default_config_static_selectorELNS0_4arch9wavefront6targetE1EEEvT1_,@function
_ZN7rocprim17ROCPRIM_400000_NS6detail17trampoline_kernelINS0_14default_configENS1_33run_length_encode_config_selectorIjjNS0_4plusIjEEEEZZNS1_33reduce_by_key_impl_wrapped_configILNS1_25lookback_scan_determinismE0ES3_S7_PKjNS0_17constant_iteratorIjlEEPjPlSF_S6_NS0_8equal_toIjEEEE10hipError_tPvRmT2_T3_mT4_T5_T6_T7_T8_P12ihipStream_tbENKUlT_T0_E_clISt17integral_constantIbLb1EESY_IbLb0EEEEDaSU_SV_EUlSU_E_NS1_11comp_targetILNS1_3genE9ELNS1_11target_archE1100ELNS1_3gpuE3ELNS1_3repE0EEENS1_30default_config_static_selectorELNS0_4arch9wavefront6targetE1EEEvT1_: ; @_ZN7rocprim17ROCPRIM_400000_NS6detail17trampoline_kernelINS0_14default_configENS1_33run_length_encode_config_selectorIjjNS0_4plusIjEEEEZZNS1_33reduce_by_key_impl_wrapped_configILNS1_25lookback_scan_determinismE0ES3_S7_PKjNS0_17constant_iteratorIjlEEPjPlSF_S6_NS0_8equal_toIjEEEE10hipError_tPvRmT2_T3_mT4_T5_T6_T7_T8_P12ihipStream_tbENKUlT_T0_E_clISt17integral_constantIbLb1EESY_IbLb0EEEEDaSU_SV_EUlSU_E_NS1_11comp_targetILNS1_3genE9ELNS1_11target_archE1100ELNS1_3gpuE3ELNS1_3repE0EEENS1_30default_config_static_selectorELNS0_4arch9wavefront6targetE1EEEvT1_
; %bb.0:
	.section	.rodata,"a",@progbits
	.p2align	6, 0x0
	.amdhsa_kernel _ZN7rocprim17ROCPRIM_400000_NS6detail17trampoline_kernelINS0_14default_configENS1_33run_length_encode_config_selectorIjjNS0_4plusIjEEEEZZNS1_33reduce_by_key_impl_wrapped_configILNS1_25lookback_scan_determinismE0ES3_S7_PKjNS0_17constant_iteratorIjlEEPjPlSF_S6_NS0_8equal_toIjEEEE10hipError_tPvRmT2_T3_mT4_T5_T6_T7_T8_P12ihipStream_tbENKUlT_T0_E_clISt17integral_constantIbLb1EESY_IbLb0EEEEDaSU_SV_EUlSU_E_NS1_11comp_targetILNS1_3genE9ELNS1_11target_archE1100ELNS1_3gpuE3ELNS1_3repE0EEENS1_30default_config_static_selectorELNS0_4arch9wavefront6targetE1EEEvT1_
		.amdhsa_group_segment_fixed_size 0
		.amdhsa_private_segment_fixed_size 0
		.amdhsa_kernarg_size 128
		.amdhsa_user_sgpr_count 2
		.amdhsa_user_sgpr_dispatch_ptr 0
		.amdhsa_user_sgpr_queue_ptr 0
		.amdhsa_user_sgpr_kernarg_segment_ptr 1
		.amdhsa_user_sgpr_dispatch_id 0
		.amdhsa_user_sgpr_kernarg_preload_length 0
		.amdhsa_user_sgpr_kernarg_preload_offset 0
		.amdhsa_user_sgpr_private_segment_size 0
		.amdhsa_uses_dynamic_stack 0
		.amdhsa_enable_private_segment 0
		.amdhsa_system_sgpr_workgroup_id_x 1
		.amdhsa_system_sgpr_workgroup_id_y 0
		.amdhsa_system_sgpr_workgroup_id_z 0
		.amdhsa_system_sgpr_workgroup_info 0
		.amdhsa_system_vgpr_workitem_id 0
		.amdhsa_next_free_vgpr 1
		.amdhsa_next_free_sgpr 0
		.amdhsa_accum_offset 4
		.amdhsa_reserve_vcc 0
		.amdhsa_float_round_mode_32 0
		.amdhsa_float_round_mode_16_64 0
		.amdhsa_float_denorm_mode_32 3
		.amdhsa_float_denorm_mode_16_64 3
		.amdhsa_dx10_clamp 1
		.amdhsa_ieee_mode 1
		.amdhsa_fp16_overflow 0
		.amdhsa_tg_split 0
		.amdhsa_exception_fp_ieee_invalid_op 0
		.amdhsa_exception_fp_denorm_src 0
		.amdhsa_exception_fp_ieee_div_zero 0
		.amdhsa_exception_fp_ieee_overflow 0
		.amdhsa_exception_fp_ieee_underflow 0
		.amdhsa_exception_fp_ieee_inexact 0
		.amdhsa_exception_int_div_zero 0
	.end_amdhsa_kernel
	.section	.text._ZN7rocprim17ROCPRIM_400000_NS6detail17trampoline_kernelINS0_14default_configENS1_33run_length_encode_config_selectorIjjNS0_4plusIjEEEEZZNS1_33reduce_by_key_impl_wrapped_configILNS1_25lookback_scan_determinismE0ES3_S7_PKjNS0_17constant_iteratorIjlEEPjPlSF_S6_NS0_8equal_toIjEEEE10hipError_tPvRmT2_T3_mT4_T5_T6_T7_T8_P12ihipStream_tbENKUlT_T0_E_clISt17integral_constantIbLb1EESY_IbLb0EEEEDaSU_SV_EUlSU_E_NS1_11comp_targetILNS1_3genE9ELNS1_11target_archE1100ELNS1_3gpuE3ELNS1_3repE0EEENS1_30default_config_static_selectorELNS0_4arch9wavefront6targetE1EEEvT1_,"axG",@progbits,_ZN7rocprim17ROCPRIM_400000_NS6detail17trampoline_kernelINS0_14default_configENS1_33run_length_encode_config_selectorIjjNS0_4plusIjEEEEZZNS1_33reduce_by_key_impl_wrapped_configILNS1_25lookback_scan_determinismE0ES3_S7_PKjNS0_17constant_iteratorIjlEEPjPlSF_S6_NS0_8equal_toIjEEEE10hipError_tPvRmT2_T3_mT4_T5_T6_T7_T8_P12ihipStream_tbENKUlT_T0_E_clISt17integral_constantIbLb1EESY_IbLb0EEEEDaSU_SV_EUlSU_E_NS1_11comp_targetILNS1_3genE9ELNS1_11target_archE1100ELNS1_3gpuE3ELNS1_3repE0EEENS1_30default_config_static_selectorELNS0_4arch9wavefront6targetE1EEEvT1_,comdat
.Lfunc_end674:
	.size	_ZN7rocprim17ROCPRIM_400000_NS6detail17trampoline_kernelINS0_14default_configENS1_33run_length_encode_config_selectorIjjNS0_4plusIjEEEEZZNS1_33reduce_by_key_impl_wrapped_configILNS1_25lookback_scan_determinismE0ES3_S7_PKjNS0_17constant_iteratorIjlEEPjPlSF_S6_NS0_8equal_toIjEEEE10hipError_tPvRmT2_T3_mT4_T5_T6_T7_T8_P12ihipStream_tbENKUlT_T0_E_clISt17integral_constantIbLb1EESY_IbLb0EEEEDaSU_SV_EUlSU_E_NS1_11comp_targetILNS1_3genE9ELNS1_11target_archE1100ELNS1_3gpuE3ELNS1_3repE0EEENS1_30default_config_static_selectorELNS0_4arch9wavefront6targetE1EEEvT1_, .Lfunc_end674-_ZN7rocprim17ROCPRIM_400000_NS6detail17trampoline_kernelINS0_14default_configENS1_33run_length_encode_config_selectorIjjNS0_4plusIjEEEEZZNS1_33reduce_by_key_impl_wrapped_configILNS1_25lookback_scan_determinismE0ES3_S7_PKjNS0_17constant_iteratorIjlEEPjPlSF_S6_NS0_8equal_toIjEEEE10hipError_tPvRmT2_T3_mT4_T5_T6_T7_T8_P12ihipStream_tbENKUlT_T0_E_clISt17integral_constantIbLb1EESY_IbLb0EEEEDaSU_SV_EUlSU_E_NS1_11comp_targetILNS1_3genE9ELNS1_11target_archE1100ELNS1_3gpuE3ELNS1_3repE0EEENS1_30default_config_static_selectorELNS0_4arch9wavefront6targetE1EEEvT1_
                                        ; -- End function
	.section	.AMDGPU.csdata,"",@progbits
; Kernel info:
; codeLenInByte = 0
; NumSgprs: 6
; NumVgprs: 0
; NumAgprs: 0
; TotalNumVgprs: 0
; ScratchSize: 0
; MemoryBound: 0
; FloatMode: 240
; IeeeMode: 1
; LDSByteSize: 0 bytes/workgroup (compile time only)
; SGPRBlocks: 0
; VGPRBlocks: 0
; NumSGPRsForWavesPerEU: 6
; NumVGPRsForWavesPerEU: 1
; AccumOffset: 4
; Occupancy: 8
; WaveLimiterHint : 0
; COMPUTE_PGM_RSRC2:SCRATCH_EN: 0
; COMPUTE_PGM_RSRC2:USER_SGPR: 2
; COMPUTE_PGM_RSRC2:TRAP_HANDLER: 0
; COMPUTE_PGM_RSRC2:TGID_X_EN: 1
; COMPUTE_PGM_RSRC2:TGID_Y_EN: 0
; COMPUTE_PGM_RSRC2:TGID_Z_EN: 0
; COMPUTE_PGM_RSRC2:TIDIG_COMP_CNT: 0
; COMPUTE_PGM_RSRC3_GFX90A:ACCUM_OFFSET: 0
; COMPUTE_PGM_RSRC3_GFX90A:TG_SPLIT: 0
	.section	.text._ZN7rocprim17ROCPRIM_400000_NS6detail17trampoline_kernelINS0_14default_configENS1_33run_length_encode_config_selectorIjjNS0_4plusIjEEEEZZNS1_33reduce_by_key_impl_wrapped_configILNS1_25lookback_scan_determinismE0ES3_S7_PKjNS0_17constant_iteratorIjlEEPjPlSF_S6_NS0_8equal_toIjEEEE10hipError_tPvRmT2_T3_mT4_T5_T6_T7_T8_P12ihipStream_tbENKUlT_T0_E_clISt17integral_constantIbLb1EESY_IbLb0EEEEDaSU_SV_EUlSU_E_NS1_11comp_targetILNS1_3genE8ELNS1_11target_archE1030ELNS1_3gpuE2ELNS1_3repE0EEENS1_30default_config_static_selectorELNS0_4arch9wavefront6targetE1EEEvT1_,"axG",@progbits,_ZN7rocprim17ROCPRIM_400000_NS6detail17trampoline_kernelINS0_14default_configENS1_33run_length_encode_config_selectorIjjNS0_4plusIjEEEEZZNS1_33reduce_by_key_impl_wrapped_configILNS1_25lookback_scan_determinismE0ES3_S7_PKjNS0_17constant_iteratorIjlEEPjPlSF_S6_NS0_8equal_toIjEEEE10hipError_tPvRmT2_T3_mT4_T5_T6_T7_T8_P12ihipStream_tbENKUlT_T0_E_clISt17integral_constantIbLb1EESY_IbLb0EEEEDaSU_SV_EUlSU_E_NS1_11comp_targetILNS1_3genE8ELNS1_11target_archE1030ELNS1_3gpuE2ELNS1_3repE0EEENS1_30default_config_static_selectorELNS0_4arch9wavefront6targetE1EEEvT1_,comdat
	.protected	_ZN7rocprim17ROCPRIM_400000_NS6detail17trampoline_kernelINS0_14default_configENS1_33run_length_encode_config_selectorIjjNS0_4plusIjEEEEZZNS1_33reduce_by_key_impl_wrapped_configILNS1_25lookback_scan_determinismE0ES3_S7_PKjNS0_17constant_iteratorIjlEEPjPlSF_S6_NS0_8equal_toIjEEEE10hipError_tPvRmT2_T3_mT4_T5_T6_T7_T8_P12ihipStream_tbENKUlT_T0_E_clISt17integral_constantIbLb1EESY_IbLb0EEEEDaSU_SV_EUlSU_E_NS1_11comp_targetILNS1_3genE8ELNS1_11target_archE1030ELNS1_3gpuE2ELNS1_3repE0EEENS1_30default_config_static_selectorELNS0_4arch9wavefront6targetE1EEEvT1_ ; -- Begin function _ZN7rocprim17ROCPRIM_400000_NS6detail17trampoline_kernelINS0_14default_configENS1_33run_length_encode_config_selectorIjjNS0_4plusIjEEEEZZNS1_33reduce_by_key_impl_wrapped_configILNS1_25lookback_scan_determinismE0ES3_S7_PKjNS0_17constant_iteratorIjlEEPjPlSF_S6_NS0_8equal_toIjEEEE10hipError_tPvRmT2_T3_mT4_T5_T6_T7_T8_P12ihipStream_tbENKUlT_T0_E_clISt17integral_constantIbLb1EESY_IbLb0EEEEDaSU_SV_EUlSU_E_NS1_11comp_targetILNS1_3genE8ELNS1_11target_archE1030ELNS1_3gpuE2ELNS1_3repE0EEENS1_30default_config_static_selectorELNS0_4arch9wavefront6targetE1EEEvT1_
	.globl	_ZN7rocprim17ROCPRIM_400000_NS6detail17trampoline_kernelINS0_14default_configENS1_33run_length_encode_config_selectorIjjNS0_4plusIjEEEEZZNS1_33reduce_by_key_impl_wrapped_configILNS1_25lookback_scan_determinismE0ES3_S7_PKjNS0_17constant_iteratorIjlEEPjPlSF_S6_NS0_8equal_toIjEEEE10hipError_tPvRmT2_T3_mT4_T5_T6_T7_T8_P12ihipStream_tbENKUlT_T0_E_clISt17integral_constantIbLb1EESY_IbLb0EEEEDaSU_SV_EUlSU_E_NS1_11comp_targetILNS1_3genE8ELNS1_11target_archE1030ELNS1_3gpuE2ELNS1_3repE0EEENS1_30default_config_static_selectorELNS0_4arch9wavefront6targetE1EEEvT1_
	.p2align	8
	.type	_ZN7rocprim17ROCPRIM_400000_NS6detail17trampoline_kernelINS0_14default_configENS1_33run_length_encode_config_selectorIjjNS0_4plusIjEEEEZZNS1_33reduce_by_key_impl_wrapped_configILNS1_25lookback_scan_determinismE0ES3_S7_PKjNS0_17constant_iteratorIjlEEPjPlSF_S6_NS0_8equal_toIjEEEE10hipError_tPvRmT2_T3_mT4_T5_T6_T7_T8_P12ihipStream_tbENKUlT_T0_E_clISt17integral_constantIbLb1EESY_IbLb0EEEEDaSU_SV_EUlSU_E_NS1_11comp_targetILNS1_3genE8ELNS1_11target_archE1030ELNS1_3gpuE2ELNS1_3repE0EEENS1_30default_config_static_selectorELNS0_4arch9wavefront6targetE1EEEvT1_,@function
_ZN7rocprim17ROCPRIM_400000_NS6detail17trampoline_kernelINS0_14default_configENS1_33run_length_encode_config_selectorIjjNS0_4plusIjEEEEZZNS1_33reduce_by_key_impl_wrapped_configILNS1_25lookback_scan_determinismE0ES3_S7_PKjNS0_17constant_iteratorIjlEEPjPlSF_S6_NS0_8equal_toIjEEEE10hipError_tPvRmT2_T3_mT4_T5_T6_T7_T8_P12ihipStream_tbENKUlT_T0_E_clISt17integral_constantIbLb1EESY_IbLb0EEEEDaSU_SV_EUlSU_E_NS1_11comp_targetILNS1_3genE8ELNS1_11target_archE1030ELNS1_3gpuE2ELNS1_3repE0EEENS1_30default_config_static_selectorELNS0_4arch9wavefront6targetE1EEEvT1_: ; @_ZN7rocprim17ROCPRIM_400000_NS6detail17trampoline_kernelINS0_14default_configENS1_33run_length_encode_config_selectorIjjNS0_4plusIjEEEEZZNS1_33reduce_by_key_impl_wrapped_configILNS1_25lookback_scan_determinismE0ES3_S7_PKjNS0_17constant_iteratorIjlEEPjPlSF_S6_NS0_8equal_toIjEEEE10hipError_tPvRmT2_T3_mT4_T5_T6_T7_T8_P12ihipStream_tbENKUlT_T0_E_clISt17integral_constantIbLb1EESY_IbLb0EEEEDaSU_SV_EUlSU_E_NS1_11comp_targetILNS1_3genE8ELNS1_11target_archE1030ELNS1_3gpuE2ELNS1_3repE0EEENS1_30default_config_static_selectorELNS0_4arch9wavefront6targetE1EEEvT1_
; %bb.0:
	.section	.rodata,"a",@progbits
	.p2align	6, 0x0
	.amdhsa_kernel _ZN7rocprim17ROCPRIM_400000_NS6detail17trampoline_kernelINS0_14default_configENS1_33run_length_encode_config_selectorIjjNS0_4plusIjEEEEZZNS1_33reduce_by_key_impl_wrapped_configILNS1_25lookback_scan_determinismE0ES3_S7_PKjNS0_17constant_iteratorIjlEEPjPlSF_S6_NS0_8equal_toIjEEEE10hipError_tPvRmT2_T3_mT4_T5_T6_T7_T8_P12ihipStream_tbENKUlT_T0_E_clISt17integral_constantIbLb1EESY_IbLb0EEEEDaSU_SV_EUlSU_E_NS1_11comp_targetILNS1_3genE8ELNS1_11target_archE1030ELNS1_3gpuE2ELNS1_3repE0EEENS1_30default_config_static_selectorELNS0_4arch9wavefront6targetE1EEEvT1_
		.amdhsa_group_segment_fixed_size 0
		.amdhsa_private_segment_fixed_size 0
		.amdhsa_kernarg_size 128
		.amdhsa_user_sgpr_count 2
		.amdhsa_user_sgpr_dispatch_ptr 0
		.amdhsa_user_sgpr_queue_ptr 0
		.amdhsa_user_sgpr_kernarg_segment_ptr 1
		.amdhsa_user_sgpr_dispatch_id 0
		.amdhsa_user_sgpr_kernarg_preload_length 0
		.amdhsa_user_sgpr_kernarg_preload_offset 0
		.amdhsa_user_sgpr_private_segment_size 0
		.amdhsa_uses_dynamic_stack 0
		.amdhsa_enable_private_segment 0
		.amdhsa_system_sgpr_workgroup_id_x 1
		.amdhsa_system_sgpr_workgroup_id_y 0
		.amdhsa_system_sgpr_workgroup_id_z 0
		.amdhsa_system_sgpr_workgroup_info 0
		.amdhsa_system_vgpr_workitem_id 0
		.amdhsa_next_free_vgpr 1
		.amdhsa_next_free_sgpr 0
		.amdhsa_accum_offset 4
		.amdhsa_reserve_vcc 0
		.amdhsa_float_round_mode_32 0
		.amdhsa_float_round_mode_16_64 0
		.amdhsa_float_denorm_mode_32 3
		.amdhsa_float_denorm_mode_16_64 3
		.amdhsa_dx10_clamp 1
		.amdhsa_ieee_mode 1
		.amdhsa_fp16_overflow 0
		.amdhsa_tg_split 0
		.amdhsa_exception_fp_ieee_invalid_op 0
		.amdhsa_exception_fp_denorm_src 0
		.amdhsa_exception_fp_ieee_div_zero 0
		.amdhsa_exception_fp_ieee_overflow 0
		.amdhsa_exception_fp_ieee_underflow 0
		.amdhsa_exception_fp_ieee_inexact 0
		.amdhsa_exception_int_div_zero 0
	.end_amdhsa_kernel
	.section	.text._ZN7rocprim17ROCPRIM_400000_NS6detail17trampoline_kernelINS0_14default_configENS1_33run_length_encode_config_selectorIjjNS0_4plusIjEEEEZZNS1_33reduce_by_key_impl_wrapped_configILNS1_25lookback_scan_determinismE0ES3_S7_PKjNS0_17constant_iteratorIjlEEPjPlSF_S6_NS0_8equal_toIjEEEE10hipError_tPvRmT2_T3_mT4_T5_T6_T7_T8_P12ihipStream_tbENKUlT_T0_E_clISt17integral_constantIbLb1EESY_IbLb0EEEEDaSU_SV_EUlSU_E_NS1_11comp_targetILNS1_3genE8ELNS1_11target_archE1030ELNS1_3gpuE2ELNS1_3repE0EEENS1_30default_config_static_selectorELNS0_4arch9wavefront6targetE1EEEvT1_,"axG",@progbits,_ZN7rocprim17ROCPRIM_400000_NS6detail17trampoline_kernelINS0_14default_configENS1_33run_length_encode_config_selectorIjjNS0_4plusIjEEEEZZNS1_33reduce_by_key_impl_wrapped_configILNS1_25lookback_scan_determinismE0ES3_S7_PKjNS0_17constant_iteratorIjlEEPjPlSF_S6_NS0_8equal_toIjEEEE10hipError_tPvRmT2_T3_mT4_T5_T6_T7_T8_P12ihipStream_tbENKUlT_T0_E_clISt17integral_constantIbLb1EESY_IbLb0EEEEDaSU_SV_EUlSU_E_NS1_11comp_targetILNS1_3genE8ELNS1_11target_archE1030ELNS1_3gpuE2ELNS1_3repE0EEENS1_30default_config_static_selectorELNS0_4arch9wavefront6targetE1EEEvT1_,comdat
.Lfunc_end675:
	.size	_ZN7rocprim17ROCPRIM_400000_NS6detail17trampoline_kernelINS0_14default_configENS1_33run_length_encode_config_selectorIjjNS0_4plusIjEEEEZZNS1_33reduce_by_key_impl_wrapped_configILNS1_25lookback_scan_determinismE0ES3_S7_PKjNS0_17constant_iteratorIjlEEPjPlSF_S6_NS0_8equal_toIjEEEE10hipError_tPvRmT2_T3_mT4_T5_T6_T7_T8_P12ihipStream_tbENKUlT_T0_E_clISt17integral_constantIbLb1EESY_IbLb0EEEEDaSU_SV_EUlSU_E_NS1_11comp_targetILNS1_3genE8ELNS1_11target_archE1030ELNS1_3gpuE2ELNS1_3repE0EEENS1_30default_config_static_selectorELNS0_4arch9wavefront6targetE1EEEvT1_, .Lfunc_end675-_ZN7rocprim17ROCPRIM_400000_NS6detail17trampoline_kernelINS0_14default_configENS1_33run_length_encode_config_selectorIjjNS0_4plusIjEEEEZZNS1_33reduce_by_key_impl_wrapped_configILNS1_25lookback_scan_determinismE0ES3_S7_PKjNS0_17constant_iteratorIjlEEPjPlSF_S6_NS0_8equal_toIjEEEE10hipError_tPvRmT2_T3_mT4_T5_T6_T7_T8_P12ihipStream_tbENKUlT_T0_E_clISt17integral_constantIbLb1EESY_IbLb0EEEEDaSU_SV_EUlSU_E_NS1_11comp_targetILNS1_3genE8ELNS1_11target_archE1030ELNS1_3gpuE2ELNS1_3repE0EEENS1_30default_config_static_selectorELNS0_4arch9wavefront6targetE1EEEvT1_
                                        ; -- End function
	.section	.AMDGPU.csdata,"",@progbits
; Kernel info:
; codeLenInByte = 0
; NumSgprs: 6
; NumVgprs: 0
; NumAgprs: 0
; TotalNumVgprs: 0
; ScratchSize: 0
; MemoryBound: 0
; FloatMode: 240
; IeeeMode: 1
; LDSByteSize: 0 bytes/workgroup (compile time only)
; SGPRBlocks: 0
; VGPRBlocks: 0
; NumSGPRsForWavesPerEU: 6
; NumVGPRsForWavesPerEU: 1
; AccumOffset: 4
; Occupancy: 8
; WaveLimiterHint : 0
; COMPUTE_PGM_RSRC2:SCRATCH_EN: 0
; COMPUTE_PGM_RSRC2:USER_SGPR: 2
; COMPUTE_PGM_RSRC2:TRAP_HANDLER: 0
; COMPUTE_PGM_RSRC2:TGID_X_EN: 1
; COMPUTE_PGM_RSRC2:TGID_Y_EN: 0
; COMPUTE_PGM_RSRC2:TGID_Z_EN: 0
; COMPUTE_PGM_RSRC2:TIDIG_COMP_CNT: 0
; COMPUTE_PGM_RSRC3_GFX90A:ACCUM_OFFSET: 0
; COMPUTE_PGM_RSRC3_GFX90A:TG_SPLIT: 0
	.section	.text._ZN7rocprim17ROCPRIM_400000_NS6detail17trampoline_kernelINS0_14default_configENS1_33run_length_encode_config_selectorIjjNS0_4plusIjEEEEZZNS1_33reduce_by_key_impl_wrapped_configILNS1_25lookback_scan_determinismE0ES3_S7_PKjNS0_17constant_iteratorIjlEEPjPlSF_S6_NS0_8equal_toIjEEEE10hipError_tPvRmT2_T3_mT4_T5_T6_T7_T8_P12ihipStream_tbENKUlT_T0_E_clISt17integral_constantIbLb0EESY_IbLb1EEEEDaSU_SV_EUlSU_E_NS1_11comp_targetILNS1_3genE0ELNS1_11target_archE4294967295ELNS1_3gpuE0ELNS1_3repE0EEENS1_30default_config_static_selectorELNS0_4arch9wavefront6targetE1EEEvT1_,"axG",@progbits,_ZN7rocprim17ROCPRIM_400000_NS6detail17trampoline_kernelINS0_14default_configENS1_33run_length_encode_config_selectorIjjNS0_4plusIjEEEEZZNS1_33reduce_by_key_impl_wrapped_configILNS1_25lookback_scan_determinismE0ES3_S7_PKjNS0_17constant_iteratorIjlEEPjPlSF_S6_NS0_8equal_toIjEEEE10hipError_tPvRmT2_T3_mT4_T5_T6_T7_T8_P12ihipStream_tbENKUlT_T0_E_clISt17integral_constantIbLb0EESY_IbLb1EEEEDaSU_SV_EUlSU_E_NS1_11comp_targetILNS1_3genE0ELNS1_11target_archE4294967295ELNS1_3gpuE0ELNS1_3repE0EEENS1_30default_config_static_selectorELNS0_4arch9wavefront6targetE1EEEvT1_,comdat
	.protected	_ZN7rocprim17ROCPRIM_400000_NS6detail17trampoline_kernelINS0_14default_configENS1_33run_length_encode_config_selectorIjjNS0_4plusIjEEEEZZNS1_33reduce_by_key_impl_wrapped_configILNS1_25lookback_scan_determinismE0ES3_S7_PKjNS0_17constant_iteratorIjlEEPjPlSF_S6_NS0_8equal_toIjEEEE10hipError_tPvRmT2_T3_mT4_T5_T6_T7_T8_P12ihipStream_tbENKUlT_T0_E_clISt17integral_constantIbLb0EESY_IbLb1EEEEDaSU_SV_EUlSU_E_NS1_11comp_targetILNS1_3genE0ELNS1_11target_archE4294967295ELNS1_3gpuE0ELNS1_3repE0EEENS1_30default_config_static_selectorELNS0_4arch9wavefront6targetE1EEEvT1_ ; -- Begin function _ZN7rocprim17ROCPRIM_400000_NS6detail17trampoline_kernelINS0_14default_configENS1_33run_length_encode_config_selectorIjjNS0_4plusIjEEEEZZNS1_33reduce_by_key_impl_wrapped_configILNS1_25lookback_scan_determinismE0ES3_S7_PKjNS0_17constant_iteratorIjlEEPjPlSF_S6_NS0_8equal_toIjEEEE10hipError_tPvRmT2_T3_mT4_T5_T6_T7_T8_P12ihipStream_tbENKUlT_T0_E_clISt17integral_constantIbLb0EESY_IbLb1EEEEDaSU_SV_EUlSU_E_NS1_11comp_targetILNS1_3genE0ELNS1_11target_archE4294967295ELNS1_3gpuE0ELNS1_3repE0EEENS1_30default_config_static_selectorELNS0_4arch9wavefront6targetE1EEEvT1_
	.globl	_ZN7rocprim17ROCPRIM_400000_NS6detail17trampoline_kernelINS0_14default_configENS1_33run_length_encode_config_selectorIjjNS0_4plusIjEEEEZZNS1_33reduce_by_key_impl_wrapped_configILNS1_25lookback_scan_determinismE0ES3_S7_PKjNS0_17constant_iteratorIjlEEPjPlSF_S6_NS0_8equal_toIjEEEE10hipError_tPvRmT2_T3_mT4_T5_T6_T7_T8_P12ihipStream_tbENKUlT_T0_E_clISt17integral_constantIbLb0EESY_IbLb1EEEEDaSU_SV_EUlSU_E_NS1_11comp_targetILNS1_3genE0ELNS1_11target_archE4294967295ELNS1_3gpuE0ELNS1_3repE0EEENS1_30default_config_static_selectorELNS0_4arch9wavefront6targetE1EEEvT1_
	.p2align	8
	.type	_ZN7rocprim17ROCPRIM_400000_NS6detail17trampoline_kernelINS0_14default_configENS1_33run_length_encode_config_selectorIjjNS0_4plusIjEEEEZZNS1_33reduce_by_key_impl_wrapped_configILNS1_25lookback_scan_determinismE0ES3_S7_PKjNS0_17constant_iteratorIjlEEPjPlSF_S6_NS0_8equal_toIjEEEE10hipError_tPvRmT2_T3_mT4_T5_T6_T7_T8_P12ihipStream_tbENKUlT_T0_E_clISt17integral_constantIbLb0EESY_IbLb1EEEEDaSU_SV_EUlSU_E_NS1_11comp_targetILNS1_3genE0ELNS1_11target_archE4294967295ELNS1_3gpuE0ELNS1_3repE0EEENS1_30default_config_static_selectorELNS0_4arch9wavefront6targetE1EEEvT1_,@function
_ZN7rocprim17ROCPRIM_400000_NS6detail17trampoline_kernelINS0_14default_configENS1_33run_length_encode_config_selectorIjjNS0_4plusIjEEEEZZNS1_33reduce_by_key_impl_wrapped_configILNS1_25lookback_scan_determinismE0ES3_S7_PKjNS0_17constant_iteratorIjlEEPjPlSF_S6_NS0_8equal_toIjEEEE10hipError_tPvRmT2_T3_mT4_T5_T6_T7_T8_P12ihipStream_tbENKUlT_T0_E_clISt17integral_constantIbLb0EESY_IbLb1EEEEDaSU_SV_EUlSU_E_NS1_11comp_targetILNS1_3genE0ELNS1_11target_archE4294967295ELNS1_3gpuE0ELNS1_3repE0EEENS1_30default_config_static_selectorELNS0_4arch9wavefront6targetE1EEEvT1_: ; @_ZN7rocprim17ROCPRIM_400000_NS6detail17trampoline_kernelINS0_14default_configENS1_33run_length_encode_config_selectorIjjNS0_4plusIjEEEEZZNS1_33reduce_by_key_impl_wrapped_configILNS1_25lookback_scan_determinismE0ES3_S7_PKjNS0_17constant_iteratorIjlEEPjPlSF_S6_NS0_8equal_toIjEEEE10hipError_tPvRmT2_T3_mT4_T5_T6_T7_T8_P12ihipStream_tbENKUlT_T0_E_clISt17integral_constantIbLb0EESY_IbLb1EEEEDaSU_SV_EUlSU_E_NS1_11comp_targetILNS1_3genE0ELNS1_11target_archE4294967295ELNS1_3gpuE0ELNS1_3repE0EEENS1_30default_config_static_selectorELNS0_4arch9wavefront6targetE1EEEvT1_
; %bb.0:
	.section	.rodata,"a",@progbits
	.p2align	6, 0x0
	.amdhsa_kernel _ZN7rocprim17ROCPRIM_400000_NS6detail17trampoline_kernelINS0_14default_configENS1_33run_length_encode_config_selectorIjjNS0_4plusIjEEEEZZNS1_33reduce_by_key_impl_wrapped_configILNS1_25lookback_scan_determinismE0ES3_S7_PKjNS0_17constant_iteratorIjlEEPjPlSF_S6_NS0_8equal_toIjEEEE10hipError_tPvRmT2_T3_mT4_T5_T6_T7_T8_P12ihipStream_tbENKUlT_T0_E_clISt17integral_constantIbLb0EESY_IbLb1EEEEDaSU_SV_EUlSU_E_NS1_11comp_targetILNS1_3genE0ELNS1_11target_archE4294967295ELNS1_3gpuE0ELNS1_3repE0EEENS1_30default_config_static_selectorELNS0_4arch9wavefront6targetE1EEEvT1_
		.amdhsa_group_segment_fixed_size 0
		.amdhsa_private_segment_fixed_size 0
		.amdhsa_kernarg_size 128
		.amdhsa_user_sgpr_count 2
		.amdhsa_user_sgpr_dispatch_ptr 0
		.amdhsa_user_sgpr_queue_ptr 0
		.amdhsa_user_sgpr_kernarg_segment_ptr 1
		.amdhsa_user_sgpr_dispatch_id 0
		.amdhsa_user_sgpr_kernarg_preload_length 0
		.amdhsa_user_sgpr_kernarg_preload_offset 0
		.amdhsa_user_sgpr_private_segment_size 0
		.amdhsa_uses_dynamic_stack 0
		.amdhsa_enable_private_segment 0
		.amdhsa_system_sgpr_workgroup_id_x 1
		.amdhsa_system_sgpr_workgroup_id_y 0
		.amdhsa_system_sgpr_workgroup_id_z 0
		.amdhsa_system_sgpr_workgroup_info 0
		.amdhsa_system_vgpr_workitem_id 0
		.amdhsa_next_free_vgpr 1
		.amdhsa_next_free_sgpr 0
		.amdhsa_accum_offset 4
		.amdhsa_reserve_vcc 0
		.amdhsa_float_round_mode_32 0
		.amdhsa_float_round_mode_16_64 0
		.amdhsa_float_denorm_mode_32 3
		.amdhsa_float_denorm_mode_16_64 3
		.amdhsa_dx10_clamp 1
		.amdhsa_ieee_mode 1
		.amdhsa_fp16_overflow 0
		.amdhsa_tg_split 0
		.amdhsa_exception_fp_ieee_invalid_op 0
		.amdhsa_exception_fp_denorm_src 0
		.amdhsa_exception_fp_ieee_div_zero 0
		.amdhsa_exception_fp_ieee_overflow 0
		.amdhsa_exception_fp_ieee_underflow 0
		.amdhsa_exception_fp_ieee_inexact 0
		.amdhsa_exception_int_div_zero 0
	.end_amdhsa_kernel
	.section	.text._ZN7rocprim17ROCPRIM_400000_NS6detail17trampoline_kernelINS0_14default_configENS1_33run_length_encode_config_selectorIjjNS0_4plusIjEEEEZZNS1_33reduce_by_key_impl_wrapped_configILNS1_25lookback_scan_determinismE0ES3_S7_PKjNS0_17constant_iteratorIjlEEPjPlSF_S6_NS0_8equal_toIjEEEE10hipError_tPvRmT2_T3_mT4_T5_T6_T7_T8_P12ihipStream_tbENKUlT_T0_E_clISt17integral_constantIbLb0EESY_IbLb1EEEEDaSU_SV_EUlSU_E_NS1_11comp_targetILNS1_3genE0ELNS1_11target_archE4294967295ELNS1_3gpuE0ELNS1_3repE0EEENS1_30default_config_static_selectorELNS0_4arch9wavefront6targetE1EEEvT1_,"axG",@progbits,_ZN7rocprim17ROCPRIM_400000_NS6detail17trampoline_kernelINS0_14default_configENS1_33run_length_encode_config_selectorIjjNS0_4plusIjEEEEZZNS1_33reduce_by_key_impl_wrapped_configILNS1_25lookback_scan_determinismE0ES3_S7_PKjNS0_17constant_iteratorIjlEEPjPlSF_S6_NS0_8equal_toIjEEEE10hipError_tPvRmT2_T3_mT4_T5_T6_T7_T8_P12ihipStream_tbENKUlT_T0_E_clISt17integral_constantIbLb0EESY_IbLb1EEEEDaSU_SV_EUlSU_E_NS1_11comp_targetILNS1_3genE0ELNS1_11target_archE4294967295ELNS1_3gpuE0ELNS1_3repE0EEENS1_30default_config_static_selectorELNS0_4arch9wavefront6targetE1EEEvT1_,comdat
.Lfunc_end676:
	.size	_ZN7rocprim17ROCPRIM_400000_NS6detail17trampoline_kernelINS0_14default_configENS1_33run_length_encode_config_selectorIjjNS0_4plusIjEEEEZZNS1_33reduce_by_key_impl_wrapped_configILNS1_25lookback_scan_determinismE0ES3_S7_PKjNS0_17constant_iteratorIjlEEPjPlSF_S6_NS0_8equal_toIjEEEE10hipError_tPvRmT2_T3_mT4_T5_T6_T7_T8_P12ihipStream_tbENKUlT_T0_E_clISt17integral_constantIbLb0EESY_IbLb1EEEEDaSU_SV_EUlSU_E_NS1_11comp_targetILNS1_3genE0ELNS1_11target_archE4294967295ELNS1_3gpuE0ELNS1_3repE0EEENS1_30default_config_static_selectorELNS0_4arch9wavefront6targetE1EEEvT1_, .Lfunc_end676-_ZN7rocprim17ROCPRIM_400000_NS6detail17trampoline_kernelINS0_14default_configENS1_33run_length_encode_config_selectorIjjNS0_4plusIjEEEEZZNS1_33reduce_by_key_impl_wrapped_configILNS1_25lookback_scan_determinismE0ES3_S7_PKjNS0_17constant_iteratorIjlEEPjPlSF_S6_NS0_8equal_toIjEEEE10hipError_tPvRmT2_T3_mT4_T5_T6_T7_T8_P12ihipStream_tbENKUlT_T0_E_clISt17integral_constantIbLb0EESY_IbLb1EEEEDaSU_SV_EUlSU_E_NS1_11comp_targetILNS1_3genE0ELNS1_11target_archE4294967295ELNS1_3gpuE0ELNS1_3repE0EEENS1_30default_config_static_selectorELNS0_4arch9wavefront6targetE1EEEvT1_
                                        ; -- End function
	.section	.AMDGPU.csdata,"",@progbits
; Kernel info:
; codeLenInByte = 0
; NumSgprs: 6
; NumVgprs: 0
; NumAgprs: 0
; TotalNumVgprs: 0
; ScratchSize: 0
; MemoryBound: 0
; FloatMode: 240
; IeeeMode: 1
; LDSByteSize: 0 bytes/workgroup (compile time only)
; SGPRBlocks: 0
; VGPRBlocks: 0
; NumSGPRsForWavesPerEU: 6
; NumVGPRsForWavesPerEU: 1
; AccumOffset: 4
; Occupancy: 8
; WaveLimiterHint : 0
; COMPUTE_PGM_RSRC2:SCRATCH_EN: 0
; COMPUTE_PGM_RSRC2:USER_SGPR: 2
; COMPUTE_PGM_RSRC2:TRAP_HANDLER: 0
; COMPUTE_PGM_RSRC2:TGID_X_EN: 1
; COMPUTE_PGM_RSRC2:TGID_Y_EN: 0
; COMPUTE_PGM_RSRC2:TGID_Z_EN: 0
; COMPUTE_PGM_RSRC2:TIDIG_COMP_CNT: 0
; COMPUTE_PGM_RSRC3_GFX90A:ACCUM_OFFSET: 0
; COMPUTE_PGM_RSRC3_GFX90A:TG_SPLIT: 0
	.section	.text._ZN7rocprim17ROCPRIM_400000_NS6detail17trampoline_kernelINS0_14default_configENS1_33run_length_encode_config_selectorIjjNS0_4plusIjEEEEZZNS1_33reduce_by_key_impl_wrapped_configILNS1_25lookback_scan_determinismE0ES3_S7_PKjNS0_17constant_iteratorIjlEEPjPlSF_S6_NS0_8equal_toIjEEEE10hipError_tPvRmT2_T3_mT4_T5_T6_T7_T8_P12ihipStream_tbENKUlT_T0_E_clISt17integral_constantIbLb0EESY_IbLb1EEEEDaSU_SV_EUlSU_E_NS1_11comp_targetILNS1_3genE5ELNS1_11target_archE942ELNS1_3gpuE9ELNS1_3repE0EEENS1_30default_config_static_selectorELNS0_4arch9wavefront6targetE1EEEvT1_,"axG",@progbits,_ZN7rocprim17ROCPRIM_400000_NS6detail17trampoline_kernelINS0_14default_configENS1_33run_length_encode_config_selectorIjjNS0_4plusIjEEEEZZNS1_33reduce_by_key_impl_wrapped_configILNS1_25lookback_scan_determinismE0ES3_S7_PKjNS0_17constant_iteratorIjlEEPjPlSF_S6_NS0_8equal_toIjEEEE10hipError_tPvRmT2_T3_mT4_T5_T6_T7_T8_P12ihipStream_tbENKUlT_T0_E_clISt17integral_constantIbLb0EESY_IbLb1EEEEDaSU_SV_EUlSU_E_NS1_11comp_targetILNS1_3genE5ELNS1_11target_archE942ELNS1_3gpuE9ELNS1_3repE0EEENS1_30default_config_static_selectorELNS0_4arch9wavefront6targetE1EEEvT1_,comdat
	.protected	_ZN7rocprim17ROCPRIM_400000_NS6detail17trampoline_kernelINS0_14default_configENS1_33run_length_encode_config_selectorIjjNS0_4plusIjEEEEZZNS1_33reduce_by_key_impl_wrapped_configILNS1_25lookback_scan_determinismE0ES3_S7_PKjNS0_17constant_iteratorIjlEEPjPlSF_S6_NS0_8equal_toIjEEEE10hipError_tPvRmT2_T3_mT4_T5_T6_T7_T8_P12ihipStream_tbENKUlT_T0_E_clISt17integral_constantIbLb0EESY_IbLb1EEEEDaSU_SV_EUlSU_E_NS1_11comp_targetILNS1_3genE5ELNS1_11target_archE942ELNS1_3gpuE9ELNS1_3repE0EEENS1_30default_config_static_selectorELNS0_4arch9wavefront6targetE1EEEvT1_ ; -- Begin function _ZN7rocprim17ROCPRIM_400000_NS6detail17trampoline_kernelINS0_14default_configENS1_33run_length_encode_config_selectorIjjNS0_4plusIjEEEEZZNS1_33reduce_by_key_impl_wrapped_configILNS1_25lookback_scan_determinismE0ES3_S7_PKjNS0_17constant_iteratorIjlEEPjPlSF_S6_NS0_8equal_toIjEEEE10hipError_tPvRmT2_T3_mT4_T5_T6_T7_T8_P12ihipStream_tbENKUlT_T0_E_clISt17integral_constantIbLb0EESY_IbLb1EEEEDaSU_SV_EUlSU_E_NS1_11comp_targetILNS1_3genE5ELNS1_11target_archE942ELNS1_3gpuE9ELNS1_3repE0EEENS1_30default_config_static_selectorELNS0_4arch9wavefront6targetE1EEEvT1_
	.globl	_ZN7rocprim17ROCPRIM_400000_NS6detail17trampoline_kernelINS0_14default_configENS1_33run_length_encode_config_selectorIjjNS0_4plusIjEEEEZZNS1_33reduce_by_key_impl_wrapped_configILNS1_25lookback_scan_determinismE0ES3_S7_PKjNS0_17constant_iteratorIjlEEPjPlSF_S6_NS0_8equal_toIjEEEE10hipError_tPvRmT2_T3_mT4_T5_T6_T7_T8_P12ihipStream_tbENKUlT_T0_E_clISt17integral_constantIbLb0EESY_IbLb1EEEEDaSU_SV_EUlSU_E_NS1_11comp_targetILNS1_3genE5ELNS1_11target_archE942ELNS1_3gpuE9ELNS1_3repE0EEENS1_30default_config_static_selectorELNS0_4arch9wavefront6targetE1EEEvT1_
	.p2align	8
	.type	_ZN7rocprim17ROCPRIM_400000_NS6detail17trampoline_kernelINS0_14default_configENS1_33run_length_encode_config_selectorIjjNS0_4plusIjEEEEZZNS1_33reduce_by_key_impl_wrapped_configILNS1_25lookback_scan_determinismE0ES3_S7_PKjNS0_17constant_iteratorIjlEEPjPlSF_S6_NS0_8equal_toIjEEEE10hipError_tPvRmT2_T3_mT4_T5_T6_T7_T8_P12ihipStream_tbENKUlT_T0_E_clISt17integral_constantIbLb0EESY_IbLb1EEEEDaSU_SV_EUlSU_E_NS1_11comp_targetILNS1_3genE5ELNS1_11target_archE942ELNS1_3gpuE9ELNS1_3repE0EEENS1_30default_config_static_selectorELNS0_4arch9wavefront6targetE1EEEvT1_,@function
_ZN7rocprim17ROCPRIM_400000_NS6detail17trampoline_kernelINS0_14default_configENS1_33run_length_encode_config_selectorIjjNS0_4plusIjEEEEZZNS1_33reduce_by_key_impl_wrapped_configILNS1_25lookback_scan_determinismE0ES3_S7_PKjNS0_17constant_iteratorIjlEEPjPlSF_S6_NS0_8equal_toIjEEEE10hipError_tPvRmT2_T3_mT4_T5_T6_T7_T8_P12ihipStream_tbENKUlT_T0_E_clISt17integral_constantIbLb0EESY_IbLb1EEEEDaSU_SV_EUlSU_E_NS1_11comp_targetILNS1_3genE5ELNS1_11target_archE942ELNS1_3gpuE9ELNS1_3repE0EEENS1_30default_config_static_selectorELNS0_4arch9wavefront6targetE1EEEvT1_: ; @_ZN7rocprim17ROCPRIM_400000_NS6detail17trampoline_kernelINS0_14default_configENS1_33run_length_encode_config_selectorIjjNS0_4plusIjEEEEZZNS1_33reduce_by_key_impl_wrapped_configILNS1_25lookback_scan_determinismE0ES3_S7_PKjNS0_17constant_iteratorIjlEEPjPlSF_S6_NS0_8equal_toIjEEEE10hipError_tPvRmT2_T3_mT4_T5_T6_T7_T8_P12ihipStream_tbENKUlT_T0_E_clISt17integral_constantIbLb0EESY_IbLb1EEEEDaSU_SV_EUlSU_E_NS1_11comp_targetILNS1_3genE5ELNS1_11target_archE942ELNS1_3gpuE9ELNS1_3repE0EEENS1_30default_config_static_selectorELNS0_4arch9wavefront6targetE1EEEvT1_
; %bb.0:
	s_load_dword s10, s[0:1], 0x10
	s_load_dwordx4 s[44:47], s[0:1], 0x20
	s_load_dwordx2 s[48:49], s[0:1], 0x30
	s_load_dwordx2 s[50:51], s[0:1], 0x70
	s_load_dwordx4 s[28:31], s[0:1], 0x60
	s_load_dwordx8 s[36:43], s[0:1], 0x40
	v_cmp_ne_u32_e64 s[2:3], 0, v0
	v_cmp_eq_u32_e64 s[34:35], 0, v0
	s_and_saveexec_b64 s[4:5], s[34:35]
	s_cbranch_execz .LBB677_4
; %bb.1:
	s_mov_b64 s[8:9], exec
	v_mbcnt_lo_u32_b32 v1, s8, 0
	v_mbcnt_hi_u32_b32 v1, s9, v1
	v_cmp_eq_u32_e32 vcc, 0, v1
                                        ; implicit-def: $vgpr2
	s_and_saveexec_b64 s[6:7], vcc
	s_cbranch_execz .LBB677_3
; %bb.2:
	s_load_dwordx2 s[12:13], s[0:1], 0x78
	s_bcnt1_i32_b64 s8, s[8:9]
	v_mov_b32_e32 v2, 0
	v_mov_b32_e32 v3, s8
	s_waitcnt lgkmcnt(0)
	global_atomic_add v2, v2, v3, s[12:13] sc0
.LBB677_3:
	s_or_b64 exec, exec, s[6:7]
	s_waitcnt vmcnt(0)
	v_readfirstlane_b32 s6, v2
	v_mov_b32_e32 v2, 0
	s_nop 0
	v_add_u32_e32 v1, s6, v1
	ds_write_b32 v2, v1
.LBB677_4:
	s_or_b64 exec, exec, s[4:5]
	s_load_dwordx4 s[4:7], s[0:1], 0x0
	v_mov_b32_e32 v5, 0
	s_waitcnt lgkmcnt(0)
	s_barrier
	ds_read_b32 v1, v5
	s_mul_i32 s0, s40, s39
	s_mul_hi_u32 s1, s40, s38
	s_add_i32 s0, s1, s0
	s_mul_i32 s1, s41, s38
	s_add_i32 s8, s0, s1
	s_lshl_b64 s[0:1], s[6:7], 2
	s_add_u32 s0, s4, s0
	s_movk_i32 s4, 0x1e00
	s_waitcnt lgkmcnt(0)
	v_mul_lo_u32 v4, v1, s4
	s_mul_i32 s9, s40, s38
	s_addc_u32 s1, s5, s1
	v_readfirstlane_b32 s56, v1
	v_lshlrev_b64 v[2:3], 2, v[4:5]
	v_lshl_add_u64 v[2:3], s[0:1], 0, v[2:3]
	s_add_u32 s0, s9, s56
	s_addc_u32 s1, s8, 0
	s_add_u32 s6, s42, -1
	s_addc_u32 s7, s43, -1
	s_cmp_eq_u64 s[0:1], s[6:7]
	s_cselect_b64 s[40:41], -1, 0
	s_cmp_lg_u64 s[0:1], s[6:7]
	s_mov_b64 s[8:9], -1
	s_cselect_b64 s[4:5], -1, 0
	s_mul_i32 s33, s6, 0xffffe200
	s_and_b64 vcc, exec, s[40:41]
	s_barrier
	s_cbranch_vccnz .LBB677_6
; %bb.5:
	v_lshlrev_b32_e32 v4, 2, v0
	v_lshl_add_u64 v[6:7], v[2:3], 0, v[4:5]
	v_add_co_u32_e32 v8, vcc, 0x1000, v6
	v_readfirstlane_b32 s6, v2
	s_nop 0
	v_addc_co_u32_e32 v9, vcc, 0, v7, vcc
	v_add_co_u32_e32 v10, vcc, 0x2000, v6
	v_readfirstlane_b32 s7, v3
	s_nop 0
	v_addc_co_u32_e32 v11, vcc, 0, v7, vcc
	v_add_co_u32_e32 v12, vcc, 0x3000, v6
	s_nop 1
	global_load_dword v1, v4, s[6:7]
	global_load_dword v5, v4, s[6:7] offset:2048
	v_addc_co_u32_e32 v13, vcc, 0, v7, vcc
	v_add_co_u32_e32 v14, vcc, 0x4000, v6
	s_nop 1
	v_addc_co_u32_e32 v15, vcc, 0, v7, vcc
	global_load_dword v16, v[8:9], off
	global_load_dword v17, v[8:9], off offset:2048
	global_load_dword v18, v[10:11], off
	global_load_dword v19, v[10:11], off offset:2048
	global_load_dword v20, v[12:13], off
	global_load_dword v21, v[12:13], off offset:2048
	global_load_dword v22, v[14:15], off
	global_load_dword v23, v[14:15], off offset:2048
	v_add_co_u32_e32 v8, vcc, 0x5000, v6
	s_mov_b64 s[6:7], -1
	s_nop 0
	v_addc_co_u32_e32 v9, vcc, 0, v7, vcc
	v_add_co_u32_e32 v10, vcc, 0x6000, v6
	s_nop 1
	v_addc_co_u32_e32 v11, vcc, 0, v7, vcc
	global_load_dword v12, v[8:9], off
	global_load_dword v13, v[8:9], off offset:2048
	global_load_dword v14, v[10:11], off
	global_load_dword v15, v[10:11], off offset:2048
	v_add_co_u32_e32 v6, vcc, 0x7000, v6
	s_nop 1
	v_addc_co_u32_e32 v7, vcc, 0, v7, vcc
	global_load_dword v6, v[6:7], off
	v_mad_u32_u24 v7, v0, 56, v4
	s_waitcnt vmcnt(13)
	ds_write2st64_b32 v4, v1, v5 offset1:8
	s_waitcnt vmcnt(11)
	ds_write2st64_b32 v4, v16, v17 offset0:16 offset1:24
	s_waitcnt vmcnt(9)
	ds_write2st64_b32 v4, v18, v19 offset0:32 offset1:40
	;; [unrolled: 2-line block ×6, first 2 shown]
	s_waitcnt vmcnt(0)
	ds_write_b32 v4, v6 offset:28672
	s_waitcnt lgkmcnt(0)
	s_barrier
	ds_read2_b32 v[20:21], v7 offset1:1
	ds_read2_b32 v[18:19], v7 offset0:2 offset1:3
	ds_read2_b32 v[16:17], v7 offset0:4 offset1:5
	;; [unrolled: 1-line block ×6, first 2 shown]
	ds_read_b32 v1, v7 offset:56
	s_waitcnt lgkmcnt(7)
	v_mov_b32_e32 v24, v20
	s_waitcnt lgkmcnt(6)
	v_mov_b32_e32 v25, v18
	;; [unrolled: 2-line block ×7, first 2 shown]
	s_add_i32 s33, s33, s28
	s_cbranch_execz .LBB677_7
	s_branch .LBB677_38
.LBB677_6:
	s_mov_b64 s[6:7], 0
                                        ; implicit-def: $vgpr1
                                        ; implicit-def: $vgpr8
                                        ; implicit-def: $vgpr10
                                        ; implicit-def: $vgpr12
                                        ; implicit-def: $vgpr14
                                        ; implicit-def: $vgpr16
                                        ; implicit-def: $vgpr18
                                        ; implicit-def: $vgpr20
                                        ; implicit-def: $vgpr4_vgpr5
                                        ; implicit-def: $vgpr6_vgpr7
                                        ; implicit-def: $vgpr24_vgpr25
                                        ; implicit-def: $vgpr22_vgpr23
	s_add_i32 s33, s33, s28
	s_andn2_b64 vcc, exec, s[8:9]
	s_cbranch_vccnz .LBB677_38
.LBB677_7:
	v_cmp_gt_u32_e32 vcc, s33, v0
                                        ; implicit-def: $vgpr1
	s_and_saveexec_b64 s[6:7], vcc
	s_cbranch_execz .LBB677_9
; %bb.8:
	s_waitcnt lgkmcnt(0)
	v_lshlrev_b32_e32 v1, 2, v0
	v_readfirstlane_b32 s8, v2
	v_readfirstlane_b32 s9, v3
	s_nop 4
	global_load_dword v1, v1, s[8:9]
.LBB677_9:
	s_or_b64 exec, exec, s[6:7]
	v_or_b32_e32 v4, 0x200, v0
	v_cmp_gt_u32_e32 vcc, s33, v4
                                        ; implicit-def: $vgpr4
	s_and_saveexec_b64 s[6:7], vcc
	s_cbranch_execz .LBB677_11
; %bb.10:
	v_lshlrev_b32_e32 v4, 2, v0
	v_readfirstlane_b32 s8, v2
	v_readfirstlane_b32 s9, v3
	s_nop 4
	global_load_dword v4, v4, s[8:9] offset:2048
.LBB677_11:
	s_or_b64 exec, exec, s[6:7]
	v_or_b32_e32 v6, 0x400, v0
	v_cmp_gt_u32_e32 vcc, s33, v6
                                        ; implicit-def: $vgpr5
	s_and_saveexec_b64 s[6:7], vcc
	s_cbranch_execz .LBB677_13
; %bb.12:
	v_lshlrev_b32_e32 v5, 2, v6
	v_readfirstlane_b32 s8, v2
	v_readfirstlane_b32 s9, v3
	s_nop 4
	global_load_dword v5, v5, s[8:9]
.LBB677_13:
	s_or_b64 exec, exec, s[6:7]
	v_or_b32_e32 v7, 0x600, v0
	v_cmp_gt_u32_e32 vcc, s33, v7
                                        ; implicit-def: $vgpr6
	s_and_saveexec_b64 s[6:7], vcc
	s_cbranch_execz .LBB677_15
; %bb.14:
	v_lshlrev_b32_e32 v6, 2, v7
	v_readfirstlane_b32 s8, v2
	v_readfirstlane_b32 s9, v3
	s_nop 4
	global_load_dword v6, v6, s[8:9]
.LBB677_15:
	s_or_b64 exec, exec, s[6:7]
	v_or_b32_e32 v8, 0x800, v0
	v_cmp_gt_u32_e32 vcc, s33, v8
                                        ; implicit-def: $vgpr7
	s_and_saveexec_b64 s[6:7], vcc
	s_cbranch_execz .LBB677_17
; %bb.16:
	v_lshlrev_b32_e32 v7, 2, v8
	v_readfirstlane_b32 s8, v2
	v_readfirstlane_b32 s9, v3
	s_nop 4
	global_load_dword v7, v7, s[8:9]
.LBB677_17:
	s_or_b64 exec, exec, s[6:7]
	v_or_b32_e32 v9, 0xa00, v0
	v_cmp_gt_u32_e32 vcc, s33, v9
                                        ; implicit-def: $vgpr8
	s_and_saveexec_b64 s[6:7], vcc
	s_cbranch_execz .LBB677_19
; %bb.18:
	v_lshlrev_b32_e32 v8, 2, v9
	v_readfirstlane_b32 s8, v2
	v_readfirstlane_b32 s9, v3
	s_nop 4
	global_load_dword v8, v8, s[8:9]
.LBB677_19:
	s_or_b64 exec, exec, s[6:7]
	v_or_b32_e32 v10, 0xc00, v0
	v_cmp_gt_u32_e32 vcc, s33, v10
                                        ; implicit-def: $vgpr9
	s_and_saveexec_b64 s[6:7], vcc
	s_cbranch_execz .LBB677_21
; %bb.20:
	v_lshlrev_b32_e32 v9, 2, v10
	v_readfirstlane_b32 s8, v2
	v_readfirstlane_b32 s9, v3
	s_nop 4
	global_load_dword v9, v9, s[8:9]
.LBB677_21:
	s_or_b64 exec, exec, s[6:7]
	v_or_b32_e32 v11, 0xe00, v0
	v_cmp_gt_u32_e32 vcc, s33, v11
                                        ; implicit-def: $vgpr10
	s_and_saveexec_b64 s[6:7], vcc
	s_cbranch_execz .LBB677_23
; %bb.22:
	v_lshlrev_b32_e32 v10, 2, v11
	v_readfirstlane_b32 s8, v2
	v_readfirstlane_b32 s9, v3
	s_nop 4
	global_load_dword v10, v10, s[8:9]
.LBB677_23:
	s_or_b64 exec, exec, s[6:7]
	v_or_b32_e32 v12, 0x1000, v0
	v_cmp_gt_u32_e32 vcc, s33, v12
                                        ; implicit-def: $vgpr11
	s_and_saveexec_b64 s[6:7], vcc
	s_cbranch_execz .LBB677_25
; %bb.24:
	v_lshlrev_b32_e32 v11, 2, v12
	v_readfirstlane_b32 s8, v2
	v_readfirstlane_b32 s9, v3
	s_nop 4
	global_load_dword v11, v11, s[8:9]
.LBB677_25:
	s_or_b64 exec, exec, s[6:7]
	v_or_b32_e32 v13, 0x1200, v0
	v_cmp_gt_u32_e32 vcc, s33, v13
                                        ; implicit-def: $vgpr12
	s_and_saveexec_b64 s[6:7], vcc
	s_cbranch_execz .LBB677_27
; %bb.26:
	v_lshlrev_b32_e32 v12, 2, v13
	v_readfirstlane_b32 s8, v2
	v_readfirstlane_b32 s9, v3
	s_nop 4
	global_load_dword v12, v12, s[8:9]
.LBB677_27:
	s_or_b64 exec, exec, s[6:7]
	v_or_b32_e32 v14, 0x1400, v0
	v_cmp_gt_u32_e32 vcc, s33, v14
                                        ; implicit-def: $vgpr13
	s_and_saveexec_b64 s[6:7], vcc
	s_cbranch_execz .LBB677_29
; %bb.28:
	v_lshlrev_b32_e32 v13, 2, v14
	v_readfirstlane_b32 s8, v2
	v_readfirstlane_b32 s9, v3
	s_nop 4
	global_load_dword v13, v13, s[8:9]
.LBB677_29:
	s_or_b64 exec, exec, s[6:7]
	v_or_b32_e32 v15, 0x1600, v0
	v_cmp_gt_u32_e32 vcc, s33, v15
                                        ; implicit-def: $vgpr14
	s_and_saveexec_b64 s[6:7], vcc
	s_cbranch_execz .LBB677_31
; %bb.30:
	v_lshlrev_b32_e32 v14, 2, v15
	v_readfirstlane_b32 s8, v2
	v_readfirstlane_b32 s9, v3
	s_nop 4
	global_load_dword v14, v14, s[8:9]
.LBB677_31:
	s_or_b64 exec, exec, s[6:7]
	v_or_b32_e32 v16, 0x1800, v0
	v_cmp_gt_u32_e32 vcc, s33, v16
                                        ; implicit-def: $vgpr15
	s_and_saveexec_b64 s[6:7], vcc
	s_cbranch_execz .LBB677_33
; %bb.32:
	v_lshlrev_b32_e32 v15, 2, v16
	v_readfirstlane_b32 s8, v2
	v_readfirstlane_b32 s9, v3
	s_nop 4
	global_load_dword v15, v15, s[8:9]
.LBB677_33:
	s_or_b64 exec, exec, s[6:7]
	v_or_b32_e32 v17, 0x1a00, v0
	v_cmp_gt_u32_e32 vcc, s33, v17
                                        ; implicit-def: $vgpr16
	s_and_saveexec_b64 s[6:7], vcc
	s_cbranch_execz .LBB677_35
; %bb.34:
	v_lshlrev_b32_e32 v16, 2, v17
	v_readfirstlane_b32 s8, v2
	v_readfirstlane_b32 s9, v3
	s_nop 4
	global_load_dword v16, v16, s[8:9]
.LBB677_35:
	s_or_b64 exec, exec, s[6:7]
	v_or_b32_e32 v18, 0x1c00, v0
	v_cmp_gt_u32_e32 vcc, s33, v18
                                        ; implicit-def: $vgpr17
	s_and_saveexec_b64 s[6:7], vcc
	s_cbranch_execz .LBB677_37
; %bb.36:
	v_lshlrev_b32_e32 v17, 2, v18
	v_readfirstlane_b32 s8, v2
	v_readfirstlane_b32 s9, v3
	s_nop 4
	global_load_dword v17, v17, s[8:9]
.LBB677_37:
	s_or_b64 exec, exec, s[6:7]
	v_lshlrev_b32_e32 v18, 2, v0
	s_waitcnt vmcnt(0) lgkmcnt(0)
	ds_write2st64_b32 v18, v1, v4 offset1:8
	ds_write2st64_b32 v18, v5, v6 offset0:16 offset1:24
	ds_write2st64_b32 v18, v7, v8 offset0:32 offset1:40
	;; [unrolled: 1-line block ×6, first 2 shown]
	ds_write_b32 v18, v17 offset:28672
	v_mad_u32_u24 v1, v0, 56, v18
	s_waitcnt lgkmcnt(0)
	s_barrier
	ds_read2_b32 v[20:21], v1 offset1:1
	ds_read2_b32 v[18:19], v1 offset0:2 offset1:3
	ds_read2_b32 v[16:17], v1 offset0:4 offset1:5
	;; [unrolled: 1-line block ×6, first 2 shown]
	ds_read_b32 v1, v1 offset:56
	v_mad_u32_u24 v4, v0, 15, 14
	v_cmp_gt_u32_e64 s[6:7], s33, v4
	s_waitcnt lgkmcnt(7)
	v_mov_b32_e32 v24, v20
	s_waitcnt lgkmcnt(6)
	v_mov_b32_e32 v25, v18
	;; [unrolled: 2-line block ×7, first 2 shown]
.LBB677_38:
	v_mov_b32_e32 v52, s10
                                        ; implicit-def: $vgpr53
	s_and_saveexec_b64 s[8:9], s[6:7]
; %bb.39:
	v_mov_b32_e32 v53, s10
; %bb.40:
	s_or_b64 exec, exec, s[8:9]
	s_cmp_eq_u64 s[0:1], 0
	s_cselect_b64 s[42:43], -1, 0
	s_cmp_lg_u64 s[0:1], 0
	s_mov_b64 s[52:53], 0
	s_cselect_b64 s[6:7], -1, 0
	s_and_b64 vcc, exec, s[4:5]
	s_waitcnt lgkmcnt(0)
	s_barrier
	s_cbranch_vccz .LBB677_46
; %bb.41:
	s_and_b64 vcc, exec, s[6:7]
	s_cbranch_vccz .LBB677_47
; %bb.42:
	global_load_dword v23, v[2:3], off offset:-4
	v_lshlrev_b32_e32 v26, 2, v0
	ds_write_b32 v26, v1
	s_waitcnt lgkmcnt(0)
	s_barrier
	s_and_saveexec_b64 s[4:5], s[2:3]
	s_cbranch_execz .LBB677_44
; %bb.43:
	s_waitcnt vmcnt(0)
	v_add_u32_e32 v23, -4, v26
	ds_read_b32 v23, v23
.LBB677_44:
	s_or_b64 exec, exec, s[4:5]
	v_cmp_ne_u32_e32 vcc, v24, v21
	s_waitcnt vmcnt(0) lgkmcnt(0)
	v_cmp_ne_u32_e64 s[4:5], v23, v20
	v_cndmask_b32_e64 v69, 0, 1, vcc
	v_cmp_ne_u32_e32 vcc, v25, v21
	s_mov_b64 s[52:53], -1
	s_nop 0
	v_cndmask_b32_e64 v68, 0, 1, vcc
	v_cmp_ne_u32_e32 vcc, v25, v19
	s_nop 1
	v_cndmask_b32_e64 v67, 0, 1, vcc
	v_cmp_ne_u32_e32 vcc, v6, v19
	;; [unrolled: 3-line block ×12, first 2 shown]
	s_nop 1
	v_cndmask_b32_e64 v56, 0, 1, vcc
.LBB677_45:
                                        ; implicit-def: $sgpr10
	s_branch .LBB677_59
.LBB677_46:
                                        ; implicit-def: $sgpr4_sgpr5
                                        ; implicit-def: $vgpr56
                                        ; implicit-def: $vgpr57
                                        ; implicit-def: $vgpr58
                                        ; implicit-def: $vgpr59
                                        ; implicit-def: $vgpr60
                                        ; implicit-def: $vgpr61
                                        ; implicit-def: $vgpr62
                                        ; implicit-def: $vgpr63
                                        ; implicit-def: $vgpr64
                                        ; implicit-def: $vgpr65
                                        ; implicit-def: $vgpr66
                                        ; implicit-def: $vgpr67
                                        ; implicit-def: $vgpr68
                                        ; implicit-def: $vgpr69
                                        ; implicit-def: $sgpr10
	s_cbranch_execnz .LBB677_51
	s_branch .LBB677_59
.LBB677_47:
                                        ; implicit-def: $sgpr4_sgpr5
                                        ; implicit-def: $vgpr56
                                        ; implicit-def: $vgpr57
                                        ; implicit-def: $vgpr58
                                        ; implicit-def: $vgpr59
                                        ; implicit-def: $vgpr60
                                        ; implicit-def: $vgpr61
                                        ; implicit-def: $vgpr62
                                        ; implicit-def: $vgpr63
                                        ; implicit-def: $vgpr64
                                        ; implicit-def: $vgpr65
                                        ; implicit-def: $vgpr66
                                        ; implicit-def: $vgpr67
                                        ; implicit-def: $vgpr68
                                        ; implicit-def: $vgpr69
	s_cbranch_execz .LBB677_45
; %bb.48:
	v_cmp_ne_u32_e32 vcc, v21, v24
	v_lshlrev_b32_e32 v23, 2, v0
	ds_write_b32 v23, v1
	v_cndmask_b32_e64 v69, 0, 1, vcc
	v_cmp_ne_u32_e32 vcc, v21, v25
	s_waitcnt lgkmcnt(0)
	s_barrier
	v_cndmask_b32_e64 v68, 0, 1, vcc
	v_cmp_ne_u32_e32 vcc, v25, v19
	s_waitcnt lgkmcnt(0)
                                        ; implicit-def: $sgpr4_sgpr5
	s_nop 0
	v_cndmask_b32_e64 v67, 0, 1, vcc
	v_cmp_ne_u32_e32 vcc, v6, v19
	s_nop 1
	v_cndmask_b32_e64 v66, 0, 1, vcc
	v_cmp_ne_u32_e32 vcc, v17, v6
	;; [unrolled: 3-line block ×11, first 2 shown]
	s_nop 1
	v_cndmask_b32_e64 v56, 0, 1, vcc
	s_and_saveexec_b64 s[8:9], s[2:3]
	s_xor_b64 s[8:9], exec, s[8:9]
	s_cbranch_execz .LBB677_50
; %bb.49:
	v_add_u32_e32 v4, -4, v23
	ds_read_b32 v4, v4
	s_or_b64 s[52:53], s[52:53], exec
	s_waitcnt lgkmcnt(0)
	v_cmp_ne_u32_e32 vcc, v4, v20
	s_and_b64 s[4:5], vcc, exec
.LBB677_50:
	s_or_b64 exec, exec, s[8:9]
	s_mov_b32 s10, 1
	s_branch .LBB677_59
.LBB677_51:
	s_mul_hi_u32 s4, s0, 0xffffe200
	s_mulk_i32 s1, 0xe200
	s_sub_i32 s4, s4, s0
	s_add_i32 s4, s4, s1
	s_mulk_i32 s0, 0xe200
	s_add_u32 s54, s0, s28
	s_addc_u32 s55, s4, s29
	s_and_b64 vcc, exec, s[6:7]
	v_cmp_ne_u32_e64 s[28:29], v9, v1
	v_cmp_ne_u32_e64 s[0:1], v8, v9
	;; [unrolled: 1-line block ×14, first 2 shown]
	v_mad_u32_u24 v4, v0, 15, 14
	v_mad_u32_u24 v44, v0, 15, 13
	;; [unrolled: 1-line block ×14, first 2 shown]
	s_cbranch_vccz .LBB677_56
; %bb.52:
	global_load_dword v46, v[2:3], off offset:-4
	v_mov_b32_e32 v5, 0
	v_cmp_gt_u64_e32 vcc, s[54:55], v[4:5]
	v_mov_b32_e32 v45, v5
	s_and_b64 s[28:29], vcc, s[28:29]
	v_cmp_gt_u64_e32 vcc, s[54:55], v[44:45]
	v_mov_b32_e32 v43, v5
	s_and_b64 s[0:1], vcc, s[0:1]
	;; [unrolled: 3-line block ×13, first 2 shown]
	v_cmp_gt_u64_e32 vcc, s[54:55], v[6:7]
	v_lshlrev_b32_e32 v3, 2, v0
	v_mul_u32_u24_e32 v2, 15, v0
	s_and_b64 s[4:5], vcc, s[4:5]
	ds_write_b32 v3, v1
	s_waitcnt lgkmcnt(0)
	s_barrier
	s_and_saveexec_b64 s[52:53], s[2:3]
	s_cbranch_execz .LBB677_54
; %bb.53:
	v_add_u32_e32 v3, -4, v3
	s_waitcnt vmcnt(0)
	ds_read_b32 v46, v3
.LBB677_54:
	s_or_b64 exec, exec, s[52:53]
	v_mov_b32_e32 v3, v5
	v_cndmask_b32_e64 v57, 0, 1, s[0:1]
	v_cmp_gt_u64_e32 vcc, s[54:55], v[2:3]
	s_waitcnt vmcnt(0) lgkmcnt(0)
	v_cmp_ne_u32_e64 s[0:1], v46, v20
	v_cndmask_b32_e64 v56, 0, 1, s[28:29]
	v_cndmask_b32_e64 v58, 0, 1, s[26:27]
	;; [unrolled: 1-line block ×13, first 2 shown]
	s_and_b64 s[4:5], vcc, s[0:1]
	s_mov_b64 s[52:53], -1
.LBB677_55:
                                        ; implicit-def: $sgpr10
	v_mov_b32_e32 v70, s10
	s_and_saveexec_b64 s[0:1], s[52:53]
	s_cbranch_execnz .LBB677_60
	s_branch .LBB677_61
.LBB677_56:
                                        ; implicit-def: $sgpr4_sgpr5
                                        ; implicit-def: $vgpr56
                                        ; implicit-def: $vgpr57
                                        ; implicit-def: $vgpr58
                                        ; implicit-def: $vgpr59
                                        ; implicit-def: $vgpr60
                                        ; implicit-def: $vgpr61
                                        ; implicit-def: $vgpr62
                                        ; implicit-def: $vgpr63
                                        ; implicit-def: $vgpr64
                                        ; implicit-def: $vgpr65
                                        ; implicit-def: $vgpr66
                                        ; implicit-def: $vgpr67
                                        ; implicit-def: $vgpr68
                                        ; implicit-def: $vgpr69
	s_cbranch_execz .LBB677_55
; %bb.57:
	v_mov_b32_e32 v5, 0
	v_cmp_gt_u64_e32 vcc, s[54:55], v[4:5]
	v_cmp_ne_u32_e64 s[0:1], v9, v1
	s_and_b64 s[0:1], vcc, s[0:1]
	v_mov_b32_e32 v45, v5
	v_cndmask_b32_e64 v56, 0, 1, s[0:1]
	v_cmp_gt_u64_e32 vcc, s[54:55], v[44:45]
	v_cmp_ne_u32_e64 s[0:1], v8, v9
	s_and_b64 s[0:1], vcc, s[0:1]
	v_mov_b32_e32 v43, v5
	v_cndmask_b32_e64 v57, 0, 1, s[0:1]
	;; [unrolled: 5-line block ×13, first 2 shown]
	v_cmp_gt_u64_e32 vcc, s[54:55], v[6:7]
	v_cmp_ne_u32_e64 s[0:1], v20, v21
	s_and_b64 s[0:1], vcc, s[0:1]
	v_lshlrev_b32_e32 v2, 2, v0
	s_mov_b32 s10, 1
	v_cndmask_b32_e64 v69, 0, 1, s[0:1]
	ds_write_b32 v2, v1
	s_waitcnt lgkmcnt(0)
	s_barrier
	s_waitcnt lgkmcnt(0)
                                        ; implicit-def: $sgpr4_sgpr5
	s_and_saveexec_b64 s[6:7], s[2:3]
	s_cbranch_execz .LBB677_150
; %bb.58:
	v_add_u32_e32 v2, -4, v2
	ds_read_b32 v2, v2
	v_mul_u32_u24_e32 v4, 15, v0
	v_cmp_gt_u64_e32 vcc, s[54:55], v[4:5]
	s_or_b64 s[52:53], s[52:53], exec
	s_waitcnt lgkmcnt(0)
	v_cmp_ne_u32_e64 s[0:1], v2, v20
	s_and_b64 s[0:1], vcc, s[0:1]
	s_and_b64 s[4:5], s[0:1], exec
	s_or_b64 exec, exec, s[6:7]
.LBB677_59:
	v_mov_b32_e32 v70, s10
	s_and_saveexec_b64 s[0:1], s[52:53]
.LBB677_60:
	v_cndmask_b32_e64 v70, 0, 1, s[4:5]
.LBB677_61:
	s_or_b64 exec, exec, s[0:1]
	s_cmp_eq_u64 s[38:39], 0
	v_add3_u32 v2, v69, v70, v68
	s_cselect_b64 s[38:39], -1, 0
	s_cmp_lg_u32 s56, 0
	v_cmp_eq_u32_e64 s[26:27], 0, v69
	v_cmp_eq_u32_e64 s[24:25], 0, v68
	;; [unrolled: 1-line block ×3, first 2 shown]
	v_add3_u32 v72, v2, v67, v66
	v_cmp_eq_u32_e64 s[20:21], 0, v66
	v_cmp_eq_u32_e64 s[18:19], 0, v65
	;; [unrolled: 1-line block ×10, first 2 shown]
	v_cmp_eq_u32_e32 vcc, 0, v56
	v_mbcnt_lo_u32_b32 v71, -1, 0
	v_lshrrev_b32_e32 v54, 6, v0
	v_or_b32_e32 v55, 63, v0
	s_cbranch_scc0 .LBB677_88
; %bb.62:
	v_cndmask_b32_e64 v2, 0, v52, s[26:27]
	v_add_u32_e32 v2, v2, v52
	v_cndmask_b32_e64 v2, 0, v2, s[24:25]
	v_add_u32_e32 v2, v2, v52
	;; [unrolled: 2-line block ×11, first 2 shown]
	v_cndmask_b32_e64 v2, 0, v2, s[4:5]
	v_add3_u32 v3, v72, v65, v64
	v_add_u32_e32 v2, v2, v52
	v_add3_u32 v3, v3, v63, v62
	v_cndmask_b32_e64 v2, 0, v2, s[2:3]
	v_add3_u32 v3, v3, v61, v60
	v_add_u32_e32 v2, v2, v52
	v_add3_u32 v3, v3, v59, v58
	v_cndmask_b32_e32 v2, 0, v2, vcc
	v_add3_u32 v3, v3, v57, v56
	v_add_u32_e32 v2, v2, v53
	v_mbcnt_hi_u32_b32 v25, -1, v71
	v_and_b32_e32 v4, 15, v25
	v_mov_b32_dpp v6, v2 row_shr:1 row_mask:0xf bank_mask:0xf
	v_cmp_eq_u32_e32 vcc, 0, v3
	v_mov_b32_dpp v5, v3 row_shr:1 row_mask:0xf bank_mask:0xf
	v_cmp_lt_u32_e64 s[0:1], 1, v4
	v_cndmask_b32_e32 v6, 0, v6, vcc
	v_cmp_eq_u32_e32 vcc, 0, v4
	s_nop 1
	v_cndmask_b32_e64 v5, v5, 0, vcc
	v_add_u32_e32 v3, v5, v3
	v_cndmask_b32_e64 v5, v6, 0, vcc
	v_add_u32_e32 v2, v5, v2
	v_cmp_eq_u32_e32 vcc, 0, v3
	v_mov_b32_dpp v5, v3 row_shr:2 row_mask:0xf bank_mask:0xf
	v_mov_b32_dpp v6, v2 row_shr:2 row_mask:0xf bank_mask:0xf
	v_cndmask_b32_e64 v5, 0, v5, s[0:1]
	s_and_b64 vcc, s[0:1], vcc
	v_cndmask_b32_e32 v6, 0, v6, vcc
	v_add_u32_e32 v3, v3, v5
	v_add_u32_e32 v2, v6, v2
	v_cmp_eq_u32_e32 vcc, 0, v3
	v_mov_b32_dpp v5, v3 row_shr:4 row_mask:0xf bank_mask:0xf
	v_cmp_lt_u32_e64 s[0:1], 3, v4
	v_mov_b32_dpp v6, v2 row_shr:4 row_mask:0xf bank_mask:0xf
	s_and_b64 vcc, s[0:1], vcc
	v_cndmask_b32_e64 v5, 0, v5, s[0:1]
	v_cndmask_b32_e32 v6, 0, v6, vcc
	v_add_u32_e32 v3, v5, v3
	v_add_u32_e32 v2, v2, v6
	v_cmp_eq_u32_e32 vcc, 0, v3
	v_cmp_lt_u32_e64 s[0:1], 7, v4
	v_mov_b32_dpp v5, v3 row_shr:8 row_mask:0xf bank_mask:0xf
	v_mov_b32_dpp v6, v2 row_shr:8 row_mask:0xf bank_mask:0xf
	s_and_b64 vcc, s[0:1], vcc
	v_cndmask_b32_e64 v4, 0, v5, s[0:1]
	v_cndmask_b32_e32 v5, 0, v6, vcc
	v_add_u32_e32 v2, v5, v2
	v_add_u32_e32 v3, v4, v3
	v_bfe_i32 v6, v25, 4, 1
	v_mov_b32_dpp v5, v2 row_bcast:15 row_mask:0xf bank_mask:0xf
	v_mov_b32_dpp v4, v3 row_bcast:15 row_mask:0xf bank_mask:0xf
	v_cmp_eq_u32_e32 vcc, 0, v3
	v_and_b32_e32 v4, v6, v4
	v_add_u32_e32 v3, v4, v3
	v_cndmask_b32_e32 v5, 0, v5, vcc
	v_and_b32_e32 v4, v6, v5
	v_add_u32_e32 v4, v4, v2
	v_mov_b32_dpp v2, v3 row_bcast:31 row_mask:0xf bank_mask:0xf
	v_cmp_eq_u32_e32 vcc, 0, v3
	v_cmp_lt_u32_e64 s[0:1], 31, v25
	v_mov_b32_dpp v5, v4 row_bcast:31 row_mask:0xf bank_mask:0xf
	s_and_b64 vcc, s[0:1], vcc
	v_cndmask_b32_e64 v2, 0, v2, s[0:1]
	v_add_u32_e32 v2, v2, v3
	v_cndmask_b32_e32 v3, 0, v5, vcc
	v_add_u32_e32 v3, v3, v4
	v_cmp_eq_u32_e32 vcc, v55, v0
	v_lshlrev_b32_e32 v4, 3, v54
	s_and_saveexec_b64 s[0:1], vcc
	s_cbranch_execz .LBB677_64
; %bb.63:
	ds_write_b64 v4, v[2:3] offset:4112
.LBB677_64:
	s_or_b64 exec, exec, s[0:1]
	v_cmp_gt_u32_e32 vcc, 8, v0
	s_waitcnt lgkmcnt(0)
	s_barrier
	s_and_saveexec_b64 s[28:29], vcc
	s_cbranch_execz .LBB677_66
; %bb.65:
	v_lshlrev_b32_e32 v5, 3, v0
	ds_read_b64 v[6:7], v5 offset:4112
	v_and_b32_e32 v22, 7, v25
	v_cmp_lt_u32_e64 s[0:1], 1, v22
	s_waitcnt lgkmcnt(0)
	v_mov_b32_dpp v24, v7 row_shr:1 row_mask:0xf bank_mask:0xf
	v_cmp_eq_u32_e32 vcc, 0, v6
	v_mov_b32_dpp v23, v6 row_shr:1 row_mask:0xf bank_mask:0xf
	s_nop 0
	v_cndmask_b32_e32 v24, 0, v24, vcc
	v_cmp_eq_u32_e32 vcc, 0, v22
	s_nop 1
	v_cndmask_b32_e64 v23, v23, 0, vcc
	v_add_u32_e32 v6, v23, v6
	v_cndmask_b32_e64 v23, v24, 0, vcc
	v_add_u32_e32 v7, v23, v7
	v_cmp_eq_u32_e32 vcc, 0, v6
	v_mov_b32_dpp v23, v6 row_shr:2 row_mask:0xf bank_mask:0xf
	v_mov_b32_dpp v24, v7 row_shr:2 row_mask:0xf bank_mask:0xf
	v_cndmask_b32_e64 v23, 0, v23, s[0:1]
	s_and_b64 vcc, s[0:1], vcc
	v_cndmask_b32_e32 v24, 0, v24, vcc
	v_add_u32_e32 v6, v23, v6
	v_add_u32_e32 v7, v24, v7
	v_cmp_eq_u32_e32 vcc, 0, v6
	v_mov_b32_dpp v23, v6 row_shr:4 row_mask:0xf bank_mask:0xf
	v_cmp_lt_u32_e64 s[0:1], 3, v22
	v_mov_b32_dpp v24, v7 row_shr:4 row_mask:0xf bank_mask:0xf
	s_and_b64 vcc, s[0:1], vcc
	v_cndmask_b32_e64 v22, 0, v23, s[0:1]
	v_add_u32_e32 v6, v22, v6
	v_cndmask_b32_e32 v22, 0, v24, vcc
	v_add_u32_e32 v7, v22, v7
	ds_write_b64 v5, v[6:7] offset:4112
.LBB677_66:
	s_or_b64 exec, exec, s[28:29]
	v_cmp_gt_u32_e32 vcc, 64, v0
	v_cmp_lt_u32_e64 s[0:1], 63, v0
	v_mov_b32_e32 v22, 0
	v_mov_b32_e32 v23, 0
	s_waitcnt lgkmcnt(0)
	s_barrier
	s_and_saveexec_b64 s[28:29], s[0:1]
	s_cbranch_execz .LBB677_68
; %bb.67:
	ds_read_b64 v[22:23], v4 offset:4104
	v_cmp_eq_u32_e64 s[0:1], 0, v2
	s_waitcnt lgkmcnt(0)
	v_add_u32_e32 v4, v22, v2
	v_cndmask_b32_e64 v2, 0, v23, s[0:1]
	v_add_u32_e32 v3, v2, v3
	v_mov_b32_e32 v2, v4
.LBB677_68:
	s_or_b64 exec, exec, s[28:29]
	v_add_u32_e32 v4, -1, v25
	v_and_b32_e32 v5, 64, v25
	v_cmp_lt_i32_e64 s[0:1], v4, v5
	v_cmp_eq_u32_e64 s[28:29], 0, v25
	s_nop 0
	v_cndmask_b32_e64 v4, v4, v25, s[0:1]
	v_lshlrev_b32_e32 v4, 2, v4
	ds_bpermute_b32 v30, v4, v2
	ds_bpermute_b32 v31, v4, v3
	s_and_saveexec_b64 s[52:53], vcc
	s_cbranch_execz .LBB677_87
; %bb.69:
	v_mov_b32_e32 v7, 0
	ds_read_b64 v[2:3], v7 offset:4168
	s_waitcnt lgkmcnt(0)
	v_readfirstlane_b32 s57, v2
	v_readfirstlane_b32 s58, v3
	s_and_saveexec_b64 s[0:1], s[28:29]
	s_cbranch_execz .LBB677_71
; %bb.70:
	s_add_i32 s54, s56, 64
	s_mov_b32 s55, 0
	s_lshl_b64 s[60:61], s[54:55], 4
	s_add_u32 s60, s36, s60
	s_addc_u32 s61, s37, s61
	s_and_b32 s63, s58, 0xff000000
	s_mov_b32 s62, s55
	s_and_b32 s65, s58, 0xff0000
	s_mov_b32 s64, s55
	s_or_b64 s[62:63], s[64:65], s[62:63]
	s_and_b32 s65, s58, 0xff00
	s_or_b64 s[62:63], s[62:63], s[64:65]
	s_and_b32 s65, s58, 0xff
	s_or_b64 s[54:55], s[62:63], s[64:65]
	v_mov_b32_e32 v4, s57
	v_mov_b32_e32 v5, s55
	;; [unrolled: 1-line block ×3, first 2 shown]
	v_mov_b64_e32 v[2:3], s[60:61]
	;;#ASMSTART
	global_store_dwordx4 v[2:3], v[4:7] off sc1	
s_waitcnt vmcnt(0)
	;;#ASMEND
.LBB677_71:
	s_or_b64 exec, exec, s[0:1]
	v_xad_u32 v24, v25, -1, s56
	v_add_u32_e32 v6, 64, v24
	v_lshl_add_u64 v[26:27], v[6:7], 4, s[36:37]
	;;#ASMSTART
	global_load_dwordx4 v[2:5], v[26:27] off sc1	
s_waitcnt vmcnt(0)
	;;#ASMEND
	s_nop 0
	v_and_b32_e32 v5, 0xff, v3
	v_and_b32_e32 v6, 0xff00, v3
	v_or3_b32 v2, v2, 0, 0
	v_and_b32_e32 v28, 0xff000000, v3
	v_or3_b32 v5, 0, v5, v6
	;; [unrolled: 2-line block ×3, first 2 shown]
	v_or3_b32 v2, v2, 0, 0
	v_cmp_eq_u16_sdwa s[54:55], v4, v7 src0_sel:BYTE_0 src1_sel:DWORD
	s_and_saveexec_b64 s[0:1], s[54:55]
	s_cbranch_execz .LBB677_75
; %bb.72:
	s_mov_b64 s[54:55], 0
	v_mov_b32_e32 v6, 0
.LBB677_73:                             ; =>This Inner Loop Header: Depth=1
	;;#ASMSTART
	global_load_dwordx4 v[2:5], v[26:27] off sc1	
s_waitcnt vmcnt(0)
	;;#ASMEND
	s_nop 0
	v_cmp_ne_u16_sdwa s[60:61], v4, v6 src0_sel:BYTE_0 src1_sel:DWORD
	s_or_b64 s[54:55], s[60:61], s[54:55]
	s_andn2_b64 exec, exec, s[54:55]
	s_cbranch_execnz .LBB677_73
; %bb.74:
	s_or_b64 exec, exec, s[54:55]
.LBB677_75:
	s_or_b64 exec, exec, s[0:1]
	v_mov_b32_e32 v32, 2
	v_cmp_eq_u16_sdwa s[0:1], v4, v32 src0_sel:BYTE_0 src1_sel:DWORD
	v_lshlrev_b64 v[26:27], v25, -1
	v_and_b32_e32 v33, 63, v25
	v_and_b32_e32 v5, s1, v27
	v_or_b32_e32 v5, 0x80000000, v5
	v_cmp_ne_u32_e32 vcc, 63, v33
	v_and_b32_e32 v6, s0, v26
	v_ffbl_b32_e32 v5, v5
	v_addc_co_u32_e32 v7, vcc, 0, v25, vcc
	v_add_u32_e32 v5, 32, v5
	v_ffbl_b32_e32 v6, v6
	v_lshlrev_b32_e32 v34, 2, v7
	v_min_u32_e32 v5, v6, v5
	ds_bpermute_b32 v6, v34, v3
	v_cmp_eq_u32_e32 vcc, 0, v2
	v_cmp_lt_u32_e64 s[0:1], v33, v5
	ds_bpermute_b32 v7, v34, v2
	s_and_b64 vcc, s[0:1], vcc
	s_waitcnt lgkmcnt(1)
	v_cndmask_b32_e32 v6, 0, v6, vcc
	v_cmp_gt_u32_e32 vcc, 62, v33
	v_add_u32_e32 v3, v6, v3
	s_waitcnt lgkmcnt(0)
	v_cndmask_b32_e64 v7, 0, v7, s[0:1]
	v_cndmask_b32_e64 v6, 0, 1, vcc
	v_lshlrev_b32_e32 v6, 1, v6
	v_add_lshl_u32 v35, v6, v25, 2
	ds_bpermute_b32 v6, v35, v3
	v_add_u32_e32 v2, v7, v2
	ds_bpermute_b32 v7, v35, v2
	v_add_u32_e32 v36, 2, v33
	v_cmp_eq_u32_e32 vcc, 0, v2
	v_add_u32_e32 v38, 4, v33
	v_add_u32_e32 v40, 8, v33
	s_waitcnt lgkmcnt(1)
	v_cndmask_b32_e32 v6, 0, v6, vcc
	v_cmp_gt_u32_e32 vcc, v36, v5
	v_add_u32_e32 v42, 16, v33
	v_add_u32_e32 v44, 32, v33
	v_cndmask_b32_e64 v6, v6, 0, vcc
	v_add_u32_e32 v3, v6, v3
	s_waitcnt lgkmcnt(0)
	v_cndmask_b32_e64 v6, v7, 0, vcc
	v_cmp_gt_u32_e32 vcc, 60, v33
	v_add_u32_e32 v2, v2, v6
	s_nop 0
	v_cndmask_b32_e64 v7, 0, 1, vcc
	v_lshlrev_b32_e32 v7, 2, v7
	v_add_lshl_u32 v37, v7, v25, 2
	ds_bpermute_b32 v7, v37, v3
	ds_bpermute_b32 v6, v37, v2
	v_cmp_eq_u32_e32 vcc, 0, v2
	s_waitcnt lgkmcnt(1)
	s_nop 0
	v_cndmask_b32_e32 v7, 0, v7, vcc
	v_cmp_gt_u32_e32 vcc, v38, v5
	s_nop 1
	v_cndmask_b32_e64 v7, v7, 0, vcc
	s_waitcnt lgkmcnt(0)
	v_cndmask_b32_e64 v6, v6, 0, vcc
	v_cmp_gt_u32_e32 vcc, 56, v33
	v_add_u32_e32 v3, v3, v7
	v_add_u32_e32 v2, v2, v6
	v_cndmask_b32_e64 v7, 0, 1, vcc
	v_lshlrev_b32_e32 v7, 3, v7
	v_add_lshl_u32 v39, v7, v25, 2
	ds_bpermute_b32 v7, v39, v3
	ds_bpermute_b32 v6, v39, v2
	v_cmp_eq_u32_e32 vcc, 0, v2
	s_waitcnt lgkmcnt(1)
	s_nop 0
	v_cndmask_b32_e32 v7, 0, v7, vcc
	v_cmp_gt_u32_e32 vcc, v40, v5
	s_nop 1
	v_cndmask_b32_e64 v7, v7, 0, vcc
	s_waitcnt lgkmcnt(0)
	v_cndmask_b32_e64 v6, v6, 0, vcc
	v_cmp_gt_u32_e32 vcc, 48, v33
	v_add_u32_e32 v3, v3, v7
	v_add_u32_e32 v2, v2, v6
	;; [unrolled: 17-line block ×3, first 2 shown]
	v_cndmask_b32_e64 v7, 0, 1, vcc
	v_lshlrev_b32_e32 v7, 5, v7
	v_add_lshl_u32 v43, v7, v25, 2
	ds_bpermute_b32 v7, v43, v3
	ds_bpermute_b32 v6, v43, v2
	v_cmp_eq_u32_e32 vcc, 0, v2
	v_mov_b32_e32 v25, 0
	s_waitcnt lgkmcnt(1)
	v_cndmask_b32_e32 v7, 0, v7, vcc
	v_cmp_gt_u32_e32 vcc, v44, v5
	s_nop 1
	v_cndmask_b32_e64 v5, v7, 0, vcc
	v_add_u32_e32 v3, v5, v3
	s_waitcnt lgkmcnt(0)
	v_cndmask_b32_e64 v5, v6, 0, vcc
	v_add_u32_e32 v2, v5, v2
	s_branch .LBB677_77
.LBB677_76:                             ;   in Loop: Header=BB677_77 Depth=1
	s_or_b64 exec, exec, s[0:1]
	v_cmp_eq_u16_sdwa s[0:1], v4, v32 src0_sel:BYTE_0 src1_sel:DWORD
	v_cmp_eq_u32_e32 vcc, 0, v2
	ds_bpermute_b32 v29, v34, v2
	v_and_b32_e32 v5, s1, v27
	v_or_b32_e32 v5, 0x80000000, v5
	v_and_b32_e32 v28, s0, v26
	v_ffbl_b32_e32 v5, v5
	v_add_u32_e32 v5, 32, v5
	v_ffbl_b32_e32 v28, v28
	v_min_u32_e32 v5, v28, v5
	ds_bpermute_b32 v28, v34, v3
	v_cmp_lt_u32_e64 s[0:1], v33, v5
	s_and_b64 vcc, s[0:1], vcc
	v_subrev_u32_e32 v24, 64, v24
	s_waitcnt lgkmcnt(1)
	v_cndmask_b32_e64 v29, 0, v29, s[0:1]
	s_waitcnt lgkmcnt(0)
	v_cndmask_b32_e32 v28, 0, v28, vcc
	v_add_u32_e32 v3, v28, v3
	ds_bpermute_b32 v28, v35, v3
	v_add_u32_e32 v2, v29, v2
	v_cmp_eq_u32_e32 vcc, 0, v2
	ds_bpermute_b32 v29, v35, v2
	s_waitcnt lgkmcnt(1)
	v_cndmask_b32_e32 v28, 0, v28, vcc
	v_cmp_gt_u32_e32 vcc, v36, v5
	s_nop 1
	v_cndmask_b32_e64 v28, v28, 0, vcc
	v_add_u32_e32 v3, v28, v3
	ds_bpermute_b32 v28, v37, v3
	s_waitcnt lgkmcnt(1)
	v_cndmask_b32_e64 v29, v29, 0, vcc
	v_add_u32_e32 v2, v2, v29
	v_cmp_eq_u32_e32 vcc, 0, v2
	ds_bpermute_b32 v29, v37, v2
	s_waitcnt lgkmcnt(1)
	v_cndmask_b32_e32 v28, 0, v28, vcc
	v_cmp_gt_u32_e32 vcc, v38, v5
	s_nop 1
	v_cndmask_b32_e64 v28, v28, 0, vcc
	v_add_u32_e32 v3, v3, v28
	ds_bpermute_b32 v28, v39, v3
	s_waitcnt lgkmcnt(1)
	v_cndmask_b32_e64 v29, v29, 0, vcc
	v_add_u32_e32 v2, v2, v29
	ds_bpermute_b32 v29, v39, v2
	v_cmp_eq_u32_e32 vcc, 0, v2
	s_waitcnt lgkmcnt(1)
	s_nop 0
	v_cndmask_b32_e32 v28, 0, v28, vcc
	v_cmp_gt_u32_e32 vcc, v40, v5
	s_nop 1
	v_cndmask_b32_e64 v28, v28, 0, vcc
	v_add_u32_e32 v3, v3, v28
	ds_bpermute_b32 v28, v41, v3
	s_waitcnt lgkmcnt(1)
	v_cndmask_b32_e64 v29, v29, 0, vcc
	v_add_u32_e32 v2, v2, v29
	ds_bpermute_b32 v29, v41, v2
	v_cmp_eq_u32_e32 vcc, 0, v2
	s_waitcnt lgkmcnt(1)
	s_nop 0
	;; [unrolled: 13-line block ×3, first 2 shown]
	v_cndmask_b32_e32 v28, 0, v28, vcc
	v_cmp_gt_u32_e32 vcc, v44, v5
	s_nop 1
	v_cndmask_b32_e64 v5, v28, 0, vcc
	v_add_u32_e32 v3, v5, v3
	s_waitcnt lgkmcnt(0)
	v_cndmask_b32_e64 v5, v29, 0, vcc
	v_cmp_eq_u32_e32 vcc, 0, v6
	v_add3_u32 v2, v2, v6, v5
	s_nop 0
	v_cndmask_b32_e32 v3, 0, v3, vcc
	v_add_u32_e32 v3, v3, v7
.LBB677_77:                             ; =>This Loop Header: Depth=1
                                        ;     Child Loop BB677_80 Depth 2
	v_cmp_ne_u16_sdwa s[0:1], v4, v32 src0_sel:BYTE_0 src1_sel:DWORD
	v_mov_b32_e32 v7, v3
	v_mov_b32_e32 v6, v2
	v_cndmask_b32_e64 v3, 0, 1, s[0:1]
	;;#ASMSTART
	;;#ASMEND
	s_nop 0
	v_cmp_ne_u32_e32 vcc, 0, v3
	s_cmp_lg_u64 vcc, exec
	s_cbranch_scc1 .LBB677_82
; %bb.78:                               ;   in Loop: Header=BB677_77 Depth=1
	v_lshl_add_u64 v[28:29], v[24:25], 4, s[36:37]
	;;#ASMSTART
	global_load_dwordx4 v[2:5], v[28:29] off sc1	
s_waitcnt vmcnt(0)
	;;#ASMEND
	s_nop 0
	v_and_b32_e32 v5, 0xff, v3
	v_and_b32_e32 v45, 0xff00, v3
	v_or3_b32 v2, v2, 0, 0
	v_and_b32_e32 v46, 0xff000000, v3
	v_or3_b32 v5, 0, v5, v45
	;; [unrolled: 2-line block ×3, first 2 shown]
	v_or3_b32 v2, v2, 0, 0
	v_cmp_eq_u16_sdwa s[54:55], v4, v25 src0_sel:BYTE_0 src1_sel:DWORD
	s_and_saveexec_b64 s[0:1], s[54:55]
	s_cbranch_execz .LBB677_76
; %bb.79:                               ;   in Loop: Header=BB677_77 Depth=1
	s_mov_b64 s[54:55], 0
.LBB677_80:                             ;   Parent Loop BB677_77 Depth=1
                                        ; =>  This Inner Loop Header: Depth=2
	;;#ASMSTART
	global_load_dwordx4 v[2:5], v[28:29] off sc1	
s_waitcnt vmcnt(0)
	;;#ASMEND
	s_nop 0
	v_cmp_ne_u16_sdwa s[60:61], v4, v25 src0_sel:BYTE_0 src1_sel:DWORD
	s_or_b64 s[54:55], s[60:61], s[54:55]
	s_andn2_b64 exec, exec, s[54:55]
	s_cbranch_execnz .LBB677_80
; %bb.81:                               ;   in Loop: Header=BB677_77 Depth=1
	s_or_b64 exec, exec, s[54:55]
	s_branch .LBB677_76
.LBB677_82:                             ;   in Loop: Header=BB677_77 Depth=1
                                        ; implicit-def: $vgpr3
                                        ; implicit-def: $vgpr2
                                        ; implicit-def: $vgpr4
	s_cbranch_execz .LBB677_77
; %bb.83:
	s_and_saveexec_b64 s[0:1], s[28:29]
	s_cbranch_execz .LBB677_85
; %bb.84:
	s_cmp_eq_u32 s57, 0
	s_cselect_b64 vcc, -1, 0
	s_mov_b32 s55, 0
	v_cndmask_b32_e32 v2, 0, v7, vcc
	s_add_i32 s54, s56, 64
	v_add_u32_e32 v2, s58, v2
	s_lshl_b64 s[54:55], s[54:55], 4
	s_add_u32 s54, s36, s54
	v_and_b32_e32 v3, 0xff000000, v2
	v_and_b32_e32 v4, 0xff0000, v2
	s_addc_u32 s55, s37, s55
	v_or_b32_e32 v3, v4, v3
	v_and_b32_e32 v4, 0xff00, v2
	v_and_b32_e32 v2, 0xff, v2
	v_add_u32_e32 v24, s57, v6
	v_mov_b32_e32 v27, 0
	v_or3_b32 v25, v3, v4, v2
	v_mov_b32_e32 v26, 2
	v_mov_b64_e32 v[2:3], s[54:55]
	;;#ASMSTART
	global_store_dwordx4 v[2:3], v[24:27] off sc1	
s_waitcnt vmcnt(0)
	;;#ASMEND
	v_mov_b32_e32 v4, s57
	v_mov_b32_e32 v5, s58
	ds_write_b128 v27, v[4:7] offset:4096
.LBB677_85:
	s_or_b64 exec, exec, s[0:1]
	s_and_b64 exec, exec, s[34:35]
	s_cbranch_execz .LBB677_87
; %bb.86:
	v_mov_b32_e32 v2, 0
	ds_write_b64 v2, v[6:7] offset:4168
.LBB677_87:
	s_or_b64 exec, exec, s[52:53]
	v_mov_b32_e32 v4, 0
	s_waitcnt lgkmcnt(0)
	s_barrier
	ds_read_b64 v[2:3], v4 offset:4168
	v_cndmask_b32_e64 v6, v30, v22, s[28:29]
	v_cmp_eq_u32_e32 vcc, 0, v6
	v_cndmask_b32_e64 v5, v31, v23, s[28:29]
	s_waitcnt lgkmcnt(0)
	v_cndmask_b32_e32 v7, 0, v3, vcc
	v_add_u32_e32 v5, v7, v5
	v_cndmask_b32_e64 v51, v5, v3, s[34:35]
	v_cndmask_b32_e64 v3, v6, 0, s[34:35]
	v_cmp_eq_u32_e32 vcc, 0, v70
	v_add_u32_e32 v50, v2, v3
	v_add_u32_e32 v48, v50, v70
	v_cndmask_b32_e32 v2, 0, v51, vcc
	v_add_u32_e32 v49, v2, v52
	v_cndmask_b32_e64 v2, 0, v49, s[26:27]
	v_add_u32_e32 v47, v2, v52
	v_cndmask_b32_e64 v2, 0, v47, s[24:25]
	;; [unrolled: 2-line block ×8, first 2 shown]
	v_add_u32_e32 v33, v2, v52
	v_add_u32_e32 v46, v48, v69
	v_cndmask_b32_e64 v2, 0, v33, s[10:11]
	v_add_u32_e32 v44, v46, v68
	v_add_u32_e32 v31, v2, v52
	v_add_u32_e32 v42, v44, v67
	v_cndmask_b32_e64 v2, 0, v31, s[8:9]
	v_add_u32_e32 v40, v42, v66
	;; [unrolled: 4-line block ×3, first 2 shown]
	v_add_u32_e32 v27, v2, v52
	s_barrier
	ds_read_b128 v[2:5], v4 offset:4096
	v_add_u32_e32 v34, v36, v63
	v_add_u32_e32 v32, v34, v62
	;; [unrolled: 1-line block ×4, first 2 shown]
	v_cndmask_b32_e64 v6, 0, v27, s[4:5]
	v_add_u32_e32 v26, v28, v59
	v_add_u32_e32 v23, v6, v52
	s_waitcnt lgkmcnt(0)
	v_cmp_eq_u32_e32 vcc, 0, v2
	v_add_u32_e32 v22, v26, v58
	v_cndmask_b32_e64 v6, 0, v23, s[2:3]
	v_cndmask_b32_e32 v5, 0, v5, vcc
	v_add_u32_e32 v24, v22, v57
	v_add_u32_e32 v25, v6, v52
	v_add_u32_e32 v6, v5, v3
	s_branch .LBB677_100
.LBB677_88:
                                        ; implicit-def: $vgpr2
                                        ; implicit-def: $vgpr6
                                        ; implicit-def: $vgpr24_vgpr25
                                        ; implicit-def: $vgpr22_vgpr23
                                        ; implicit-def: $vgpr26_vgpr27
                                        ; implicit-def: $vgpr28_vgpr29
                                        ; implicit-def: $vgpr50_vgpr51
                                        ; implicit-def: $vgpr48_vgpr49
                                        ; implicit-def: $vgpr46_vgpr47
                                        ; implicit-def: $vgpr44_vgpr45
                                        ; implicit-def: $vgpr42_vgpr43
                                        ; implicit-def: $vgpr40_vgpr41
                                        ; implicit-def: $vgpr38_vgpr39
                                        ; implicit-def: $vgpr36_vgpr37
                                        ; implicit-def: $vgpr34_vgpr35
                                        ; implicit-def: $vgpr32_vgpr33
                                        ; implicit-def: $vgpr30_vgpr31
	s_cbranch_execz .LBB677_100
; %bb.89:
	s_and_b64 s[0:1], s[38:39], exec
	s_cselect_b32 s1, 0, s51
	s_cselect_b32 s0, 0, s50
	s_cmp_eq_u64 s[0:1], 0
	v_mov_b32_e32 v6, v52
	s_cbranch_scc1 .LBB677_91
; %bb.90:
	v_mov_b32_e32 v2, 0
	global_load_dword v6, v2, s[0:1]
.LBB677_91:
	v_cmp_eq_u32_e64 s[2:3], 0, v69
	v_cmp_eq_u32_e64 s[4:5], 0, v68
	v_cmp_eq_u32_e64 s[6:7], 0, v67
	v_cndmask_b32_e64 v2, 0, v52, s[2:3]
	v_add_u32_e32 v2, v2, v52
	v_cndmask_b32_e64 v2, 0, v2, s[4:5]
	v_add_u32_e32 v2, v2, v52
	v_cndmask_b32_e64 v2, 0, v2, s[6:7]
	v_add_u32_e32 v2, v2, v52
	v_cmp_eq_u32_e64 s[8:9], 0, v66
	v_cmp_eq_u32_e64 s[10:11], 0, v65
	v_cmp_eq_u32_e64 s[12:13], 0, v64
	v_cndmask_b32_e64 v2, 0, v2, s[8:9]
	v_add_u32_e32 v2, v2, v52
	v_cndmask_b32_e64 v2, 0, v2, s[10:11]
	v_add_u32_e32 v2, v2, v52
	v_cndmask_b32_e64 v2, 0, v2, s[12:13]
	v_add_u32_e32 v2, v2, v52
	;; [unrolled: 9-line block ×3, first 2 shown]
	v_cmp_eq_u32_e64 s[20:21], 0, v60
	v_cmp_eq_u32_e64 s[22:23], 0, v59
	;; [unrolled: 1-line block ×3, first 2 shown]
	v_cndmask_b32_e64 v2, 0, v2, s[20:21]
	v_add_u32_e32 v2, v2, v52
	v_cndmask_b32_e64 v2, 0, v2, s[22:23]
	v_add_u32_e32 v2, v2, v52
	v_cndmask_b32_e64 v2, 0, v2, s[24:25]
	v_add3_u32 v3, v72, v65, v64
	v_add_u32_e32 v2, v2, v52
	v_cmp_eq_u32_e32 vcc, 0, v57
	v_add3_u32 v3, v3, v63, v62
	v_add3_u32 v3, v3, v61, v60
	v_cndmask_b32_e32 v2, 0, v2, vcc
	v_add_u32_e32 v2, v2, v52
	v_cmp_eq_u32_e64 s[0:1], 0, v56
	v_add3_u32 v3, v3, v59, v58
	v_add3_u32 v3, v3, v57, v56
	v_cndmask_b32_e64 v2, 0, v2, s[0:1]
	v_add_u32_e32 v2, v2, v53
	v_mbcnt_hi_u32_b32 v7, -1, v71
	v_and_b32_e32 v4, 15, v7
	v_mov_b32_dpp v22, v2 row_shr:1 row_mask:0xf bank_mask:0xf
	v_cmp_eq_u32_e64 s[0:1], 0, v3
	v_mov_b32_dpp v5, v3 row_shr:1 row_mask:0xf bank_mask:0xf
	v_cmp_lt_u32_e64 s[26:27], 1, v4
	v_cndmask_b32_e64 v22, 0, v22, s[0:1]
	v_cmp_eq_u32_e64 s[0:1], 0, v4
	s_nop 1
	v_cndmask_b32_e64 v5, v5, 0, s[0:1]
	v_add_u32_e32 v3, v5, v3
	v_cndmask_b32_e64 v5, v22, 0, s[0:1]
	v_add_u32_e32 v2, v5, v2
	v_cmp_eq_u32_e64 s[0:1], 0, v3
	v_mov_b32_dpp v5, v3 row_shr:2 row_mask:0xf bank_mask:0xf
	v_mov_b32_dpp v22, v2 row_shr:2 row_mask:0xf bank_mask:0xf
	v_cndmask_b32_e64 v5, 0, v5, s[26:27]
	s_and_b64 s[0:1], s[26:27], s[0:1]
	v_cndmask_b32_e64 v22, 0, v22, s[0:1]
	v_add_u32_e32 v3, v3, v5
	v_add_u32_e32 v2, v22, v2
	v_cmp_eq_u32_e64 s[0:1], 0, v3
	v_mov_b32_dpp v5, v3 row_shr:4 row_mask:0xf bank_mask:0xf
	v_cmp_lt_u32_e64 s[26:27], 3, v4
	v_mov_b32_dpp v22, v2 row_shr:4 row_mask:0xf bank_mask:0xf
	s_and_b64 s[0:1], s[26:27], s[0:1]
	v_cndmask_b32_e64 v5, 0, v5, s[26:27]
	v_cndmask_b32_e64 v22, 0, v22, s[0:1]
	v_add_u32_e32 v3, v5, v3
	v_add_u32_e32 v2, v2, v22
	v_cmp_eq_u32_e64 s[0:1], 0, v3
	v_cmp_lt_u32_e64 s[26:27], 7, v4
	v_mov_b32_dpp v5, v3 row_shr:8 row_mask:0xf bank_mask:0xf
	v_mov_b32_dpp v22, v2 row_shr:8 row_mask:0xf bank_mask:0xf
	s_and_b64 s[0:1], s[26:27], s[0:1]
	v_cndmask_b32_e64 v4, 0, v5, s[26:27]
	v_cndmask_b32_e64 v5, 0, v22, s[0:1]
	v_add_u32_e32 v2, v5, v2
	v_add_u32_e32 v3, v4, v3
	v_bfe_i32 v22, v7, 4, 1
	v_mov_b32_dpp v5, v2 row_bcast:15 row_mask:0xf bank_mask:0xf
	v_mov_b32_dpp v4, v3 row_bcast:15 row_mask:0xf bank_mask:0xf
	v_cmp_eq_u32_e64 s[0:1], 0, v3
	v_and_b32_e32 v4, v22, v4
	v_add_u32_e32 v3, v4, v3
	v_cndmask_b32_e64 v5, 0, v5, s[0:1]
	v_and_b32_e32 v4, v22, v5
	v_add_u32_e32 v4, v4, v2
	v_mov_b32_dpp v2, v3 row_bcast:31 row_mask:0xf bank_mask:0xf
	v_cmp_eq_u32_e64 s[0:1], 0, v3
	v_cmp_lt_u32_e64 s[26:27], 31, v7
	v_mov_b32_dpp v5, v4 row_bcast:31 row_mask:0xf bank_mask:0xf
	s_and_b64 s[0:1], s[26:27], s[0:1]
	v_cndmask_b32_e64 v2, 0, v2, s[26:27]
	v_add_u32_e32 v2, v2, v3
	v_cndmask_b32_e64 v3, 0, v5, s[0:1]
	v_add_u32_e32 v3, v3, v4
	v_cmp_eq_u32_e64 s[0:1], v55, v0
	v_lshlrev_b32_e32 v5, 3, v54
	s_and_saveexec_b64 s[26:27], s[0:1]
	s_cbranch_execz .LBB677_93
; %bb.92:
	ds_write_b64 v5, v[2:3] offset:4112
.LBB677_93:
	s_or_b64 exec, exec, s[26:27]
	v_cmp_gt_u32_e64 s[0:1], 8, v0
	s_waitcnt lgkmcnt(0)
	s_barrier
	s_and_saveexec_b64 s[28:29], s[0:1]
	s_cbranch_execz .LBB677_95
; %bb.94:
	v_lshlrev_b32_e32 v4, 3, v0
	ds_read_b64 v[22:23], v4 offset:4112
	v_and_b32_e32 v24, 7, v7
	v_cmp_lt_u32_e64 s[26:27], 1, v24
	s_waitcnt lgkmcnt(0)
	v_mov_b32_dpp v26, v23 row_shr:1 row_mask:0xf bank_mask:0xf
	v_cmp_eq_u32_e64 s[0:1], 0, v22
	v_mov_b32_dpp v25, v22 row_shr:1 row_mask:0xf bank_mask:0xf
	s_nop 0
	v_cndmask_b32_e64 v26, 0, v26, s[0:1]
	v_cmp_eq_u32_e64 s[0:1], 0, v24
	s_nop 1
	v_cndmask_b32_e64 v25, v25, 0, s[0:1]
	v_add_u32_e32 v22, v25, v22
	v_cndmask_b32_e64 v25, v26, 0, s[0:1]
	v_add_u32_e32 v23, v25, v23
	v_cmp_eq_u32_e64 s[0:1], 0, v22
	v_mov_b32_dpp v25, v22 row_shr:2 row_mask:0xf bank_mask:0xf
	v_mov_b32_dpp v26, v23 row_shr:2 row_mask:0xf bank_mask:0xf
	v_cndmask_b32_e64 v25, 0, v25, s[26:27]
	s_and_b64 s[0:1], s[26:27], s[0:1]
	v_cndmask_b32_e64 v26, 0, v26, s[0:1]
	v_add_u32_e32 v22, v25, v22
	v_add_u32_e32 v23, v26, v23
	v_cmp_eq_u32_e64 s[0:1], 0, v22
	v_mov_b32_dpp v25, v22 row_shr:4 row_mask:0xf bank_mask:0xf
	v_cmp_lt_u32_e64 s[26:27], 3, v24
	v_mov_b32_dpp v26, v23 row_shr:4 row_mask:0xf bank_mask:0xf
	s_and_b64 s[0:1], s[26:27], s[0:1]
	v_cndmask_b32_e64 v24, 0, v25, s[26:27]
	v_add_u32_e32 v22, v24, v22
	v_cndmask_b32_e64 v24, 0, v26, s[0:1]
	v_add_u32_e32 v23, v24, v23
	ds_write_b64 v4, v[22:23] offset:4112
.LBB677_95:
	s_or_b64 exec, exec, s[28:29]
	v_cmp_lt_u32_e64 s[0:1], 63, v0
	v_mov_b32_e32 v23, 0
	v_mov_b32_e32 v4, 0
	s_waitcnt vmcnt(0)
	v_mov_b32_e32 v22, v6
	s_waitcnt lgkmcnt(0)
	s_barrier
	s_and_saveexec_b64 s[26:27], s[0:1]
	s_cbranch_execz .LBB677_97
; %bb.96:
	ds_read_b64 v[4:5], v5 offset:4104
	s_waitcnt lgkmcnt(0)
	v_cmp_eq_u32_e64 s[0:1], 0, v4
	s_nop 1
	v_cndmask_b32_e64 v22, 0, v6, s[0:1]
	v_add_u32_e32 v22, v22, v5
.LBB677_97:
	s_or_b64 exec, exec, s[26:27]
	v_cmp_eq_u32_e64 s[0:1], 0, v2
	v_add_u32_e32 v5, v4, v2
	v_and_b32_e32 v24, 64, v7
	v_cndmask_b32_e64 v2, 0, v22, s[0:1]
	v_add_u32_e32 v2, v2, v3
	v_add_u32_e32 v3, -1, v7
	v_cmp_lt_i32_e64 s[0:1], v3, v24
	s_nop 1
	v_cndmask_b32_e64 v3, v3, v7, s[0:1]
	v_lshlrev_b32_e32 v3, 2, v3
	ds_bpermute_b32 v2, v3, v2
	ds_bpermute_b32 v5, v3, v5
	v_cmp_eq_u32_e64 s[0:1], 0, v7
	s_waitcnt lgkmcnt(1)
	s_nop 0
	v_cndmask_b32_e64 v2, v2, v22, s[0:1]
	s_waitcnt lgkmcnt(0)
	v_cndmask_b32_e64 v3, v5, v4, s[0:1]
	v_cndmask_b32_e64 v51, v2, v6, s[34:35]
	v_cmp_eq_u32_e64 s[0:1], 0, v70
	v_cndmask_b32_e64 v50, v3, 0, s[34:35]
	v_add_u32_e32 v48, v50, v70
	v_cndmask_b32_e64 v2, 0, v51, s[0:1]
	v_add_u32_e32 v49, v2, v52
	;; [unrolled: 2-line block ×10, first 2 shown]
	v_add_u32_e32 v46, v48, v69
	v_cndmask_b32_e64 v2, 0, v33, s[18:19]
	v_add_u32_e32 v44, v46, v68
	v_add_u32_e32 v31, v2, v52
	v_add_u32_e32 v42, v44, v67
	v_cndmask_b32_e64 v2, 0, v31, s[20:21]
	v_add_u32_e32 v40, v42, v66
	v_add_u32_e32 v29, v2, v52
	;; [unrolled: 4-line block ×3, first 2 shown]
	ds_read_b64 v[2:3], v23 offset:4168
	v_add_u32_e32 v34, v36, v63
	v_add_u32_e32 v32, v34, v62
	;; [unrolled: 1-line block ×3, first 2 shown]
	v_cndmask_b32_e64 v4, 0, v27, s[24:25]
	v_add_u32_e32 v28, v30, v60
	v_add_u32_e32 v23, v4, v52
	;; [unrolled: 1-line block ×3, first 2 shown]
	v_cndmask_b32_e32 v4, 0, v23, vcc
	s_waitcnt lgkmcnt(0)
	v_cmp_eq_u32_e32 vcc, 0, v2
	v_add_u32_e32 v22, v26, v58
	v_add_u32_e32 v25, v4, v52
	v_cndmask_b32_e32 v4, 0, v6, vcc
	v_add_u32_e32 v24, v22, v57
	v_add_u32_e32 v6, v4, v3
	s_and_saveexec_b64 s[0:1], s[34:35]
	s_cbranch_execz .LBB677_99
; %bb.98:
	s_add_u32 s2, s36, 0x400
	v_and_b32_e32 v3, 0xff000000, v6
	v_and_b32_e32 v4, 0xff0000, v6
	s_addc_u32 s3, s37, 0
	v_or_b32_e32 v3, v4, v3
	v_and_b32_e32 v4, 0xff00, v6
	v_and_b32_e32 v7, 0xff, v6
	v_mov_b32_e32 v5, 0
	v_or3_b32 v3, v3, v4, v7
	v_mov_b32_e32 v4, 2
	v_mov_b64_e32 v[52:53], s[2:3]
	;;#ASMSTART
	global_store_dwordx4 v[52:53], v[2:5] off sc1	
s_waitcnt vmcnt(0)
	;;#ASMEND
.LBB677_99:
	s_or_b64 exec, exec, s[0:1]
	v_mov_b32_e32 v4, 0
.LBB677_100:
	s_and_b64 s[0:1], s[38:39], exec
	s_cselect_b32 s1, 0, s31
	s_cselect_b32 s0, 0, s30
	s_cmp_eq_u64 s[0:1], 0
	v_mov_b64_e32 v[52:53], 0
	s_barrier
	s_cbranch_scc1 .LBB677_102
; %bb.101:
	v_mov_b32_e32 v3, 0
	global_load_dwordx2 v[52:53], v3, s[0:1]
.LBB677_102:
	v_cmp_eq_u32_e32 vcc, 0, v70
	s_waitcnt vmcnt(0)
	v_lshlrev_b64 v[54:55], 2, v[52:53]
	v_mov_b32_e32 v5, 0
	v_cndmask_b32_e64 v3, 1, 2, vcc
	v_cmp_eq_u32_e32 vcc, 0, v69
	s_movk_i32 s0, 0x200
	v_lshl_add_u64 v[54:55], s[44:45], 0, v[54:55]
	v_cndmask_b32_e64 v7, 1, 2, vcc
	v_cmp_eq_u32_e32 vcc, 0, v68
	v_and_b32_e32 v3, v7, v3
	v_lshlrev_b64 v[72:73], 2, v[4:5]
	v_cndmask_b32_e64 v7, 1, 2, vcc
	v_cmp_eq_u32_e32 vcc, 0, v67
	v_and_b32_e32 v3, v3, v7
	v_lshl_add_u64 v[54:55], v[54:55], 0, v[72:73]
	v_cndmask_b32_e64 v7, 1, 2, vcc
	v_cmp_eq_u32_e32 vcc, 0, v66
	v_and_b32_e32 v3, v3, v7
	v_cmp_ne_u32_e64 s[30:31], 0, v70
	v_cndmask_b32_e64 v7, 1, 2, vcc
	v_cmp_eq_u32_e32 vcc, 0, v65
	v_and_b32_e32 v3, v3, v7
	v_cmp_ne_u32_e64 s[28:29], 0, v69
	;; [unrolled: 4-line block ×11, first 2 shown]
	v_cndmask_b32_e64 v7, 1, 2, vcc
	v_and_b32_e32 v3, v3, v7
	v_cmp_gt_u32_e32 vcc, s0, v2
	v_cmp_ne_u32_e64 s[8:9], 0, v59
	v_cmp_ne_u32_e64 s[6:7], 0, v58
	;; [unrolled: 1-line block ×4, first 2 shown]
	s_mov_b64 s[36:37], -1
	v_cmp_gt_i16_e64 s[0:1], 2, v3
	s_cbranch_vccz .LBB677_109
; %bb.103:
	s_and_saveexec_b64 s[36:37], s[0:1]
	s_cbranch_execz .LBB677_108
; %bb.104:
	v_cmp_ne_u16_e32 vcc, 1, v3
	s_mov_b64 s[38:39], 0
	s_and_saveexec_b64 s[0:1], vcc
	s_xor_b64 s[0:1], exec, s[0:1]
	s_cbranch_execnz .LBB677_151
; %bb.105:
	s_andn2_saveexec_b64 s[0:1], s[0:1]
	s_cbranch_execnz .LBB677_167
.LBB677_106:
	s_or_b64 exec, exec, s[0:1]
	s_and_b64 exec, exec, s[38:39]
	s_cbranch_execz .LBB677_108
.LBB677_107:
	v_sub_u32_e32 v72, v24, v4
	v_mov_b32_e32 v73, 0
	v_lshl_add_u64 v[72:73], v[72:73], 2, v[54:55]
	global_store_dword v[72:73], v1, off
.LBB677_108:
	s_or_b64 exec, exec, s[36:37]
	s_mov_b64 s[36:37], 0
.LBB677_109:
	s_and_b64 vcc, exec, s[36:37]
	s_cbranch_vccz .LBB677_129
; %bb.110:
	v_cmp_gt_i16_e32 vcc, 2, v3
	s_and_saveexec_b64 s[0:1], vcc
	s_cbranch_execz .LBB677_115
; %bb.111:
	v_cmp_ne_u16_e32 vcc, 1, v3
	s_mov_b64 s[38:39], 0
	s_and_saveexec_b64 s[36:37], vcc
	s_xor_b64 s[36:37], exec, s[36:37]
	s_cbranch_execnz .LBB677_168
; %bb.112:
	s_andn2_saveexec_b64 s[2:3], s[36:37]
	s_cbranch_execnz .LBB677_184
.LBB677_113:
	s_or_b64 exec, exec, s[2:3]
	s_and_b64 exec, exec, s[38:39]
	s_cbranch_execz .LBB677_115
.LBB677_114:
	v_sub_u32_e32 v3, v24, v4
	v_lshlrev_b32_e32 v3, 2, v3
	ds_write_b32 v3, v1
.LBB677_115:
	s_or_b64 exec, exec, s[0:1]
	v_cmp_lt_u32_e32 vcc, v0, v2
	s_waitcnt lgkmcnt(0)
	s_barrier
	s_and_saveexec_b64 s[0:1], vcc
	s_cbranch_execz .LBB677_128
; %bb.116:
	v_xad_u32 v1, v0, -1, v2
	s_movk_i32 s2, 0x1ff
	v_cmp_lt_u32_e32 vcc, s2, v1
	s_mov_b64 s[4:5], -1
	v_mov_b32_e32 v8, v0
	s_and_saveexec_b64 s[2:3], vcc
	s_cbranch_execz .LBB677_125
; %bb.117:
	v_lshrrev_b32_e32 v3, 9, v1
	v_add_u32_e32 v8, -1, v3
	v_or_b32_e32 v1, 0x200, v0
	v_lshrrev_b32_e32 v7, 1, v8
	v_add_u32_e32 v7, 1, v7
	v_cmp_lt_u32_e32 vcc, 13, v8
	v_mov_b32_e32 v14, 0
	v_mov_b64_e32 v[8:9], v[0:1]
	s_and_saveexec_b64 s[4:5], vcc
	s_cbranch_execz .LBB677_121
; %bb.118:
	v_and_b32_e32 v12, -8, v7
	v_lshlrev_b32_e32 v13, 2, v0
	s_mov_b32 s8, 0
	s_mov_b64 s[6:7], 0
	v_mov_b32_e32 v11, 0
	v_mov_b64_e32 v[8:9], v[0:1]
.LBB677_119:                            ; =>This Inner Loop Header: Depth=1
	ds_read2st64_b32 v[16:17], v13 offset1:8
	v_mov_b32_e32 v10, v8
	ds_read2st64_b32 v[76:77], v13 offset0:48 offset1:56
	v_lshl_add_u64 v[94:95], v[10:11], 2, v[54:55]
	v_mov_b32_e32 v10, v9
	ds_read2st64_b32 v[18:19], v13 offset0:16 offset1:24
	ds_read2st64_b32 v[80:81], v13 offset0:64 offset1:72
	v_lshl_add_u64 v[98:99], v[10:11], 2, v[54:55]
	v_add_u32_e32 v10, 0x400, v8
	ds_read2st64_b32 v[84:85], v13 offset0:80 offset1:88
	v_lshl_add_u64 v[100:101], v[10:11], 2, v[54:55]
	v_add_u32_e32 v10, 0x800, v8
	v_add_u32_e32 v14, 0x400, v9
	v_mov_b32_e32 v15, v11
	v_add_u32_e32 v20, 0x800, v9
	ds_read2st64_b32 v[72:73], v13 offset0:32 offset1:40
	v_mov_b32_e32 v21, v11
	ds_read2st64_b32 v[88:89], v13 offset0:96 offset1:104
	v_lshl_add_u64 v[102:103], v[10:11], 2, v[54:55]
	v_add_u32_e32 v10, 0xc00, v8
	v_add_u32_e32 v74, 0xc00, v9
	v_mov_b32_e32 v75, v11
	ds_read2st64_b32 v[92:93], v13 offset0:112 offset1:120
	v_lshl_add_u64 v[96:97], v[14:15], 2, v[54:55]
	v_lshl_add_u64 v[20:21], v[20:21], 2, v[54:55]
	s_waitcnt lgkmcnt(7)
	global_store_dword v[94:95], v16, off
	global_store_dword v[98:99], v17, off
	s_waitcnt lgkmcnt(5)
	global_store_dword v[100:101], v18, off
	global_store_dword v[96:97], v19, off
	;; [unrolled: 3-line block ×3, first 2 shown]
	v_lshl_add_u64 v[16:17], v[10:11], 2, v[54:55]
	v_add_u32_e32 v10, 0x1000, v8
	v_add_u32_e32 v78, 0x1000, v9
	v_mov_b32_e32 v79, v11
	v_lshl_add_u64 v[74:75], v[74:75], 2, v[54:55]
	global_store_dword v[16:17], v76, off
	global_store_dword v[74:75], v77, off
	v_lshl_add_u64 v[16:17], v[10:11], 2, v[54:55]
	v_add_u32_e32 v10, 0x1400, v8
	v_add_u32_e32 v82, 0x1400, v9
	v_mov_b32_e32 v83, v11
	v_add_u32_e32 v12, -8, v12
	v_lshl_add_u64 v[78:79], v[78:79], 2, v[54:55]
	global_store_dword v[16:17], v80, off
	global_store_dword v[78:79], v81, off
	v_lshl_add_u64 v[16:17], v[10:11], 2, v[54:55]
	v_add_u32_e32 v10, 0x1800, v8
	v_add_u32_e32 v86, 0x1800, v9
	v_mov_b32_e32 v87, v11
	s_add_i32 s8, s8, 16
	v_lshl_add_u64 v[82:83], v[82:83], 2, v[54:55]
	v_cmp_eq_u32_e32 vcc, 0, v12
	global_store_dword v[16:17], v84, off
	global_store_dword v[82:83], v85, off
	v_lshl_add_u64 v[16:17], v[10:11], 2, v[54:55]
	v_add_u32_e32 v10, 0x1c00, v8
	v_add_u32_e32 v90, 0x1c00, v9
	v_mov_b32_e32 v91, v11
	v_add_u32_e32 v13, 0x8000, v13
	v_lshl_add_u64 v[86:87], v[86:87], 2, v[54:55]
	v_add_u32_e32 v9, 0x2000, v9
	v_mov_b32_e32 v14, s8
	s_or_b64 s[6:7], vcc, s[6:7]
	v_add_u32_e32 v8, 0x2000, v8
	s_waitcnt lgkmcnt(1)
	global_store_dword v[16:17], v88, off
	global_store_dword v[86:87], v89, off
	v_lshl_add_u64 v[16:17], v[10:11], 2, v[54:55]
	v_lshl_add_u64 v[90:91], v[90:91], 2, v[54:55]
	s_waitcnt lgkmcnt(0)
	global_store_dword v[16:17], v92, off
	global_store_dword v[90:91], v93, off
	s_andn2_b64 exec, exec, s[6:7]
	s_cbranch_execnz .LBB677_119
; %bb.120:
	s_or_b64 exec, exec, s[6:7]
.LBB677_121:
	s_or_b64 exec, exec, s[4:5]
	v_and_b32_e32 v1, 7, v7
	v_cmp_ne_u32_e32 vcc, 0, v1
	s_and_saveexec_b64 s[4:5], vcc
	s_cbranch_execz .LBB677_124
; %bb.122:
	v_lshlrev_b32_e32 v7, 2, v0
	v_lshl_or_b32 v7, v14, 11, v7
	s_mov_b64 s[6:7], 0
	v_mov_b32_e32 v11, 0
.LBB677_123:                            ; =>This Inner Loop Header: Depth=1
	ds_read2st64_b32 v[12:13], v7 offset1:8
	v_add_u32_e32 v1, -1, v1
	v_mov_b32_e32 v10, v8
	v_cmp_eq_u32_e32 vcc, 0, v1
	v_add_u32_e32 v8, 0x400, v8
	v_add_u32_e32 v7, 0x1000, v7
	v_lshl_add_u64 v[14:15], v[10:11], 2, v[54:55]
	v_mov_b32_e32 v10, v9
	v_add_u32_e32 v9, 0x400, v9
	s_or_b64 s[6:7], vcc, s[6:7]
	v_lshl_add_u64 v[16:17], v[10:11], 2, v[54:55]
	s_waitcnt lgkmcnt(0)
	global_store_dword v[14:15], v12, off
	global_store_dword v[16:17], v13, off
	s_andn2_b64 exec, exec, s[6:7]
	s_cbranch_execnz .LBB677_123
.LBB677_124:
	s_or_b64 exec, exec, s[4:5]
	v_add_u32_e32 v1, 1, v3
	v_and_b32_e32 v3, 0xfffffe, v1
	v_cmp_ne_u32_e32 vcc, v1, v3
	v_lshl_or_b32 v8, v3, 9, v0
	s_orn2_b64 s[4:5], vcc, exec
.LBB677_125:
	s_or_b64 exec, exec, s[2:3]
	s_and_b64 exec, exec, s[4:5]
	s_cbranch_execz .LBB677_128
; %bb.126:
	v_lshlrev_b32_e32 v1, 2, v8
	s_mov_b64 s[2:3], 0
	v_mov_b32_e32 v9, 0
.LBB677_127:                            ; =>This Inner Loop Header: Depth=1
	ds_read_b32 v3, v1
	v_lshl_add_u64 v[10:11], v[8:9], 2, v[54:55]
	v_add_u32_e32 v8, 0x200, v8
	v_cmp_ge_u32_e32 vcc, v8, v2
	v_add_u32_e32 v1, 0x800, v1
	s_or_b64 s[2:3], vcc, s[2:3]
	s_waitcnt lgkmcnt(0)
	global_store_dword v[10:11], v3, off
	s_andn2_b64 exec, exec, s[2:3]
	s_cbranch_execnz .LBB677_127
.LBB677_128:
	s_or_b64 exec, exec, s[0:1]
.LBB677_129:
	s_cmpk_lg_i32 s33, 0x1e00
	s_cselect_b64 s[0:1], -1, 0
	v_cndmask_b32_e64 v16, 0, 1, s[42:43]
	s_and_b64 s[0:1], s[0:1], s[40:41]
	v_sub_u32_e32 v1, v2, v16
	v_cndmask_b32_e64 v3, 0, 1, s[0:1]
	s_and_b64 s[0:1], s[34:35], s[42:43]
	v_add_u32_e32 v1, v1, v3
	v_cndmask_b32_e64 v3, v70, 0, s[0:1]
	s_mul_hi_u32 s0, s33, 0x88888889
	s_lshr_b32 s0, s0, 3
	v_mad_i32_i24 v7, v0, -15, s33
	v_cmp_eq_u32_e32 vcc, s0, v0
	v_cmp_ne_u32_e64 s[0:1], 0, v7
	s_and_b64 vcc, vcc, s[40:41]
	s_mov_b32 s2, 0
	v_cndmask_b32_e64 v8, 1, v3, s[0:1]
	v_cmp_ne_u32_e64 s[0:1], 1, v7
	s_movk_i32 s30, 0x200
	s_mov_b64 s[34:35], -1
	v_cndmask_b32_e64 v9, 1, v69, s[0:1]
	v_cmp_ne_u32_e64 s[0:1], 2, v7
	s_barrier
	s_nop 0
	v_cndmask_b32_e64 v10, 1, v68, s[0:1]
	v_cmp_ne_u32_e64 s[0:1], 3, v7
	s_nop 1
	v_cndmask_b32_e64 v11, 1, v67, s[0:1]
	v_cmp_ne_u32_e64 s[0:1], 4, v7
	;; [unrolled: 3-line block ×7, first 2 shown]
	v_cndmask_b32_e32 v55, v62, v17, vcc
	v_cndmask_b32_e32 v62, v69, v9, vcc
	v_cndmask_b32_e64 v18, 1, v61, s[0:1]
	v_cmp_ne_u32_e64 s[0:1], 10, v7
	v_cndmask_b32_e32 v18, v61, v18, vcc
	v_cndmask_b32_e32 v61, v68, v10, vcc
	v_cndmask_b32_e64 v19, 1, v60, s[0:1]
	v_cmp_ne_u32_e64 s[0:1], 11, v7
	;; [unrolled: 4-line block ×5, first 2 shown]
	v_cndmask_b32_e32 v54, v57, v54, vcc
	v_cndmask_b32_e32 v57, v64, v14, vcc
	v_cndmask_b32_e64 v7, 1, v56, s[0:1]
	v_cndmask_b32_e32 v7, v56, v7, vcc
	v_cndmask_b32_e32 v56, v63, v15, vcc
	;; [unrolled: 1-line block ×3, first 2 shown]
	v_mov_b32_e32 v17, s2
	v_cmp_eq_u32_e32 vcc, 0, v63
	v_lshl_add_u64 v[14:15], v[16:17], 0, -1
	v_add_u32_e32 v3, v4, v16
	v_cndmask_b32_e64 v16, 1, 2, vcc
	v_cmp_eq_u32_e32 vcc, 0, v62
	v_lshlrev_b64 v[10:11], 3, v[52:53]
	v_cmp_ne_u32_e64 s[0:1], 0, v7
	v_cndmask_b32_e64 v17, 1, 2, vcc
	v_cmp_eq_u32_e32 vcc, 0, v61
	v_and_b32_e32 v16, v17, v16
	v_lshl_add_u64 v[8:9], s[46:47], 0, v[10:11]
	v_cndmask_b32_e64 v17, 1, 2, vcc
	v_cmp_eq_u32_e32 vcc, 0, v60
	v_and_b32_e32 v16, v16, v17
	v_lshlrev_b64 v[12:13], 3, v[4:5]
	v_cndmask_b32_e64 v17, 1, 2, vcc
	v_cmp_eq_u32_e32 vcc, 0, v59
	v_and_b32_e32 v16, v16, v17
	v_lshl_add_u64 v[8:9], v[8:9], 0, v[12:13]
	v_cndmask_b32_e64 v17, 1, 2, vcc
	v_cmp_eq_u32_e32 vcc, 0, v58
	v_and_b32_e32 v16, v16, v17
	v_cmp_ne_u32_e64 s[28:29], 0, v63
	v_cndmask_b32_e64 v17, 1, 2, vcc
	v_cmp_eq_u32_e32 vcc, 0, v57
	v_and_b32_e32 v16, v16, v17
	v_cmp_ne_u32_e64 s[26:27], 0, v62
	;; [unrolled: 4-line block ×10, first 2 shown]
	v_cndmask_b32_e64 v7, 1, 2, vcc
	v_and_b32_e32 v7, v16, v7
	v_cmp_gt_u32_e32 vcc, s30, v1
	v_cmp_ne_u32_e64 s[8:9], 0, v19
	v_cmp_ne_u32_e64 s[6:7], 0, v20
	;; [unrolled: 1-line block ×4, first 2 shown]
	v_cmp_gt_i16_e64 s[30:31], 2, v7
	s_cbranch_vccz .LBB677_136
; %bb.130:
	s_and_saveexec_b64 s[34:35], s[30:31]
	s_cbranch_execz .LBB677_135
; %bb.131:
	v_lshlrev_b64 v[16:17], 3, v[14:15]
	v_lshl_add_u64 v[16:17], v[8:9], 0, v[16:17]
	v_cmp_ne_u16_e32 vcc, 1, v7
	s_mov_b64 s[36:37], 0
	s_and_saveexec_b64 s[30:31], vcc
	s_xor_b64 s[30:31], exec, s[30:31]
	s_cbranch_execnz .LBB677_185
; %bb.132:
	s_andn2_saveexec_b64 s[30:31], s[30:31]
	s_cbranch_execnz .LBB677_201
.LBB677_133:
	s_or_b64 exec, exec, s[30:31]
	s_and_b64 exec, exec, s[36:37]
	s_cbranch_execz .LBB677_135
.LBB677_134:
	v_mov_b32_e32 v19, 0
	v_sub_u32_e32 v20, v24, v3
	v_mov_b32_e32 v21, v19
	v_mov_b32_e32 v18, v25
	v_lshl_add_u64 v[16:17], v[20:21], 3, v[16:17]
	global_store_dwordx2 v[16:17], v[18:19], off
.LBB677_135:
	s_or_b64 exec, exec, s[34:35]
	s_mov_b64 s[34:35], 0
.LBB677_136:
	s_and_b64 vcc, exec, s[34:35]
	s_cbranch_vccz .LBB677_146
; %bb.137:
	v_cmp_gt_i16_e32 vcc, 2, v7
	s_and_saveexec_b64 s[30:31], vcc
	s_cbranch_execz .LBB677_142
; %bb.138:
	v_cmp_ne_u16_e32 vcc, 1, v7
	s_mov_b64 s[36:37], 0
	s_and_saveexec_b64 s[34:35], vcc
	s_xor_b64 s[34:35], exec, s[34:35]
	s_cbranch_execnz .LBB677_202
; %bb.139:
	s_andn2_saveexec_b64 s[0:1], s[34:35]
	s_cbranch_execnz .LBB677_218
.LBB677_140:
	s_or_b64 exec, exec, s[0:1]
	s_and_b64 exec, exec, s[36:37]
	s_cbranch_execz .LBB677_142
.LBB677_141:
	v_sub_u32_e32 v3, v24, v3
	v_lshlrev_b32_e32 v3, 2, v3
	ds_write_b32 v3, v25
.LBB677_142:
	s_or_b64 exec, exec, s[30:31]
	v_cmp_lt_u32_e32 vcc, v0, v1
	s_waitcnt lgkmcnt(0)
	s_barrier
	s_and_saveexec_b64 s[0:1], vcc
	s_cbranch_execz .LBB677_145
; %bb.143:
	v_lshlrev_b64 v[14:15], 3, v[14:15]
	v_lshl_add_u64 v[10:11], v[10:11], 0, v[14:15]
	v_lshl_add_u64 v[12:13], v[10:11], 0, v[12:13]
	v_lshlrev_b32_e32 v10, 3, v0
	v_mov_b32_e32 v11, 0
	v_lshl_add_u64 v[12:13], s[46:47], 0, v[12:13]
	v_lshlrev_b32_e32 v3, 2, v0
	v_lshl_add_u64 v[12:13], v[12:13], 0, v[10:11]
	s_mov_b64 s[2:3], 0
	s_mov_b64 s[4:5], 0x1000
	v_mov_b32_e32 v7, v0
.LBB677_144:                            ; =>This Inner Loop Header: Depth=1
	ds_read_b32 v10, v3
	v_add_u32_e32 v7, 0x200, v7
	v_cmp_ge_u32_e32 vcc, v7, v1
	v_add_u32_e32 v3, 0x800, v3
	s_or_b64 s[2:3], vcc, s[2:3]
	s_waitcnt lgkmcnt(0)
	global_store_dwordx2 v[12:13], v[10:11], off
	v_lshl_add_u64 v[12:13], v[12:13], 0, s[4:5]
	s_andn2_b64 exec, exec, s[2:3]
	s_cbranch_execnz .LBB677_144
.LBB677_145:
	s_or_b64 exec, exec, s[0:1]
.LBB677_146:
	s_movk_i32 s0, 0x1ff
	v_cmp_eq_u32_e32 vcc, s0, v0
	s_and_b64 s[0:1], vcc, s[40:41]
	s_and_saveexec_b64 s[2:3], s[0:1]
	s_cbranch_execz .LBB677_149
; %bb.147:
	v_mov_b32_e32 v3, 0
	v_lshl_add_u64 v[0:1], v[2:3], 0, v[4:5]
	v_lshl_add_u64 v[0:1], v[0:1], 0, v[52:53]
	s_cmpk_lg_i32 s33, 0x1e00
	global_store_dwordx2 v3, v[0:1], s[48:49]
	s_cbranch_scc1 .LBB677_149
; %bb.148:
	v_lshlrev_b64 v[0:1], 3, v[2:3]
	v_mov_b32_e32 v7, v3
	v_lshl_add_u64 v[0:1], v[8:9], 0, v[0:1]
	global_store_dwordx2 v[0:1], v[6:7], off offset:-8
.LBB677_149:
	s_endpgm
.LBB677_150:
	s_or_b64 exec, exec, s[6:7]
	v_mov_b32_e32 v70, s10
	s_and_saveexec_b64 s[0:1], s[52:53]
	s_cbranch_execnz .LBB677_60
	s_branch .LBB677_61
.LBB677_151:
	s_and_saveexec_b64 s[38:39], s[30:31]
	s_cbranch_execnz .LBB677_219
; %bb.152:
	s_or_b64 exec, exec, s[38:39]
	s_and_saveexec_b64 s[38:39], s[28:29]
	s_cbranch_execnz .LBB677_220
.LBB677_153:
	s_or_b64 exec, exec, s[38:39]
	s_and_saveexec_b64 s[38:39], s[26:27]
	s_cbranch_execnz .LBB677_221
.LBB677_154:
	s_or_b64 exec, exec, s[38:39]
	s_and_saveexec_b64 s[38:39], s[24:25]
	s_cbranch_execnz .LBB677_222
.LBB677_155:
	s_or_b64 exec, exec, s[38:39]
	s_and_saveexec_b64 s[38:39], s[22:23]
	s_cbranch_execnz .LBB677_223
.LBB677_156:
	s_or_b64 exec, exec, s[38:39]
	s_and_saveexec_b64 s[38:39], s[20:21]
	s_cbranch_execnz .LBB677_224
.LBB677_157:
	s_or_b64 exec, exec, s[38:39]
	s_and_saveexec_b64 s[38:39], s[18:19]
	s_cbranch_execnz .LBB677_225
.LBB677_158:
	s_or_b64 exec, exec, s[38:39]
	s_and_saveexec_b64 s[38:39], s[16:17]
	s_cbranch_execnz .LBB677_226
.LBB677_159:
	s_or_b64 exec, exec, s[38:39]
	s_and_saveexec_b64 s[38:39], s[14:15]
	s_cbranch_execnz .LBB677_227
.LBB677_160:
	s_or_b64 exec, exec, s[38:39]
	s_and_saveexec_b64 s[38:39], s[12:13]
	s_cbranch_execnz .LBB677_228
.LBB677_161:
	s_or_b64 exec, exec, s[38:39]
	s_and_saveexec_b64 s[38:39], s[10:11]
	s_cbranch_execnz .LBB677_229
.LBB677_162:
	s_or_b64 exec, exec, s[38:39]
	s_and_saveexec_b64 s[38:39], s[8:9]
	s_cbranch_execnz .LBB677_230
.LBB677_163:
	s_or_b64 exec, exec, s[38:39]
	s_and_saveexec_b64 s[38:39], s[6:7]
	s_cbranch_execnz .LBB677_231
.LBB677_164:
	s_or_b64 exec, exec, s[38:39]
	s_and_saveexec_b64 s[38:39], s[4:5]
	s_cbranch_execz .LBB677_166
.LBB677_165:
	v_sub_u32_e32 v72, v22, v4
	v_mov_b32_e32 v73, 0
	v_lshl_add_u64 v[72:73], v[72:73], 2, v[54:55]
	global_store_dword v[72:73], v9, off
.LBB677_166:
	s_or_b64 exec, exec, s[38:39]
	s_and_b64 s[38:39], s[2:3], exec
	s_andn2_saveexec_b64 s[0:1], s[0:1]
	s_cbranch_execz .LBB677_106
.LBB677_167:
	v_sub_u32_e32 v72, v50, v4
	v_mov_b32_e32 v73, 0
	v_lshl_add_u64 v[74:75], v[72:73], 2, v[54:55]
	v_sub_u32_e32 v72, v48, v4
	global_store_dword v[74:75], v20, off
	v_lshl_add_u64 v[74:75], v[72:73], 2, v[54:55]
	v_sub_u32_e32 v72, v46, v4
	global_store_dword v[74:75], v21, off
	;; [unrolled: 3-line block ×12, first 2 shown]
	v_lshl_add_u64 v[74:75], v[72:73], 2, v[54:55]
	v_sub_u32_e32 v72, v22, v4
	v_lshl_add_u64 v[72:73], v[72:73], 2, v[54:55]
	s_or_b64 s[38:39], s[38:39], exec
	global_store_dword v[74:75], v8, off
	global_store_dword v[72:73], v9, off
	s_or_b64 exec, exec, s[0:1]
	s_and_b64 exec, exec, s[38:39]
	s_cbranch_execnz .LBB677_107
	s_branch .LBB677_108
.LBB677_168:
	s_and_saveexec_b64 s[38:39], s[30:31]
	s_cbranch_execnz .LBB677_232
; %bb.169:
	s_or_b64 exec, exec, s[38:39]
	s_and_saveexec_b64 s[30:31], s[28:29]
	s_cbranch_execnz .LBB677_233
.LBB677_170:
	s_or_b64 exec, exec, s[30:31]
	s_and_saveexec_b64 s[28:29], s[26:27]
	s_cbranch_execnz .LBB677_234
.LBB677_171:
	s_or_b64 exec, exec, s[28:29]
	s_and_saveexec_b64 s[26:27], s[24:25]
	s_cbranch_execnz .LBB677_235
.LBB677_172:
	s_or_b64 exec, exec, s[26:27]
	s_and_saveexec_b64 s[24:25], s[22:23]
	s_cbranch_execnz .LBB677_236
.LBB677_173:
	s_or_b64 exec, exec, s[24:25]
	s_and_saveexec_b64 s[22:23], s[20:21]
	s_cbranch_execnz .LBB677_237
.LBB677_174:
	s_or_b64 exec, exec, s[22:23]
	s_and_saveexec_b64 s[20:21], s[18:19]
	s_cbranch_execnz .LBB677_238
.LBB677_175:
	s_or_b64 exec, exec, s[20:21]
	s_and_saveexec_b64 s[18:19], s[16:17]
	s_cbranch_execnz .LBB677_239
.LBB677_176:
	s_or_b64 exec, exec, s[18:19]
	s_and_saveexec_b64 s[16:17], s[14:15]
	s_cbranch_execnz .LBB677_240
.LBB677_177:
	s_or_b64 exec, exec, s[16:17]
	s_and_saveexec_b64 s[14:15], s[12:13]
	s_cbranch_execnz .LBB677_241
.LBB677_178:
	s_or_b64 exec, exec, s[14:15]
	s_and_saveexec_b64 s[12:13], s[10:11]
	s_cbranch_execnz .LBB677_242
.LBB677_179:
	s_or_b64 exec, exec, s[12:13]
	s_and_saveexec_b64 s[10:11], s[8:9]
	s_cbranch_execnz .LBB677_243
.LBB677_180:
	s_or_b64 exec, exec, s[10:11]
	s_and_saveexec_b64 s[8:9], s[6:7]
	s_cbranch_execnz .LBB677_244
.LBB677_181:
	s_or_b64 exec, exec, s[8:9]
	s_and_saveexec_b64 s[6:7], s[4:5]
	s_cbranch_execz .LBB677_183
.LBB677_182:
	v_sub_u32_e32 v3, v22, v4
	v_lshlrev_b32_e32 v3, 2, v3
	ds_write_b32 v3, v9
.LBB677_183:
	s_or_b64 exec, exec, s[6:7]
	s_and_b64 s[38:39], s[2:3], exec
                                        ; implicit-def: $vgpr9
                                        ; implicit-def: $vgpr11
                                        ; implicit-def: $vgpr13
                                        ; implicit-def: $vgpr15
                                        ; implicit-def: $vgpr17
                                        ; implicit-def: $vgpr19
                                        ; implicit-def: $vgpr21
	s_andn2_saveexec_b64 s[2:3], s[36:37]
	s_cbranch_execz .LBB677_113
.LBB677_184:
	v_sub_u32_e32 v3, v50, v4
	v_lshlrev_b32_e32 v3, 2, v3
	ds_write_b32 v3, v20
	v_sub_u32_e32 v3, v48, v4
	v_lshlrev_b32_e32 v3, 2, v3
	ds_write_b32 v3, v21
	;; [unrolled: 3-line block ×13, first 2 shown]
	v_sub_u32_e32 v3, v22, v4
	v_lshlrev_b32_e32 v3, 2, v3
	s_or_b64 s[38:39], s[38:39], exec
	ds_write_b32 v3, v9
	s_or_b64 exec, exec, s[2:3]
	s_and_b64 exec, exec, s[38:39]
	s_cbranch_execnz .LBB677_114
	s_branch .LBB677_115
.LBB677_185:
	s_and_saveexec_b64 s[36:37], s[28:29]
	s_cbranch_execnz .LBB677_245
; %bb.186:
	s_or_b64 exec, exec, s[36:37]
	s_and_saveexec_b64 s[36:37], s[26:27]
	s_cbranch_execnz .LBB677_246
.LBB677_187:
	s_or_b64 exec, exec, s[36:37]
	s_and_saveexec_b64 s[36:37], s[24:25]
	s_cbranch_execnz .LBB677_247
.LBB677_188:
	s_or_b64 exec, exec, s[36:37]
	s_and_saveexec_b64 s[36:37], s[22:23]
	s_cbranch_execnz .LBB677_248
.LBB677_189:
	s_or_b64 exec, exec, s[36:37]
	s_and_saveexec_b64 s[36:37], s[20:21]
	s_cbranch_execnz .LBB677_249
.LBB677_190:
	s_or_b64 exec, exec, s[36:37]
	s_and_saveexec_b64 s[36:37], s[18:19]
	s_cbranch_execnz .LBB677_250
.LBB677_191:
	s_or_b64 exec, exec, s[36:37]
	s_and_saveexec_b64 s[36:37], s[16:17]
	s_cbranch_execnz .LBB677_251
.LBB677_192:
	s_or_b64 exec, exec, s[36:37]
	s_and_saveexec_b64 s[36:37], s[14:15]
	s_cbranch_execnz .LBB677_252
.LBB677_193:
	s_or_b64 exec, exec, s[36:37]
	s_and_saveexec_b64 s[36:37], s[12:13]
	s_cbranch_execnz .LBB677_253
.LBB677_194:
	s_or_b64 exec, exec, s[36:37]
	s_and_saveexec_b64 s[36:37], s[10:11]
	s_cbranch_execnz .LBB677_254
.LBB677_195:
	s_or_b64 exec, exec, s[36:37]
	s_and_saveexec_b64 s[36:37], s[8:9]
	s_cbranch_execnz .LBB677_255
.LBB677_196:
	s_or_b64 exec, exec, s[36:37]
	s_and_saveexec_b64 s[36:37], s[6:7]
	s_cbranch_execnz .LBB677_256
.LBB677_197:
	s_or_b64 exec, exec, s[36:37]
	s_and_saveexec_b64 s[36:37], s[4:5]
	s_cbranch_execnz .LBB677_257
.LBB677_198:
	s_or_b64 exec, exec, s[36:37]
	s_and_saveexec_b64 s[36:37], s[2:3]
	s_cbranch_execz .LBB677_200
.LBB677_199:
	v_sub_u32_e32 v18, v22, v3
	v_mov_b32_e32 v19, 0
	v_lshl_add_u64 v[20:21], v[18:19], 3, v[16:17]
	v_mov_b32_e32 v18, v23
	global_store_dwordx2 v[20:21], v[18:19], off
.LBB677_200:
	s_or_b64 exec, exec, s[36:37]
	s_and_b64 s[36:37], s[0:1], exec
	s_andn2_saveexec_b64 s[30:31], s[30:31]
	s_cbranch_execz .LBB677_133
.LBB677_201:
	v_mov_b32_e32 v19, 0
	v_sub_u32_e32 v20, v50, v3
	v_mov_b32_e32 v21, v19
	v_mov_b32_e32 v18, v51
	v_lshl_add_u64 v[20:21], v[20:21], 3, v[16:17]
	global_store_dwordx2 v[20:21], v[18:19], off
	v_sub_u32_e32 v20, v48, v3
	v_mov_b32_e32 v21, v19
	v_mov_b32_e32 v18, v49
	v_lshl_add_u64 v[20:21], v[20:21], 3, v[16:17]
	global_store_dwordx2 v[20:21], v[18:19], off
	;; [unrolled: 5-line block ×13, first 2 shown]
	v_sub_u32_e32 v20, v22, v3
	v_mov_b32_e32 v21, v19
	v_mov_b32_e32 v18, v23
	v_lshl_add_u64 v[20:21], v[20:21], 3, v[16:17]
	s_or_b64 s[36:37], s[36:37], exec
	global_store_dwordx2 v[20:21], v[18:19], off
	s_or_b64 exec, exec, s[30:31]
	s_and_b64 exec, exec, s[36:37]
	s_cbranch_execnz .LBB677_134
	s_branch .LBB677_135
.LBB677_202:
	s_and_saveexec_b64 s[36:37], s[28:29]
	s_cbranch_execnz .LBB677_258
; %bb.203:
	s_or_b64 exec, exec, s[36:37]
	s_and_saveexec_b64 s[28:29], s[26:27]
	s_cbranch_execnz .LBB677_259
.LBB677_204:
	s_or_b64 exec, exec, s[28:29]
	s_and_saveexec_b64 s[26:27], s[24:25]
	s_cbranch_execnz .LBB677_260
.LBB677_205:
	s_or_b64 exec, exec, s[26:27]
	s_and_saveexec_b64 s[24:25], s[22:23]
	s_cbranch_execnz .LBB677_261
.LBB677_206:
	s_or_b64 exec, exec, s[24:25]
	s_and_saveexec_b64 s[22:23], s[20:21]
	s_cbranch_execnz .LBB677_262
.LBB677_207:
	s_or_b64 exec, exec, s[22:23]
	s_and_saveexec_b64 s[20:21], s[18:19]
	s_cbranch_execnz .LBB677_263
.LBB677_208:
	s_or_b64 exec, exec, s[20:21]
	s_and_saveexec_b64 s[18:19], s[16:17]
	s_cbranch_execnz .LBB677_264
.LBB677_209:
	s_or_b64 exec, exec, s[18:19]
	s_and_saveexec_b64 s[16:17], s[14:15]
	s_cbranch_execnz .LBB677_265
.LBB677_210:
	s_or_b64 exec, exec, s[16:17]
	s_and_saveexec_b64 s[14:15], s[12:13]
	s_cbranch_execnz .LBB677_266
.LBB677_211:
	s_or_b64 exec, exec, s[14:15]
	s_and_saveexec_b64 s[12:13], s[10:11]
	s_cbranch_execnz .LBB677_267
.LBB677_212:
	s_or_b64 exec, exec, s[12:13]
	s_and_saveexec_b64 s[10:11], s[8:9]
	s_cbranch_execnz .LBB677_268
.LBB677_213:
	s_or_b64 exec, exec, s[10:11]
	s_and_saveexec_b64 s[8:9], s[6:7]
	s_cbranch_execnz .LBB677_269
.LBB677_214:
	s_or_b64 exec, exec, s[8:9]
	s_and_saveexec_b64 s[6:7], s[4:5]
	s_cbranch_execnz .LBB677_270
.LBB677_215:
	s_or_b64 exec, exec, s[6:7]
	s_and_saveexec_b64 s[4:5], s[2:3]
	s_cbranch_execz .LBB677_217
.LBB677_216:
	v_sub_u32_e32 v7, v22, v3
	v_lshlrev_b32_e32 v7, 2, v7
	ds_write_b32 v7, v23
.LBB677_217:
	s_or_b64 exec, exec, s[4:5]
	s_and_b64 s[36:37], s[0:1], exec
                                        ; implicit-def: $vgpr22_vgpr23
                                        ; implicit-def: $vgpr26_vgpr27
                                        ; implicit-def: $vgpr28_vgpr29
                                        ; implicit-def: $vgpr50_vgpr51
                                        ; implicit-def: $vgpr48_vgpr49
                                        ; implicit-def: $vgpr46_vgpr47
                                        ; implicit-def: $vgpr44_vgpr45
                                        ; implicit-def: $vgpr42_vgpr43
                                        ; implicit-def: $vgpr40_vgpr41
                                        ; implicit-def: $vgpr38_vgpr39
                                        ; implicit-def: $vgpr36_vgpr37
                                        ; implicit-def: $vgpr34_vgpr35
                                        ; implicit-def: $vgpr32_vgpr33
                                        ; implicit-def: $vgpr30_vgpr31
	s_andn2_saveexec_b64 s[0:1], s[34:35]
	s_cbranch_execz .LBB677_140
.LBB677_218:
	v_sub_u32_e32 v7, v50, v3
	v_lshlrev_b32_e32 v7, 2, v7
	ds_write_b32 v7, v51
	v_sub_u32_e32 v7, v48, v3
	v_lshlrev_b32_e32 v7, 2, v7
	ds_write_b32 v7, v49
	;; [unrolled: 3-line block ×13, first 2 shown]
	v_sub_u32_e32 v7, v22, v3
	v_lshlrev_b32_e32 v7, 2, v7
	s_or_b64 s[36:37], s[36:37], exec
	ds_write_b32 v7, v23
	s_or_b64 exec, exec, s[0:1]
	s_and_b64 exec, exec, s[36:37]
	s_cbranch_execnz .LBB677_141
	s_branch .LBB677_142
.LBB677_219:
	v_sub_u32_e32 v72, v50, v4
	v_mov_b32_e32 v73, 0
	v_lshl_add_u64 v[72:73], v[72:73], 2, v[54:55]
	global_store_dword v[72:73], v20, off
	s_or_b64 exec, exec, s[38:39]
	s_and_saveexec_b64 s[38:39], s[28:29]
	s_cbranch_execz .LBB677_153
.LBB677_220:
	v_sub_u32_e32 v72, v48, v4
	v_mov_b32_e32 v73, 0
	v_lshl_add_u64 v[72:73], v[72:73], 2, v[54:55]
	global_store_dword v[72:73], v21, off
	s_or_b64 exec, exec, s[38:39]
	s_and_saveexec_b64 s[38:39], s[26:27]
	s_cbranch_execz .LBB677_154
.LBB677_221:
	v_sub_u32_e32 v72, v46, v4
	v_mov_b32_e32 v73, 0
	v_lshl_add_u64 v[72:73], v[72:73], 2, v[54:55]
	global_store_dword v[72:73], v18, off
	s_or_b64 exec, exec, s[38:39]
	s_and_saveexec_b64 s[38:39], s[24:25]
	s_cbranch_execz .LBB677_155
.LBB677_222:
	v_sub_u32_e32 v72, v44, v4
	v_mov_b32_e32 v73, 0
	v_lshl_add_u64 v[72:73], v[72:73], 2, v[54:55]
	global_store_dword v[72:73], v19, off
	s_or_b64 exec, exec, s[38:39]
	s_and_saveexec_b64 s[38:39], s[22:23]
	s_cbranch_execz .LBB677_156
.LBB677_223:
	v_sub_u32_e32 v72, v42, v4
	v_mov_b32_e32 v73, 0
	v_lshl_add_u64 v[72:73], v[72:73], 2, v[54:55]
	global_store_dword v[72:73], v16, off
	s_or_b64 exec, exec, s[38:39]
	s_and_saveexec_b64 s[38:39], s[20:21]
	s_cbranch_execz .LBB677_157
.LBB677_224:
	v_sub_u32_e32 v72, v40, v4
	v_mov_b32_e32 v73, 0
	v_lshl_add_u64 v[72:73], v[72:73], 2, v[54:55]
	global_store_dword v[72:73], v17, off
	s_or_b64 exec, exec, s[38:39]
	s_and_saveexec_b64 s[38:39], s[18:19]
	s_cbranch_execz .LBB677_158
.LBB677_225:
	v_sub_u32_e32 v72, v38, v4
	v_mov_b32_e32 v73, 0
	v_lshl_add_u64 v[72:73], v[72:73], 2, v[54:55]
	global_store_dword v[72:73], v14, off
	s_or_b64 exec, exec, s[38:39]
	s_and_saveexec_b64 s[38:39], s[16:17]
	s_cbranch_execz .LBB677_159
.LBB677_226:
	v_sub_u32_e32 v72, v36, v4
	v_mov_b32_e32 v73, 0
	v_lshl_add_u64 v[72:73], v[72:73], 2, v[54:55]
	global_store_dword v[72:73], v15, off
	s_or_b64 exec, exec, s[38:39]
	s_and_saveexec_b64 s[38:39], s[14:15]
	s_cbranch_execz .LBB677_160
.LBB677_227:
	v_sub_u32_e32 v72, v34, v4
	v_mov_b32_e32 v73, 0
	v_lshl_add_u64 v[72:73], v[72:73], 2, v[54:55]
	global_store_dword v[72:73], v12, off
	s_or_b64 exec, exec, s[38:39]
	s_and_saveexec_b64 s[38:39], s[12:13]
	s_cbranch_execz .LBB677_161
.LBB677_228:
	v_sub_u32_e32 v72, v32, v4
	v_mov_b32_e32 v73, 0
	v_lshl_add_u64 v[72:73], v[72:73], 2, v[54:55]
	global_store_dword v[72:73], v13, off
	s_or_b64 exec, exec, s[38:39]
	s_and_saveexec_b64 s[38:39], s[10:11]
	s_cbranch_execz .LBB677_162
.LBB677_229:
	v_sub_u32_e32 v72, v30, v4
	v_mov_b32_e32 v73, 0
	v_lshl_add_u64 v[72:73], v[72:73], 2, v[54:55]
	global_store_dword v[72:73], v10, off
	s_or_b64 exec, exec, s[38:39]
	s_and_saveexec_b64 s[38:39], s[8:9]
	s_cbranch_execz .LBB677_163
.LBB677_230:
	v_sub_u32_e32 v72, v28, v4
	v_mov_b32_e32 v73, 0
	v_lshl_add_u64 v[72:73], v[72:73], 2, v[54:55]
	global_store_dword v[72:73], v11, off
	s_or_b64 exec, exec, s[38:39]
	s_and_saveexec_b64 s[38:39], s[6:7]
	s_cbranch_execz .LBB677_164
.LBB677_231:
	v_sub_u32_e32 v72, v26, v4
	v_mov_b32_e32 v73, 0
	v_lshl_add_u64 v[72:73], v[72:73], 2, v[54:55]
	global_store_dword v[72:73], v8, off
	s_or_b64 exec, exec, s[38:39]
	s_and_saveexec_b64 s[38:39], s[4:5]
	s_cbranch_execnz .LBB677_165
	s_branch .LBB677_166
.LBB677_232:
	v_sub_u32_e32 v3, v50, v4
	v_lshlrev_b32_e32 v3, 2, v3
	ds_write_b32 v3, v20
	s_or_b64 exec, exec, s[38:39]
	s_and_saveexec_b64 s[30:31], s[28:29]
	s_cbranch_execz .LBB677_170
.LBB677_233:
	v_sub_u32_e32 v3, v48, v4
	v_lshlrev_b32_e32 v3, 2, v3
	ds_write_b32 v3, v21
	s_or_b64 exec, exec, s[30:31]
	s_and_saveexec_b64 s[28:29], s[26:27]
	s_cbranch_execz .LBB677_171
.LBB677_234:
	v_sub_u32_e32 v3, v46, v4
	v_lshlrev_b32_e32 v3, 2, v3
	ds_write_b32 v3, v18
	s_or_b64 exec, exec, s[28:29]
	s_and_saveexec_b64 s[26:27], s[24:25]
	s_cbranch_execz .LBB677_172
.LBB677_235:
	v_sub_u32_e32 v3, v44, v4
	v_lshlrev_b32_e32 v3, 2, v3
	ds_write_b32 v3, v19
	s_or_b64 exec, exec, s[26:27]
	s_and_saveexec_b64 s[24:25], s[22:23]
	s_cbranch_execz .LBB677_173
.LBB677_236:
	v_sub_u32_e32 v3, v42, v4
	v_lshlrev_b32_e32 v3, 2, v3
	ds_write_b32 v3, v16
	s_or_b64 exec, exec, s[24:25]
	s_and_saveexec_b64 s[22:23], s[20:21]
	s_cbranch_execz .LBB677_174
.LBB677_237:
	v_sub_u32_e32 v3, v40, v4
	v_lshlrev_b32_e32 v3, 2, v3
	ds_write_b32 v3, v17
	s_or_b64 exec, exec, s[22:23]
	s_and_saveexec_b64 s[20:21], s[18:19]
	s_cbranch_execz .LBB677_175
.LBB677_238:
	v_sub_u32_e32 v3, v38, v4
	v_lshlrev_b32_e32 v3, 2, v3
	ds_write_b32 v3, v14
	s_or_b64 exec, exec, s[20:21]
	s_and_saveexec_b64 s[18:19], s[16:17]
	s_cbranch_execz .LBB677_176
.LBB677_239:
	v_sub_u32_e32 v3, v36, v4
	v_lshlrev_b32_e32 v3, 2, v3
	ds_write_b32 v3, v15
	s_or_b64 exec, exec, s[18:19]
	s_and_saveexec_b64 s[16:17], s[14:15]
	s_cbranch_execz .LBB677_177
.LBB677_240:
	v_sub_u32_e32 v3, v34, v4
	v_lshlrev_b32_e32 v3, 2, v3
	ds_write_b32 v3, v12
	s_or_b64 exec, exec, s[16:17]
	s_and_saveexec_b64 s[14:15], s[12:13]
	s_cbranch_execz .LBB677_178
.LBB677_241:
	v_sub_u32_e32 v3, v32, v4
	v_lshlrev_b32_e32 v3, 2, v3
	ds_write_b32 v3, v13
	s_or_b64 exec, exec, s[14:15]
	s_and_saveexec_b64 s[12:13], s[10:11]
	s_cbranch_execz .LBB677_179
.LBB677_242:
	v_sub_u32_e32 v3, v30, v4
	v_lshlrev_b32_e32 v3, 2, v3
	ds_write_b32 v3, v10
	s_or_b64 exec, exec, s[12:13]
	s_and_saveexec_b64 s[10:11], s[8:9]
	s_cbranch_execz .LBB677_180
.LBB677_243:
	v_sub_u32_e32 v3, v28, v4
	v_lshlrev_b32_e32 v3, 2, v3
	ds_write_b32 v3, v11
	s_or_b64 exec, exec, s[10:11]
	s_and_saveexec_b64 s[8:9], s[6:7]
	s_cbranch_execz .LBB677_181
.LBB677_244:
	v_sub_u32_e32 v3, v26, v4
	v_lshlrev_b32_e32 v3, 2, v3
	ds_write_b32 v3, v8
	s_or_b64 exec, exec, s[8:9]
	s_and_saveexec_b64 s[6:7], s[4:5]
	s_cbranch_execnz .LBB677_182
	s_branch .LBB677_183
.LBB677_245:
	v_sub_u32_e32 v18, v50, v3
	v_mov_b32_e32 v19, 0
	v_lshl_add_u64 v[20:21], v[18:19], 3, v[16:17]
	v_mov_b32_e32 v18, v51
	global_store_dwordx2 v[20:21], v[18:19], off
	s_or_b64 exec, exec, s[36:37]
	s_and_saveexec_b64 s[36:37], s[26:27]
	s_cbranch_execz .LBB677_187
.LBB677_246:
	v_sub_u32_e32 v18, v48, v3
	v_mov_b32_e32 v19, 0
	v_lshl_add_u64 v[20:21], v[18:19], 3, v[16:17]
	v_mov_b32_e32 v18, v49
	global_store_dwordx2 v[20:21], v[18:19], off
	s_or_b64 exec, exec, s[36:37]
	s_and_saveexec_b64 s[36:37], s[24:25]
	s_cbranch_execz .LBB677_188
.LBB677_247:
	v_sub_u32_e32 v18, v46, v3
	v_mov_b32_e32 v19, 0
	v_lshl_add_u64 v[20:21], v[18:19], 3, v[16:17]
	v_mov_b32_e32 v18, v47
	global_store_dwordx2 v[20:21], v[18:19], off
	s_or_b64 exec, exec, s[36:37]
	s_and_saveexec_b64 s[36:37], s[22:23]
	s_cbranch_execz .LBB677_189
.LBB677_248:
	v_sub_u32_e32 v18, v44, v3
	v_mov_b32_e32 v19, 0
	v_lshl_add_u64 v[20:21], v[18:19], 3, v[16:17]
	v_mov_b32_e32 v18, v45
	global_store_dwordx2 v[20:21], v[18:19], off
	s_or_b64 exec, exec, s[36:37]
	s_and_saveexec_b64 s[36:37], s[20:21]
	s_cbranch_execz .LBB677_190
.LBB677_249:
	v_sub_u32_e32 v18, v42, v3
	v_mov_b32_e32 v19, 0
	v_lshl_add_u64 v[20:21], v[18:19], 3, v[16:17]
	v_mov_b32_e32 v18, v43
	global_store_dwordx2 v[20:21], v[18:19], off
	s_or_b64 exec, exec, s[36:37]
	s_and_saveexec_b64 s[36:37], s[18:19]
	s_cbranch_execz .LBB677_191
.LBB677_250:
	v_sub_u32_e32 v18, v40, v3
	v_mov_b32_e32 v19, 0
	v_lshl_add_u64 v[20:21], v[18:19], 3, v[16:17]
	v_mov_b32_e32 v18, v41
	global_store_dwordx2 v[20:21], v[18:19], off
	s_or_b64 exec, exec, s[36:37]
	s_and_saveexec_b64 s[36:37], s[16:17]
	s_cbranch_execz .LBB677_192
.LBB677_251:
	v_sub_u32_e32 v18, v38, v3
	v_mov_b32_e32 v19, 0
	v_lshl_add_u64 v[20:21], v[18:19], 3, v[16:17]
	v_mov_b32_e32 v18, v39
	global_store_dwordx2 v[20:21], v[18:19], off
	s_or_b64 exec, exec, s[36:37]
	s_and_saveexec_b64 s[36:37], s[14:15]
	s_cbranch_execz .LBB677_193
.LBB677_252:
	v_sub_u32_e32 v18, v36, v3
	v_mov_b32_e32 v19, 0
	v_lshl_add_u64 v[20:21], v[18:19], 3, v[16:17]
	v_mov_b32_e32 v18, v37
	global_store_dwordx2 v[20:21], v[18:19], off
	s_or_b64 exec, exec, s[36:37]
	s_and_saveexec_b64 s[36:37], s[12:13]
	s_cbranch_execz .LBB677_194
.LBB677_253:
	v_sub_u32_e32 v18, v34, v3
	v_mov_b32_e32 v19, 0
	v_lshl_add_u64 v[20:21], v[18:19], 3, v[16:17]
	v_mov_b32_e32 v18, v35
	global_store_dwordx2 v[20:21], v[18:19], off
	s_or_b64 exec, exec, s[36:37]
	s_and_saveexec_b64 s[36:37], s[10:11]
	s_cbranch_execz .LBB677_195
.LBB677_254:
	v_sub_u32_e32 v18, v32, v3
	v_mov_b32_e32 v19, 0
	v_lshl_add_u64 v[20:21], v[18:19], 3, v[16:17]
	v_mov_b32_e32 v18, v33
	global_store_dwordx2 v[20:21], v[18:19], off
	s_or_b64 exec, exec, s[36:37]
	s_and_saveexec_b64 s[36:37], s[8:9]
	s_cbranch_execz .LBB677_196
.LBB677_255:
	v_sub_u32_e32 v18, v30, v3
	v_mov_b32_e32 v19, 0
	v_lshl_add_u64 v[20:21], v[18:19], 3, v[16:17]
	v_mov_b32_e32 v18, v31
	global_store_dwordx2 v[20:21], v[18:19], off
	s_or_b64 exec, exec, s[36:37]
	s_and_saveexec_b64 s[36:37], s[6:7]
	s_cbranch_execz .LBB677_197
.LBB677_256:
	v_sub_u32_e32 v18, v28, v3
	v_mov_b32_e32 v19, 0
	v_lshl_add_u64 v[20:21], v[18:19], 3, v[16:17]
	v_mov_b32_e32 v18, v29
	global_store_dwordx2 v[20:21], v[18:19], off
	s_or_b64 exec, exec, s[36:37]
	s_and_saveexec_b64 s[36:37], s[4:5]
	s_cbranch_execz .LBB677_198
.LBB677_257:
	v_sub_u32_e32 v18, v26, v3
	v_mov_b32_e32 v19, 0
	v_lshl_add_u64 v[20:21], v[18:19], 3, v[16:17]
	v_mov_b32_e32 v18, v27
	global_store_dwordx2 v[20:21], v[18:19], off
	s_or_b64 exec, exec, s[36:37]
	s_and_saveexec_b64 s[36:37], s[2:3]
	s_cbranch_execnz .LBB677_199
	s_branch .LBB677_200
.LBB677_258:
	v_sub_u32_e32 v7, v50, v3
	v_lshlrev_b32_e32 v7, 2, v7
	ds_write_b32 v7, v51
	s_or_b64 exec, exec, s[36:37]
	s_and_saveexec_b64 s[28:29], s[26:27]
	s_cbranch_execz .LBB677_204
.LBB677_259:
	v_sub_u32_e32 v7, v48, v3
	v_lshlrev_b32_e32 v7, 2, v7
	ds_write_b32 v7, v49
	s_or_b64 exec, exec, s[28:29]
	s_and_saveexec_b64 s[26:27], s[24:25]
	s_cbranch_execz .LBB677_205
.LBB677_260:
	v_sub_u32_e32 v7, v46, v3
	v_lshlrev_b32_e32 v7, 2, v7
	ds_write_b32 v7, v47
	s_or_b64 exec, exec, s[26:27]
	s_and_saveexec_b64 s[24:25], s[22:23]
	s_cbranch_execz .LBB677_206
.LBB677_261:
	v_sub_u32_e32 v7, v44, v3
	v_lshlrev_b32_e32 v7, 2, v7
	ds_write_b32 v7, v45
	s_or_b64 exec, exec, s[24:25]
	s_and_saveexec_b64 s[22:23], s[20:21]
	s_cbranch_execz .LBB677_207
.LBB677_262:
	v_sub_u32_e32 v7, v42, v3
	v_lshlrev_b32_e32 v7, 2, v7
	ds_write_b32 v7, v43
	s_or_b64 exec, exec, s[22:23]
	s_and_saveexec_b64 s[20:21], s[18:19]
	s_cbranch_execz .LBB677_208
.LBB677_263:
	v_sub_u32_e32 v7, v40, v3
	v_lshlrev_b32_e32 v7, 2, v7
	ds_write_b32 v7, v41
	s_or_b64 exec, exec, s[20:21]
	s_and_saveexec_b64 s[18:19], s[16:17]
	s_cbranch_execz .LBB677_209
.LBB677_264:
	v_sub_u32_e32 v7, v38, v3
	v_lshlrev_b32_e32 v7, 2, v7
	ds_write_b32 v7, v39
	s_or_b64 exec, exec, s[18:19]
	s_and_saveexec_b64 s[16:17], s[14:15]
	s_cbranch_execz .LBB677_210
.LBB677_265:
	v_sub_u32_e32 v7, v36, v3
	v_lshlrev_b32_e32 v7, 2, v7
	ds_write_b32 v7, v37
	s_or_b64 exec, exec, s[16:17]
	s_and_saveexec_b64 s[14:15], s[12:13]
	s_cbranch_execz .LBB677_211
.LBB677_266:
	v_sub_u32_e32 v7, v34, v3
	v_lshlrev_b32_e32 v7, 2, v7
	ds_write_b32 v7, v35
	s_or_b64 exec, exec, s[14:15]
	s_and_saveexec_b64 s[12:13], s[10:11]
	s_cbranch_execz .LBB677_212
.LBB677_267:
	v_sub_u32_e32 v7, v32, v3
	v_lshlrev_b32_e32 v7, 2, v7
	ds_write_b32 v7, v33
	s_or_b64 exec, exec, s[12:13]
	s_and_saveexec_b64 s[10:11], s[8:9]
	s_cbranch_execz .LBB677_213
.LBB677_268:
	v_sub_u32_e32 v7, v30, v3
	v_lshlrev_b32_e32 v7, 2, v7
	ds_write_b32 v7, v31
	s_or_b64 exec, exec, s[10:11]
	s_and_saveexec_b64 s[8:9], s[6:7]
	s_cbranch_execz .LBB677_214
.LBB677_269:
	v_sub_u32_e32 v7, v28, v3
	v_lshlrev_b32_e32 v7, 2, v7
	ds_write_b32 v7, v29
	s_or_b64 exec, exec, s[8:9]
	s_and_saveexec_b64 s[6:7], s[4:5]
	s_cbranch_execz .LBB677_215
.LBB677_270:
	v_sub_u32_e32 v7, v26, v3
	v_lshlrev_b32_e32 v7, 2, v7
	ds_write_b32 v7, v27
	s_or_b64 exec, exec, s[6:7]
	s_and_saveexec_b64 s[4:5], s[2:3]
	s_cbranch_execnz .LBB677_216
	s_branch .LBB677_217
	.section	.rodata,"a",@progbits
	.p2align	6, 0x0
	.amdhsa_kernel _ZN7rocprim17ROCPRIM_400000_NS6detail17trampoline_kernelINS0_14default_configENS1_33run_length_encode_config_selectorIjjNS0_4plusIjEEEEZZNS1_33reduce_by_key_impl_wrapped_configILNS1_25lookback_scan_determinismE0ES3_S7_PKjNS0_17constant_iteratorIjlEEPjPlSF_S6_NS0_8equal_toIjEEEE10hipError_tPvRmT2_T3_mT4_T5_T6_T7_T8_P12ihipStream_tbENKUlT_T0_E_clISt17integral_constantIbLb0EESY_IbLb1EEEEDaSU_SV_EUlSU_E_NS1_11comp_targetILNS1_3genE5ELNS1_11target_archE942ELNS1_3gpuE9ELNS1_3repE0EEENS1_30default_config_static_selectorELNS0_4arch9wavefront6targetE1EEEvT1_
		.amdhsa_group_segment_fixed_size 30720
		.amdhsa_private_segment_fixed_size 0
		.amdhsa_kernarg_size 128
		.amdhsa_user_sgpr_count 2
		.amdhsa_user_sgpr_dispatch_ptr 0
		.amdhsa_user_sgpr_queue_ptr 0
		.amdhsa_user_sgpr_kernarg_segment_ptr 1
		.amdhsa_user_sgpr_dispatch_id 0
		.amdhsa_user_sgpr_kernarg_preload_length 0
		.amdhsa_user_sgpr_kernarg_preload_offset 0
		.amdhsa_user_sgpr_private_segment_size 0
		.amdhsa_uses_dynamic_stack 0
		.amdhsa_enable_private_segment 0
		.amdhsa_system_sgpr_workgroup_id_x 1
		.amdhsa_system_sgpr_workgroup_id_y 0
		.amdhsa_system_sgpr_workgroup_id_z 0
		.amdhsa_system_sgpr_workgroup_info 0
		.amdhsa_system_vgpr_workitem_id 0
		.amdhsa_next_free_vgpr 104
		.amdhsa_next_free_sgpr 66
		.amdhsa_accum_offset 104
		.amdhsa_reserve_vcc 1
		.amdhsa_float_round_mode_32 0
		.amdhsa_float_round_mode_16_64 0
		.amdhsa_float_denorm_mode_32 3
		.amdhsa_float_denorm_mode_16_64 3
		.amdhsa_dx10_clamp 1
		.amdhsa_ieee_mode 1
		.amdhsa_fp16_overflow 0
		.amdhsa_tg_split 0
		.amdhsa_exception_fp_ieee_invalid_op 0
		.amdhsa_exception_fp_denorm_src 0
		.amdhsa_exception_fp_ieee_div_zero 0
		.amdhsa_exception_fp_ieee_overflow 0
		.amdhsa_exception_fp_ieee_underflow 0
		.amdhsa_exception_fp_ieee_inexact 0
		.amdhsa_exception_int_div_zero 0
	.end_amdhsa_kernel
	.section	.text._ZN7rocprim17ROCPRIM_400000_NS6detail17trampoline_kernelINS0_14default_configENS1_33run_length_encode_config_selectorIjjNS0_4plusIjEEEEZZNS1_33reduce_by_key_impl_wrapped_configILNS1_25lookback_scan_determinismE0ES3_S7_PKjNS0_17constant_iteratorIjlEEPjPlSF_S6_NS0_8equal_toIjEEEE10hipError_tPvRmT2_T3_mT4_T5_T6_T7_T8_P12ihipStream_tbENKUlT_T0_E_clISt17integral_constantIbLb0EESY_IbLb1EEEEDaSU_SV_EUlSU_E_NS1_11comp_targetILNS1_3genE5ELNS1_11target_archE942ELNS1_3gpuE9ELNS1_3repE0EEENS1_30default_config_static_selectorELNS0_4arch9wavefront6targetE1EEEvT1_,"axG",@progbits,_ZN7rocprim17ROCPRIM_400000_NS6detail17trampoline_kernelINS0_14default_configENS1_33run_length_encode_config_selectorIjjNS0_4plusIjEEEEZZNS1_33reduce_by_key_impl_wrapped_configILNS1_25lookback_scan_determinismE0ES3_S7_PKjNS0_17constant_iteratorIjlEEPjPlSF_S6_NS0_8equal_toIjEEEE10hipError_tPvRmT2_T3_mT4_T5_T6_T7_T8_P12ihipStream_tbENKUlT_T0_E_clISt17integral_constantIbLb0EESY_IbLb1EEEEDaSU_SV_EUlSU_E_NS1_11comp_targetILNS1_3genE5ELNS1_11target_archE942ELNS1_3gpuE9ELNS1_3repE0EEENS1_30default_config_static_selectorELNS0_4arch9wavefront6targetE1EEEvT1_,comdat
.Lfunc_end677:
	.size	_ZN7rocprim17ROCPRIM_400000_NS6detail17trampoline_kernelINS0_14default_configENS1_33run_length_encode_config_selectorIjjNS0_4plusIjEEEEZZNS1_33reduce_by_key_impl_wrapped_configILNS1_25lookback_scan_determinismE0ES3_S7_PKjNS0_17constant_iteratorIjlEEPjPlSF_S6_NS0_8equal_toIjEEEE10hipError_tPvRmT2_T3_mT4_T5_T6_T7_T8_P12ihipStream_tbENKUlT_T0_E_clISt17integral_constantIbLb0EESY_IbLb1EEEEDaSU_SV_EUlSU_E_NS1_11comp_targetILNS1_3genE5ELNS1_11target_archE942ELNS1_3gpuE9ELNS1_3repE0EEENS1_30default_config_static_selectorELNS0_4arch9wavefront6targetE1EEEvT1_, .Lfunc_end677-_ZN7rocprim17ROCPRIM_400000_NS6detail17trampoline_kernelINS0_14default_configENS1_33run_length_encode_config_selectorIjjNS0_4plusIjEEEEZZNS1_33reduce_by_key_impl_wrapped_configILNS1_25lookback_scan_determinismE0ES3_S7_PKjNS0_17constant_iteratorIjlEEPjPlSF_S6_NS0_8equal_toIjEEEE10hipError_tPvRmT2_T3_mT4_T5_T6_T7_T8_P12ihipStream_tbENKUlT_T0_E_clISt17integral_constantIbLb0EESY_IbLb1EEEEDaSU_SV_EUlSU_E_NS1_11comp_targetILNS1_3genE5ELNS1_11target_archE942ELNS1_3gpuE9ELNS1_3repE0EEENS1_30default_config_static_selectorELNS0_4arch9wavefront6targetE1EEEvT1_
                                        ; -- End function
	.section	.AMDGPU.csdata,"",@progbits
; Kernel info:
; codeLenInByte = 14876
; NumSgprs: 72
; NumVgprs: 104
; NumAgprs: 0
; TotalNumVgprs: 104
; ScratchSize: 0
; MemoryBound: 0
; FloatMode: 240
; IeeeMode: 1
; LDSByteSize: 30720 bytes/workgroup (compile time only)
; SGPRBlocks: 8
; VGPRBlocks: 12
; NumSGPRsForWavesPerEU: 72
; NumVGPRsForWavesPerEU: 104
; AccumOffset: 104
; Occupancy: 4
; WaveLimiterHint : 1
; COMPUTE_PGM_RSRC2:SCRATCH_EN: 0
; COMPUTE_PGM_RSRC2:USER_SGPR: 2
; COMPUTE_PGM_RSRC2:TRAP_HANDLER: 0
; COMPUTE_PGM_RSRC2:TGID_X_EN: 1
; COMPUTE_PGM_RSRC2:TGID_Y_EN: 0
; COMPUTE_PGM_RSRC2:TGID_Z_EN: 0
; COMPUTE_PGM_RSRC2:TIDIG_COMP_CNT: 0
; COMPUTE_PGM_RSRC3_GFX90A:ACCUM_OFFSET: 25
; COMPUTE_PGM_RSRC3_GFX90A:TG_SPLIT: 0
	.section	.text._ZN7rocprim17ROCPRIM_400000_NS6detail17trampoline_kernelINS0_14default_configENS1_33run_length_encode_config_selectorIjjNS0_4plusIjEEEEZZNS1_33reduce_by_key_impl_wrapped_configILNS1_25lookback_scan_determinismE0ES3_S7_PKjNS0_17constant_iteratorIjlEEPjPlSF_S6_NS0_8equal_toIjEEEE10hipError_tPvRmT2_T3_mT4_T5_T6_T7_T8_P12ihipStream_tbENKUlT_T0_E_clISt17integral_constantIbLb0EESY_IbLb1EEEEDaSU_SV_EUlSU_E_NS1_11comp_targetILNS1_3genE4ELNS1_11target_archE910ELNS1_3gpuE8ELNS1_3repE0EEENS1_30default_config_static_selectorELNS0_4arch9wavefront6targetE1EEEvT1_,"axG",@progbits,_ZN7rocprim17ROCPRIM_400000_NS6detail17trampoline_kernelINS0_14default_configENS1_33run_length_encode_config_selectorIjjNS0_4plusIjEEEEZZNS1_33reduce_by_key_impl_wrapped_configILNS1_25lookback_scan_determinismE0ES3_S7_PKjNS0_17constant_iteratorIjlEEPjPlSF_S6_NS0_8equal_toIjEEEE10hipError_tPvRmT2_T3_mT4_T5_T6_T7_T8_P12ihipStream_tbENKUlT_T0_E_clISt17integral_constantIbLb0EESY_IbLb1EEEEDaSU_SV_EUlSU_E_NS1_11comp_targetILNS1_3genE4ELNS1_11target_archE910ELNS1_3gpuE8ELNS1_3repE0EEENS1_30default_config_static_selectorELNS0_4arch9wavefront6targetE1EEEvT1_,comdat
	.protected	_ZN7rocprim17ROCPRIM_400000_NS6detail17trampoline_kernelINS0_14default_configENS1_33run_length_encode_config_selectorIjjNS0_4plusIjEEEEZZNS1_33reduce_by_key_impl_wrapped_configILNS1_25lookback_scan_determinismE0ES3_S7_PKjNS0_17constant_iteratorIjlEEPjPlSF_S6_NS0_8equal_toIjEEEE10hipError_tPvRmT2_T3_mT4_T5_T6_T7_T8_P12ihipStream_tbENKUlT_T0_E_clISt17integral_constantIbLb0EESY_IbLb1EEEEDaSU_SV_EUlSU_E_NS1_11comp_targetILNS1_3genE4ELNS1_11target_archE910ELNS1_3gpuE8ELNS1_3repE0EEENS1_30default_config_static_selectorELNS0_4arch9wavefront6targetE1EEEvT1_ ; -- Begin function _ZN7rocprim17ROCPRIM_400000_NS6detail17trampoline_kernelINS0_14default_configENS1_33run_length_encode_config_selectorIjjNS0_4plusIjEEEEZZNS1_33reduce_by_key_impl_wrapped_configILNS1_25lookback_scan_determinismE0ES3_S7_PKjNS0_17constant_iteratorIjlEEPjPlSF_S6_NS0_8equal_toIjEEEE10hipError_tPvRmT2_T3_mT4_T5_T6_T7_T8_P12ihipStream_tbENKUlT_T0_E_clISt17integral_constantIbLb0EESY_IbLb1EEEEDaSU_SV_EUlSU_E_NS1_11comp_targetILNS1_3genE4ELNS1_11target_archE910ELNS1_3gpuE8ELNS1_3repE0EEENS1_30default_config_static_selectorELNS0_4arch9wavefront6targetE1EEEvT1_
	.globl	_ZN7rocprim17ROCPRIM_400000_NS6detail17trampoline_kernelINS0_14default_configENS1_33run_length_encode_config_selectorIjjNS0_4plusIjEEEEZZNS1_33reduce_by_key_impl_wrapped_configILNS1_25lookback_scan_determinismE0ES3_S7_PKjNS0_17constant_iteratorIjlEEPjPlSF_S6_NS0_8equal_toIjEEEE10hipError_tPvRmT2_T3_mT4_T5_T6_T7_T8_P12ihipStream_tbENKUlT_T0_E_clISt17integral_constantIbLb0EESY_IbLb1EEEEDaSU_SV_EUlSU_E_NS1_11comp_targetILNS1_3genE4ELNS1_11target_archE910ELNS1_3gpuE8ELNS1_3repE0EEENS1_30default_config_static_selectorELNS0_4arch9wavefront6targetE1EEEvT1_
	.p2align	8
	.type	_ZN7rocprim17ROCPRIM_400000_NS6detail17trampoline_kernelINS0_14default_configENS1_33run_length_encode_config_selectorIjjNS0_4plusIjEEEEZZNS1_33reduce_by_key_impl_wrapped_configILNS1_25lookback_scan_determinismE0ES3_S7_PKjNS0_17constant_iteratorIjlEEPjPlSF_S6_NS0_8equal_toIjEEEE10hipError_tPvRmT2_T3_mT4_T5_T6_T7_T8_P12ihipStream_tbENKUlT_T0_E_clISt17integral_constantIbLb0EESY_IbLb1EEEEDaSU_SV_EUlSU_E_NS1_11comp_targetILNS1_3genE4ELNS1_11target_archE910ELNS1_3gpuE8ELNS1_3repE0EEENS1_30default_config_static_selectorELNS0_4arch9wavefront6targetE1EEEvT1_,@function
_ZN7rocprim17ROCPRIM_400000_NS6detail17trampoline_kernelINS0_14default_configENS1_33run_length_encode_config_selectorIjjNS0_4plusIjEEEEZZNS1_33reduce_by_key_impl_wrapped_configILNS1_25lookback_scan_determinismE0ES3_S7_PKjNS0_17constant_iteratorIjlEEPjPlSF_S6_NS0_8equal_toIjEEEE10hipError_tPvRmT2_T3_mT4_T5_T6_T7_T8_P12ihipStream_tbENKUlT_T0_E_clISt17integral_constantIbLb0EESY_IbLb1EEEEDaSU_SV_EUlSU_E_NS1_11comp_targetILNS1_3genE4ELNS1_11target_archE910ELNS1_3gpuE8ELNS1_3repE0EEENS1_30default_config_static_selectorELNS0_4arch9wavefront6targetE1EEEvT1_: ; @_ZN7rocprim17ROCPRIM_400000_NS6detail17trampoline_kernelINS0_14default_configENS1_33run_length_encode_config_selectorIjjNS0_4plusIjEEEEZZNS1_33reduce_by_key_impl_wrapped_configILNS1_25lookback_scan_determinismE0ES3_S7_PKjNS0_17constant_iteratorIjlEEPjPlSF_S6_NS0_8equal_toIjEEEE10hipError_tPvRmT2_T3_mT4_T5_T6_T7_T8_P12ihipStream_tbENKUlT_T0_E_clISt17integral_constantIbLb0EESY_IbLb1EEEEDaSU_SV_EUlSU_E_NS1_11comp_targetILNS1_3genE4ELNS1_11target_archE910ELNS1_3gpuE8ELNS1_3repE0EEENS1_30default_config_static_selectorELNS0_4arch9wavefront6targetE1EEEvT1_
; %bb.0:
	.section	.rodata,"a",@progbits
	.p2align	6, 0x0
	.amdhsa_kernel _ZN7rocprim17ROCPRIM_400000_NS6detail17trampoline_kernelINS0_14default_configENS1_33run_length_encode_config_selectorIjjNS0_4plusIjEEEEZZNS1_33reduce_by_key_impl_wrapped_configILNS1_25lookback_scan_determinismE0ES3_S7_PKjNS0_17constant_iteratorIjlEEPjPlSF_S6_NS0_8equal_toIjEEEE10hipError_tPvRmT2_T3_mT4_T5_T6_T7_T8_P12ihipStream_tbENKUlT_T0_E_clISt17integral_constantIbLb0EESY_IbLb1EEEEDaSU_SV_EUlSU_E_NS1_11comp_targetILNS1_3genE4ELNS1_11target_archE910ELNS1_3gpuE8ELNS1_3repE0EEENS1_30default_config_static_selectorELNS0_4arch9wavefront6targetE1EEEvT1_
		.amdhsa_group_segment_fixed_size 0
		.amdhsa_private_segment_fixed_size 0
		.amdhsa_kernarg_size 128
		.amdhsa_user_sgpr_count 2
		.amdhsa_user_sgpr_dispatch_ptr 0
		.amdhsa_user_sgpr_queue_ptr 0
		.amdhsa_user_sgpr_kernarg_segment_ptr 1
		.amdhsa_user_sgpr_dispatch_id 0
		.amdhsa_user_sgpr_kernarg_preload_length 0
		.amdhsa_user_sgpr_kernarg_preload_offset 0
		.amdhsa_user_sgpr_private_segment_size 0
		.amdhsa_uses_dynamic_stack 0
		.amdhsa_enable_private_segment 0
		.amdhsa_system_sgpr_workgroup_id_x 1
		.amdhsa_system_sgpr_workgroup_id_y 0
		.amdhsa_system_sgpr_workgroup_id_z 0
		.amdhsa_system_sgpr_workgroup_info 0
		.amdhsa_system_vgpr_workitem_id 0
		.amdhsa_next_free_vgpr 1
		.amdhsa_next_free_sgpr 0
		.amdhsa_accum_offset 4
		.amdhsa_reserve_vcc 0
		.amdhsa_float_round_mode_32 0
		.amdhsa_float_round_mode_16_64 0
		.amdhsa_float_denorm_mode_32 3
		.amdhsa_float_denorm_mode_16_64 3
		.amdhsa_dx10_clamp 1
		.amdhsa_ieee_mode 1
		.amdhsa_fp16_overflow 0
		.amdhsa_tg_split 0
		.amdhsa_exception_fp_ieee_invalid_op 0
		.amdhsa_exception_fp_denorm_src 0
		.amdhsa_exception_fp_ieee_div_zero 0
		.amdhsa_exception_fp_ieee_overflow 0
		.amdhsa_exception_fp_ieee_underflow 0
		.amdhsa_exception_fp_ieee_inexact 0
		.amdhsa_exception_int_div_zero 0
	.end_amdhsa_kernel
	.section	.text._ZN7rocprim17ROCPRIM_400000_NS6detail17trampoline_kernelINS0_14default_configENS1_33run_length_encode_config_selectorIjjNS0_4plusIjEEEEZZNS1_33reduce_by_key_impl_wrapped_configILNS1_25lookback_scan_determinismE0ES3_S7_PKjNS0_17constant_iteratorIjlEEPjPlSF_S6_NS0_8equal_toIjEEEE10hipError_tPvRmT2_T3_mT4_T5_T6_T7_T8_P12ihipStream_tbENKUlT_T0_E_clISt17integral_constantIbLb0EESY_IbLb1EEEEDaSU_SV_EUlSU_E_NS1_11comp_targetILNS1_3genE4ELNS1_11target_archE910ELNS1_3gpuE8ELNS1_3repE0EEENS1_30default_config_static_selectorELNS0_4arch9wavefront6targetE1EEEvT1_,"axG",@progbits,_ZN7rocprim17ROCPRIM_400000_NS6detail17trampoline_kernelINS0_14default_configENS1_33run_length_encode_config_selectorIjjNS0_4plusIjEEEEZZNS1_33reduce_by_key_impl_wrapped_configILNS1_25lookback_scan_determinismE0ES3_S7_PKjNS0_17constant_iteratorIjlEEPjPlSF_S6_NS0_8equal_toIjEEEE10hipError_tPvRmT2_T3_mT4_T5_T6_T7_T8_P12ihipStream_tbENKUlT_T0_E_clISt17integral_constantIbLb0EESY_IbLb1EEEEDaSU_SV_EUlSU_E_NS1_11comp_targetILNS1_3genE4ELNS1_11target_archE910ELNS1_3gpuE8ELNS1_3repE0EEENS1_30default_config_static_selectorELNS0_4arch9wavefront6targetE1EEEvT1_,comdat
.Lfunc_end678:
	.size	_ZN7rocprim17ROCPRIM_400000_NS6detail17trampoline_kernelINS0_14default_configENS1_33run_length_encode_config_selectorIjjNS0_4plusIjEEEEZZNS1_33reduce_by_key_impl_wrapped_configILNS1_25lookback_scan_determinismE0ES3_S7_PKjNS0_17constant_iteratorIjlEEPjPlSF_S6_NS0_8equal_toIjEEEE10hipError_tPvRmT2_T3_mT4_T5_T6_T7_T8_P12ihipStream_tbENKUlT_T0_E_clISt17integral_constantIbLb0EESY_IbLb1EEEEDaSU_SV_EUlSU_E_NS1_11comp_targetILNS1_3genE4ELNS1_11target_archE910ELNS1_3gpuE8ELNS1_3repE0EEENS1_30default_config_static_selectorELNS0_4arch9wavefront6targetE1EEEvT1_, .Lfunc_end678-_ZN7rocprim17ROCPRIM_400000_NS6detail17trampoline_kernelINS0_14default_configENS1_33run_length_encode_config_selectorIjjNS0_4plusIjEEEEZZNS1_33reduce_by_key_impl_wrapped_configILNS1_25lookback_scan_determinismE0ES3_S7_PKjNS0_17constant_iteratorIjlEEPjPlSF_S6_NS0_8equal_toIjEEEE10hipError_tPvRmT2_T3_mT4_T5_T6_T7_T8_P12ihipStream_tbENKUlT_T0_E_clISt17integral_constantIbLb0EESY_IbLb1EEEEDaSU_SV_EUlSU_E_NS1_11comp_targetILNS1_3genE4ELNS1_11target_archE910ELNS1_3gpuE8ELNS1_3repE0EEENS1_30default_config_static_selectorELNS0_4arch9wavefront6targetE1EEEvT1_
                                        ; -- End function
	.section	.AMDGPU.csdata,"",@progbits
; Kernel info:
; codeLenInByte = 0
; NumSgprs: 6
; NumVgprs: 0
; NumAgprs: 0
; TotalNumVgprs: 0
; ScratchSize: 0
; MemoryBound: 0
; FloatMode: 240
; IeeeMode: 1
; LDSByteSize: 0 bytes/workgroup (compile time only)
; SGPRBlocks: 0
; VGPRBlocks: 0
; NumSGPRsForWavesPerEU: 6
; NumVGPRsForWavesPerEU: 1
; AccumOffset: 4
; Occupancy: 8
; WaveLimiterHint : 0
; COMPUTE_PGM_RSRC2:SCRATCH_EN: 0
; COMPUTE_PGM_RSRC2:USER_SGPR: 2
; COMPUTE_PGM_RSRC2:TRAP_HANDLER: 0
; COMPUTE_PGM_RSRC2:TGID_X_EN: 1
; COMPUTE_PGM_RSRC2:TGID_Y_EN: 0
; COMPUTE_PGM_RSRC2:TGID_Z_EN: 0
; COMPUTE_PGM_RSRC2:TIDIG_COMP_CNT: 0
; COMPUTE_PGM_RSRC3_GFX90A:ACCUM_OFFSET: 0
; COMPUTE_PGM_RSRC3_GFX90A:TG_SPLIT: 0
	.section	.text._ZN7rocprim17ROCPRIM_400000_NS6detail17trampoline_kernelINS0_14default_configENS1_33run_length_encode_config_selectorIjjNS0_4plusIjEEEEZZNS1_33reduce_by_key_impl_wrapped_configILNS1_25lookback_scan_determinismE0ES3_S7_PKjNS0_17constant_iteratorIjlEEPjPlSF_S6_NS0_8equal_toIjEEEE10hipError_tPvRmT2_T3_mT4_T5_T6_T7_T8_P12ihipStream_tbENKUlT_T0_E_clISt17integral_constantIbLb0EESY_IbLb1EEEEDaSU_SV_EUlSU_E_NS1_11comp_targetILNS1_3genE3ELNS1_11target_archE908ELNS1_3gpuE7ELNS1_3repE0EEENS1_30default_config_static_selectorELNS0_4arch9wavefront6targetE1EEEvT1_,"axG",@progbits,_ZN7rocprim17ROCPRIM_400000_NS6detail17trampoline_kernelINS0_14default_configENS1_33run_length_encode_config_selectorIjjNS0_4plusIjEEEEZZNS1_33reduce_by_key_impl_wrapped_configILNS1_25lookback_scan_determinismE0ES3_S7_PKjNS0_17constant_iteratorIjlEEPjPlSF_S6_NS0_8equal_toIjEEEE10hipError_tPvRmT2_T3_mT4_T5_T6_T7_T8_P12ihipStream_tbENKUlT_T0_E_clISt17integral_constantIbLb0EESY_IbLb1EEEEDaSU_SV_EUlSU_E_NS1_11comp_targetILNS1_3genE3ELNS1_11target_archE908ELNS1_3gpuE7ELNS1_3repE0EEENS1_30default_config_static_selectorELNS0_4arch9wavefront6targetE1EEEvT1_,comdat
	.protected	_ZN7rocprim17ROCPRIM_400000_NS6detail17trampoline_kernelINS0_14default_configENS1_33run_length_encode_config_selectorIjjNS0_4plusIjEEEEZZNS1_33reduce_by_key_impl_wrapped_configILNS1_25lookback_scan_determinismE0ES3_S7_PKjNS0_17constant_iteratorIjlEEPjPlSF_S6_NS0_8equal_toIjEEEE10hipError_tPvRmT2_T3_mT4_T5_T6_T7_T8_P12ihipStream_tbENKUlT_T0_E_clISt17integral_constantIbLb0EESY_IbLb1EEEEDaSU_SV_EUlSU_E_NS1_11comp_targetILNS1_3genE3ELNS1_11target_archE908ELNS1_3gpuE7ELNS1_3repE0EEENS1_30default_config_static_selectorELNS0_4arch9wavefront6targetE1EEEvT1_ ; -- Begin function _ZN7rocprim17ROCPRIM_400000_NS6detail17trampoline_kernelINS0_14default_configENS1_33run_length_encode_config_selectorIjjNS0_4plusIjEEEEZZNS1_33reduce_by_key_impl_wrapped_configILNS1_25lookback_scan_determinismE0ES3_S7_PKjNS0_17constant_iteratorIjlEEPjPlSF_S6_NS0_8equal_toIjEEEE10hipError_tPvRmT2_T3_mT4_T5_T6_T7_T8_P12ihipStream_tbENKUlT_T0_E_clISt17integral_constantIbLb0EESY_IbLb1EEEEDaSU_SV_EUlSU_E_NS1_11comp_targetILNS1_3genE3ELNS1_11target_archE908ELNS1_3gpuE7ELNS1_3repE0EEENS1_30default_config_static_selectorELNS0_4arch9wavefront6targetE1EEEvT1_
	.globl	_ZN7rocprim17ROCPRIM_400000_NS6detail17trampoline_kernelINS0_14default_configENS1_33run_length_encode_config_selectorIjjNS0_4plusIjEEEEZZNS1_33reduce_by_key_impl_wrapped_configILNS1_25lookback_scan_determinismE0ES3_S7_PKjNS0_17constant_iteratorIjlEEPjPlSF_S6_NS0_8equal_toIjEEEE10hipError_tPvRmT2_T3_mT4_T5_T6_T7_T8_P12ihipStream_tbENKUlT_T0_E_clISt17integral_constantIbLb0EESY_IbLb1EEEEDaSU_SV_EUlSU_E_NS1_11comp_targetILNS1_3genE3ELNS1_11target_archE908ELNS1_3gpuE7ELNS1_3repE0EEENS1_30default_config_static_selectorELNS0_4arch9wavefront6targetE1EEEvT1_
	.p2align	8
	.type	_ZN7rocprim17ROCPRIM_400000_NS6detail17trampoline_kernelINS0_14default_configENS1_33run_length_encode_config_selectorIjjNS0_4plusIjEEEEZZNS1_33reduce_by_key_impl_wrapped_configILNS1_25lookback_scan_determinismE0ES3_S7_PKjNS0_17constant_iteratorIjlEEPjPlSF_S6_NS0_8equal_toIjEEEE10hipError_tPvRmT2_T3_mT4_T5_T6_T7_T8_P12ihipStream_tbENKUlT_T0_E_clISt17integral_constantIbLb0EESY_IbLb1EEEEDaSU_SV_EUlSU_E_NS1_11comp_targetILNS1_3genE3ELNS1_11target_archE908ELNS1_3gpuE7ELNS1_3repE0EEENS1_30default_config_static_selectorELNS0_4arch9wavefront6targetE1EEEvT1_,@function
_ZN7rocprim17ROCPRIM_400000_NS6detail17trampoline_kernelINS0_14default_configENS1_33run_length_encode_config_selectorIjjNS0_4plusIjEEEEZZNS1_33reduce_by_key_impl_wrapped_configILNS1_25lookback_scan_determinismE0ES3_S7_PKjNS0_17constant_iteratorIjlEEPjPlSF_S6_NS0_8equal_toIjEEEE10hipError_tPvRmT2_T3_mT4_T5_T6_T7_T8_P12ihipStream_tbENKUlT_T0_E_clISt17integral_constantIbLb0EESY_IbLb1EEEEDaSU_SV_EUlSU_E_NS1_11comp_targetILNS1_3genE3ELNS1_11target_archE908ELNS1_3gpuE7ELNS1_3repE0EEENS1_30default_config_static_selectorELNS0_4arch9wavefront6targetE1EEEvT1_: ; @_ZN7rocprim17ROCPRIM_400000_NS6detail17trampoline_kernelINS0_14default_configENS1_33run_length_encode_config_selectorIjjNS0_4plusIjEEEEZZNS1_33reduce_by_key_impl_wrapped_configILNS1_25lookback_scan_determinismE0ES3_S7_PKjNS0_17constant_iteratorIjlEEPjPlSF_S6_NS0_8equal_toIjEEEE10hipError_tPvRmT2_T3_mT4_T5_T6_T7_T8_P12ihipStream_tbENKUlT_T0_E_clISt17integral_constantIbLb0EESY_IbLb1EEEEDaSU_SV_EUlSU_E_NS1_11comp_targetILNS1_3genE3ELNS1_11target_archE908ELNS1_3gpuE7ELNS1_3repE0EEENS1_30default_config_static_selectorELNS0_4arch9wavefront6targetE1EEEvT1_
; %bb.0:
	.section	.rodata,"a",@progbits
	.p2align	6, 0x0
	.amdhsa_kernel _ZN7rocprim17ROCPRIM_400000_NS6detail17trampoline_kernelINS0_14default_configENS1_33run_length_encode_config_selectorIjjNS0_4plusIjEEEEZZNS1_33reduce_by_key_impl_wrapped_configILNS1_25lookback_scan_determinismE0ES3_S7_PKjNS0_17constant_iteratorIjlEEPjPlSF_S6_NS0_8equal_toIjEEEE10hipError_tPvRmT2_T3_mT4_T5_T6_T7_T8_P12ihipStream_tbENKUlT_T0_E_clISt17integral_constantIbLb0EESY_IbLb1EEEEDaSU_SV_EUlSU_E_NS1_11comp_targetILNS1_3genE3ELNS1_11target_archE908ELNS1_3gpuE7ELNS1_3repE0EEENS1_30default_config_static_selectorELNS0_4arch9wavefront6targetE1EEEvT1_
		.amdhsa_group_segment_fixed_size 0
		.amdhsa_private_segment_fixed_size 0
		.amdhsa_kernarg_size 128
		.amdhsa_user_sgpr_count 2
		.amdhsa_user_sgpr_dispatch_ptr 0
		.amdhsa_user_sgpr_queue_ptr 0
		.amdhsa_user_sgpr_kernarg_segment_ptr 1
		.amdhsa_user_sgpr_dispatch_id 0
		.amdhsa_user_sgpr_kernarg_preload_length 0
		.amdhsa_user_sgpr_kernarg_preload_offset 0
		.amdhsa_user_sgpr_private_segment_size 0
		.amdhsa_uses_dynamic_stack 0
		.amdhsa_enable_private_segment 0
		.amdhsa_system_sgpr_workgroup_id_x 1
		.amdhsa_system_sgpr_workgroup_id_y 0
		.amdhsa_system_sgpr_workgroup_id_z 0
		.amdhsa_system_sgpr_workgroup_info 0
		.amdhsa_system_vgpr_workitem_id 0
		.amdhsa_next_free_vgpr 1
		.amdhsa_next_free_sgpr 0
		.amdhsa_accum_offset 4
		.amdhsa_reserve_vcc 0
		.amdhsa_float_round_mode_32 0
		.amdhsa_float_round_mode_16_64 0
		.amdhsa_float_denorm_mode_32 3
		.amdhsa_float_denorm_mode_16_64 3
		.amdhsa_dx10_clamp 1
		.amdhsa_ieee_mode 1
		.amdhsa_fp16_overflow 0
		.amdhsa_tg_split 0
		.amdhsa_exception_fp_ieee_invalid_op 0
		.amdhsa_exception_fp_denorm_src 0
		.amdhsa_exception_fp_ieee_div_zero 0
		.amdhsa_exception_fp_ieee_overflow 0
		.amdhsa_exception_fp_ieee_underflow 0
		.amdhsa_exception_fp_ieee_inexact 0
		.amdhsa_exception_int_div_zero 0
	.end_amdhsa_kernel
	.section	.text._ZN7rocprim17ROCPRIM_400000_NS6detail17trampoline_kernelINS0_14default_configENS1_33run_length_encode_config_selectorIjjNS0_4plusIjEEEEZZNS1_33reduce_by_key_impl_wrapped_configILNS1_25lookback_scan_determinismE0ES3_S7_PKjNS0_17constant_iteratorIjlEEPjPlSF_S6_NS0_8equal_toIjEEEE10hipError_tPvRmT2_T3_mT4_T5_T6_T7_T8_P12ihipStream_tbENKUlT_T0_E_clISt17integral_constantIbLb0EESY_IbLb1EEEEDaSU_SV_EUlSU_E_NS1_11comp_targetILNS1_3genE3ELNS1_11target_archE908ELNS1_3gpuE7ELNS1_3repE0EEENS1_30default_config_static_selectorELNS0_4arch9wavefront6targetE1EEEvT1_,"axG",@progbits,_ZN7rocprim17ROCPRIM_400000_NS6detail17trampoline_kernelINS0_14default_configENS1_33run_length_encode_config_selectorIjjNS0_4plusIjEEEEZZNS1_33reduce_by_key_impl_wrapped_configILNS1_25lookback_scan_determinismE0ES3_S7_PKjNS0_17constant_iteratorIjlEEPjPlSF_S6_NS0_8equal_toIjEEEE10hipError_tPvRmT2_T3_mT4_T5_T6_T7_T8_P12ihipStream_tbENKUlT_T0_E_clISt17integral_constantIbLb0EESY_IbLb1EEEEDaSU_SV_EUlSU_E_NS1_11comp_targetILNS1_3genE3ELNS1_11target_archE908ELNS1_3gpuE7ELNS1_3repE0EEENS1_30default_config_static_selectorELNS0_4arch9wavefront6targetE1EEEvT1_,comdat
.Lfunc_end679:
	.size	_ZN7rocprim17ROCPRIM_400000_NS6detail17trampoline_kernelINS0_14default_configENS1_33run_length_encode_config_selectorIjjNS0_4plusIjEEEEZZNS1_33reduce_by_key_impl_wrapped_configILNS1_25lookback_scan_determinismE0ES3_S7_PKjNS0_17constant_iteratorIjlEEPjPlSF_S6_NS0_8equal_toIjEEEE10hipError_tPvRmT2_T3_mT4_T5_T6_T7_T8_P12ihipStream_tbENKUlT_T0_E_clISt17integral_constantIbLb0EESY_IbLb1EEEEDaSU_SV_EUlSU_E_NS1_11comp_targetILNS1_3genE3ELNS1_11target_archE908ELNS1_3gpuE7ELNS1_3repE0EEENS1_30default_config_static_selectorELNS0_4arch9wavefront6targetE1EEEvT1_, .Lfunc_end679-_ZN7rocprim17ROCPRIM_400000_NS6detail17trampoline_kernelINS0_14default_configENS1_33run_length_encode_config_selectorIjjNS0_4plusIjEEEEZZNS1_33reduce_by_key_impl_wrapped_configILNS1_25lookback_scan_determinismE0ES3_S7_PKjNS0_17constant_iteratorIjlEEPjPlSF_S6_NS0_8equal_toIjEEEE10hipError_tPvRmT2_T3_mT4_T5_T6_T7_T8_P12ihipStream_tbENKUlT_T0_E_clISt17integral_constantIbLb0EESY_IbLb1EEEEDaSU_SV_EUlSU_E_NS1_11comp_targetILNS1_3genE3ELNS1_11target_archE908ELNS1_3gpuE7ELNS1_3repE0EEENS1_30default_config_static_selectorELNS0_4arch9wavefront6targetE1EEEvT1_
                                        ; -- End function
	.section	.AMDGPU.csdata,"",@progbits
; Kernel info:
; codeLenInByte = 0
; NumSgprs: 6
; NumVgprs: 0
; NumAgprs: 0
; TotalNumVgprs: 0
; ScratchSize: 0
; MemoryBound: 0
; FloatMode: 240
; IeeeMode: 1
; LDSByteSize: 0 bytes/workgroup (compile time only)
; SGPRBlocks: 0
; VGPRBlocks: 0
; NumSGPRsForWavesPerEU: 6
; NumVGPRsForWavesPerEU: 1
; AccumOffset: 4
; Occupancy: 8
; WaveLimiterHint : 0
; COMPUTE_PGM_RSRC2:SCRATCH_EN: 0
; COMPUTE_PGM_RSRC2:USER_SGPR: 2
; COMPUTE_PGM_RSRC2:TRAP_HANDLER: 0
; COMPUTE_PGM_RSRC2:TGID_X_EN: 1
; COMPUTE_PGM_RSRC2:TGID_Y_EN: 0
; COMPUTE_PGM_RSRC2:TGID_Z_EN: 0
; COMPUTE_PGM_RSRC2:TIDIG_COMP_CNT: 0
; COMPUTE_PGM_RSRC3_GFX90A:ACCUM_OFFSET: 0
; COMPUTE_PGM_RSRC3_GFX90A:TG_SPLIT: 0
	.section	.text._ZN7rocprim17ROCPRIM_400000_NS6detail17trampoline_kernelINS0_14default_configENS1_33run_length_encode_config_selectorIjjNS0_4plusIjEEEEZZNS1_33reduce_by_key_impl_wrapped_configILNS1_25lookback_scan_determinismE0ES3_S7_PKjNS0_17constant_iteratorIjlEEPjPlSF_S6_NS0_8equal_toIjEEEE10hipError_tPvRmT2_T3_mT4_T5_T6_T7_T8_P12ihipStream_tbENKUlT_T0_E_clISt17integral_constantIbLb0EESY_IbLb1EEEEDaSU_SV_EUlSU_E_NS1_11comp_targetILNS1_3genE2ELNS1_11target_archE906ELNS1_3gpuE6ELNS1_3repE0EEENS1_30default_config_static_selectorELNS0_4arch9wavefront6targetE1EEEvT1_,"axG",@progbits,_ZN7rocprim17ROCPRIM_400000_NS6detail17trampoline_kernelINS0_14default_configENS1_33run_length_encode_config_selectorIjjNS0_4plusIjEEEEZZNS1_33reduce_by_key_impl_wrapped_configILNS1_25lookback_scan_determinismE0ES3_S7_PKjNS0_17constant_iteratorIjlEEPjPlSF_S6_NS0_8equal_toIjEEEE10hipError_tPvRmT2_T3_mT4_T5_T6_T7_T8_P12ihipStream_tbENKUlT_T0_E_clISt17integral_constantIbLb0EESY_IbLb1EEEEDaSU_SV_EUlSU_E_NS1_11comp_targetILNS1_3genE2ELNS1_11target_archE906ELNS1_3gpuE6ELNS1_3repE0EEENS1_30default_config_static_selectorELNS0_4arch9wavefront6targetE1EEEvT1_,comdat
	.protected	_ZN7rocprim17ROCPRIM_400000_NS6detail17trampoline_kernelINS0_14default_configENS1_33run_length_encode_config_selectorIjjNS0_4plusIjEEEEZZNS1_33reduce_by_key_impl_wrapped_configILNS1_25lookback_scan_determinismE0ES3_S7_PKjNS0_17constant_iteratorIjlEEPjPlSF_S6_NS0_8equal_toIjEEEE10hipError_tPvRmT2_T3_mT4_T5_T6_T7_T8_P12ihipStream_tbENKUlT_T0_E_clISt17integral_constantIbLb0EESY_IbLb1EEEEDaSU_SV_EUlSU_E_NS1_11comp_targetILNS1_3genE2ELNS1_11target_archE906ELNS1_3gpuE6ELNS1_3repE0EEENS1_30default_config_static_selectorELNS0_4arch9wavefront6targetE1EEEvT1_ ; -- Begin function _ZN7rocprim17ROCPRIM_400000_NS6detail17trampoline_kernelINS0_14default_configENS1_33run_length_encode_config_selectorIjjNS0_4plusIjEEEEZZNS1_33reduce_by_key_impl_wrapped_configILNS1_25lookback_scan_determinismE0ES3_S7_PKjNS0_17constant_iteratorIjlEEPjPlSF_S6_NS0_8equal_toIjEEEE10hipError_tPvRmT2_T3_mT4_T5_T6_T7_T8_P12ihipStream_tbENKUlT_T0_E_clISt17integral_constantIbLb0EESY_IbLb1EEEEDaSU_SV_EUlSU_E_NS1_11comp_targetILNS1_3genE2ELNS1_11target_archE906ELNS1_3gpuE6ELNS1_3repE0EEENS1_30default_config_static_selectorELNS0_4arch9wavefront6targetE1EEEvT1_
	.globl	_ZN7rocprim17ROCPRIM_400000_NS6detail17trampoline_kernelINS0_14default_configENS1_33run_length_encode_config_selectorIjjNS0_4plusIjEEEEZZNS1_33reduce_by_key_impl_wrapped_configILNS1_25lookback_scan_determinismE0ES3_S7_PKjNS0_17constant_iteratorIjlEEPjPlSF_S6_NS0_8equal_toIjEEEE10hipError_tPvRmT2_T3_mT4_T5_T6_T7_T8_P12ihipStream_tbENKUlT_T0_E_clISt17integral_constantIbLb0EESY_IbLb1EEEEDaSU_SV_EUlSU_E_NS1_11comp_targetILNS1_3genE2ELNS1_11target_archE906ELNS1_3gpuE6ELNS1_3repE0EEENS1_30default_config_static_selectorELNS0_4arch9wavefront6targetE1EEEvT1_
	.p2align	8
	.type	_ZN7rocprim17ROCPRIM_400000_NS6detail17trampoline_kernelINS0_14default_configENS1_33run_length_encode_config_selectorIjjNS0_4plusIjEEEEZZNS1_33reduce_by_key_impl_wrapped_configILNS1_25lookback_scan_determinismE0ES3_S7_PKjNS0_17constant_iteratorIjlEEPjPlSF_S6_NS0_8equal_toIjEEEE10hipError_tPvRmT2_T3_mT4_T5_T6_T7_T8_P12ihipStream_tbENKUlT_T0_E_clISt17integral_constantIbLb0EESY_IbLb1EEEEDaSU_SV_EUlSU_E_NS1_11comp_targetILNS1_3genE2ELNS1_11target_archE906ELNS1_3gpuE6ELNS1_3repE0EEENS1_30default_config_static_selectorELNS0_4arch9wavefront6targetE1EEEvT1_,@function
_ZN7rocprim17ROCPRIM_400000_NS6detail17trampoline_kernelINS0_14default_configENS1_33run_length_encode_config_selectorIjjNS0_4plusIjEEEEZZNS1_33reduce_by_key_impl_wrapped_configILNS1_25lookback_scan_determinismE0ES3_S7_PKjNS0_17constant_iteratorIjlEEPjPlSF_S6_NS0_8equal_toIjEEEE10hipError_tPvRmT2_T3_mT4_T5_T6_T7_T8_P12ihipStream_tbENKUlT_T0_E_clISt17integral_constantIbLb0EESY_IbLb1EEEEDaSU_SV_EUlSU_E_NS1_11comp_targetILNS1_3genE2ELNS1_11target_archE906ELNS1_3gpuE6ELNS1_3repE0EEENS1_30default_config_static_selectorELNS0_4arch9wavefront6targetE1EEEvT1_: ; @_ZN7rocprim17ROCPRIM_400000_NS6detail17trampoline_kernelINS0_14default_configENS1_33run_length_encode_config_selectorIjjNS0_4plusIjEEEEZZNS1_33reduce_by_key_impl_wrapped_configILNS1_25lookback_scan_determinismE0ES3_S7_PKjNS0_17constant_iteratorIjlEEPjPlSF_S6_NS0_8equal_toIjEEEE10hipError_tPvRmT2_T3_mT4_T5_T6_T7_T8_P12ihipStream_tbENKUlT_T0_E_clISt17integral_constantIbLb0EESY_IbLb1EEEEDaSU_SV_EUlSU_E_NS1_11comp_targetILNS1_3genE2ELNS1_11target_archE906ELNS1_3gpuE6ELNS1_3repE0EEENS1_30default_config_static_selectorELNS0_4arch9wavefront6targetE1EEEvT1_
; %bb.0:
	.section	.rodata,"a",@progbits
	.p2align	6, 0x0
	.amdhsa_kernel _ZN7rocprim17ROCPRIM_400000_NS6detail17trampoline_kernelINS0_14default_configENS1_33run_length_encode_config_selectorIjjNS0_4plusIjEEEEZZNS1_33reduce_by_key_impl_wrapped_configILNS1_25lookback_scan_determinismE0ES3_S7_PKjNS0_17constant_iteratorIjlEEPjPlSF_S6_NS0_8equal_toIjEEEE10hipError_tPvRmT2_T3_mT4_T5_T6_T7_T8_P12ihipStream_tbENKUlT_T0_E_clISt17integral_constantIbLb0EESY_IbLb1EEEEDaSU_SV_EUlSU_E_NS1_11comp_targetILNS1_3genE2ELNS1_11target_archE906ELNS1_3gpuE6ELNS1_3repE0EEENS1_30default_config_static_selectorELNS0_4arch9wavefront6targetE1EEEvT1_
		.amdhsa_group_segment_fixed_size 0
		.amdhsa_private_segment_fixed_size 0
		.amdhsa_kernarg_size 128
		.amdhsa_user_sgpr_count 2
		.amdhsa_user_sgpr_dispatch_ptr 0
		.amdhsa_user_sgpr_queue_ptr 0
		.amdhsa_user_sgpr_kernarg_segment_ptr 1
		.amdhsa_user_sgpr_dispatch_id 0
		.amdhsa_user_sgpr_kernarg_preload_length 0
		.amdhsa_user_sgpr_kernarg_preload_offset 0
		.amdhsa_user_sgpr_private_segment_size 0
		.amdhsa_uses_dynamic_stack 0
		.amdhsa_enable_private_segment 0
		.amdhsa_system_sgpr_workgroup_id_x 1
		.amdhsa_system_sgpr_workgroup_id_y 0
		.amdhsa_system_sgpr_workgroup_id_z 0
		.amdhsa_system_sgpr_workgroup_info 0
		.amdhsa_system_vgpr_workitem_id 0
		.amdhsa_next_free_vgpr 1
		.amdhsa_next_free_sgpr 0
		.amdhsa_accum_offset 4
		.amdhsa_reserve_vcc 0
		.amdhsa_float_round_mode_32 0
		.amdhsa_float_round_mode_16_64 0
		.amdhsa_float_denorm_mode_32 3
		.amdhsa_float_denorm_mode_16_64 3
		.amdhsa_dx10_clamp 1
		.amdhsa_ieee_mode 1
		.amdhsa_fp16_overflow 0
		.amdhsa_tg_split 0
		.amdhsa_exception_fp_ieee_invalid_op 0
		.amdhsa_exception_fp_denorm_src 0
		.amdhsa_exception_fp_ieee_div_zero 0
		.amdhsa_exception_fp_ieee_overflow 0
		.amdhsa_exception_fp_ieee_underflow 0
		.amdhsa_exception_fp_ieee_inexact 0
		.amdhsa_exception_int_div_zero 0
	.end_amdhsa_kernel
	.section	.text._ZN7rocprim17ROCPRIM_400000_NS6detail17trampoline_kernelINS0_14default_configENS1_33run_length_encode_config_selectorIjjNS0_4plusIjEEEEZZNS1_33reduce_by_key_impl_wrapped_configILNS1_25lookback_scan_determinismE0ES3_S7_PKjNS0_17constant_iteratorIjlEEPjPlSF_S6_NS0_8equal_toIjEEEE10hipError_tPvRmT2_T3_mT4_T5_T6_T7_T8_P12ihipStream_tbENKUlT_T0_E_clISt17integral_constantIbLb0EESY_IbLb1EEEEDaSU_SV_EUlSU_E_NS1_11comp_targetILNS1_3genE2ELNS1_11target_archE906ELNS1_3gpuE6ELNS1_3repE0EEENS1_30default_config_static_selectorELNS0_4arch9wavefront6targetE1EEEvT1_,"axG",@progbits,_ZN7rocprim17ROCPRIM_400000_NS6detail17trampoline_kernelINS0_14default_configENS1_33run_length_encode_config_selectorIjjNS0_4plusIjEEEEZZNS1_33reduce_by_key_impl_wrapped_configILNS1_25lookback_scan_determinismE0ES3_S7_PKjNS0_17constant_iteratorIjlEEPjPlSF_S6_NS0_8equal_toIjEEEE10hipError_tPvRmT2_T3_mT4_T5_T6_T7_T8_P12ihipStream_tbENKUlT_T0_E_clISt17integral_constantIbLb0EESY_IbLb1EEEEDaSU_SV_EUlSU_E_NS1_11comp_targetILNS1_3genE2ELNS1_11target_archE906ELNS1_3gpuE6ELNS1_3repE0EEENS1_30default_config_static_selectorELNS0_4arch9wavefront6targetE1EEEvT1_,comdat
.Lfunc_end680:
	.size	_ZN7rocprim17ROCPRIM_400000_NS6detail17trampoline_kernelINS0_14default_configENS1_33run_length_encode_config_selectorIjjNS0_4plusIjEEEEZZNS1_33reduce_by_key_impl_wrapped_configILNS1_25lookback_scan_determinismE0ES3_S7_PKjNS0_17constant_iteratorIjlEEPjPlSF_S6_NS0_8equal_toIjEEEE10hipError_tPvRmT2_T3_mT4_T5_T6_T7_T8_P12ihipStream_tbENKUlT_T0_E_clISt17integral_constantIbLb0EESY_IbLb1EEEEDaSU_SV_EUlSU_E_NS1_11comp_targetILNS1_3genE2ELNS1_11target_archE906ELNS1_3gpuE6ELNS1_3repE0EEENS1_30default_config_static_selectorELNS0_4arch9wavefront6targetE1EEEvT1_, .Lfunc_end680-_ZN7rocprim17ROCPRIM_400000_NS6detail17trampoline_kernelINS0_14default_configENS1_33run_length_encode_config_selectorIjjNS0_4plusIjEEEEZZNS1_33reduce_by_key_impl_wrapped_configILNS1_25lookback_scan_determinismE0ES3_S7_PKjNS0_17constant_iteratorIjlEEPjPlSF_S6_NS0_8equal_toIjEEEE10hipError_tPvRmT2_T3_mT4_T5_T6_T7_T8_P12ihipStream_tbENKUlT_T0_E_clISt17integral_constantIbLb0EESY_IbLb1EEEEDaSU_SV_EUlSU_E_NS1_11comp_targetILNS1_3genE2ELNS1_11target_archE906ELNS1_3gpuE6ELNS1_3repE0EEENS1_30default_config_static_selectorELNS0_4arch9wavefront6targetE1EEEvT1_
                                        ; -- End function
	.section	.AMDGPU.csdata,"",@progbits
; Kernel info:
; codeLenInByte = 0
; NumSgprs: 6
; NumVgprs: 0
; NumAgprs: 0
; TotalNumVgprs: 0
; ScratchSize: 0
; MemoryBound: 0
; FloatMode: 240
; IeeeMode: 1
; LDSByteSize: 0 bytes/workgroup (compile time only)
; SGPRBlocks: 0
; VGPRBlocks: 0
; NumSGPRsForWavesPerEU: 6
; NumVGPRsForWavesPerEU: 1
; AccumOffset: 4
; Occupancy: 8
; WaveLimiterHint : 0
; COMPUTE_PGM_RSRC2:SCRATCH_EN: 0
; COMPUTE_PGM_RSRC2:USER_SGPR: 2
; COMPUTE_PGM_RSRC2:TRAP_HANDLER: 0
; COMPUTE_PGM_RSRC2:TGID_X_EN: 1
; COMPUTE_PGM_RSRC2:TGID_Y_EN: 0
; COMPUTE_PGM_RSRC2:TGID_Z_EN: 0
; COMPUTE_PGM_RSRC2:TIDIG_COMP_CNT: 0
; COMPUTE_PGM_RSRC3_GFX90A:ACCUM_OFFSET: 0
; COMPUTE_PGM_RSRC3_GFX90A:TG_SPLIT: 0
	.section	.text._ZN7rocprim17ROCPRIM_400000_NS6detail17trampoline_kernelINS0_14default_configENS1_33run_length_encode_config_selectorIjjNS0_4plusIjEEEEZZNS1_33reduce_by_key_impl_wrapped_configILNS1_25lookback_scan_determinismE0ES3_S7_PKjNS0_17constant_iteratorIjlEEPjPlSF_S6_NS0_8equal_toIjEEEE10hipError_tPvRmT2_T3_mT4_T5_T6_T7_T8_P12ihipStream_tbENKUlT_T0_E_clISt17integral_constantIbLb0EESY_IbLb1EEEEDaSU_SV_EUlSU_E_NS1_11comp_targetILNS1_3genE10ELNS1_11target_archE1201ELNS1_3gpuE5ELNS1_3repE0EEENS1_30default_config_static_selectorELNS0_4arch9wavefront6targetE1EEEvT1_,"axG",@progbits,_ZN7rocprim17ROCPRIM_400000_NS6detail17trampoline_kernelINS0_14default_configENS1_33run_length_encode_config_selectorIjjNS0_4plusIjEEEEZZNS1_33reduce_by_key_impl_wrapped_configILNS1_25lookback_scan_determinismE0ES3_S7_PKjNS0_17constant_iteratorIjlEEPjPlSF_S6_NS0_8equal_toIjEEEE10hipError_tPvRmT2_T3_mT4_T5_T6_T7_T8_P12ihipStream_tbENKUlT_T0_E_clISt17integral_constantIbLb0EESY_IbLb1EEEEDaSU_SV_EUlSU_E_NS1_11comp_targetILNS1_3genE10ELNS1_11target_archE1201ELNS1_3gpuE5ELNS1_3repE0EEENS1_30default_config_static_selectorELNS0_4arch9wavefront6targetE1EEEvT1_,comdat
	.protected	_ZN7rocprim17ROCPRIM_400000_NS6detail17trampoline_kernelINS0_14default_configENS1_33run_length_encode_config_selectorIjjNS0_4plusIjEEEEZZNS1_33reduce_by_key_impl_wrapped_configILNS1_25lookback_scan_determinismE0ES3_S7_PKjNS0_17constant_iteratorIjlEEPjPlSF_S6_NS0_8equal_toIjEEEE10hipError_tPvRmT2_T3_mT4_T5_T6_T7_T8_P12ihipStream_tbENKUlT_T0_E_clISt17integral_constantIbLb0EESY_IbLb1EEEEDaSU_SV_EUlSU_E_NS1_11comp_targetILNS1_3genE10ELNS1_11target_archE1201ELNS1_3gpuE5ELNS1_3repE0EEENS1_30default_config_static_selectorELNS0_4arch9wavefront6targetE1EEEvT1_ ; -- Begin function _ZN7rocprim17ROCPRIM_400000_NS6detail17trampoline_kernelINS0_14default_configENS1_33run_length_encode_config_selectorIjjNS0_4plusIjEEEEZZNS1_33reduce_by_key_impl_wrapped_configILNS1_25lookback_scan_determinismE0ES3_S7_PKjNS0_17constant_iteratorIjlEEPjPlSF_S6_NS0_8equal_toIjEEEE10hipError_tPvRmT2_T3_mT4_T5_T6_T7_T8_P12ihipStream_tbENKUlT_T0_E_clISt17integral_constantIbLb0EESY_IbLb1EEEEDaSU_SV_EUlSU_E_NS1_11comp_targetILNS1_3genE10ELNS1_11target_archE1201ELNS1_3gpuE5ELNS1_3repE0EEENS1_30default_config_static_selectorELNS0_4arch9wavefront6targetE1EEEvT1_
	.globl	_ZN7rocprim17ROCPRIM_400000_NS6detail17trampoline_kernelINS0_14default_configENS1_33run_length_encode_config_selectorIjjNS0_4plusIjEEEEZZNS1_33reduce_by_key_impl_wrapped_configILNS1_25lookback_scan_determinismE0ES3_S7_PKjNS0_17constant_iteratorIjlEEPjPlSF_S6_NS0_8equal_toIjEEEE10hipError_tPvRmT2_T3_mT4_T5_T6_T7_T8_P12ihipStream_tbENKUlT_T0_E_clISt17integral_constantIbLb0EESY_IbLb1EEEEDaSU_SV_EUlSU_E_NS1_11comp_targetILNS1_3genE10ELNS1_11target_archE1201ELNS1_3gpuE5ELNS1_3repE0EEENS1_30default_config_static_selectorELNS0_4arch9wavefront6targetE1EEEvT1_
	.p2align	8
	.type	_ZN7rocprim17ROCPRIM_400000_NS6detail17trampoline_kernelINS0_14default_configENS1_33run_length_encode_config_selectorIjjNS0_4plusIjEEEEZZNS1_33reduce_by_key_impl_wrapped_configILNS1_25lookback_scan_determinismE0ES3_S7_PKjNS0_17constant_iteratorIjlEEPjPlSF_S6_NS0_8equal_toIjEEEE10hipError_tPvRmT2_T3_mT4_T5_T6_T7_T8_P12ihipStream_tbENKUlT_T0_E_clISt17integral_constantIbLb0EESY_IbLb1EEEEDaSU_SV_EUlSU_E_NS1_11comp_targetILNS1_3genE10ELNS1_11target_archE1201ELNS1_3gpuE5ELNS1_3repE0EEENS1_30default_config_static_selectorELNS0_4arch9wavefront6targetE1EEEvT1_,@function
_ZN7rocprim17ROCPRIM_400000_NS6detail17trampoline_kernelINS0_14default_configENS1_33run_length_encode_config_selectorIjjNS0_4plusIjEEEEZZNS1_33reduce_by_key_impl_wrapped_configILNS1_25lookback_scan_determinismE0ES3_S7_PKjNS0_17constant_iteratorIjlEEPjPlSF_S6_NS0_8equal_toIjEEEE10hipError_tPvRmT2_T3_mT4_T5_T6_T7_T8_P12ihipStream_tbENKUlT_T0_E_clISt17integral_constantIbLb0EESY_IbLb1EEEEDaSU_SV_EUlSU_E_NS1_11comp_targetILNS1_3genE10ELNS1_11target_archE1201ELNS1_3gpuE5ELNS1_3repE0EEENS1_30default_config_static_selectorELNS0_4arch9wavefront6targetE1EEEvT1_: ; @_ZN7rocprim17ROCPRIM_400000_NS6detail17trampoline_kernelINS0_14default_configENS1_33run_length_encode_config_selectorIjjNS0_4plusIjEEEEZZNS1_33reduce_by_key_impl_wrapped_configILNS1_25lookback_scan_determinismE0ES3_S7_PKjNS0_17constant_iteratorIjlEEPjPlSF_S6_NS0_8equal_toIjEEEE10hipError_tPvRmT2_T3_mT4_T5_T6_T7_T8_P12ihipStream_tbENKUlT_T0_E_clISt17integral_constantIbLb0EESY_IbLb1EEEEDaSU_SV_EUlSU_E_NS1_11comp_targetILNS1_3genE10ELNS1_11target_archE1201ELNS1_3gpuE5ELNS1_3repE0EEENS1_30default_config_static_selectorELNS0_4arch9wavefront6targetE1EEEvT1_
; %bb.0:
	.section	.rodata,"a",@progbits
	.p2align	6, 0x0
	.amdhsa_kernel _ZN7rocprim17ROCPRIM_400000_NS6detail17trampoline_kernelINS0_14default_configENS1_33run_length_encode_config_selectorIjjNS0_4plusIjEEEEZZNS1_33reduce_by_key_impl_wrapped_configILNS1_25lookback_scan_determinismE0ES3_S7_PKjNS0_17constant_iteratorIjlEEPjPlSF_S6_NS0_8equal_toIjEEEE10hipError_tPvRmT2_T3_mT4_T5_T6_T7_T8_P12ihipStream_tbENKUlT_T0_E_clISt17integral_constantIbLb0EESY_IbLb1EEEEDaSU_SV_EUlSU_E_NS1_11comp_targetILNS1_3genE10ELNS1_11target_archE1201ELNS1_3gpuE5ELNS1_3repE0EEENS1_30default_config_static_selectorELNS0_4arch9wavefront6targetE1EEEvT1_
		.amdhsa_group_segment_fixed_size 0
		.amdhsa_private_segment_fixed_size 0
		.amdhsa_kernarg_size 128
		.amdhsa_user_sgpr_count 2
		.amdhsa_user_sgpr_dispatch_ptr 0
		.amdhsa_user_sgpr_queue_ptr 0
		.amdhsa_user_sgpr_kernarg_segment_ptr 1
		.amdhsa_user_sgpr_dispatch_id 0
		.amdhsa_user_sgpr_kernarg_preload_length 0
		.amdhsa_user_sgpr_kernarg_preload_offset 0
		.amdhsa_user_sgpr_private_segment_size 0
		.amdhsa_uses_dynamic_stack 0
		.amdhsa_enable_private_segment 0
		.amdhsa_system_sgpr_workgroup_id_x 1
		.amdhsa_system_sgpr_workgroup_id_y 0
		.amdhsa_system_sgpr_workgroup_id_z 0
		.amdhsa_system_sgpr_workgroup_info 0
		.amdhsa_system_vgpr_workitem_id 0
		.amdhsa_next_free_vgpr 1
		.amdhsa_next_free_sgpr 0
		.amdhsa_accum_offset 4
		.amdhsa_reserve_vcc 0
		.amdhsa_float_round_mode_32 0
		.amdhsa_float_round_mode_16_64 0
		.amdhsa_float_denorm_mode_32 3
		.amdhsa_float_denorm_mode_16_64 3
		.amdhsa_dx10_clamp 1
		.amdhsa_ieee_mode 1
		.amdhsa_fp16_overflow 0
		.amdhsa_tg_split 0
		.amdhsa_exception_fp_ieee_invalid_op 0
		.amdhsa_exception_fp_denorm_src 0
		.amdhsa_exception_fp_ieee_div_zero 0
		.amdhsa_exception_fp_ieee_overflow 0
		.amdhsa_exception_fp_ieee_underflow 0
		.amdhsa_exception_fp_ieee_inexact 0
		.amdhsa_exception_int_div_zero 0
	.end_amdhsa_kernel
	.section	.text._ZN7rocprim17ROCPRIM_400000_NS6detail17trampoline_kernelINS0_14default_configENS1_33run_length_encode_config_selectorIjjNS0_4plusIjEEEEZZNS1_33reduce_by_key_impl_wrapped_configILNS1_25lookback_scan_determinismE0ES3_S7_PKjNS0_17constant_iteratorIjlEEPjPlSF_S6_NS0_8equal_toIjEEEE10hipError_tPvRmT2_T3_mT4_T5_T6_T7_T8_P12ihipStream_tbENKUlT_T0_E_clISt17integral_constantIbLb0EESY_IbLb1EEEEDaSU_SV_EUlSU_E_NS1_11comp_targetILNS1_3genE10ELNS1_11target_archE1201ELNS1_3gpuE5ELNS1_3repE0EEENS1_30default_config_static_selectorELNS0_4arch9wavefront6targetE1EEEvT1_,"axG",@progbits,_ZN7rocprim17ROCPRIM_400000_NS6detail17trampoline_kernelINS0_14default_configENS1_33run_length_encode_config_selectorIjjNS0_4plusIjEEEEZZNS1_33reduce_by_key_impl_wrapped_configILNS1_25lookback_scan_determinismE0ES3_S7_PKjNS0_17constant_iteratorIjlEEPjPlSF_S6_NS0_8equal_toIjEEEE10hipError_tPvRmT2_T3_mT4_T5_T6_T7_T8_P12ihipStream_tbENKUlT_T0_E_clISt17integral_constantIbLb0EESY_IbLb1EEEEDaSU_SV_EUlSU_E_NS1_11comp_targetILNS1_3genE10ELNS1_11target_archE1201ELNS1_3gpuE5ELNS1_3repE0EEENS1_30default_config_static_selectorELNS0_4arch9wavefront6targetE1EEEvT1_,comdat
.Lfunc_end681:
	.size	_ZN7rocprim17ROCPRIM_400000_NS6detail17trampoline_kernelINS0_14default_configENS1_33run_length_encode_config_selectorIjjNS0_4plusIjEEEEZZNS1_33reduce_by_key_impl_wrapped_configILNS1_25lookback_scan_determinismE0ES3_S7_PKjNS0_17constant_iteratorIjlEEPjPlSF_S6_NS0_8equal_toIjEEEE10hipError_tPvRmT2_T3_mT4_T5_T6_T7_T8_P12ihipStream_tbENKUlT_T0_E_clISt17integral_constantIbLb0EESY_IbLb1EEEEDaSU_SV_EUlSU_E_NS1_11comp_targetILNS1_3genE10ELNS1_11target_archE1201ELNS1_3gpuE5ELNS1_3repE0EEENS1_30default_config_static_selectorELNS0_4arch9wavefront6targetE1EEEvT1_, .Lfunc_end681-_ZN7rocprim17ROCPRIM_400000_NS6detail17trampoline_kernelINS0_14default_configENS1_33run_length_encode_config_selectorIjjNS0_4plusIjEEEEZZNS1_33reduce_by_key_impl_wrapped_configILNS1_25lookback_scan_determinismE0ES3_S7_PKjNS0_17constant_iteratorIjlEEPjPlSF_S6_NS0_8equal_toIjEEEE10hipError_tPvRmT2_T3_mT4_T5_T6_T7_T8_P12ihipStream_tbENKUlT_T0_E_clISt17integral_constantIbLb0EESY_IbLb1EEEEDaSU_SV_EUlSU_E_NS1_11comp_targetILNS1_3genE10ELNS1_11target_archE1201ELNS1_3gpuE5ELNS1_3repE0EEENS1_30default_config_static_selectorELNS0_4arch9wavefront6targetE1EEEvT1_
                                        ; -- End function
	.section	.AMDGPU.csdata,"",@progbits
; Kernel info:
; codeLenInByte = 0
; NumSgprs: 6
; NumVgprs: 0
; NumAgprs: 0
; TotalNumVgprs: 0
; ScratchSize: 0
; MemoryBound: 0
; FloatMode: 240
; IeeeMode: 1
; LDSByteSize: 0 bytes/workgroup (compile time only)
; SGPRBlocks: 0
; VGPRBlocks: 0
; NumSGPRsForWavesPerEU: 6
; NumVGPRsForWavesPerEU: 1
; AccumOffset: 4
; Occupancy: 8
; WaveLimiterHint : 0
; COMPUTE_PGM_RSRC2:SCRATCH_EN: 0
; COMPUTE_PGM_RSRC2:USER_SGPR: 2
; COMPUTE_PGM_RSRC2:TRAP_HANDLER: 0
; COMPUTE_PGM_RSRC2:TGID_X_EN: 1
; COMPUTE_PGM_RSRC2:TGID_Y_EN: 0
; COMPUTE_PGM_RSRC2:TGID_Z_EN: 0
; COMPUTE_PGM_RSRC2:TIDIG_COMP_CNT: 0
; COMPUTE_PGM_RSRC3_GFX90A:ACCUM_OFFSET: 0
; COMPUTE_PGM_RSRC3_GFX90A:TG_SPLIT: 0
	.section	.text._ZN7rocprim17ROCPRIM_400000_NS6detail17trampoline_kernelINS0_14default_configENS1_33run_length_encode_config_selectorIjjNS0_4plusIjEEEEZZNS1_33reduce_by_key_impl_wrapped_configILNS1_25lookback_scan_determinismE0ES3_S7_PKjNS0_17constant_iteratorIjlEEPjPlSF_S6_NS0_8equal_toIjEEEE10hipError_tPvRmT2_T3_mT4_T5_T6_T7_T8_P12ihipStream_tbENKUlT_T0_E_clISt17integral_constantIbLb0EESY_IbLb1EEEEDaSU_SV_EUlSU_E_NS1_11comp_targetILNS1_3genE10ELNS1_11target_archE1200ELNS1_3gpuE4ELNS1_3repE0EEENS1_30default_config_static_selectorELNS0_4arch9wavefront6targetE1EEEvT1_,"axG",@progbits,_ZN7rocprim17ROCPRIM_400000_NS6detail17trampoline_kernelINS0_14default_configENS1_33run_length_encode_config_selectorIjjNS0_4plusIjEEEEZZNS1_33reduce_by_key_impl_wrapped_configILNS1_25lookback_scan_determinismE0ES3_S7_PKjNS0_17constant_iteratorIjlEEPjPlSF_S6_NS0_8equal_toIjEEEE10hipError_tPvRmT2_T3_mT4_T5_T6_T7_T8_P12ihipStream_tbENKUlT_T0_E_clISt17integral_constantIbLb0EESY_IbLb1EEEEDaSU_SV_EUlSU_E_NS1_11comp_targetILNS1_3genE10ELNS1_11target_archE1200ELNS1_3gpuE4ELNS1_3repE0EEENS1_30default_config_static_selectorELNS0_4arch9wavefront6targetE1EEEvT1_,comdat
	.protected	_ZN7rocprim17ROCPRIM_400000_NS6detail17trampoline_kernelINS0_14default_configENS1_33run_length_encode_config_selectorIjjNS0_4plusIjEEEEZZNS1_33reduce_by_key_impl_wrapped_configILNS1_25lookback_scan_determinismE0ES3_S7_PKjNS0_17constant_iteratorIjlEEPjPlSF_S6_NS0_8equal_toIjEEEE10hipError_tPvRmT2_T3_mT4_T5_T6_T7_T8_P12ihipStream_tbENKUlT_T0_E_clISt17integral_constantIbLb0EESY_IbLb1EEEEDaSU_SV_EUlSU_E_NS1_11comp_targetILNS1_3genE10ELNS1_11target_archE1200ELNS1_3gpuE4ELNS1_3repE0EEENS1_30default_config_static_selectorELNS0_4arch9wavefront6targetE1EEEvT1_ ; -- Begin function _ZN7rocprim17ROCPRIM_400000_NS6detail17trampoline_kernelINS0_14default_configENS1_33run_length_encode_config_selectorIjjNS0_4plusIjEEEEZZNS1_33reduce_by_key_impl_wrapped_configILNS1_25lookback_scan_determinismE0ES3_S7_PKjNS0_17constant_iteratorIjlEEPjPlSF_S6_NS0_8equal_toIjEEEE10hipError_tPvRmT2_T3_mT4_T5_T6_T7_T8_P12ihipStream_tbENKUlT_T0_E_clISt17integral_constantIbLb0EESY_IbLb1EEEEDaSU_SV_EUlSU_E_NS1_11comp_targetILNS1_3genE10ELNS1_11target_archE1200ELNS1_3gpuE4ELNS1_3repE0EEENS1_30default_config_static_selectorELNS0_4arch9wavefront6targetE1EEEvT1_
	.globl	_ZN7rocprim17ROCPRIM_400000_NS6detail17trampoline_kernelINS0_14default_configENS1_33run_length_encode_config_selectorIjjNS0_4plusIjEEEEZZNS1_33reduce_by_key_impl_wrapped_configILNS1_25lookback_scan_determinismE0ES3_S7_PKjNS0_17constant_iteratorIjlEEPjPlSF_S6_NS0_8equal_toIjEEEE10hipError_tPvRmT2_T3_mT4_T5_T6_T7_T8_P12ihipStream_tbENKUlT_T0_E_clISt17integral_constantIbLb0EESY_IbLb1EEEEDaSU_SV_EUlSU_E_NS1_11comp_targetILNS1_3genE10ELNS1_11target_archE1200ELNS1_3gpuE4ELNS1_3repE0EEENS1_30default_config_static_selectorELNS0_4arch9wavefront6targetE1EEEvT1_
	.p2align	8
	.type	_ZN7rocprim17ROCPRIM_400000_NS6detail17trampoline_kernelINS0_14default_configENS1_33run_length_encode_config_selectorIjjNS0_4plusIjEEEEZZNS1_33reduce_by_key_impl_wrapped_configILNS1_25lookback_scan_determinismE0ES3_S7_PKjNS0_17constant_iteratorIjlEEPjPlSF_S6_NS0_8equal_toIjEEEE10hipError_tPvRmT2_T3_mT4_T5_T6_T7_T8_P12ihipStream_tbENKUlT_T0_E_clISt17integral_constantIbLb0EESY_IbLb1EEEEDaSU_SV_EUlSU_E_NS1_11comp_targetILNS1_3genE10ELNS1_11target_archE1200ELNS1_3gpuE4ELNS1_3repE0EEENS1_30default_config_static_selectorELNS0_4arch9wavefront6targetE1EEEvT1_,@function
_ZN7rocprim17ROCPRIM_400000_NS6detail17trampoline_kernelINS0_14default_configENS1_33run_length_encode_config_selectorIjjNS0_4plusIjEEEEZZNS1_33reduce_by_key_impl_wrapped_configILNS1_25lookback_scan_determinismE0ES3_S7_PKjNS0_17constant_iteratorIjlEEPjPlSF_S6_NS0_8equal_toIjEEEE10hipError_tPvRmT2_T3_mT4_T5_T6_T7_T8_P12ihipStream_tbENKUlT_T0_E_clISt17integral_constantIbLb0EESY_IbLb1EEEEDaSU_SV_EUlSU_E_NS1_11comp_targetILNS1_3genE10ELNS1_11target_archE1200ELNS1_3gpuE4ELNS1_3repE0EEENS1_30default_config_static_selectorELNS0_4arch9wavefront6targetE1EEEvT1_: ; @_ZN7rocprim17ROCPRIM_400000_NS6detail17trampoline_kernelINS0_14default_configENS1_33run_length_encode_config_selectorIjjNS0_4plusIjEEEEZZNS1_33reduce_by_key_impl_wrapped_configILNS1_25lookback_scan_determinismE0ES3_S7_PKjNS0_17constant_iteratorIjlEEPjPlSF_S6_NS0_8equal_toIjEEEE10hipError_tPvRmT2_T3_mT4_T5_T6_T7_T8_P12ihipStream_tbENKUlT_T0_E_clISt17integral_constantIbLb0EESY_IbLb1EEEEDaSU_SV_EUlSU_E_NS1_11comp_targetILNS1_3genE10ELNS1_11target_archE1200ELNS1_3gpuE4ELNS1_3repE0EEENS1_30default_config_static_selectorELNS0_4arch9wavefront6targetE1EEEvT1_
; %bb.0:
	.section	.rodata,"a",@progbits
	.p2align	6, 0x0
	.amdhsa_kernel _ZN7rocprim17ROCPRIM_400000_NS6detail17trampoline_kernelINS0_14default_configENS1_33run_length_encode_config_selectorIjjNS0_4plusIjEEEEZZNS1_33reduce_by_key_impl_wrapped_configILNS1_25lookback_scan_determinismE0ES3_S7_PKjNS0_17constant_iteratorIjlEEPjPlSF_S6_NS0_8equal_toIjEEEE10hipError_tPvRmT2_T3_mT4_T5_T6_T7_T8_P12ihipStream_tbENKUlT_T0_E_clISt17integral_constantIbLb0EESY_IbLb1EEEEDaSU_SV_EUlSU_E_NS1_11comp_targetILNS1_3genE10ELNS1_11target_archE1200ELNS1_3gpuE4ELNS1_3repE0EEENS1_30default_config_static_selectorELNS0_4arch9wavefront6targetE1EEEvT1_
		.amdhsa_group_segment_fixed_size 0
		.amdhsa_private_segment_fixed_size 0
		.amdhsa_kernarg_size 128
		.amdhsa_user_sgpr_count 2
		.amdhsa_user_sgpr_dispatch_ptr 0
		.amdhsa_user_sgpr_queue_ptr 0
		.amdhsa_user_sgpr_kernarg_segment_ptr 1
		.amdhsa_user_sgpr_dispatch_id 0
		.amdhsa_user_sgpr_kernarg_preload_length 0
		.amdhsa_user_sgpr_kernarg_preload_offset 0
		.amdhsa_user_sgpr_private_segment_size 0
		.amdhsa_uses_dynamic_stack 0
		.amdhsa_enable_private_segment 0
		.amdhsa_system_sgpr_workgroup_id_x 1
		.amdhsa_system_sgpr_workgroup_id_y 0
		.amdhsa_system_sgpr_workgroup_id_z 0
		.amdhsa_system_sgpr_workgroup_info 0
		.amdhsa_system_vgpr_workitem_id 0
		.amdhsa_next_free_vgpr 1
		.amdhsa_next_free_sgpr 0
		.amdhsa_accum_offset 4
		.amdhsa_reserve_vcc 0
		.amdhsa_float_round_mode_32 0
		.amdhsa_float_round_mode_16_64 0
		.amdhsa_float_denorm_mode_32 3
		.amdhsa_float_denorm_mode_16_64 3
		.amdhsa_dx10_clamp 1
		.amdhsa_ieee_mode 1
		.amdhsa_fp16_overflow 0
		.amdhsa_tg_split 0
		.amdhsa_exception_fp_ieee_invalid_op 0
		.amdhsa_exception_fp_denorm_src 0
		.amdhsa_exception_fp_ieee_div_zero 0
		.amdhsa_exception_fp_ieee_overflow 0
		.amdhsa_exception_fp_ieee_underflow 0
		.amdhsa_exception_fp_ieee_inexact 0
		.amdhsa_exception_int_div_zero 0
	.end_amdhsa_kernel
	.section	.text._ZN7rocprim17ROCPRIM_400000_NS6detail17trampoline_kernelINS0_14default_configENS1_33run_length_encode_config_selectorIjjNS0_4plusIjEEEEZZNS1_33reduce_by_key_impl_wrapped_configILNS1_25lookback_scan_determinismE0ES3_S7_PKjNS0_17constant_iteratorIjlEEPjPlSF_S6_NS0_8equal_toIjEEEE10hipError_tPvRmT2_T3_mT4_T5_T6_T7_T8_P12ihipStream_tbENKUlT_T0_E_clISt17integral_constantIbLb0EESY_IbLb1EEEEDaSU_SV_EUlSU_E_NS1_11comp_targetILNS1_3genE10ELNS1_11target_archE1200ELNS1_3gpuE4ELNS1_3repE0EEENS1_30default_config_static_selectorELNS0_4arch9wavefront6targetE1EEEvT1_,"axG",@progbits,_ZN7rocprim17ROCPRIM_400000_NS6detail17trampoline_kernelINS0_14default_configENS1_33run_length_encode_config_selectorIjjNS0_4plusIjEEEEZZNS1_33reduce_by_key_impl_wrapped_configILNS1_25lookback_scan_determinismE0ES3_S7_PKjNS0_17constant_iteratorIjlEEPjPlSF_S6_NS0_8equal_toIjEEEE10hipError_tPvRmT2_T3_mT4_T5_T6_T7_T8_P12ihipStream_tbENKUlT_T0_E_clISt17integral_constantIbLb0EESY_IbLb1EEEEDaSU_SV_EUlSU_E_NS1_11comp_targetILNS1_3genE10ELNS1_11target_archE1200ELNS1_3gpuE4ELNS1_3repE0EEENS1_30default_config_static_selectorELNS0_4arch9wavefront6targetE1EEEvT1_,comdat
.Lfunc_end682:
	.size	_ZN7rocprim17ROCPRIM_400000_NS6detail17trampoline_kernelINS0_14default_configENS1_33run_length_encode_config_selectorIjjNS0_4plusIjEEEEZZNS1_33reduce_by_key_impl_wrapped_configILNS1_25lookback_scan_determinismE0ES3_S7_PKjNS0_17constant_iteratorIjlEEPjPlSF_S6_NS0_8equal_toIjEEEE10hipError_tPvRmT2_T3_mT4_T5_T6_T7_T8_P12ihipStream_tbENKUlT_T0_E_clISt17integral_constantIbLb0EESY_IbLb1EEEEDaSU_SV_EUlSU_E_NS1_11comp_targetILNS1_3genE10ELNS1_11target_archE1200ELNS1_3gpuE4ELNS1_3repE0EEENS1_30default_config_static_selectorELNS0_4arch9wavefront6targetE1EEEvT1_, .Lfunc_end682-_ZN7rocprim17ROCPRIM_400000_NS6detail17trampoline_kernelINS0_14default_configENS1_33run_length_encode_config_selectorIjjNS0_4plusIjEEEEZZNS1_33reduce_by_key_impl_wrapped_configILNS1_25lookback_scan_determinismE0ES3_S7_PKjNS0_17constant_iteratorIjlEEPjPlSF_S6_NS0_8equal_toIjEEEE10hipError_tPvRmT2_T3_mT4_T5_T6_T7_T8_P12ihipStream_tbENKUlT_T0_E_clISt17integral_constantIbLb0EESY_IbLb1EEEEDaSU_SV_EUlSU_E_NS1_11comp_targetILNS1_3genE10ELNS1_11target_archE1200ELNS1_3gpuE4ELNS1_3repE0EEENS1_30default_config_static_selectorELNS0_4arch9wavefront6targetE1EEEvT1_
                                        ; -- End function
	.section	.AMDGPU.csdata,"",@progbits
; Kernel info:
; codeLenInByte = 0
; NumSgprs: 6
; NumVgprs: 0
; NumAgprs: 0
; TotalNumVgprs: 0
; ScratchSize: 0
; MemoryBound: 0
; FloatMode: 240
; IeeeMode: 1
; LDSByteSize: 0 bytes/workgroup (compile time only)
; SGPRBlocks: 0
; VGPRBlocks: 0
; NumSGPRsForWavesPerEU: 6
; NumVGPRsForWavesPerEU: 1
; AccumOffset: 4
; Occupancy: 8
; WaveLimiterHint : 0
; COMPUTE_PGM_RSRC2:SCRATCH_EN: 0
; COMPUTE_PGM_RSRC2:USER_SGPR: 2
; COMPUTE_PGM_RSRC2:TRAP_HANDLER: 0
; COMPUTE_PGM_RSRC2:TGID_X_EN: 1
; COMPUTE_PGM_RSRC2:TGID_Y_EN: 0
; COMPUTE_PGM_RSRC2:TGID_Z_EN: 0
; COMPUTE_PGM_RSRC2:TIDIG_COMP_CNT: 0
; COMPUTE_PGM_RSRC3_GFX90A:ACCUM_OFFSET: 0
; COMPUTE_PGM_RSRC3_GFX90A:TG_SPLIT: 0
	.section	.text._ZN7rocprim17ROCPRIM_400000_NS6detail17trampoline_kernelINS0_14default_configENS1_33run_length_encode_config_selectorIjjNS0_4plusIjEEEEZZNS1_33reduce_by_key_impl_wrapped_configILNS1_25lookback_scan_determinismE0ES3_S7_PKjNS0_17constant_iteratorIjlEEPjPlSF_S6_NS0_8equal_toIjEEEE10hipError_tPvRmT2_T3_mT4_T5_T6_T7_T8_P12ihipStream_tbENKUlT_T0_E_clISt17integral_constantIbLb0EESY_IbLb1EEEEDaSU_SV_EUlSU_E_NS1_11comp_targetILNS1_3genE9ELNS1_11target_archE1100ELNS1_3gpuE3ELNS1_3repE0EEENS1_30default_config_static_selectorELNS0_4arch9wavefront6targetE1EEEvT1_,"axG",@progbits,_ZN7rocprim17ROCPRIM_400000_NS6detail17trampoline_kernelINS0_14default_configENS1_33run_length_encode_config_selectorIjjNS0_4plusIjEEEEZZNS1_33reduce_by_key_impl_wrapped_configILNS1_25lookback_scan_determinismE0ES3_S7_PKjNS0_17constant_iteratorIjlEEPjPlSF_S6_NS0_8equal_toIjEEEE10hipError_tPvRmT2_T3_mT4_T5_T6_T7_T8_P12ihipStream_tbENKUlT_T0_E_clISt17integral_constantIbLb0EESY_IbLb1EEEEDaSU_SV_EUlSU_E_NS1_11comp_targetILNS1_3genE9ELNS1_11target_archE1100ELNS1_3gpuE3ELNS1_3repE0EEENS1_30default_config_static_selectorELNS0_4arch9wavefront6targetE1EEEvT1_,comdat
	.protected	_ZN7rocprim17ROCPRIM_400000_NS6detail17trampoline_kernelINS0_14default_configENS1_33run_length_encode_config_selectorIjjNS0_4plusIjEEEEZZNS1_33reduce_by_key_impl_wrapped_configILNS1_25lookback_scan_determinismE0ES3_S7_PKjNS0_17constant_iteratorIjlEEPjPlSF_S6_NS0_8equal_toIjEEEE10hipError_tPvRmT2_T3_mT4_T5_T6_T7_T8_P12ihipStream_tbENKUlT_T0_E_clISt17integral_constantIbLb0EESY_IbLb1EEEEDaSU_SV_EUlSU_E_NS1_11comp_targetILNS1_3genE9ELNS1_11target_archE1100ELNS1_3gpuE3ELNS1_3repE0EEENS1_30default_config_static_selectorELNS0_4arch9wavefront6targetE1EEEvT1_ ; -- Begin function _ZN7rocprim17ROCPRIM_400000_NS6detail17trampoline_kernelINS0_14default_configENS1_33run_length_encode_config_selectorIjjNS0_4plusIjEEEEZZNS1_33reduce_by_key_impl_wrapped_configILNS1_25lookback_scan_determinismE0ES3_S7_PKjNS0_17constant_iteratorIjlEEPjPlSF_S6_NS0_8equal_toIjEEEE10hipError_tPvRmT2_T3_mT4_T5_T6_T7_T8_P12ihipStream_tbENKUlT_T0_E_clISt17integral_constantIbLb0EESY_IbLb1EEEEDaSU_SV_EUlSU_E_NS1_11comp_targetILNS1_3genE9ELNS1_11target_archE1100ELNS1_3gpuE3ELNS1_3repE0EEENS1_30default_config_static_selectorELNS0_4arch9wavefront6targetE1EEEvT1_
	.globl	_ZN7rocprim17ROCPRIM_400000_NS6detail17trampoline_kernelINS0_14default_configENS1_33run_length_encode_config_selectorIjjNS0_4plusIjEEEEZZNS1_33reduce_by_key_impl_wrapped_configILNS1_25lookback_scan_determinismE0ES3_S7_PKjNS0_17constant_iteratorIjlEEPjPlSF_S6_NS0_8equal_toIjEEEE10hipError_tPvRmT2_T3_mT4_T5_T6_T7_T8_P12ihipStream_tbENKUlT_T0_E_clISt17integral_constantIbLb0EESY_IbLb1EEEEDaSU_SV_EUlSU_E_NS1_11comp_targetILNS1_3genE9ELNS1_11target_archE1100ELNS1_3gpuE3ELNS1_3repE0EEENS1_30default_config_static_selectorELNS0_4arch9wavefront6targetE1EEEvT1_
	.p2align	8
	.type	_ZN7rocprim17ROCPRIM_400000_NS6detail17trampoline_kernelINS0_14default_configENS1_33run_length_encode_config_selectorIjjNS0_4plusIjEEEEZZNS1_33reduce_by_key_impl_wrapped_configILNS1_25lookback_scan_determinismE0ES3_S7_PKjNS0_17constant_iteratorIjlEEPjPlSF_S6_NS0_8equal_toIjEEEE10hipError_tPvRmT2_T3_mT4_T5_T6_T7_T8_P12ihipStream_tbENKUlT_T0_E_clISt17integral_constantIbLb0EESY_IbLb1EEEEDaSU_SV_EUlSU_E_NS1_11comp_targetILNS1_3genE9ELNS1_11target_archE1100ELNS1_3gpuE3ELNS1_3repE0EEENS1_30default_config_static_selectorELNS0_4arch9wavefront6targetE1EEEvT1_,@function
_ZN7rocprim17ROCPRIM_400000_NS6detail17trampoline_kernelINS0_14default_configENS1_33run_length_encode_config_selectorIjjNS0_4plusIjEEEEZZNS1_33reduce_by_key_impl_wrapped_configILNS1_25lookback_scan_determinismE0ES3_S7_PKjNS0_17constant_iteratorIjlEEPjPlSF_S6_NS0_8equal_toIjEEEE10hipError_tPvRmT2_T3_mT4_T5_T6_T7_T8_P12ihipStream_tbENKUlT_T0_E_clISt17integral_constantIbLb0EESY_IbLb1EEEEDaSU_SV_EUlSU_E_NS1_11comp_targetILNS1_3genE9ELNS1_11target_archE1100ELNS1_3gpuE3ELNS1_3repE0EEENS1_30default_config_static_selectorELNS0_4arch9wavefront6targetE1EEEvT1_: ; @_ZN7rocprim17ROCPRIM_400000_NS6detail17trampoline_kernelINS0_14default_configENS1_33run_length_encode_config_selectorIjjNS0_4plusIjEEEEZZNS1_33reduce_by_key_impl_wrapped_configILNS1_25lookback_scan_determinismE0ES3_S7_PKjNS0_17constant_iteratorIjlEEPjPlSF_S6_NS0_8equal_toIjEEEE10hipError_tPvRmT2_T3_mT4_T5_T6_T7_T8_P12ihipStream_tbENKUlT_T0_E_clISt17integral_constantIbLb0EESY_IbLb1EEEEDaSU_SV_EUlSU_E_NS1_11comp_targetILNS1_3genE9ELNS1_11target_archE1100ELNS1_3gpuE3ELNS1_3repE0EEENS1_30default_config_static_selectorELNS0_4arch9wavefront6targetE1EEEvT1_
; %bb.0:
	.section	.rodata,"a",@progbits
	.p2align	6, 0x0
	.amdhsa_kernel _ZN7rocprim17ROCPRIM_400000_NS6detail17trampoline_kernelINS0_14default_configENS1_33run_length_encode_config_selectorIjjNS0_4plusIjEEEEZZNS1_33reduce_by_key_impl_wrapped_configILNS1_25lookback_scan_determinismE0ES3_S7_PKjNS0_17constant_iteratorIjlEEPjPlSF_S6_NS0_8equal_toIjEEEE10hipError_tPvRmT2_T3_mT4_T5_T6_T7_T8_P12ihipStream_tbENKUlT_T0_E_clISt17integral_constantIbLb0EESY_IbLb1EEEEDaSU_SV_EUlSU_E_NS1_11comp_targetILNS1_3genE9ELNS1_11target_archE1100ELNS1_3gpuE3ELNS1_3repE0EEENS1_30default_config_static_selectorELNS0_4arch9wavefront6targetE1EEEvT1_
		.amdhsa_group_segment_fixed_size 0
		.amdhsa_private_segment_fixed_size 0
		.amdhsa_kernarg_size 128
		.amdhsa_user_sgpr_count 2
		.amdhsa_user_sgpr_dispatch_ptr 0
		.amdhsa_user_sgpr_queue_ptr 0
		.amdhsa_user_sgpr_kernarg_segment_ptr 1
		.amdhsa_user_sgpr_dispatch_id 0
		.amdhsa_user_sgpr_kernarg_preload_length 0
		.amdhsa_user_sgpr_kernarg_preload_offset 0
		.amdhsa_user_sgpr_private_segment_size 0
		.amdhsa_uses_dynamic_stack 0
		.amdhsa_enable_private_segment 0
		.amdhsa_system_sgpr_workgroup_id_x 1
		.amdhsa_system_sgpr_workgroup_id_y 0
		.amdhsa_system_sgpr_workgroup_id_z 0
		.amdhsa_system_sgpr_workgroup_info 0
		.amdhsa_system_vgpr_workitem_id 0
		.amdhsa_next_free_vgpr 1
		.amdhsa_next_free_sgpr 0
		.amdhsa_accum_offset 4
		.amdhsa_reserve_vcc 0
		.amdhsa_float_round_mode_32 0
		.amdhsa_float_round_mode_16_64 0
		.amdhsa_float_denorm_mode_32 3
		.amdhsa_float_denorm_mode_16_64 3
		.amdhsa_dx10_clamp 1
		.amdhsa_ieee_mode 1
		.amdhsa_fp16_overflow 0
		.amdhsa_tg_split 0
		.amdhsa_exception_fp_ieee_invalid_op 0
		.amdhsa_exception_fp_denorm_src 0
		.amdhsa_exception_fp_ieee_div_zero 0
		.amdhsa_exception_fp_ieee_overflow 0
		.amdhsa_exception_fp_ieee_underflow 0
		.amdhsa_exception_fp_ieee_inexact 0
		.amdhsa_exception_int_div_zero 0
	.end_amdhsa_kernel
	.section	.text._ZN7rocprim17ROCPRIM_400000_NS6detail17trampoline_kernelINS0_14default_configENS1_33run_length_encode_config_selectorIjjNS0_4plusIjEEEEZZNS1_33reduce_by_key_impl_wrapped_configILNS1_25lookback_scan_determinismE0ES3_S7_PKjNS0_17constant_iteratorIjlEEPjPlSF_S6_NS0_8equal_toIjEEEE10hipError_tPvRmT2_T3_mT4_T5_T6_T7_T8_P12ihipStream_tbENKUlT_T0_E_clISt17integral_constantIbLb0EESY_IbLb1EEEEDaSU_SV_EUlSU_E_NS1_11comp_targetILNS1_3genE9ELNS1_11target_archE1100ELNS1_3gpuE3ELNS1_3repE0EEENS1_30default_config_static_selectorELNS0_4arch9wavefront6targetE1EEEvT1_,"axG",@progbits,_ZN7rocprim17ROCPRIM_400000_NS6detail17trampoline_kernelINS0_14default_configENS1_33run_length_encode_config_selectorIjjNS0_4plusIjEEEEZZNS1_33reduce_by_key_impl_wrapped_configILNS1_25lookback_scan_determinismE0ES3_S7_PKjNS0_17constant_iteratorIjlEEPjPlSF_S6_NS0_8equal_toIjEEEE10hipError_tPvRmT2_T3_mT4_T5_T6_T7_T8_P12ihipStream_tbENKUlT_T0_E_clISt17integral_constantIbLb0EESY_IbLb1EEEEDaSU_SV_EUlSU_E_NS1_11comp_targetILNS1_3genE9ELNS1_11target_archE1100ELNS1_3gpuE3ELNS1_3repE0EEENS1_30default_config_static_selectorELNS0_4arch9wavefront6targetE1EEEvT1_,comdat
.Lfunc_end683:
	.size	_ZN7rocprim17ROCPRIM_400000_NS6detail17trampoline_kernelINS0_14default_configENS1_33run_length_encode_config_selectorIjjNS0_4plusIjEEEEZZNS1_33reduce_by_key_impl_wrapped_configILNS1_25lookback_scan_determinismE0ES3_S7_PKjNS0_17constant_iteratorIjlEEPjPlSF_S6_NS0_8equal_toIjEEEE10hipError_tPvRmT2_T3_mT4_T5_T6_T7_T8_P12ihipStream_tbENKUlT_T0_E_clISt17integral_constantIbLb0EESY_IbLb1EEEEDaSU_SV_EUlSU_E_NS1_11comp_targetILNS1_3genE9ELNS1_11target_archE1100ELNS1_3gpuE3ELNS1_3repE0EEENS1_30default_config_static_selectorELNS0_4arch9wavefront6targetE1EEEvT1_, .Lfunc_end683-_ZN7rocprim17ROCPRIM_400000_NS6detail17trampoline_kernelINS0_14default_configENS1_33run_length_encode_config_selectorIjjNS0_4plusIjEEEEZZNS1_33reduce_by_key_impl_wrapped_configILNS1_25lookback_scan_determinismE0ES3_S7_PKjNS0_17constant_iteratorIjlEEPjPlSF_S6_NS0_8equal_toIjEEEE10hipError_tPvRmT2_T3_mT4_T5_T6_T7_T8_P12ihipStream_tbENKUlT_T0_E_clISt17integral_constantIbLb0EESY_IbLb1EEEEDaSU_SV_EUlSU_E_NS1_11comp_targetILNS1_3genE9ELNS1_11target_archE1100ELNS1_3gpuE3ELNS1_3repE0EEENS1_30default_config_static_selectorELNS0_4arch9wavefront6targetE1EEEvT1_
                                        ; -- End function
	.section	.AMDGPU.csdata,"",@progbits
; Kernel info:
; codeLenInByte = 0
; NumSgprs: 6
; NumVgprs: 0
; NumAgprs: 0
; TotalNumVgprs: 0
; ScratchSize: 0
; MemoryBound: 0
; FloatMode: 240
; IeeeMode: 1
; LDSByteSize: 0 bytes/workgroup (compile time only)
; SGPRBlocks: 0
; VGPRBlocks: 0
; NumSGPRsForWavesPerEU: 6
; NumVGPRsForWavesPerEU: 1
; AccumOffset: 4
; Occupancy: 8
; WaveLimiterHint : 0
; COMPUTE_PGM_RSRC2:SCRATCH_EN: 0
; COMPUTE_PGM_RSRC2:USER_SGPR: 2
; COMPUTE_PGM_RSRC2:TRAP_HANDLER: 0
; COMPUTE_PGM_RSRC2:TGID_X_EN: 1
; COMPUTE_PGM_RSRC2:TGID_Y_EN: 0
; COMPUTE_PGM_RSRC2:TGID_Z_EN: 0
; COMPUTE_PGM_RSRC2:TIDIG_COMP_CNT: 0
; COMPUTE_PGM_RSRC3_GFX90A:ACCUM_OFFSET: 0
; COMPUTE_PGM_RSRC3_GFX90A:TG_SPLIT: 0
	.section	.text._ZN7rocprim17ROCPRIM_400000_NS6detail17trampoline_kernelINS0_14default_configENS1_33run_length_encode_config_selectorIjjNS0_4plusIjEEEEZZNS1_33reduce_by_key_impl_wrapped_configILNS1_25lookback_scan_determinismE0ES3_S7_PKjNS0_17constant_iteratorIjlEEPjPlSF_S6_NS0_8equal_toIjEEEE10hipError_tPvRmT2_T3_mT4_T5_T6_T7_T8_P12ihipStream_tbENKUlT_T0_E_clISt17integral_constantIbLb0EESY_IbLb1EEEEDaSU_SV_EUlSU_E_NS1_11comp_targetILNS1_3genE8ELNS1_11target_archE1030ELNS1_3gpuE2ELNS1_3repE0EEENS1_30default_config_static_selectorELNS0_4arch9wavefront6targetE1EEEvT1_,"axG",@progbits,_ZN7rocprim17ROCPRIM_400000_NS6detail17trampoline_kernelINS0_14default_configENS1_33run_length_encode_config_selectorIjjNS0_4plusIjEEEEZZNS1_33reduce_by_key_impl_wrapped_configILNS1_25lookback_scan_determinismE0ES3_S7_PKjNS0_17constant_iteratorIjlEEPjPlSF_S6_NS0_8equal_toIjEEEE10hipError_tPvRmT2_T3_mT4_T5_T6_T7_T8_P12ihipStream_tbENKUlT_T0_E_clISt17integral_constantIbLb0EESY_IbLb1EEEEDaSU_SV_EUlSU_E_NS1_11comp_targetILNS1_3genE8ELNS1_11target_archE1030ELNS1_3gpuE2ELNS1_3repE0EEENS1_30default_config_static_selectorELNS0_4arch9wavefront6targetE1EEEvT1_,comdat
	.protected	_ZN7rocprim17ROCPRIM_400000_NS6detail17trampoline_kernelINS0_14default_configENS1_33run_length_encode_config_selectorIjjNS0_4plusIjEEEEZZNS1_33reduce_by_key_impl_wrapped_configILNS1_25lookback_scan_determinismE0ES3_S7_PKjNS0_17constant_iteratorIjlEEPjPlSF_S6_NS0_8equal_toIjEEEE10hipError_tPvRmT2_T3_mT4_T5_T6_T7_T8_P12ihipStream_tbENKUlT_T0_E_clISt17integral_constantIbLb0EESY_IbLb1EEEEDaSU_SV_EUlSU_E_NS1_11comp_targetILNS1_3genE8ELNS1_11target_archE1030ELNS1_3gpuE2ELNS1_3repE0EEENS1_30default_config_static_selectorELNS0_4arch9wavefront6targetE1EEEvT1_ ; -- Begin function _ZN7rocprim17ROCPRIM_400000_NS6detail17trampoline_kernelINS0_14default_configENS1_33run_length_encode_config_selectorIjjNS0_4plusIjEEEEZZNS1_33reduce_by_key_impl_wrapped_configILNS1_25lookback_scan_determinismE0ES3_S7_PKjNS0_17constant_iteratorIjlEEPjPlSF_S6_NS0_8equal_toIjEEEE10hipError_tPvRmT2_T3_mT4_T5_T6_T7_T8_P12ihipStream_tbENKUlT_T0_E_clISt17integral_constantIbLb0EESY_IbLb1EEEEDaSU_SV_EUlSU_E_NS1_11comp_targetILNS1_3genE8ELNS1_11target_archE1030ELNS1_3gpuE2ELNS1_3repE0EEENS1_30default_config_static_selectorELNS0_4arch9wavefront6targetE1EEEvT1_
	.globl	_ZN7rocprim17ROCPRIM_400000_NS6detail17trampoline_kernelINS0_14default_configENS1_33run_length_encode_config_selectorIjjNS0_4plusIjEEEEZZNS1_33reduce_by_key_impl_wrapped_configILNS1_25lookback_scan_determinismE0ES3_S7_PKjNS0_17constant_iteratorIjlEEPjPlSF_S6_NS0_8equal_toIjEEEE10hipError_tPvRmT2_T3_mT4_T5_T6_T7_T8_P12ihipStream_tbENKUlT_T0_E_clISt17integral_constantIbLb0EESY_IbLb1EEEEDaSU_SV_EUlSU_E_NS1_11comp_targetILNS1_3genE8ELNS1_11target_archE1030ELNS1_3gpuE2ELNS1_3repE0EEENS1_30default_config_static_selectorELNS0_4arch9wavefront6targetE1EEEvT1_
	.p2align	8
	.type	_ZN7rocprim17ROCPRIM_400000_NS6detail17trampoline_kernelINS0_14default_configENS1_33run_length_encode_config_selectorIjjNS0_4plusIjEEEEZZNS1_33reduce_by_key_impl_wrapped_configILNS1_25lookback_scan_determinismE0ES3_S7_PKjNS0_17constant_iteratorIjlEEPjPlSF_S6_NS0_8equal_toIjEEEE10hipError_tPvRmT2_T3_mT4_T5_T6_T7_T8_P12ihipStream_tbENKUlT_T0_E_clISt17integral_constantIbLb0EESY_IbLb1EEEEDaSU_SV_EUlSU_E_NS1_11comp_targetILNS1_3genE8ELNS1_11target_archE1030ELNS1_3gpuE2ELNS1_3repE0EEENS1_30default_config_static_selectorELNS0_4arch9wavefront6targetE1EEEvT1_,@function
_ZN7rocprim17ROCPRIM_400000_NS6detail17trampoline_kernelINS0_14default_configENS1_33run_length_encode_config_selectorIjjNS0_4plusIjEEEEZZNS1_33reduce_by_key_impl_wrapped_configILNS1_25lookback_scan_determinismE0ES3_S7_PKjNS0_17constant_iteratorIjlEEPjPlSF_S6_NS0_8equal_toIjEEEE10hipError_tPvRmT2_T3_mT4_T5_T6_T7_T8_P12ihipStream_tbENKUlT_T0_E_clISt17integral_constantIbLb0EESY_IbLb1EEEEDaSU_SV_EUlSU_E_NS1_11comp_targetILNS1_3genE8ELNS1_11target_archE1030ELNS1_3gpuE2ELNS1_3repE0EEENS1_30default_config_static_selectorELNS0_4arch9wavefront6targetE1EEEvT1_: ; @_ZN7rocprim17ROCPRIM_400000_NS6detail17trampoline_kernelINS0_14default_configENS1_33run_length_encode_config_selectorIjjNS0_4plusIjEEEEZZNS1_33reduce_by_key_impl_wrapped_configILNS1_25lookback_scan_determinismE0ES3_S7_PKjNS0_17constant_iteratorIjlEEPjPlSF_S6_NS0_8equal_toIjEEEE10hipError_tPvRmT2_T3_mT4_T5_T6_T7_T8_P12ihipStream_tbENKUlT_T0_E_clISt17integral_constantIbLb0EESY_IbLb1EEEEDaSU_SV_EUlSU_E_NS1_11comp_targetILNS1_3genE8ELNS1_11target_archE1030ELNS1_3gpuE2ELNS1_3repE0EEENS1_30default_config_static_selectorELNS0_4arch9wavefront6targetE1EEEvT1_
; %bb.0:
	.section	.rodata,"a",@progbits
	.p2align	6, 0x0
	.amdhsa_kernel _ZN7rocprim17ROCPRIM_400000_NS6detail17trampoline_kernelINS0_14default_configENS1_33run_length_encode_config_selectorIjjNS0_4plusIjEEEEZZNS1_33reduce_by_key_impl_wrapped_configILNS1_25lookback_scan_determinismE0ES3_S7_PKjNS0_17constant_iteratorIjlEEPjPlSF_S6_NS0_8equal_toIjEEEE10hipError_tPvRmT2_T3_mT4_T5_T6_T7_T8_P12ihipStream_tbENKUlT_T0_E_clISt17integral_constantIbLb0EESY_IbLb1EEEEDaSU_SV_EUlSU_E_NS1_11comp_targetILNS1_3genE8ELNS1_11target_archE1030ELNS1_3gpuE2ELNS1_3repE0EEENS1_30default_config_static_selectorELNS0_4arch9wavefront6targetE1EEEvT1_
		.amdhsa_group_segment_fixed_size 0
		.amdhsa_private_segment_fixed_size 0
		.amdhsa_kernarg_size 128
		.amdhsa_user_sgpr_count 2
		.amdhsa_user_sgpr_dispatch_ptr 0
		.amdhsa_user_sgpr_queue_ptr 0
		.amdhsa_user_sgpr_kernarg_segment_ptr 1
		.amdhsa_user_sgpr_dispatch_id 0
		.amdhsa_user_sgpr_kernarg_preload_length 0
		.amdhsa_user_sgpr_kernarg_preload_offset 0
		.amdhsa_user_sgpr_private_segment_size 0
		.amdhsa_uses_dynamic_stack 0
		.amdhsa_enable_private_segment 0
		.amdhsa_system_sgpr_workgroup_id_x 1
		.amdhsa_system_sgpr_workgroup_id_y 0
		.amdhsa_system_sgpr_workgroup_id_z 0
		.amdhsa_system_sgpr_workgroup_info 0
		.amdhsa_system_vgpr_workitem_id 0
		.amdhsa_next_free_vgpr 1
		.amdhsa_next_free_sgpr 0
		.amdhsa_accum_offset 4
		.amdhsa_reserve_vcc 0
		.amdhsa_float_round_mode_32 0
		.amdhsa_float_round_mode_16_64 0
		.amdhsa_float_denorm_mode_32 3
		.amdhsa_float_denorm_mode_16_64 3
		.amdhsa_dx10_clamp 1
		.amdhsa_ieee_mode 1
		.amdhsa_fp16_overflow 0
		.amdhsa_tg_split 0
		.amdhsa_exception_fp_ieee_invalid_op 0
		.amdhsa_exception_fp_denorm_src 0
		.amdhsa_exception_fp_ieee_div_zero 0
		.amdhsa_exception_fp_ieee_overflow 0
		.amdhsa_exception_fp_ieee_underflow 0
		.amdhsa_exception_fp_ieee_inexact 0
		.amdhsa_exception_int_div_zero 0
	.end_amdhsa_kernel
	.section	.text._ZN7rocprim17ROCPRIM_400000_NS6detail17trampoline_kernelINS0_14default_configENS1_33run_length_encode_config_selectorIjjNS0_4plusIjEEEEZZNS1_33reduce_by_key_impl_wrapped_configILNS1_25lookback_scan_determinismE0ES3_S7_PKjNS0_17constant_iteratorIjlEEPjPlSF_S6_NS0_8equal_toIjEEEE10hipError_tPvRmT2_T3_mT4_T5_T6_T7_T8_P12ihipStream_tbENKUlT_T0_E_clISt17integral_constantIbLb0EESY_IbLb1EEEEDaSU_SV_EUlSU_E_NS1_11comp_targetILNS1_3genE8ELNS1_11target_archE1030ELNS1_3gpuE2ELNS1_3repE0EEENS1_30default_config_static_selectorELNS0_4arch9wavefront6targetE1EEEvT1_,"axG",@progbits,_ZN7rocprim17ROCPRIM_400000_NS6detail17trampoline_kernelINS0_14default_configENS1_33run_length_encode_config_selectorIjjNS0_4plusIjEEEEZZNS1_33reduce_by_key_impl_wrapped_configILNS1_25lookback_scan_determinismE0ES3_S7_PKjNS0_17constant_iteratorIjlEEPjPlSF_S6_NS0_8equal_toIjEEEE10hipError_tPvRmT2_T3_mT4_T5_T6_T7_T8_P12ihipStream_tbENKUlT_T0_E_clISt17integral_constantIbLb0EESY_IbLb1EEEEDaSU_SV_EUlSU_E_NS1_11comp_targetILNS1_3genE8ELNS1_11target_archE1030ELNS1_3gpuE2ELNS1_3repE0EEENS1_30default_config_static_selectorELNS0_4arch9wavefront6targetE1EEEvT1_,comdat
.Lfunc_end684:
	.size	_ZN7rocprim17ROCPRIM_400000_NS6detail17trampoline_kernelINS0_14default_configENS1_33run_length_encode_config_selectorIjjNS0_4plusIjEEEEZZNS1_33reduce_by_key_impl_wrapped_configILNS1_25lookback_scan_determinismE0ES3_S7_PKjNS0_17constant_iteratorIjlEEPjPlSF_S6_NS0_8equal_toIjEEEE10hipError_tPvRmT2_T3_mT4_T5_T6_T7_T8_P12ihipStream_tbENKUlT_T0_E_clISt17integral_constantIbLb0EESY_IbLb1EEEEDaSU_SV_EUlSU_E_NS1_11comp_targetILNS1_3genE8ELNS1_11target_archE1030ELNS1_3gpuE2ELNS1_3repE0EEENS1_30default_config_static_selectorELNS0_4arch9wavefront6targetE1EEEvT1_, .Lfunc_end684-_ZN7rocprim17ROCPRIM_400000_NS6detail17trampoline_kernelINS0_14default_configENS1_33run_length_encode_config_selectorIjjNS0_4plusIjEEEEZZNS1_33reduce_by_key_impl_wrapped_configILNS1_25lookback_scan_determinismE0ES3_S7_PKjNS0_17constant_iteratorIjlEEPjPlSF_S6_NS0_8equal_toIjEEEE10hipError_tPvRmT2_T3_mT4_T5_T6_T7_T8_P12ihipStream_tbENKUlT_T0_E_clISt17integral_constantIbLb0EESY_IbLb1EEEEDaSU_SV_EUlSU_E_NS1_11comp_targetILNS1_3genE8ELNS1_11target_archE1030ELNS1_3gpuE2ELNS1_3repE0EEENS1_30default_config_static_selectorELNS0_4arch9wavefront6targetE1EEEvT1_
                                        ; -- End function
	.section	.AMDGPU.csdata,"",@progbits
; Kernel info:
; codeLenInByte = 0
; NumSgprs: 6
; NumVgprs: 0
; NumAgprs: 0
; TotalNumVgprs: 0
; ScratchSize: 0
; MemoryBound: 0
; FloatMode: 240
; IeeeMode: 1
; LDSByteSize: 0 bytes/workgroup (compile time only)
; SGPRBlocks: 0
; VGPRBlocks: 0
; NumSGPRsForWavesPerEU: 6
; NumVGPRsForWavesPerEU: 1
; AccumOffset: 4
; Occupancy: 8
; WaveLimiterHint : 0
; COMPUTE_PGM_RSRC2:SCRATCH_EN: 0
; COMPUTE_PGM_RSRC2:USER_SGPR: 2
; COMPUTE_PGM_RSRC2:TRAP_HANDLER: 0
; COMPUTE_PGM_RSRC2:TGID_X_EN: 1
; COMPUTE_PGM_RSRC2:TGID_Y_EN: 0
; COMPUTE_PGM_RSRC2:TGID_Z_EN: 0
; COMPUTE_PGM_RSRC2:TIDIG_COMP_CNT: 0
; COMPUTE_PGM_RSRC3_GFX90A:ACCUM_OFFSET: 0
; COMPUTE_PGM_RSRC3_GFX90A:TG_SPLIT: 0
	.section	.text._ZN2at6native8internal12_GLOBAL__N_126adjacent_difference_kernelIPKmEEvlT_Pi,"axG",@progbits,_ZN2at6native8internal12_GLOBAL__N_126adjacent_difference_kernelIPKmEEvlT_Pi,comdat
	.globl	_ZN2at6native8internal12_GLOBAL__N_126adjacent_difference_kernelIPKmEEvlT_Pi ; -- Begin function _ZN2at6native8internal12_GLOBAL__N_126adjacent_difference_kernelIPKmEEvlT_Pi
	.p2align	8
	.type	_ZN2at6native8internal12_GLOBAL__N_126adjacent_difference_kernelIPKmEEvlT_Pi,@function
_ZN2at6native8internal12_GLOBAL__N_126adjacent_difference_kernelIPKmEEvlT_Pi: ; @_ZN2at6native8internal12_GLOBAL__N_126adjacent_difference_kernelIPKmEEvlT_Pi
; %bb.0:
	s_load_dword s3, s[0:1], 0x24
	s_load_dwordx4 s[4:7], s[0:1], 0x0
	s_add_u32 s10, s0, 24
	s_addc_u32 s11, s1, 0
	v_mov_b32_e32 v1, 0
	s_waitcnt lgkmcnt(0)
	s_and_b32 s12, s3, 0xffff
	v_mov_b32_e32 v2, s2
	v_mad_u64_u32 v[4:5], s[8:9], s12, v2, v[0:1]
	v_cmp_gt_i64_e32 vcc, s[4:5], v[4:5]
	s_and_saveexec_b64 s[8:9], vcc
	s_cbranch_execz .LBB685_5
; %bb.1:
	s_load_dword s13, s[10:11], 0x0
	s_load_dwordx2 s[8:9], s[0:1], 0x10
	s_mul_hi_u32 s1, s12, s2
	s_mul_i32 s0, s12, s2
	s_mov_b32 s3, 0
	s_waitcnt lgkmcnt(0)
	s_mul_i32 s2, s13, s12
	v_mov_b32_e32 v2, v1
	v_mov_b32_e32 v3, v4
	s_mov_b32 s10, s3
	s_mov_b32 s11, s2
	s_mov_b64 s[12:13], 0
	v_mov_b64_e32 v[4:5], v[0:1]
	s_branch .LBB685_3
.LBB685_2:                              ;   in Loop: Header=BB685_3 Depth=1
	s_or_b64 exec, exec, s[14:15]
	v_ashrrev_i64 v[6:7], 30, v[2:3]
	v_lshl_add_u64 v[6:7], s[8:9], 0, v[6:7]
	v_lshl_add_u64 v[4:5], v[4:5], 0, s[2:3]
	global_store_dword v[6:7], v0, off
	v_lshl_add_u64 v[6:7], s[0:1], 0, v[4:5]
	v_cmp_le_i64_e32 vcc, s[4:5], v[6:7]
	s_or_b64 s[12:13], vcc, s[12:13]
	v_lshl_add_u64 v[2:3], v[2:3], 0, s[10:11]
	s_andn2_b64 exec, exec, s[12:13]
	s_cbranch_execz .LBB685_5
.LBB685_3:                              ; =>This Inner Loop Header: Depth=1
	v_add_u32_e32 v0, s0, v4
	v_cmp_lt_i32_e32 vcc, 0, v0
	v_mov_b32_e32 v0, 0
	s_and_saveexec_b64 s[14:15], vcc
	s_cbranch_execz .LBB685_2
; %bb.4:                                ;   in Loop: Header=BB685_3 Depth=1
	v_add_u32_e32 v8, s0, v4
	v_and_b32_e32 v0, 0x7fffffff, v8
	v_lshl_add_u64 v[6:7], v[0:1], 3, s[6:7]
	v_add_u32_e32 v0, -1, v8
	v_lshl_add_u64 v[8:9], v[0:1], 3, s[6:7]
	global_load_dwordx2 v[10:11], v[6:7], off
	global_load_dwordx2 v[12:13], v[8:9], off
	s_waitcnt vmcnt(0)
	v_cmp_ne_u64_e32 vcc, v[10:11], v[12:13]
	s_nop 1
	v_cndmask_b32_e64 v0, 0, 1, vcc
	s_branch .LBB685_2
.LBB685_5:
	s_endpgm
	.section	.rodata,"a",@progbits
	.p2align	6, 0x0
	.amdhsa_kernel _ZN2at6native8internal12_GLOBAL__N_126adjacent_difference_kernelIPKmEEvlT_Pi
		.amdhsa_group_segment_fixed_size 0
		.amdhsa_private_segment_fixed_size 0
		.amdhsa_kernarg_size 280
		.amdhsa_user_sgpr_count 2
		.amdhsa_user_sgpr_dispatch_ptr 0
		.amdhsa_user_sgpr_queue_ptr 0
		.amdhsa_user_sgpr_kernarg_segment_ptr 1
		.amdhsa_user_sgpr_dispatch_id 0
		.amdhsa_user_sgpr_kernarg_preload_length 0
		.amdhsa_user_sgpr_kernarg_preload_offset 0
		.amdhsa_user_sgpr_private_segment_size 0
		.amdhsa_uses_dynamic_stack 0
		.amdhsa_enable_private_segment 0
		.amdhsa_system_sgpr_workgroup_id_x 1
		.amdhsa_system_sgpr_workgroup_id_y 0
		.amdhsa_system_sgpr_workgroup_id_z 0
		.amdhsa_system_sgpr_workgroup_info 0
		.amdhsa_system_vgpr_workitem_id 0
		.amdhsa_next_free_vgpr 14
		.amdhsa_next_free_sgpr 16
		.amdhsa_accum_offset 16
		.amdhsa_reserve_vcc 1
		.amdhsa_float_round_mode_32 0
		.amdhsa_float_round_mode_16_64 0
		.amdhsa_float_denorm_mode_32 3
		.amdhsa_float_denorm_mode_16_64 3
		.amdhsa_dx10_clamp 1
		.amdhsa_ieee_mode 1
		.amdhsa_fp16_overflow 0
		.amdhsa_tg_split 0
		.amdhsa_exception_fp_ieee_invalid_op 0
		.amdhsa_exception_fp_denorm_src 0
		.amdhsa_exception_fp_ieee_div_zero 0
		.amdhsa_exception_fp_ieee_overflow 0
		.amdhsa_exception_fp_ieee_underflow 0
		.amdhsa_exception_fp_ieee_inexact 0
		.amdhsa_exception_int_div_zero 0
	.end_amdhsa_kernel
	.section	.text._ZN2at6native8internal12_GLOBAL__N_126adjacent_difference_kernelIPKmEEvlT_Pi,"axG",@progbits,_ZN2at6native8internal12_GLOBAL__N_126adjacent_difference_kernelIPKmEEvlT_Pi,comdat
.Lfunc_end685:
	.size	_ZN2at6native8internal12_GLOBAL__N_126adjacent_difference_kernelIPKmEEvlT_Pi, .Lfunc_end685-_ZN2at6native8internal12_GLOBAL__N_126adjacent_difference_kernelIPKmEEvlT_Pi
                                        ; -- End function
	.section	.AMDGPU.csdata,"",@progbits
; Kernel info:
; codeLenInByte = 292
; NumSgprs: 22
; NumVgprs: 14
; NumAgprs: 0
; TotalNumVgprs: 14
; ScratchSize: 0
; MemoryBound: 0
; FloatMode: 240
; IeeeMode: 1
; LDSByteSize: 0 bytes/workgroup (compile time only)
; SGPRBlocks: 2
; VGPRBlocks: 1
; NumSGPRsForWavesPerEU: 22
; NumVGPRsForWavesPerEU: 14
; AccumOffset: 16
; Occupancy: 8
; WaveLimiterHint : 0
; COMPUTE_PGM_RSRC2:SCRATCH_EN: 0
; COMPUTE_PGM_RSRC2:USER_SGPR: 2
; COMPUTE_PGM_RSRC2:TRAP_HANDLER: 0
; COMPUTE_PGM_RSRC2:TGID_X_EN: 1
; COMPUTE_PGM_RSRC2:TGID_Y_EN: 0
; COMPUTE_PGM_RSRC2:TGID_Z_EN: 0
; COMPUTE_PGM_RSRC2:TIDIG_COMP_CNT: 0
; COMPUTE_PGM_RSRC3_GFX90A:ACCUM_OFFSET: 3
; COMPUTE_PGM_RSRC3_GFX90A:TG_SPLIT: 0
	.section	.text._ZN7rocprim17ROCPRIM_400000_NS6detail17trampoline_kernelINS0_14default_configENS1_25partition_config_selectorILNS1_17partition_subalgoE8EmNS0_10empty_typeEbEEZZNS1_14partition_implILS5_8ELb0ES3_jPKmPS6_PKS6_NS0_5tupleIJPmS6_EEENSE_IJSB_SB_EEENS0_18inequality_wrapperIN6hipcub16HIPCUB_304000_NS8EqualityEEEPlJS6_EEE10hipError_tPvRmT3_T4_T5_T6_T7_T9_mT8_P12ihipStream_tbDpT10_ENKUlT_T0_E_clISt17integral_constantIbLb0EES17_EEDaS12_S13_EUlS12_E_NS1_11comp_targetILNS1_3genE0ELNS1_11target_archE4294967295ELNS1_3gpuE0ELNS1_3repE0EEENS1_30default_config_static_selectorELNS0_4arch9wavefront6targetE1EEEvT1_,"axG",@progbits,_ZN7rocprim17ROCPRIM_400000_NS6detail17trampoline_kernelINS0_14default_configENS1_25partition_config_selectorILNS1_17partition_subalgoE8EmNS0_10empty_typeEbEEZZNS1_14partition_implILS5_8ELb0ES3_jPKmPS6_PKS6_NS0_5tupleIJPmS6_EEENSE_IJSB_SB_EEENS0_18inequality_wrapperIN6hipcub16HIPCUB_304000_NS8EqualityEEEPlJS6_EEE10hipError_tPvRmT3_T4_T5_T6_T7_T9_mT8_P12ihipStream_tbDpT10_ENKUlT_T0_E_clISt17integral_constantIbLb0EES17_EEDaS12_S13_EUlS12_E_NS1_11comp_targetILNS1_3genE0ELNS1_11target_archE4294967295ELNS1_3gpuE0ELNS1_3repE0EEENS1_30default_config_static_selectorELNS0_4arch9wavefront6targetE1EEEvT1_,comdat
	.protected	_ZN7rocprim17ROCPRIM_400000_NS6detail17trampoline_kernelINS0_14default_configENS1_25partition_config_selectorILNS1_17partition_subalgoE8EmNS0_10empty_typeEbEEZZNS1_14partition_implILS5_8ELb0ES3_jPKmPS6_PKS6_NS0_5tupleIJPmS6_EEENSE_IJSB_SB_EEENS0_18inequality_wrapperIN6hipcub16HIPCUB_304000_NS8EqualityEEEPlJS6_EEE10hipError_tPvRmT3_T4_T5_T6_T7_T9_mT8_P12ihipStream_tbDpT10_ENKUlT_T0_E_clISt17integral_constantIbLb0EES17_EEDaS12_S13_EUlS12_E_NS1_11comp_targetILNS1_3genE0ELNS1_11target_archE4294967295ELNS1_3gpuE0ELNS1_3repE0EEENS1_30default_config_static_selectorELNS0_4arch9wavefront6targetE1EEEvT1_ ; -- Begin function _ZN7rocprim17ROCPRIM_400000_NS6detail17trampoline_kernelINS0_14default_configENS1_25partition_config_selectorILNS1_17partition_subalgoE8EmNS0_10empty_typeEbEEZZNS1_14partition_implILS5_8ELb0ES3_jPKmPS6_PKS6_NS0_5tupleIJPmS6_EEENSE_IJSB_SB_EEENS0_18inequality_wrapperIN6hipcub16HIPCUB_304000_NS8EqualityEEEPlJS6_EEE10hipError_tPvRmT3_T4_T5_T6_T7_T9_mT8_P12ihipStream_tbDpT10_ENKUlT_T0_E_clISt17integral_constantIbLb0EES17_EEDaS12_S13_EUlS12_E_NS1_11comp_targetILNS1_3genE0ELNS1_11target_archE4294967295ELNS1_3gpuE0ELNS1_3repE0EEENS1_30default_config_static_selectorELNS0_4arch9wavefront6targetE1EEEvT1_
	.globl	_ZN7rocprim17ROCPRIM_400000_NS6detail17trampoline_kernelINS0_14default_configENS1_25partition_config_selectorILNS1_17partition_subalgoE8EmNS0_10empty_typeEbEEZZNS1_14partition_implILS5_8ELb0ES3_jPKmPS6_PKS6_NS0_5tupleIJPmS6_EEENSE_IJSB_SB_EEENS0_18inequality_wrapperIN6hipcub16HIPCUB_304000_NS8EqualityEEEPlJS6_EEE10hipError_tPvRmT3_T4_T5_T6_T7_T9_mT8_P12ihipStream_tbDpT10_ENKUlT_T0_E_clISt17integral_constantIbLb0EES17_EEDaS12_S13_EUlS12_E_NS1_11comp_targetILNS1_3genE0ELNS1_11target_archE4294967295ELNS1_3gpuE0ELNS1_3repE0EEENS1_30default_config_static_selectorELNS0_4arch9wavefront6targetE1EEEvT1_
	.p2align	8
	.type	_ZN7rocprim17ROCPRIM_400000_NS6detail17trampoline_kernelINS0_14default_configENS1_25partition_config_selectorILNS1_17partition_subalgoE8EmNS0_10empty_typeEbEEZZNS1_14partition_implILS5_8ELb0ES3_jPKmPS6_PKS6_NS0_5tupleIJPmS6_EEENSE_IJSB_SB_EEENS0_18inequality_wrapperIN6hipcub16HIPCUB_304000_NS8EqualityEEEPlJS6_EEE10hipError_tPvRmT3_T4_T5_T6_T7_T9_mT8_P12ihipStream_tbDpT10_ENKUlT_T0_E_clISt17integral_constantIbLb0EES17_EEDaS12_S13_EUlS12_E_NS1_11comp_targetILNS1_3genE0ELNS1_11target_archE4294967295ELNS1_3gpuE0ELNS1_3repE0EEENS1_30default_config_static_selectorELNS0_4arch9wavefront6targetE1EEEvT1_,@function
_ZN7rocprim17ROCPRIM_400000_NS6detail17trampoline_kernelINS0_14default_configENS1_25partition_config_selectorILNS1_17partition_subalgoE8EmNS0_10empty_typeEbEEZZNS1_14partition_implILS5_8ELb0ES3_jPKmPS6_PKS6_NS0_5tupleIJPmS6_EEENSE_IJSB_SB_EEENS0_18inequality_wrapperIN6hipcub16HIPCUB_304000_NS8EqualityEEEPlJS6_EEE10hipError_tPvRmT3_T4_T5_T6_T7_T9_mT8_P12ihipStream_tbDpT10_ENKUlT_T0_E_clISt17integral_constantIbLb0EES17_EEDaS12_S13_EUlS12_E_NS1_11comp_targetILNS1_3genE0ELNS1_11target_archE4294967295ELNS1_3gpuE0ELNS1_3repE0EEENS1_30default_config_static_selectorELNS0_4arch9wavefront6targetE1EEEvT1_: ; @_ZN7rocprim17ROCPRIM_400000_NS6detail17trampoline_kernelINS0_14default_configENS1_25partition_config_selectorILNS1_17partition_subalgoE8EmNS0_10empty_typeEbEEZZNS1_14partition_implILS5_8ELb0ES3_jPKmPS6_PKS6_NS0_5tupleIJPmS6_EEENSE_IJSB_SB_EEENS0_18inequality_wrapperIN6hipcub16HIPCUB_304000_NS8EqualityEEEPlJS6_EEE10hipError_tPvRmT3_T4_T5_T6_T7_T9_mT8_P12ihipStream_tbDpT10_ENKUlT_T0_E_clISt17integral_constantIbLb0EES17_EEDaS12_S13_EUlS12_E_NS1_11comp_targetILNS1_3genE0ELNS1_11target_archE4294967295ELNS1_3gpuE0ELNS1_3repE0EEENS1_30default_config_static_selectorELNS0_4arch9wavefront6targetE1EEEvT1_
; %bb.0:
	.section	.rodata,"a",@progbits
	.p2align	6, 0x0
	.amdhsa_kernel _ZN7rocprim17ROCPRIM_400000_NS6detail17trampoline_kernelINS0_14default_configENS1_25partition_config_selectorILNS1_17partition_subalgoE8EmNS0_10empty_typeEbEEZZNS1_14partition_implILS5_8ELb0ES3_jPKmPS6_PKS6_NS0_5tupleIJPmS6_EEENSE_IJSB_SB_EEENS0_18inequality_wrapperIN6hipcub16HIPCUB_304000_NS8EqualityEEEPlJS6_EEE10hipError_tPvRmT3_T4_T5_T6_T7_T9_mT8_P12ihipStream_tbDpT10_ENKUlT_T0_E_clISt17integral_constantIbLb0EES17_EEDaS12_S13_EUlS12_E_NS1_11comp_targetILNS1_3genE0ELNS1_11target_archE4294967295ELNS1_3gpuE0ELNS1_3repE0EEENS1_30default_config_static_selectorELNS0_4arch9wavefront6targetE1EEEvT1_
		.amdhsa_group_segment_fixed_size 0
		.amdhsa_private_segment_fixed_size 0
		.amdhsa_kernarg_size 112
		.amdhsa_user_sgpr_count 2
		.amdhsa_user_sgpr_dispatch_ptr 0
		.amdhsa_user_sgpr_queue_ptr 0
		.amdhsa_user_sgpr_kernarg_segment_ptr 1
		.amdhsa_user_sgpr_dispatch_id 0
		.amdhsa_user_sgpr_kernarg_preload_length 0
		.amdhsa_user_sgpr_kernarg_preload_offset 0
		.amdhsa_user_sgpr_private_segment_size 0
		.amdhsa_uses_dynamic_stack 0
		.amdhsa_enable_private_segment 0
		.amdhsa_system_sgpr_workgroup_id_x 1
		.amdhsa_system_sgpr_workgroup_id_y 0
		.amdhsa_system_sgpr_workgroup_id_z 0
		.amdhsa_system_sgpr_workgroup_info 0
		.amdhsa_system_vgpr_workitem_id 0
		.amdhsa_next_free_vgpr 1
		.amdhsa_next_free_sgpr 0
		.amdhsa_accum_offset 4
		.amdhsa_reserve_vcc 0
		.amdhsa_float_round_mode_32 0
		.amdhsa_float_round_mode_16_64 0
		.amdhsa_float_denorm_mode_32 3
		.amdhsa_float_denorm_mode_16_64 3
		.amdhsa_dx10_clamp 1
		.amdhsa_ieee_mode 1
		.amdhsa_fp16_overflow 0
		.amdhsa_tg_split 0
		.amdhsa_exception_fp_ieee_invalid_op 0
		.amdhsa_exception_fp_denorm_src 0
		.amdhsa_exception_fp_ieee_div_zero 0
		.amdhsa_exception_fp_ieee_overflow 0
		.amdhsa_exception_fp_ieee_underflow 0
		.amdhsa_exception_fp_ieee_inexact 0
		.amdhsa_exception_int_div_zero 0
	.end_amdhsa_kernel
	.section	.text._ZN7rocprim17ROCPRIM_400000_NS6detail17trampoline_kernelINS0_14default_configENS1_25partition_config_selectorILNS1_17partition_subalgoE8EmNS0_10empty_typeEbEEZZNS1_14partition_implILS5_8ELb0ES3_jPKmPS6_PKS6_NS0_5tupleIJPmS6_EEENSE_IJSB_SB_EEENS0_18inequality_wrapperIN6hipcub16HIPCUB_304000_NS8EqualityEEEPlJS6_EEE10hipError_tPvRmT3_T4_T5_T6_T7_T9_mT8_P12ihipStream_tbDpT10_ENKUlT_T0_E_clISt17integral_constantIbLb0EES17_EEDaS12_S13_EUlS12_E_NS1_11comp_targetILNS1_3genE0ELNS1_11target_archE4294967295ELNS1_3gpuE0ELNS1_3repE0EEENS1_30default_config_static_selectorELNS0_4arch9wavefront6targetE1EEEvT1_,"axG",@progbits,_ZN7rocprim17ROCPRIM_400000_NS6detail17trampoline_kernelINS0_14default_configENS1_25partition_config_selectorILNS1_17partition_subalgoE8EmNS0_10empty_typeEbEEZZNS1_14partition_implILS5_8ELb0ES3_jPKmPS6_PKS6_NS0_5tupleIJPmS6_EEENSE_IJSB_SB_EEENS0_18inequality_wrapperIN6hipcub16HIPCUB_304000_NS8EqualityEEEPlJS6_EEE10hipError_tPvRmT3_T4_T5_T6_T7_T9_mT8_P12ihipStream_tbDpT10_ENKUlT_T0_E_clISt17integral_constantIbLb0EES17_EEDaS12_S13_EUlS12_E_NS1_11comp_targetILNS1_3genE0ELNS1_11target_archE4294967295ELNS1_3gpuE0ELNS1_3repE0EEENS1_30default_config_static_selectorELNS0_4arch9wavefront6targetE1EEEvT1_,comdat
.Lfunc_end686:
	.size	_ZN7rocprim17ROCPRIM_400000_NS6detail17trampoline_kernelINS0_14default_configENS1_25partition_config_selectorILNS1_17partition_subalgoE8EmNS0_10empty_typeEbEEZZNS1_14partition_implILS5_8ELb0ES3_jPKmPS6_PKS6_NS0_5tupleIJPmS6_EEENSE_IJSB_SB_EEENS0_18inequality_wrapperIN6hipcub16HIPCUB_304000_NS8EqualityEEEPlJS6_EEE10hipError_tPvRmT3_T4_T5_T6_T7_T9_mT8_P12ihipStream_tbDpT10_ENKUlT_T0_E_clISt17integral_constantIbLb0EES17_EEDaS12_S13_EUlS12_E_NS1_11comp_targetILNS1_3genE0ELNS1_11target_archE4294967295ELNS1_3gpuE0ELNS1_3repE0EEENS1_30default_config_static_selectorELNS0_4arch9wavefront6targetE1EEEvT1_, .Lfunc_end686-_ZN7rocprim17ROCPRIM_400000_NS6detail17trampoline_kernelINS0_14default_configENS1_25partition_config_selectorILNS1_17partition_subalgoE8EmNS0_10empty_typeEbEEZZNS1_14partition_implILS5_8ELb0ES3_jPKmPS6_PKS6_NS0_5tupleIJPmS6_EEENSE_IJSB_SB_EEENS0_18inequality_wrapperIN6hipcub16HIPCUB_304000_NS8EqualityEEEPlJS6_EEE10hipError_tPvRmT3_T4_T5_T6_T7_T9_mT8_P12ihipStream_tbDpT10_ENKUlT_T0_E_clISt17integral_constantIbLb0EES17_EEDaS12_S13_EUlS12_E_NS1_11comp_targetILNS1_3genE0ELNS1_11target_archE4294967295ELNS1_3gpuE0ELNS1_3repE0EEENS1_30default_config_static_selectorELNS0_4arch9wavefront6targetE1EEEvT1_
                                        ; -- End function
	.section	.AMDGPU.csdata,"",@progbits
; Kernel info:
; codeLenInByte = 0
; NumSgprs: 6
; NumVgprs: 0
; NumAgprs: 0
; TotalNumVgprs: 0
; ScratchSize: 0
; MemoryBound: 0
; FloatMode: 240
; IeeeMode: 1
; LDSByteSize: 0 bytes/workgroup (compile time only)
; SGPRBlocks: 0
; VGPRBlocks: 0
; NumSGPRsForWavesPerEU: 6
; NumVGPRsForWavesPerEU: 1
; AccumOffset: 4
; Occupancy: 8
; WaveLimiterHint : 0
; COMPUTE_PGM_RSRC2:SCRATCH_EN: 0
; COMPUTE_PGM_RSRC2:USER_SGPR: 2
; COMPUTE_PGM_RSRC2:TRAP_HANDLER: 0
; COMPUTE_PGM_RSRC2:TGID_X_EN: 1
; COMPUTE_PGM_RSRC2:TGID_Y_EN: 0
; COMPUTE_PGM_RSRC2:TGID_Z_EN: 0
; COMPUTE_PGM_RSRC2:TIDIG_COMP_CNT: 0
; COMPUTE_PGM_RSRC3_GFX90A:ACCUM_OFFSET: 0
; COMPUTE_PGM_RSRC3_GFX90A:TG_SPLIT: 0
	.section	.text._ZN7rocprim17ROCPRIM_400000_NS6detail17trampoline_kernelINS0_14default_configENS1_25partition_config_selectorILNS1_17partition_subalgoE8EmNS0_10empty_typeEbEEZZNS1_14partition_implILS5_8ELb0ES3_jPKmPS6_PKS6_NS0_5tupleIJPmS6_EEENSE_IJSB_SB_EEENS0_18inequality_wrapperIN6hipcub16HIPCUB_304000_NS8EqualityEEEPlJS6_EEE10hipError_tPvRmT3_T4_T5_T6_T7_T9_mT8_P12ihipStream_tbDpT10_ENKUlT_T0_E_clISt17integral_constantIbLb0EES17_EEDaS12_S13_EUlS12_E_NS1_11comp_targetILNS1_3genE5ELNS1_11target_archE942ELNS1_3gpuE9ELNS1_3repE0EEENS1_30default_config_static_selectorELNS0_4arch9wavefront6targetE1EEEvT1_,"axG",@progbits,_ZN7rocprim17ROCPRIM_400000_NS6detail17trampoline_kernelINS0_14default_configENS1_25partition_config_selectorILNS1_17partition_subalgoE8EmNS0_10empty_typeEbEEZZNS1_14partition_implILS5_8ELb0ES3_jPKmPS6_PKS6_NS0_5tupleIJPmS6_EEENSE_IJSB_SB_EEENS0_18inequality_wrapperIN6hipcub16HIPCUB_304000_NS8EqualityEEEPlJS6_EEE10hipError_tPvRmT3_T4_T5_T6_T7_T9_mT8_P12ihipStream_tbDpT10_ENKUlT_T0_E_clISt17integral_constantIbLb0EES17_EEDaS12_S13_EUlS12_E_NS1_11comp_targetILNS1_3genE5ELNS1_11target_archE942ELNS1_3gpuE9ELNS1_3repE0EEENS1_30default_config_static_selectorELNS0_4arch9wavefront6targetE1EEEvT1_,comdat
	.protected	_ZN7rocprim17ROCPRIM_400000_NS6detail17trampoline_kernelINS0_14default_configENS1_25partition_config_selectorILNS1_17partition_subalgoE8EmNS0_10empty_typeEbEEZZNS1_14partition_implILS5_8ELb0ES3_jPKmPS6_PKS6_NS0_5tupleIJPmS6_EEENSE_IJSB_SB_EEENS0_18inequality_wrapperIN6hipcub16HIPCUB_304000_NS8EqualityEEEPlJS6_EEE10hipError_tPvRmT3_T4_T5_T6_T7_T9_mT8_P12ihipStream_tbDpT10_ENKUlT_T0_E_clISt17integral_constantIbLb0EES17_EEDaS12_S13_EUlS12_E_NS1_11comp_targetILNS1_3genE5ELNS1_11target_archE942ELNS1_3gpuE9ELNS1_3repE0EEENS1_30default_config_static_selectorELNS0_4arch9wavefront6targetE1EEEvT1_ ; -- Begin function _ZN7rocprim17ROCPRIM_400000_NS6detail17trampoline_kernelINS0_14default_configENS1_25partition_config_selectorILNS1_17partition_subalgoE8EmNS0_10empty_typeEbEEZZNS1_14partition_implILS5_8ELb0ES3_jPKmPS6_PKS6_NS0_5tupleIJPmS6_EEENSE_IJSB_SB_EEENS0_18inequality_wrapperIN6hipcub16HIPCUB_304000_NS8EqualityEEEPlJS6_EEE10hipError_tPvRmT3_T4_T5_T6_T7_T9_mT8_P12ihipStream_tbDpT10_ENKUlT_T0_E_clISt17integral_constantIbLb0EES17_EEDaS12_S13_EUlS12_E_NS1_11comp_targetILNS1_3genE5ELNS1_11target_archE942ELNS1_3gpuE9ELNS1_3repE0EEENS1_30default_config_static_selectorELNS0_4arch9wavefront6targetE1EEEvT1_
	.globl	_ZN7rocprim17ROCPRIM_400000_NS6detail17trampoline_kernelINS0_14default_configENS1_25partition_config_selectorILNS1_17partition_subalgoE8EmNS0_10empty_typeEbEEZZNS1_14partition_implILS5_8ELb0ES3_jPKmPS6_PKS6_NS0_5tupleIJPmS6_EEENSE_IJSB_SB_EEENS0_18inequality_wrapperIN6hipcub16HIPCUB_304000_NS8EqualityEEEPlJS6_EEE10hipError_tPvRmT3_T4_T5_T6_T7_T9_mT8_P12ihipStream_tbDpT10_ENKUlT_T0_E_clISt17integral_constantIbLb0EES17_EEDaS12_S13_EUlS12_E_NS1_11comp_targetILNS1_3genE5ELNS1_11target_archE942ELNS1_3gpuE9ELNS1_3repE0EEENS1_30default_config_static_selectorELNS0_4arch9wavefront6targetE1EEEvT1_
	.p2align	8
	.type	_ZN7rocprim17ROCPRIM_400000_NS6detail17trampoline_kernelINS0_14default_configENS1_25partition_config_selectorILNS1_17partition_subalgoE8EmNS0_10empty_typeEbEEZZNS1_14partition_implILS5_8ELb0ES3_jPKmPS6_PKS6_NS0_5tupleIJPmS6_EEENSE_IJSB_SB_EEENS0_18inequality_wrapperIN6hipcub16HIPCUB_304000_NS8EqualityEEEPlJS6_EEE10hipError_tPvRmT3_T4_T5_T6_T7_T9_mT8_P12ihipStream_tbDpT10_ENKUlT_T0_E_clISt17integral_constantIbLb0EES17_EEDaS12_S13_EUlS12_E_NS1_11comp_targetILNS1_3genE5ELNS1_11target_archE942ELNS1_3gpuE9ELNS1_3repE0EEENS1_30default_config_static_selectorELNS0_4arch9wavefront6targetE1EEEvT1_,@function
_ZN7rocprim17ROCPRIM_400000_NS6detail17trampoline_kernelINS0_14default_configENS1_25partition_config_selectorILNS1_17partition_subalgoE8EmNS0_10empty_typeEbEEZZNS1_14partition_implILS5_8ELb0ES3_jPKmPS6_PKS6_NS0_5tupleIJPmS6_EEENSE_IJSB_SB_EEENS0_18inequality_wrapperIN6hipcub16HIPCUB_304000_NS8EqualityEEEPlJS6_EEE10hipError_tPvRmT3_T4_T5_T6_T7_T9_mT8_P12ihipStream_tbDpT10_ENKUlT_T0_E_clISt17integral_constantIbLb0EES17_EEDaS12_S13_EUlS12_E_NS1_11comp_targetILNS1_3genE5ELNS1_11target_archE942ELNS1_3gpuE9ELNS1_3repE0EEENS1_30default_config_static_selectorELNS0_4arch9wavefront6targetE1EEEvT1_: ; @_ZN7rocprim17ROCPRIM_400000_NS6detail17trampoline_kernelINS0_14default_configENS1_25partition_config_selectorILNS1_17partition_subalgoE8EmNS0_10empty_typeEbEEZZNS1_14partition_implILS5_8ELb0ES3_jPKmPS6_PKS6_NS0_5tupleIJPmS6_EEENSE_IJSB_SB_EEENS0_18inequality_wrapperIN6hipcub16HIPCUB_304000_NS8EqualityEEEPlJS6_EEE10hipError_tPvRmT3_T4_T5_T6_T7_T9_mT8_P12ihipStream_tbDpT10_ENKUlT_T0_E_clISt17integral_constantIbLb0EES17_EEDaS12_S13_EUlS12_E_NS1_11comp_targetILNS1_3genE5ELNS1_11target_archE942ELNS1_3gpuE9ELNS1_3repE0EEENS1_30default_config_static_selectorELNS0_4arch9wavefront6targetE1EEEvT1_
; %bb.0:
	s_load_dwordx2 s[8:9], s[0:1], 0x50
	s_load_dwordx4 s[4:7], s[0:1], 0x8
	s_load_dwordx4 s[20:23], s[0:1], 0x40
	s_load_dword s3, s[0:1], 0x68
	s_waitcnt lgkmcnt(0)
	v_mov_b32_e32 v3, s9
	s_lshl_b64 s[10:11], s[6:7], 3
	s_add_u32 s10, s4, s10
	s_mul_i32 s9, s3, 0xe00
	s_addc_u32 s11, s5, s11
	s_add_i32 s12, s3, -1
	s_add_i32 s3, s9, s6
	s_sub_i32 s3, s8, s3
	v_mov_b32_e32 v2, s8
	s_add_u32 s8, s6, s9
	s_addc_u32 s9, s7, 0
	s_cmp_eq_u32 s2, s12
	s_load_dwordx2 s[22:23], s[22:23], 0x0
	v_cmp_ge_u64_e32 vcc, s[8:9], v[2:3]
	s_cselect_b64 s[24:25], -1, 0
	s_mul_i32 s4, s2, 0xe00
	s_mov_b32 s5, 0
	s_and_b64 s[16:17], s[24:25], vcc
	s_xor_b64 s[26:27], s[16:17], -1
	s_lshl_b64 s[4:5], s[4:5], 3
	s_add_u32 s4, s10, s4
	s_mov_b64 s[8:9], -1
	s_addc_u32 s5, s11, s5
	s_and_b64 vcc, exec, s[26:27]
	s_cbranch_vccz .LBB687_2
; %bb.1:
	v_lshlrev_b32_e32 v2, 3, v0
	v_mov_b32_e32 v3, 0
	v_lshl_add_u64 v[4:5], s[4:5], 0, v[2:3]
	v_add_co_u32_e32 v8, vcc, 0x1000, v4
	global_load_dwordx2 v[6:7], v2, s[4:5]
	s_nop 0
	v_addc_co_u32_e32 v9, vcc, 0, v5, vcc
	v_add_co_u32_e32 v10, vcc, 0x2000, v4
	s_mov_b64 s[8:9], 0
	s_nop 0
	v_addc_co_u32_e32 v11, vcc, 0, v5, vcc
	v_add_co_u32_e32 v12, vcc, 0x3000, v4
	s_nop 1
	v_addc_co_u32_e32 v13, vcc, 0, v5, vcc
	v_add_co_u32_e32 v14, vcc, 0x4000, v4
	s_nop 1
	v_addc_co_u32_e32 v15, vcc, 0, v5, vcc
	global_load_dwordx2 v[16:17], v[8:9], off
	global_load_dwordx2 v[18:19], v[10:11], off
	;; [unrolled: 1-line block ×4, first 2 shown]
	v_add_co_u32_e32 v8, vcc, 0x5000, v4
	s_nop 1
	v_addc_co_u32_e32 v9, vcc, 0, v5, vcc
	v_add_co_u32_e32 v4, vcc, 0x6000, v4
	global_load_dwordx2 v[8:9], v[8:9], off
	s_nop 0
	v_addc_co_u32_e32 v5, vcc, 0, v5, vcc
	global_load_dwordx2 v[4:5], v[4:5], off
	s_waitcnt vmcnt(5)
	ds_write2st64_b64 v2, v[6:7], v[16:17] offset1:8
	s_waitcnt vmcnt(3)
	ds_write2st64_b64 v2, v[18:19], v[20:21] offset0:16 offset1:24
	s_waitcnt vmcnt(1)
	ds_write2st64_b64 v2, v[22:23], v[8:9] offset0:32 offset1:40
	s_waitcnt vmcnt(0)
	ds_write_b64 v2, v[4:5] offset:24576
	s_waitcnt lgkmcnt(0)
	s_barrier
.LBB687_2:
	s_andn2_b64 vcc, exec, s[8:9]
	s_addk_i32 s3, 0xe00
	s_cbranch_vccnz .LBB687_18
; %bb.3:
	v_cmp_gt_u32_e32 vcc, s3, v0
                                        ; implicit-def: $vgpr2_vgpr3_vgpr4_vgpr5_vgpr6_vgpr7_vgpr8_vgpr9_vgpr10_vgpr11_vgpr12_vgpr13_vgpr14_vgpr15_vgpr16_vgpr17
	s_and_saveexec_b64 s[8:9], vcc
	s_cbranch_execz .LBB687_5
; %bb.4:
	v_lshlrev_b32_e32 v1, 3, v0
	global_load_dwordx2 v[2:3], v1, s[4:5]
.LBB687_5:
	s_or_b64 exec, exec, s[8:9]
	v_or_b32_e32 v1, 0x200, v0
	v_cmp_gt_u32_e32 vcc, s3, v1
	s_and_saveexec_b64 s[8:9], vcc
	s_cbranch_execz .LBB687_7
; %bb.6:
	v_lshlrev_b32_e32 v1, 3, v1
	global_load_dwordx2 v[4:5], v1, s[4:5]
.LBB687_7:
	s_or_b64 exec, exec, s[8:9]
	v_or_b32_e32 v1, 0x400, v0
	v_cmp_gt_u32_e32 vcc, s3, v1
	;; [unrolled: 9-line block ×6, first 2 shown]
	s_and_saveexec_b64 s[8:9], vcc
	s_cbranch_execz .LBB687_17
; %bb.16:
	v_lshlrev_b32_e32 v1, 3, v1
	global_load_dwordx2 v[14:15], v1, s[4:5]
.LBB687_17:
	s_or_b64 exec, exec, s[8:9]
	v_lshlrev_b32_e32 v1, 3, v0
	s_waitcnt vmcnt(0)
	ds_write2st64_b64 v1, v[2:3], v[4:5] offset1:8
	ds_write2st64_b64 v1, v[6:7], v[8:9] offset0:16 offset1:24
	ds_write2st64_b64 v1, v[10:11], v[12:13] offset0:32 offset1:40
	ds_write_b64 v1, v[14:15] offset:24576
	s_waitcnt lgkmcnt(0)
	s_barrier
.LBB687_18:
	v_mul_u32_u24_e32 v18, 7, v0
	v_lshlrev_b32_e32 v1, 3, v18
	s_waitcnt lgkmcnt(0)
	ds_read2_b64 v[10:13], v1 offset1:1
	ds_read2_b64 v[6:9], v1 offset0:2 offset1:3
	ds_read2_b64 v[2:5], v1 offset0:4 offset1:5
	ds_read_b64 v[14:15], v1 offset:48
	s_cmp_lg_u32 s2, 0
	s_cselect_b64 s[30:31], -1, 0
	s_cmp_lg_u64 s[6:7], 0
	s_cselect_b64 s[6:7], -1, 0
	s_or_b64 s[6:7], s[30:31], s[6:7]
	v_mad_u32_u24 v20, v0, 7, 1
	v_mad_u32_u24 v19, v0, 7, 2
	v_mad_u32_u24 v23, v0, 7, 3
	v_mad_u32_u24 v21, v0, 7, 4
	v_mad_u32_u24 v24, v0, 7, 5
	v_mad_u32_u24 v22, v0, 7, 6
	s_mov_b64 s[18:19], 0
	s_and_b64 vcc, exec, s[6:7]
	s_waitcnt lgkmcnt(0)
	s_barrier
	s_cbranch_vccz .LBB687_23
; %bb.19:
	s_add_u32 s4, s4, -8
	s_addc_u32 s5, s5, -1
	s_load_dwordx2 s[6:7], s[4:5], 0x0
	v_lshlrev_b32_e32 v29, 3, v0
	s_and_b64 vcc, exec, s[26:27]
	ds_write_b64 v29, v[14:15]
	s_cbranch_vccz .LBB687_25
; %bb.20:
	v_cmp_ne_u32_e32 vcc, 0, v0
	s_waitcnt lgkmcnt(0)
	v_mov_b64_e32 v[16:17], s[6:7]
	s_barrier
	s_and_saveexec_b64 s[4:5], vcc
	s_cbranch_execz .LBB687_22
; %bb.21:
	v_add_u32_e32 v16, -8, v29
	ds_read_b64 v[16:17], v16
.LBB687_22:
	s_or_b64 exec, exec, s[4:5]
	v_cmp_ne_u64_e32 vcc, v[4:5], v[14:15]
	s_waitcnt lgkmcnt(0)
	v_cmp_ne_u64_e64 s[4:5], v[16:17], v[10:11]
	v_cndmask_b32_e64 v27, 0, 1, vcc
	v_cmp_ne_u64_e32 vcc, v[2:3], v[4:5]
	s_nop 1
	v_cndmask_b32_e64 v25, 0, 1, vcc
	v_cmp_ne_u64_e32 vcc, v[8:9], v[2:3]
	s_nop 1
	;; [unrolled: 3-line block ×3, first 2 shown]
	v_cndmask_b32_e64 v28, 0, 1, vcc
	v_cmp_ne_u64_e32 vcc, v[12:13], v[6:7]
	v_lshlrev_b16_e32 v16, 8, v28
	s_nop 0
	v_cndmask_b32_e64 v30, 0, 1, vcc
	v_cmp_ne_u64_e32 vcc, v[10:11], v[12:13]
	v_or_b32_sdwa v16, v30, v16 dst_sel:WORD_1 dst_unused:UNUSED_PAD src0_sel:DWORD src1_sel:DWORD
	s_nop 0
	v_cndmask_b32_e64 v31, 0, 1, vcc
	v_lshlrev_b16_e32 v17, 8, v31
	v_or_b32_e32 v28, v17, v16
	s_branch .LBB687_29
.LBB687_23:
                                        ; implicit-def: $sgpr4_sgpr5
                                        ; implicit-def: $vgpr27
                                        ; implicit-def: $vgpr25
                                        ; implicit-def: $vgpr26
                                        ; implicit-def: $vgpr28
	s_branch .LBB687_30
.LBB687_24:
                                        ; implicit-def: $vgpr16_vgpr17
	s_and_saveexec_b64 s[6:7], s[18:19]
	s_cbranch_execnz .LBB687_38
	s_branch .LBB687_39
.LBB687_25:
                                        ; implicit-def: $sgpr4_sgpr5
                                        ; implicit-def: $vgpr27
                                        ; implicit-def: $vgpr25
                                        ; implicit-def: $vgpr26
                                        ; implicit-def: $vgpr28
	s_cbranch_execz .LBB687_29
; %bb.26:
	v_cmp_ne_u32_e32 vcc, 0, v0
	s_waitcnt lgkmcnt(0)
	v_mov_b64_e32 v[16:17], s[6:7]
	s_barrier
	s_and_saveexec_b64 s[4:5], vcc
	s_cbranch_execz .LBB687_28
; %bb.27:
	v_add_u32_e32 v16, -8, v29
	ds_read_b64 v[16:17], v16
.LBB687_28:
	s_or_b64 exec, exec, s[4:5]
	v_cmp_gt_u32_e32 vcc, s3, v22
	v_cmp_ne_u64_e64 s[4:5], v[4:5], v[14:15]
	s_and_b64 s[4:5], vcc, s[4:5]
	v_cmp_gt_u32_e32 vcc, s3, v24
	v_cndmask_b32_e64 v27, 0, 1, s[4:5]
	v_cmp_ne_u64_e64 s[4:5], v[2:3], v[4:5]
	s_and_b64 s[4:5], vcc, s[4:5]
	v_cmp_gt_u32_e32 vcc, s3, v21
	v_cndmask_b32_e64 v25, 0, 1, s[4:5]
	v_cmp_ne_u64_e64 s[4:5], v[8:9], v[2:3]
	s_and_b64 s[4:5], vcc, s[4:5]
	v_cmp_gt_u32_e32 vcc, s3, v23
	v_cndmask_b32_e64 v26, 0, 1, s[4:5]
	v_cmp_ne_u64_e64 s[4:5], v[6:7], v[8:9]
	s_and_b64 s[4:5], vcc, s[4:5]
	v_cmp_gt_u32_e32 vcc, s3, v19
	v_cndmask_b32_e64 v28, 0, 1, s[4:5]
	v_cmp_ne_u64_e64 s[4:5], v[12:13], v[6:7]
	s_and_b64 s[4:5], vcc, s[4:5]
	v_cmp_gt_u32_e32 vcc, s3, v20
	v_cndmask_b32_e64 v29, 0, 1, s[4:5]
	v_cmp_ne_u64_e64 s[4:5], v[10:11], v[12:13]
	s_and_b64 s[4:5], vcc, s[4:5]
	v_cmp_gt_u32_e32 vcc, s3, v18
	v_cndmask_b32_e64 v30, 0, 1, s[4:5]
	s_waitcnt lgkmcnt(0)
	v_cmp_ne_u64_e64 s[4:5], v[16:17], v[10:11]
	v_lshlrev_b16_e32 v16, 8, v28
	v_or_b32_sdwa v16, v29, v16 dst_sel:WORD_1 dst_unused:UNUSED_PAD src0_sel:DWORD src1_sel:DWORD
	v_lshlrev_b16_e32 v17, 8, v30
	s_and_b64 s[4:5], vcc, s[4:5]
	v_or_b32_e32 v28, v17, v16
.LBB687_29:
	s_waitcnt lgkmcnt(0)
	s_mov_b64 s[18:19], -1
	s_cbranch_execnz .LBB687_24
.LBB687_30:
	s_movk_i32 s4, 0xffd0
	v_mad_i32_i24 v29, v0, s4, v1
	s_and_b64 vcc, exec, s[26:27]
	v_cmp_ne_u64_e64 s[14:15], v[4:5], v[14:15]
	v_cmp_ne_u64_e64 s[4:5], v[2:3], v[4:5]
	;; [unrolled: 1-line block ×6, first 2 shown]
	ds_write_b64 v29, v[14:15]
	s_cbranch_vccz .LBB687_34
; %bb.31:
	v_cndmask_b32_e64 v25, 0, 1, s[4:5]
	v_cndmask_b32_e64 v16, 0, 1, s[8:9]
	;; [unrolled: 1-line block ×5, first 2 shown]
	v_lshlrev_b16_e32 v17, 8, v25
	v_lshlrev_b16_e32 v16, 8, v16
	v_or_b32_e32 v17, v26, v17
	v_or_b32_sdwa v16, v28, v16 dst_sel:WORD_1 dst_unused:UNUSED_PAD src0_sel:DWORD src1_sel:DWORD
	v_lshlrev_b16_e32 v28, 8, v30
	v_and_b32_e32 v17, 0xffff, v17
	v_cndmask_b32_e64 v27, 0, 1, s[14:15]
	v_or_b32_e32 v28, 1, v28
	v_lshl_or_b32 v17, v27, 16, v17
	v_or_b32_sdwa v16, v28, v16 dst_sel:DWORD dst_unused:UNUSED_PAD src0_sel:WORD_0 src1_sel:DWORD
	v_cmp_ne_u32_e32 vcc, 0, v0
	s_waitcnt lgkmcnt(0)
	s_barrier
	s_waitcnt lgkmcnt(0)
                                        ; implicit-def: $sgpr4_sgpr5
                                        ; implicit-def: $vgpr28
	s_and_saveexec_b64 s[6:7], vcc
	s_xor_b64 s[6:7], exec, s[6:7]
	s_cbranch_execz .LBB687_33
; %bb.32:
	v_add_u32_e32 v17, -8, v29
	ds_read_b64 v[30:31], v17
	s_mov_b32 s4, 0x3020104
	v_perm_b32 v28, v16, v16, s4
	s_or_b64 s[18:19], s[18:19], exec
                                        ; implicit-def: $vgpr16_vgpr17
	s_waitcnt lgkmcnt(0)
	v_cmp_ne_u64_e32 vcc, v[30:31], v[10:11]
	s_and_b64 s[4:5], vcc, exec
.LBB687_33:
	s_or_b64 exec, exec, s[6:7]
	s_branch .LBB687_37
.LBB687_34:
                                        ; implicit-def: $sgpr4_sgpr5
                                        ; implicit-def: $vgpr27
                                        ; implicit-def: $vgpr25
                                        ; implicit-def: $vgpr26
                                        ; implicit-def: $vgpr28
                                        ; implicit-def: $vgpr16_vgpr17
	s_cbranch_execz .LBB687_37
; %bb.35:
	v_cmp_gt_u32_e64 s[6:7], s3, v24
	v_cmp_ne_u64_e64 s[8:9], v[2:3], v[4:5]
	s_and_b64 s[6:7], s[6:7], s[8:9]
	v_cndmask_b32_e64 v25, 0, 1, s[6:7]
	v_cmp_gt_u32_e64 s[6:7], s3, v21
	v_cmp_ne_u64_e64 s[8:9], v[8:9], v[2:3]
	s_and_b64 s[6:7], s[6:7], s[8:9]
	v_cndmask_b32_e64 v26, 0, 1, s[6:7]
	;; [unrolled: 4-line block ×4, first 2 shown]
	v_cmp_gt_u32_e64 s[6:7], s3, v20
	v_cmp_ne_u64_e64 s[8:9], v[10:11], v[12:13]
	s_and_b64 s[6:7], s[6:7], s[8:9]
	v_cmp_gt_u32_e32 vcc, s3, v22
	v_cmp_ne_u64_e64 s[4:5], v[4:5], v[14:15]
	v_cndmask_b32_e64 v30, 0, 1, s[6:7]
	v_lshlrev_b16_e32 v17, 8, v25
	v_lshlrev_b16_e32 v16, 8, v16
	v_or_b32_e32 v17, v26, v17
	s_and_b64 s[4:5], vcc, s[4:5]
	v_or_b32_sdwa v16, v28, v16 dst_sel:WORD_1 dst_unused:UNUSED_PAD src0_sel:DWORD src1_sel:DWORD
	v_lshlrev_b16_e32 v28, 8, v30
	v_and_b32_e32 v17, 0xffff, v17
	v_cndmask_b32_e64 v27, 0, 1, s[4:5]
	v_or_b32_e32 v28, 1, v28
	v_lshl_or_b32 v17, v27, 16, v17
	v_or_b32_sdwa v16, v28, v16 dst_sel:DWORD dst_unused:UNUSED_PAD src0_sel:WORD_0 src1_sel:DWORD
	v_cmp_ne_u32_e32 vcc, 0, v0
	s_waitcnt lgkmcnt(0)
	s_barrier
	s_waitcnt lgkmcnt(0)
                                        ; implicit-def: $sgpr4_sgpr5
                                        ; implicit-def: $vgpr28
	s_and_saveexec_b64 s[6:7], vcc
	s_cbranch_execz .LBB687_123
; %bb.36:
	v_add_u32_e32 v17, -8, v29
	ds_read_b64 v[30:31], v17
	s_mov_b32 s4, 0x3020104
	v_cmp_gt_u32_e32 vcc, s3, v18
	v_perm_b32 v28, v16, v16, s4
	s_or_b64 s[18:19], s[18:19], exec
	s_waitcnt lgkmcnt(0)
	v_cmp_ne_u64_e64 s[4:5], v[30:31], v[10:11]
	s_and_b64 s[4:5], vcc, s[4:5]
	s_and_b64 s[4:5], s[4:5], exec
                                        ; implicit-def: $vgpr16_vgpr17
	s_or_b64 exec, exec, s[6:7]
.LBB687_37:
	s_and_saveexec_b64 s[6:7], s[18:19]
	s_cbranch_execz .LBB687_39
.LBB687_38:
	v_lshlrev_b16_e32 v17, 8, v25
	v_and_b32_e32 v25, 0xff, v27
	v_or_b32_sdwa v17, v26, v17 dst_sel:DWORD dst_unused:UNUSED_PAD src0_sel:BYTE_0 src1_sel:DWORD
	v_lshlrev_b32_e32 v25, 16, v25
	v_cndmask_b32_e64 v16, 0, 1, s[4:5]
	s_movk_i32 s4, 0xff
	v_or_b32_sdwa v17, v17, v25 dst_sel:DWORD dst_unused:UNUSED_PAD src0_sel:WORD_0 src1_sel:DWORD
	v_lshrrev_b32_e32 v25, 24, v28
	v_lshlrev_b16_e32 v25, 8, v25
	v_and_b32_sdwa v26, v28, s4 dst_sel:DWORD dst_unused:UNUSED_PAD src0_sel:WORD_1 src1_sel:DWORD
	v_or_b32_sdwa v25, v26, v25 dst_sel:WORD_1 dst_unused:UNUSED_PAD src0_sel:DWORD src1_sel:DWORD
	v_mov_b32_e32 v26, 8
	v_lshrrev_b32_sdwa v26, v26, v28 dst_sel:BYTE_1 dst_unused:UNUSED_PAD src0_sel:DWORD src1_sel:DWORD
	s_nop 0
	v_or_b32_e32 v16, v16, v26
	v_or_b32_sdwa v16, v16, v25 dst_sel:DWORD dst_unused:UNUSED_PAD src0_sel:WORD_0 src1_sel:DWORD
.LBB687_39:
	s_or_b64 exec, exec, s[6:7]
	s_load_dwordx2 s[28:29], s[0:1], 0x60
	s_andn2_b64 vcc, exec, s[16:17]
	s_cbranch_vccnz .LBB687_41
; %bb.40:
	v_and_b32_e32 v25, 0xffff0000, v16
	v_cmp_gt_u32_e32 vcc, s3, v18
	s_mov_b32 s4, 0x40c0100
	s_nop 0
	v_cndmask_b32_e32 v18, v25, v16, vcc
	v_and_b32_e32 v18, 0xffff00ff, v18
	v_cmp_gt_u32_e32 vcc, s3, v20
	s_nop 1
	v_cndmask_b32_e32 v18, v18, v16, vcc
	v_lshrrev_b32_e32 v20, 24, v18
	v_perm_b32 v18, v20, v18, s4
	v_cmp_gt_u32_e32 vcc, s3, v19
	v_and_b32_e32 v19, 0xffffff00, v17
	s_nop 0
	v_cndmask_b32_e32 v18, v18, v16, vcc
	v_and_b32_e32 v18, 0xffffff, v18
	v_cmp_gt_u32_e32 vcc, s3, v23
	s_nop 1
	v_cndmask_b32_e32 v18, v18, v16, vcc
	v_cmp_gt_u32_e32 vcc, s3, v21
	s_nop 1
	v_cndmask_b32_e32 v19, v19, v17, vcc
	v_and_b32_e32 v19, 0xffff00ff, v19
	v_cndmask_b32_e32 v18, v18, v16, vcc
	v_cmp_gt_u32_e32 vcc, s3, v24
	s_nop 1
	v_cndmask_b32_e32 v19, v19, v17, vcc
	v_lshrrev_b32_e32 v20, 24, v19
	v_cndmask_b32_e32 v18, v18, v16, vcc
	v_perm_b32 v19, v20, v19, s4
	v_cmp_gt_u32_e32 vcc, s3, v22
	s_mov_b32 s3, 0x3020104
	s_nop 0
	v_cndmask_b32_e32 v16, v18, v16, vcc
	v_cndmask_b32_e32 v17, v19, v17, vcc
	v_mov_b32_e32 v18, 8
	v_lshrrev_b32_sdwa v18, v18, v17 dst_sel:BYTE_1 dst_unused:UNUSED_PAD src0_sel:DWORD src1_sel:DWORD
	v_perm_b32 v16, v16, v16, s3
	v_or_b32_sdwa v18, v17, v18 dst_sel:DWORD dst_unused:UNUSED_PAD src0_sel:BYTE_0 src1_sel:DWORD
	v_and_b32_e32 v18, 0xffff, v18
	v_bfe_u32 v17, v17, 16, 8
	v_lshl_or_b32 v17, v17, 16, v18
.LBB687_41:
	v_and_b32_e32 v29, 0xff, v16
	v_bfe_u32 v31, v16, 8, 8
	v_bfe_u32 v33, v16, 16, 8
	v_alignbit_b32 v18, v17, v16, 24
	v_and_b32_e32 v35, 0xff, v18
	v_and_b32_e32 v36, 0xff, v17
	v_add3_u32 v19, v31, v29, v33
	v_bfe_u32 v37, v17, 8, 8
	v_bfe_u32 v18, v17, 16, 8
	v_add3_u32 v19, v19, v35, v36
	v_add3_u32 v40, v19, v37, v18
	v_mbcnt_lo_u32_b32 v18, -1, 0
	v_mbcnt_hi_u32_b32 v38, -1, v18
	v_and_b32_e32 v18, 15, v38
	v_cmp_eq_u32_e64 s[14:15], 0, v18
	v_cmp_lt_u32_e64 s[12:13], 1, v18
	v_cmp_lt_u32_e64 s[10:11], 3, v18
	;; [unrolled: 1-line block ×3, first 2 shown]
	v_and_b32_e32 v18, 16, v38
	v_cmp_eq_u32_e64 s[6:7], 0, v18
	v_or_b32_e32 v18, 63, v0
	v_cmp_lt_u32_e64 s[18:19], 31, v38
	v_lshrrev_b32_e32 v39, 6, v0
	v_cmp_eq_u32_e64 s[4:5], v18, v0
	s_and_b64 vcc, exec, s[30:31]
	s_waitcnt lgkmcnt(0)
	s_barrier
	s_cbranch_vccz .LBB687_68
; %bb.42:
	v_mov_b32_dpp v18, v40 row_shr:1 row_mask:0xf bank_mask:0xf
	v_cndmask_b32_e64 v18, v18, 0, s[14:15]
	v_add_u32_e32 v18, v18, v40
	s_nop 1
	v_mov_b32_dpp v19, v18 row_shr:2 row_mask:0xf bank_mask:0xf
	v_cndmask_b32_e64 v19, 0, v19, s[12:13]
	v_add_u32_e32 v18, v18, v19
	s_nop 1
	;; [unrolled: 4-line block ×4, first 2 shown]
	v_mov_b32_dpp v19, v18 row_bcast:15 row_mask:0xf bank_mask:0xf
	v_cndmask_b32_e64 v19, v19, 0, s[6:7]
	v_add_u32_e32 v18, v18, v19
	s_nop 1
	v_mov_b32_dpp v19, v18 row_bcast:31 row_mask:0xf bank_mask:0xf
	v_cndmask_b32_e64 v19, 0, v19, s[18:19]
	v_add_u32_e32 v18, v18, v19
	s_and_saveexec_b64 s[16:17], s[4:5]
	s_cbranch_execz .LBB687_44
; %bb.43:
	v_lshlrev_b32_e32 v19, 2, v39
	ds_write_b32 v19, v18
.LBB687_44:
	s_or_b64 exec, exec, s[16:17]
	v_cmp_gt_u32_e32 vcc, 8, v0
	s_waitcnt lgkmcnt(0)
	s_barrier
	s_and_saveexec_b64 s[16:17], vcc
	s_cbranch_execz .LBB687_46
; %bb.45:
	v_lshlrev_b32_e32 v19, 2, v0
	ds_read_b32 v20, v19
	v_and_b32_e32 v21, 7, v38
	v_cmp_ne_u32_e32 vcc, 0, v21
	s_waitcnt lgkmcnt(0)
	v_mov_b32_dpp v22, v20 row_shr:1 row_mask:0xf bank_mask:0xf
	v_cndmask_b32_e32 v22, 0, v22, vcc
	v_add_u32_e32 v20, v22, v20
	v_cmp_lt_u32_e32 vcc, 1, v21
	s_nop 0
	v_mov_b32_dpp v22, v20 row_shr:2 row_mask:0xf bank_mask:0xf
	v_cndmask_b32_e32 v22, 0, v22, vcc
	v_add_u32_e32 v20, v20, v22
	v_cmp_lt_u32_e32 vcc, 3, v21
	s_nop 0
	v_mov_b32_dpp v22, v20 row_shr:4 row_mask:0xf bank_mask:0xf
	v_cndmask_b32_e32 v21, 0, v22, vcc
	v_add_u32_e32 v20, v20, v21
	ds_write_b32 v19, v20
.LBB687_46:
	s_or_b64 exec, exec, s[16:17]
	v_cmp_gt_u32_e32 vcc, 64, v0
	v_cmp_lt_u32_e64 s[16:17], 63, v0
	s_waitcnt lgkmcnt(0)
	s_barrier
	s_waitcnt lgkmcnt(0)
                                        ; implicit-def: $vgpr28
	s_and_saveexec_b64 s[30:31], s[16:17]
	s_cbranch_execz .LBB687_48
; %bb.47:
	v_lshl_add_u32 v19, v39, 2, -4
	ds_read_b32 v28, v19
	s_waitcnt lgkmcnt(0)
	v_add_u32_e32 v18, v28, v18
.LBB687_48:
	s_or_b64 exec, exec, s[30:31]
	v_add_u32_e32 v19, -1, v38
	v_and_b32_e32 v20, 64, v38
	v_cmp_lt_i32_e64 s[16:17], v19, v20
	s_nop 1
	v_cndmask_b32_e64 v19, v19, v38, s[16:17]
	v_lshlrev_b32_e32 v19, 2, v19
	ds_bpermute_b32 v30, v19, v18
	v_cmp_eq_u32_e64 s[16:17], 0, v38
	s_and_saveexec_b64 s[30:31], vcc
	s_cbranch_execz .LBB687_67
; %bb.49:
	v_mov_b32_e32 v25, 0
	ds_read_b32 v18, v25 offset:28
	s_and_saveexec_b64 s[34:35], s[16:17]
	s_cbranch_execz .LBB687_51
; %bb.50:
	s_add_i32 s36, s2, 64
	s_mov_b32 s37, 0
	s_lshl_b64 s[36:37], s[36:37], 3
	s_add_u32 s36, s28, s36
	v_mov_b32_e32 v19, 1
	s_addc_u32 s37, s29, s37
	s_waitcnt lgkmcnt(0)
	global_store_dwordx2 v25, v[18:19], s[36:37] sc1
.LBB687_51:
	s_or_b64 exec, exec, s[34:35]
	v_xad_u32 v20, v38, -1, s2
	v_add_u32_e32 v24, 64, v20
	v_lshl_add_u64 v[26:27], v[24:25], 3, s[28:29]
	global_load_dwordx2 v[22:23], v[26:27], off sc1
	s_waitcnt vmcnt(0)
	v_cmp_eq_u16_sdwa s[36:37], v23, v25 src0_sel:BYTE_0 src1_sel:DWORD
	s_and_saveexec_b64 s[34:35], s[36:37]
	s_cbranch_execz .LBB687_55
; %bb.52:
	s_mov_b64 s[36:37], 0
	v_mov_b32_e32 v19, 0
.LBB687_53:                             ; =>This Inner Loop Header: Depth=1
	global_load_dwordx2 v[22:23], v[26:27], off sc1
	s_waitcnt vmcnt(0)
	v_cmp_ne_u16_sdwa s[38:39], v23, v19 src0_sel:BYTE_0 src1_sel:DWORD
	s_or_b64 s[36:37], s[38:39], s[36:37]
	s_andn2_b64 exec, exec, s[36:37]
	s_cbranch_execnz .LBB687_53
; %bb.54:
	s_or_b64 exec, exec, s[36:37]
.LBB687_55:
	s_or_b64 exec, exec, s[34:35]
	v_and_b32_e32 v34, 63, v38
	v_mov_b32_e32 v32, 2
	v_cmp_ne_u32_e32 vcc, 63, v34
	v_cmp_eq_u16_sdwa s[34:35], v23, v32 src0_sel:BYTE_0 src1_sel:DWORD
	v_lshlrev_b64 v[24:25], v38, -1
	v_addc_co_u32_e32 v26, vcc, 0, v38, vcc
	v_and_b32_e32 v19, s35, v25
	v_lshlrev_b32_e32 v41, 2, v26
	v_or_b32_e32 v19, 0x80000000, v19
	ds_bpermute_b32 v26, v41, v22
	v_and_b32_e32 v21, s34, v24
	v_ffbl_b32_e32 v19, v19
	v_add_u32_e32 v19, 32, v19
	v_ffbl_b32_e32 v21, v21
	v_min_u32_e32 v19, v21, v19
	v_cmp_lt_u32_e32 vcc, v34, v19
	v_add_u32_e32 v43, 2, v34
	v_add_u32_e32 v45, 4, v34
	s_waitcnt lgkmcnt(0)
	v_cndmask_b32_e32 v21, 0, v26, vcc
	v_cmp_gt_u32_e32 vcc, 62, v34
	v_add_u32_e32 v21, v21, v22
	v_add_u32_e32 v47, 8, v34
	v_cndmask_b32_e64 v22, 0, 1, vcc
	v_lshlrev_b32_e32 v22, 1, v22
	v_add_lshl_u32 v42, v22, v38, 2
	ds_bpermute_b32 v22, v42, v21
	v_cmp_le_u32_e32 vcc, v43, v19
	v_add_u32_e32 v49, 16, v34
	v_add_u32_e32 v51, 32, v34
	s_waitcnt lgkmcnt(0)
	v_cndmask_b32_e32 v22, 0, v22, vcc
	v_cmp_gt_u32_e32 vcc, 60, v34
	v_add_u32_e32 v21, v21, v22
	s_nop 0
	v_cndmask_b32_e64 v22, 0, 1, vcc
	v_lshlrev_b32_e32 v22, 2, v22
	v_add_lshl_u32 v44, v22, v38, 2
	ds_bpermute_b32 v22, v44, v21
	v_cmp_le_u32_e32 vcc, v45, v19
	s_waitcnt lgkmcnt(0)
	s_nop 0
	v_cndmask_b32_e32 v22, 0, v22, vcc
	v_cmp_gt_u32_e32 vcc, 56, v34
	v_add_u32_e32 v21, v21, v22
	s_nop 0
	v_cndmask_b32_e64 v22, 0, 1, vcc
	v_lshlrev_b32_e32 v22, 3, v22
	v_add_lshl_u32 v46, v22, v38, 2
	ds_bpermute_b32 v22, v46, v21
	v_cmp_le_u32_e32 vcc, v47, v19
	s_waitcnt lgkmcnt(0)
	s_nop 0
	;; [unrolled: 11-line block ×4, first 2 shown]
	v_cndmask_b32_e32 v19, 0, v22, vcc
	v_add_u32_e32 v22, v21, v19
	v_mov_b32_e32 v21, 0
	s_branch .LBB687_57
.LBB687_56:                             ;   in Loop: Header=BB687_57 Depth=1
	s_or_b64 exec, exec, s[34:35]
	v_cmp_eq_u16_sdwa s[34:35], v23, v32 src0_sel:BYTE_0 src1_sel:DWORD
	ds_bpermute_b32 v52, v41, v22
	v_subrev_u32_e32 v20, 64, v20
	v_and_b32_e32 v26, s35, v25
	v_or_b32_e32 v26, 0x80000000, v26
	v_and_b32_e32 v27, s34, v24
	v_ffbl_b32_e32 v26, v26
	v_add_u32_e32 v26, 32, v26
	v_ffbl_b32_e32 v27, v27
	v_min_u32_e32 v26, v27, v26
	v_cmp_lt_u32_e32 vcc, v34, v26
	s_waitcnt lgkmcnt(0)
	s_nop 0
	v_cndmask_b32_e32 v27, 0, v52, vcc
	v_add_u32_e32 v22, v27, v22
	ds_bpermute_b32 v27, v42, v22
	v_cmp_le_u32_e32 vcc, v43, v26
	s_waitcnt lgkmcnt(0)
	s_nop 0
	v_cndmask_b32_e32 v27, 0, v27, vcc
	v_add_u32_e32 v22, v22, v27
	ds_bpermute_b32 v27, v44, v22
	v_cmp_le_u32_e32 vcc, v45, v26
	;; [unrolled: 6-line block ×5, first 2 shown]
	s_waitcnt lgkmcnt(0)
	s_nop 0
	v_cndmask_b32_e32 v26, 0, v27, vcc
	v_add3_u32 v22, v26, v19, v22
.LBB687_57:                             ; =>This Loop Header: Depth=1
                                        ;     Child Loop BB687_60 Depth 2
	v_cmp_ne_u16_sdwa s[34:35], v23, v32 src0_sel:BYTE_0 src1_sel:DWORD
	s_nop 1
	v_cndmask_b32_e64 v19, 0, 1, s[34:35]
	;;#ASMSTART
	;;#ASMEND
	s_nop 0
	v_cmp_ne_u32_e32 vcc, 0, v19
	s_cmp_lg_u64 vcc, exec
	v_mov_b32_e32 v19, v22
	s_cbranch_scc1 .LBB687_62
; %bb.58:                               ;   in Loop: Header=BB687_57 Depth=1
	v_lshl_add_u64 v[26:27], v[20:21], 3, s[28:29]
	global_load_dwordx2 v[22:23], v[26:27], off sc1
	s_waitcnt vmcnt(0)
	v_cmp_eq_u16_sdwa s[36:37], v23, v21 src0_sel:BYTE_0 src1_sel:DWORD
	s_and_saveexec_b64 s[34:35], s[36:37]
	s_cbranch_execz .LBB687_56
; %bb.59:                               ;   in Loop: Header=BB687_57 Depth=1
	s_mov_b64 s[36:37], 0
.LBB687_60:                             ;   Parent Loop BB687_57 Depth=1
                                        ; =>  This Inner Loop Header: Depth=2
	global_load_dwordx2 v[22:23], v[26:27], off sc1
	s_waitcnt vmcnt(0)
	v_cmp_ne_u16_sdwa s[38:39], v23, v21 src0_sel:BYTE_0 src1_sel:DWORD
	s_or_b64 s[36:37], s[38:39], s[36:37]
	s_andn2_b64 exec, exec, s[36:37]
	s_cbranch_execnz .LBB687_60
; %bb.61:                               ;   in Loop: Header=BB687_57 Depth=1
	s_or_b64 exec, exec, s[36:37]
	s_branch .LBB687_56
.LBB687_62:                             ;   in Loop: Header=BB687_57 Depth=1
                                        ; implicit-def: $vgpr22
                                        ; implicit-def: $vgpr23
	s_cbranch_execz .LBB687_57
; %bb.63:
	s_and_saveexec_b64 s[34:35], s[16:17]
	s_cbranch_execz .LBB687_65
; %bb.64:
	s_add_i32 s2, s2, 64
	s_mov_b32 s3, 0
	s_lshl_b64 s[2:3], s[2:3], 3
	s_add_u32 s2, s28, s2
	v_add_u32_e32 v20, v19, v18
	v_mov_b32_e32 v21, 2
	s_addc_u32 s3, s29, s3
	v_mov_b32_e32 v22, 0
	global_store_dwordx2 v22, v[20:21], s[2:3] sc1
	ds_write_b64 v22, v[18:19] offset:28672
.LBB687_65:
	s_or_b64 exec, exec, s[34:35]
	v_cmp_eq_u32_e32 vcc, 0, v0
	s_and_b64 exec, exec, vcc
	s_cbranch_execz .LBB687_67
; %bb.66:
	v_mov_b32_e32 v18, 0
	ds_write_b32 v18, v19 offset:28
.LBB687_67:
	s_or_b64 exec, exec, s[30:31]
	v_mov_b32_e32 v18, 0
	s_waitcnt lgkmcnt(0)
	s_barrier
	ds_read_b32 v19, v18 offset:28
	v_cndmask_b32_e64 v20, v30, v28, s[16:17]
	v_cmp_ne_u32_e32 vcc, 0, v0
	s_waitcnt lgkmcnt(0)
	s_barrier
	v_cndmask_b32_e32 v20, 0, v20, vcc
	v_add_u32_e32 v34, v19, v20
	v_add_u32_e32 v32, v34, v29
	;; [unrolled: 1-line block ×3, first 2 shown]
	ds_read_b64 v[18:19], v18 offset:28672
	v_add_u32_e32 v28, v30, v33
	v_add_u32_e32 v26, v28, v35
	;; [unrolled: 1-line block ×4, first 2 shown]
	s_load_dwordx2 s[2:3], s[0:1], 0x28
	v_lshrrev_b64 v[20:21], 24, v[16:17]
	s_branch .LBB687_78
.LBB687_68:
                                        ; implicit-def: $vgpr19
                                        ; implicit-def: $vgpr22
                                        ; implicit-def: $vgpr24
                                        ; implicit-def: $vgpr26
                                        ; implicit-def: $vgpr28
                                        ; implicit-def: $vgpr30
                                        ; implicit-def: $vgpr32
                                        ; implicit-def: $vgpr34
	s_load_dwordx2 s[2:3], s[0:1], 0x28
	v_lshrrev_b64 v[20:21], 24, v[16:17]
	s_cbranch_execz .LBB687_78
; %bb.69:
	s_waitcnt lgkmcnt(0)
	v_mov_b32_dpp v18, v40 row_shr:1 row_mask:0xf bank_mask:0xf
	v_cndmask_b32_e64 v18, v18, 0, s[14:15]
	v_add_u32_e32 v18, v18, v40
	s_nop 1
	v_mov_b32_dpp v19, v18 row_shr:2 row_mask:0xf bank_mask:0xf
	v_cndmask_b32_e64 v19, 0, v19, s[12:13]
	v_add_u32_e32 v18, v18, v19
	s_nop 1
	;; [unrolled: 4-line block ×4, first 2 shown]
	v_mov_b32_dpp v19, v18 row_bcast:15 row_mask:0xf bank_mask:0xf
	v_cndmask_b32_e64 v19, v19, 0, s[6:7]
	v_add_u32_e32 v18, v18, v19
	s_nop 1
	v_mov_b32_dpp v19, v18 row_bcast:31 row_mask:0xf bank_mask:0xf
	v_cndmask_b32_e64 v19, 0, v19, s[18:19]
	v_add_u32_e32 v18, v18, v19
	s_and_saveexec_b64 s[0:1], s[4:5]
	s_cbranch_execz .LBB687_71
; %bb.70:
	v_lshlrev_b32_e32 v19, 2, v39
	ds_write_b32 v19, v18
.LBB687_71:
	s_or_b64 exec, exec, s[0:1]
	v_cmp_gt_u32_e32 vcc, 8, v0
	s_waitcnt lgkmcnt(0)
	s_barrier
	s_and_saveexec_b64 s[0:1], vcc
	s_cbranch_execz .LBB687_73
; %bb.72:
	s_movk_i32 s4, 0xffcc
	v_mad_i32_i24 v1, v0, s4, v1
	ds_read_b32 v19, v1
	v_and_b32_e32 v21, 7, v38
	v_cmp_ne_u32_e32 vcc, 0, v21
	s_waitcnt lgkmcnt(0)
	v_mov_b32_dpp v22, v19 row_shr:1 row_mask:0xf bank_mask:0xf
	v_cndmask_b32_e32 v22, 0, v22, vcc
	v_add_u32_e32 v19, v22, v19
	v_cmp_lt_u32_e32 vcc, 1, v21
	s_nop 0
	v_mov_b32_dpp v22, v19 row_shr:2 row_mask:0xf bank_mask:0xf
	v_cndmask_b32_e32 v22, 0, v22, vcc
	v_add_u32_e32 v19, v19, v22
	v_cmp_lt_u32_e32 vcc, 3, v21
	s_nop 0
	v_mov_b32_dpp v22, v19 row_shr:4 row_mask:0xf bank_mask:0xf
	v_cndmask_b32_e32 v21, 0, v22, vcc
	v_add_u32_e32 v19, v19, v21
	ds_write_b32 v1, v19
.LBB687_73:
	s_or_b64 exec, exec, s[0:1]
	v_cmp_lt_u32_e32 vcc, 63, v0
	v_mov_b32_e32 v19, 0
	v_mov_b32_e32 v1, 0
	s_waitcnt lgkmcnt(0)
	s_barrier
	s_and_saveexec_b64 s[0:1], vcc
	s_cbranch_execz .LBB687_75
; %bb.74:
	v_lshl_add_u32 v1, v39, 2, -4
	ds_read_b32 v1, v1
.LBB687_75:
	s_or_b64 exec, exec, s[0:1]
	v_add_u32_e32 v21, -1, v38
	v_and_b32_e32 v22, 64, v38
	v_cmp_lt_i32_e32 vcc, v21, v22
	s_waitcnt lgkmcnt(0)
	v_add_u32_e32 v18, v1, v18
	v_cndmask_b32_e32 v21, v21, v38, vcc
	v_lshlrev_b32_e32 v21, 2, v21
	ds_bpermute_b32 v21, v21, v18
	ds_read_b32 v18, v19 offset:28
	v_cmp_eq_u32_e32 vcc, 0, v0
	s_and_saveexec_b64 s[0:1], vcc
	s_cbranch_execz .LBB687_77
; %bb.76:
	v_mov_b32_e32 v22, 0
	v_mov_b32_e32 v19, 2
	s_waitcnt lgkmcnt(0)
	global_store_dwordx2 v22, v[18:19], s[28:29] offset:512 sc1
.LBB687_77:
	s_or_b64 exec, exec, s[0:1]
	v_cmp_eq_u32_e64 s[0:1], 0, v38
	v_mov_b32_e32 v19, 0
	s_waitcnt lgkmcnt(0)
	v_cndmask_b32_e64 v1, v21, v1, s[0:1]
	v_cndmask_b32_e64 v34, v1, 0, vcc
	v_add_u32_e32 v32, v34, v29
	v_add_u32_e32 v30, v32, v31
	;; [unrolled: 1-line block ×6, first 2 shown]
	s_barrier
.LBB687_78:
	s_movk_i32 s0, 0x201
	s_waitcnt lgkmcnt(0)
	v_cmp_gt_u32_e32 vcc, s0, v18
	v_lshrrev_b32_e32 v21, 8, v16
	v_lshrrev_b32_e32 v1, 8, v17
	s_mov_b64 s[0:1], -1
	s_cbranch_vccnz .LBB687_82
; %bb.79:
	s_and_b64 vcc, exec, s[0:1]
	s_cbranch_vccnz .LBB687_104
.LBB687_80:
	v_cmp_eq_u32_e32 vcc, 0, v0
	s_and_b64 s[0:1], vcc, s[24:25]
	s_and_saveexec_b64 s[2:3], s[0:1]
	s_cbranch_execnz .LBB687_122
.LBB687_81:
	s_endpgm
.LBB687_82:
	v_add_u32_e32 v23, v19, v18
	v_cmp_lt_u32_e32 vcc, v34, v23
	s_or_b64 s[4:5], s[26:27], vcc
	s_and_saveexec_b64 s[0:1], s[4:5]
	s_cbranch_execz .LBB687_85
; %bb.83:
	v_and_b32_e32 v25, 1, v16
	v_cmp_eq_u32_e32 vcc, 1, v25
	s_and_b64 exec, exec, vcc
	s_cbranch_execz .LBB687_85
; %bb.84:
	s_lshl_b64 s[4:5], s[22:23], 3
	s_add_u32 s4, s2, s4
	s_addc_u32 s5, s3, s5
	v_mov_b32_e32 v35, 0
	v_lshl_add_u64 v[36:37], v[34:35], 3, s[4:5]
	global_store_dwordx2 v[36:37], v[10:11], off
.LBB687_85:
	s_or_b64 exec, exec, s[0:1]
	v_cmp_lt_u32_e32 vcc, v32, v23
	s_or_b64 s[4:5], s[26:27], vcc
	s_and_saveexec_b64 s[0:1], s[4:5]
	s_cbranch_execz .LBB687_88
; %bb.86:
	v_and_b32_e32 v25, 1, v21
	v_cmp_eq_u32_e32 vcc, 1, v25
	s_and_b64 exec, exec, vcc
	s_cbranch_execz .LBB687_88
; %bb.87:
	s_lshl_b64 s[4:5], s[22:23], 3
	s_add_u32 s4, s2, s4
	s_addc_u32 s5, s3, s5
	v_mov_b32_e32 v33, 0
	v_lshl_add_u64 v[36:37], v[32:33], 3, s[4:5]
	global_store_dwordx2 v[36:37], v[12:13], off
.LBB687_88:
	s_or_b64 exec, exec, s[0:1]
	v_cmp_lt_u32_e32 vcc, v30, v23
	s_or_b64 s[4:5], s[26:27], vcc
	s_and_saveexec_b64 s[0:1], s[4:5]
	s_cbranch_execz .LBB687_91
; %bb.89:
	v_mov_b32_e32 v25, 1
	v_and_b32_sdwa v25, v25, v16 dst_sel:DWORD dst_unused:UNUSED_PAD src0_sel:DWORD src1_sel:WORD_1
	v_cmp_eq_u32_e32 vcc, 1, v25
	s_and_b64 exec, exec, vcc
	s_cbranch_execz .LBB687_91
; %bb.90:
	s_lshl_b64 s[4:5], s[22:23], 3
	s_add_u32 s4, s2, s4
	s_addc_u32 s5, s3, s5
	v_mov_b32_e32 v31, 0
	v_lshl_add_u64 v[36:37], v[30:31], 3, s[4:5]
	global_store_dwordx2 v[36:37], v[6:7], off
.LBB687_91:
	s_or_b64 exec, exec, s[0:1]
	v_cmp_lt_u32_e32 vcc, v28, v23
	s_or_b64 s[4:5], s[26:27], vcc
	s_and_saveexec_b64 s[0:1], s[4:5]
	s_cbranch_execz .LBB687_94
; %bb.92:
	v_and_b32_e32 v25, 1, v20
	v_cmp_eq_u32_e32 vcc, 1, v25
	s_and_b64 exec, exec, vcc
	s_cbranch_execz .LBB687_94
; %bb.93:
	s_lshl_b64 s[4:5], s[22:23], 3
	s_add_u32 s4, s2, s4
	s_addc_u32 s5, s3, s5
	v_mov_b32_e32 v29, 0
	v_lshl_add_u64 v[36:37], v[28:29], 3, s[4:5]
	global_store_dwordx2 v[36:37], v[8:9], off
.LBB687_94:
	s_or_b64 exec, exec, s[0:1]
	v_cmp_lt_u32_e32 vcc, v26, v23
	s_or_b64 s[4:5], s[26:27], vcc
	s_and_saveexec_b64 s[0:1], s[4:5]
	s_cbranch_execz .LBB687_97
; %bb.95:
	v_and_b32_e32 v25, 1, v17
	v_cmp_eq_u32_e32 vcc, 1, v25
	s_and_b64 exec, exec, vcc
	s_cbranch_execz .LBB687_97
; %bb.96:
	s_lshl_b64 s[4:5], s[22:23], 3
	s_add_u32 s4, s2, s4
	s_addc_u32 s5, s3, s5
	v_mov_b32_e32 v27, 0
	v_lshl_add_u64 v[36:37], v[26:27], 3, s[4:5]
	global_store_dwordx2 v[36:37], v[2:3], off
.LBB687_97:
	;; [unrolled: 18-line block ×3, first 2 shown]
	s_or_b64 exec, exec, s[0:1]
	v_cmp_lt_u32_e32 vcc, v22, v23
	s_or_b64 s[4:5], s[26:27], vcc
	s_and_saveexec_b64 s[0:1], s[4:5]
	s_cbranch_execz .LBB687_103
; %bb.101:
	v_mov_b32_e32 v23, 1
	v_and_b32_sdwa v23, v23, v17 dst_sel:DWORD dst_unused:UNUSED_PAD src0_sel:DWORD src1_sel:WORD_1
	v_cmp_eq_u32_e32 vcc, 1, v23
	s_and_b64 exec, exec, vcc
	s_cbranch_execz .LBB687_103
; %bb.102:
	s_lshl_b64 s[4:5], s[22:23], 3
	s_add_u32 s4, s2, s4
	s_addc_u32 s5, s3, s5
	v_mov_b32_e32 v23, 0
	v_lshl_add_u64 v[36:37], v[22:23], 3, s[4:5]
	global_store_dwordx2 v[36:37], v[14:15], off
.LBB687_103:
	s_or_b64 exec, exec, s[0:1]
	s_branch .LBB687_80
.LBB687_104:
	v_and_b32_e32 v23, 1, v16
	v_cmp_eq_u32_e32 vcc, 1, v23
	s_and_saveexec_b64 s[0:1], vcc
	s_cbranch_execz .LBB687_106
; %bb.105:
	v_sub_u32_e32 v23, v34, v19
	v_lshlrev_b32_e32 v23, 3, v23
	ds_write_b64 v23, v[10:11]
.LBB687_106:
	s_or_b64 exec, exec, s[0:1]
	v_and_b32_e32 v10, 1, v21
	v_cmp_eq_u32_e32 vcc, 1, v10
	s_and_saveexec_b64 s[0:1], vcc
	s_cbranch_execz .LBB687_108
; %bb.107:
	v_sub_u32_e32 v10, v32, v19
	v_lshlrev_b32_e32 v10, 3, v10
	ds_write_b64 v10, v[12:13]
.LBB687_108:
	s_or_b64 exec, exec, s[0:1]
	v_mov_b32_e32 v10, 1
	v_and_b32_sdwa v10, v10, v16 dst_sel:DWORD dst_unused:UNUSED_PAD src0_sel:DWORD src1_sel:WORD_1
	v_cmp_eq_u32_e32 vcc, 1, v10
	s_and_saveexec_b64 s[0:1], vcc
	s_cbranch_execz .LBB687_110
; %bb.109:
	v_sub_u32_e32 v10, v30, v19
	v_lshlrev_b32_e32 v10, 3, v10
	ds_write_b64 v10, v[6:7]
.LBB687_110:
	s_or_b64 exec, exec, s[0:1]
	v_and_b32_e32 v6, 1, v20
	v_cmp_eq_u32_e32 vcc, 1, v6
	s_and_saveexec_b64 s[0:1], vcc
	s_cbranch_execz .LBB687_112
; %bb.111:
	v_sub_u32_e32 v6, v28, v19
	v_lshlrev_b32_e32 v6, 3, v6
	ds_write_b64 v6, v[8:9]
.LBB687_112:
	s_or_b64 exec, exec, s[0:1]
	v_and_b32_e32 v6, 1, v17
	;; [unrolled: 10-line block ×3, first 2 shown]
	v_cmp_eq_u32_e32 vcc, 1, v1
	s_and_saveexec_b64 s[0:1], vcc
	s_cbranch_execz .LBB687_116
; %bb.115:
	v_sub_u32_e32 v1, v24, v19
	v_lshlrev_b32_e32 v1, 3, v1
	ds_write_b64 v1, v[4:5]
.LBB687_116:
	s_or_b64 exec, exec, s[0:1]
	v_mov_b32_e32 v1, 1
	v_and_b32_sdwa v1, v1, v17 dst_sel:DWORD dst_unused:UNUSED_PAD src0_sel:DWORD src1_sel:WORD_1
	v_cmp_eq_u32_e32 vcc, 1, v1
	s_and_saveexec_b64 s[0:1], vcc
	s_cbranch_execz .LBB687_118
; %bb.117:
	v_sub_u32_e32 v1, v22, v19
	v_lshlrev_b32_e32 v1, 3, v1
	ds_write_b64 v1, v[14:15]
.LBB687_118:
	s_or_b64 exec, exec, s[0:1]
	v_cmp_lt_u32_e32 vcc, v0, v18
	s_waitcnt lgkmcnt(0)
	s_barrier
	s_and_saveexec_b64 s[0:1], vcc
	s_cbranch_execz .LBB687_121
; %bb.119:
	v_mov_b32_e32 v5, 0
	v_mov_b32_e32 v4, v19
	s_lshl_b64 s[4:5], s[22:23], 3
	v_lshlrev_b64 v[6:7], 3, v[4:5]
	v_lshl_add_u64 v[6:7], s[4:5], 0, v[6:7]
	v_lshlrev_b32_e32 v2, 3, v0
	v_mov_b32_e32 v3, v5
	v_lshl_add_u64 v[4:5], s[2:3], 0, v[6:7]
	v_lshl_add_u64 v[4:5], v[4:5], 0, v[2:3]
	s_mov_b64 s[2:3], 0
	s_mov_b64 s[4:5], 0x1000
	v_mov_b32_e32 v1, v0
.LBB687_120:                            ; =>This Inner Loop Header: Depth=1
	ds_read_b64 v[6:7], v2
	v_add_u32_e32 v1, 0x200, v1
	v_cmp_ge_u32_e32 vcc, v1, v18
	v_add_u32_e32 v2, 0x1000, v2
	s_or_b64 s[2:3], vcc, s[2:3]
	s_waitcnt lgkmcnt(0)
	global_store_dwordx2 v[4:5], v[6:7], off
	v_lshl_add_u64 v[4:5], v[4:5], 0, s[4:5]
	s_andn2_b64 exec, exec, s[2:3]
	s_cbranch_execnz .LBB687_120
.LBB687_121:
	s_or_b64 exec, exec, s[0:1]
	v_cmp_eq_u32_e32 vcc, 0, v0
	s_and_b64 s[0:1], vcc, s[24:25]
	s_and_saveexec_b64 s[2:3], s[0:1]
	s_cbranch_execz .LBB687_81
.LBB687_122:
	v_mov_b32_e32 v1, 0
	v_mov_b32_e32 v0, v18
	v_lshl_add_u64 v[2:3], s[22:23], 0, v[0:1]
	v_mov_b32_e32 v0, v19
	v_lshl_add_u64 v[2:3], v[2:3], 0, v[0:1]
	global_store_dwordx2 v1, v[2:3], s[20:21]
	s_endpgm
.LBB687_123:
	s_or_b64 exec, exec, s[6:7]
	s_and_saveexec_b64 s[6:7], s[18:19]
	s_cbranch_execnz .LBB687_38
	s_branch .LBB687_39
	.section	.rodata,"a",@progbits
	.p2align	6, 0x0
	.amdhsa_kernel _ZN7rocprim17ROCPRIM_400000_NS6detail17trampoline_kernelINS0_14default_configENS1_25partition_config_selectorILNS1_17partition_subalgoE8EmNS0_10empty_typeEbEEZZNS1_14partition_implILS5_8ELb0ES3_jPKmPS6_PKS6_NS0_5tupleIJPmS6_EEENSE_IJSB_SB_EEENS0_18inequality_wrapperIN6hipcub16HIPCUB_304000_NS8EqualityEEEPlJS6_EEE10hipError_tPvRmT3_T4_T5_T6_T7_T9_mT8_P12ihipStream_tbDpT10_ENKUlT_T0_E_clISt17integral_constantIbLb0EES17_EEDaS12_S13_EUlS12_E_NS1_11comp_targetILNS1_3genE5ELNS1_11target_archE942ELNS1_3gpuE9ELNS1_3repE0EEENS1_30default_config_static_selectorELNS0_4arch9wavefront6targetE1EEEvT1_
		.amdhsa_group_segment_fixed_size 28680
		.amdhsa_private_segment_fixed_size 0
		.amdhsa_kernarg_size 112
		.amdhsa_user_sgpr_count 2
		.amdhsa_user_sgpr_dispatch_ptr 0
		.amdhsa_user_sgpr_queue_ptr 0
		.amdhsa_user_sgpr_kernarg_segment_ptr 1
		.amdhsa_user_sgpr_dispatch_id 0
		.amdhsa_user_sgpr_kernarg_preload_length 0
		.amdhsa_user_sgpr_kernarg_preload_offset 0
		.amdhsa_user_sgpr_private_segment_size 0
		.amdhsa_uses_dynamic_stack 0
		.amdhsa_enable_private_segment 0
		.amdhsa_system_sgpr_workgroup_id_x 1
		.amdhsa_system_sgpr_workgroup_id_y 0
		.amdhsa_system_sgpr_workgroup_id_z 0
		.amdhsa_system_sgpr_workgroup_info 0
		.amdhsa_system_vgpr_workitem_id 0
		.amdhsa_next_free_vgpr 53
		.amdhsa_next_free_sgpr 40
		.amdhsa_accum_offset 56
		.amdhsa_reserve_vcc 1
		.amdhsa_float_round_mode_32 0
		.amdhsa_float_round_mode_16_64 0
		.amdhsa_float_denorm_mode_32 3
		.amdhsa_float_denorm_mode_16_64 3
		.amdhsa_dx10_clamp 1
		.amdhsa_ieee_mode 1
		.amdhsa_fp16_overflow 0
		.amdhsa_tg_split 0
		.amdhsa_exception_fp_ieee_invalid_op 0
		.amdhsa_exception_fp_denorm_src 0
		.amdhsa_exception_fp_ieee_div_zero 0
		.amdhsa_exception_fp_ieee_overflow 0
		.amdhsa_exception_fp_ieee_underflow 0
		.amdhsa_exception_fp_ieee_inexact 0
		.amdhsa_exception_int_div_zero 0
	.end_amdhsa_kernel
	.section	.text._ZN7rocprim17ROCPRIM_400000_NS6detail17trampoline_kernelINS0_14default_configENS1_25partition_config_selectorILNS1_17partition_subalgoE8EmNS0_10empty_typeEbEEZZNS1_14partition_implILS5_8ELb0ES3_jPKmPS6_PKS6_NS0_5tupleIJPmS6_EEENSE_IJSB_SB_EEENS0_18inequality_wrapperIN6hipcub16HIPCUB_304000_NS8EqualityEEEPlJS6_EEE10hipError_tPvRmT3_T4_T5_T6_T7_T9_mT8_P12ihipStream_tbDpT10_ENKUlT_T0_E_clISt17integral_constantIbLb0EES17_EEDaS12_S13_EUlS12_E_NS1_11comp_targetILNS1_3genE5ELNS1_11target_archE942ELNS1_3gpuE9ELNS1_3repE0EEENS1_30default_config_static_selectorELNS0_4arch9wavefront6targetE1EEEvT1_,"axG",@progbits,_ZN7rocprim17ROCPRIM_400000_NS6detail17trampoline_kernelINS0_14default_configENS1_25partition_config_selectorILNS1_17partition_subalgoE8EmNS0_10empty_typeEbEEZZNS1_14partition_implILS5_8ELb0ES3_jPKmPS6_PKS6_NS0_5tupleIJPmS6_EEENSE_IJSB_SB_EEENS0_18inequality_wrapperIN6hipcub16HIPCUB_304000_NS8EqualityEEEPlJS6_EEE10hipError_tPvRmT3_T4_T5_T6_T7_T9_mT8_P12ihipStream_tbDpT10_ENKUlT_T0_E_clISt17integral_constantIbLb0EES17_EEDaS12_S13_EUlS12_E_NS1_11comp_targetILNS1_3genE5ELNS1_11target_archE942ELNS1_3gpuE9ELNS1_3repE0EEENS1_30default_config_static_selectorELNS0_4arch9wavefront6targetE1EEEvT1_,comdat
.Lfunc_end687:
	.size	_ZN7rocprim17ROCPRIM_400000_NS6detail17trampoline_kernelINS0_14default_configENS1_25partition_config_selectorILNS1_17partition_subalgoE8EmNS0_10empty_typeEbEEZZNS1_14partition_implILS5_8ELb0ES3_jPKmPS6_PKS6_NS0_5tupleIJPmS6_EEENSE_IJSB_SB_EEENS0_18inequality_wrapperIN6hipcub16HIPCUB_304000_NS8EqualityEEEPlJS6_EEE10hipError_tPvRmT3_T4_T5_T6_T7_T9_mT8_P12ihipStream_tbDpT10_ENKUlT_T0_E_clISt17integral_constantIbLb0EES17_EEDaS12_S13_EUlS12_E_NS1_11comp_targetILNS1_3genE5ELNS1_11target_archE942ELNS1_3gpuE9ELNS1_3repE0EEENS1_30default_config_static_selectorELNS0_4arch9wavefront6targetE1EEEvT1_, .Lfunc_end687-_ZN7rocprim17ROCPRIM_400000_NS6detail17trampoline_kernelINS0_14default_configENS1_25partition_config_selectorILNS1_17partition_subalgoE8EmNS0_10empty_typeEbEEZZNS1_14partition_implILS5_8ELb0ES3_jPKmPS6_PKS6_NS0_5tupleIJPmS6_EEENSE_IJSB_SB_EEENS0_18inequality_wrapperIN6hipcub16HIPCUB_304000_NS8EqualityEEEPlJS6_EEE10hipError_tPvRmT3_T4_T5_T6_T7_T9_mT8_P12ihipStream_tbDpT10_ENKUlT_T0_E_clISt17integral_constantIbLb0EES17_EEDaS12_S13_EUlS12_E_NS1_11comp_targetILNS1_3genE5ELNS1_11target_archE942ELNS1_3gpuE9ELNS1_3repE0EEENS1_30default_config_static_selectorELNS0_4arch9wavefront6targetE1EEEvT1_
                                        ; -- End function
	.section	.AMDGPU.csdata,"",@progbits
; Kernel info:
; codeLenInByte = 5408
; NumSgprs: 46
; NumVgprs: 53
; NumAgprs: 0
; TotalNumVgprs: 53
; ScratchSize: 0
; MemoryBound: 0
; FloatMode: 240
; IeeeMode: 1
; LDSByteSize: 28680 bytes/workgroup (compile time only)
; SGPRBlocks: 5
; VGPRBlocks: 6
; NumSGPRsForWavesPerEU: 46
; NumVGPRsForWavesPerEU: 53
; AccumOffset: 56
; Occupancy: 4
; WaveLimiterHint : 1
; COMPUTE_PGM_RSRC2:SCRATCH_EN: 0
; COMPUTE_PGM_RSRC2:USER_SGPR: 2
; COMPUTE_PGM_RSRC2:TRAP_HANDLER: 0
; COMPUTE_PGM_RSRC2:TGID_X_EN: 1
; COMPUTE_PGM_RSRC2:TGID_Y_EN: 0
; COMPUTE_PGM_RSRC2:TGID_Z_EN: 0
; COMPUTE_PGM_RSRC2:TIDIG_COMP_CNT: 0
; COMPUTE_PGM_RSRC3_GFX90A:ACCUM_OFFSET: 13
; COMPUTE_PGM_RSRC3_GFX90A:TG_SPLIT: 0
	.section	.text._ZN7rocprim17ROCPRIM_400000_NS6detail17trampoline_kernelINS0_14default_configENS1_25partition_config_selectorILNS1_17partition_subalgoE8EmNS0_10empty_typeEbEEZZNS1_14partition_implILS5_8ELb0ES3_jPKmPS6_PKS6_NS0_5tupleIJPmS6_EEENSE_IJSB_SB_EEENS0_18inequality_wrapperIN6hipcub16HIPCUB_304000_NS8EqualityEEEPlJS6_EEE10hipError_tPvRmT3_T4_T5_T6_T7_T9_mT8_P12ihipStream_tbDpT10_ENKUlT_T0_E_clISt17integral_constantIbLb0EES17_EEDaS12_S13_EUlS12_E_NS1_11comp_targetILNS1_3genE4ELNS1_11target_archE910ELNS1_3gpuE8ELNS1_3repE0EEENS1_30default_config_static_selectorELNS0_4arch9wavefront6targetE1EEEvT1_,"axG",@progbits,_ZN7rocprim17ROCPRIM_400000_NS6detail17trampoline_kernelINS0_14default_configENS1_25partition_config_selectorILNS1_17partition_subalgoE8EmNS0_10empty_typeEbEEZZNS1_14partition_implILS5_8ELb0ES3_jPKmPS6_PKS6_NS0_5tupleIJPmS6_EEENSE_IJSB_SB_EEENS0_18inequality_wrapperIN6hipcub16HIPCUB_304000_NS8EqualityEEEPlJS6_EEE10hipError_tPvRmT3_T4_T5_T6_T7_T9_mT8_P12ihipStream_tbDpT10_ENKUlT_T0_E_clISt17integral_constantIbLb0EES17_EEDaS12_S13_EUlS12_E_NS1_11comp_targetILNS1_3genE4ELNS1_11target_archE910ELNS1_3gpuE8ELNS1_3repE0EEENS1_30default_config_static_selectorELNS0_4arch9wavefront6targetE1EEEvT1_,comdat
	.protected	_ZN7rocprim17ROCPRIM_400000_NS6detail17trampoline_kernelINS0_14default_configENS1_25partition_config_selectorILNS1_17partition_subalgoE8EmNS0_10empty_typeEbEEZZNS1_14partition_implILS5_8ELb0ES3_jPKmPS6_PKS6_NS0_5tupleIJPmS6_EEENSE_IJSB_SB_EEENS0_18inequality_wrapperIN6hipcub16HIPCUB_304000_NS8EqualityEEEPlJS6_EEE10hipError_tPvRmT3_T4_T5_T6_T7_T9_mT8_P12ihipStream_tbDpT10_ENKUlT_T0_E_clISt17integral_constantIbLb0EES17_EEDaS12_S13_EUlS12_E_NS1_11comp_targetILNS1_3genE4ELNS1_11target_archE910ELNS1_3gpuE8ELNS1_3repE0EEENS1_30default_config_static_selectorELNS0_4arch9wavefront6targetE1EEEvT1_ ; -- Begin function _ZN7rocprim17ROCPRIM_400000_NS6detail17trampoline_kernelINS0_14default_configENS1_25partition_config_selectorILNS1_17partition_subalgoE8EmNS0_10empty_typeEbEEZZNS1_14partition_implILS5_8ELb0ES3_jPKmPS6_PKS6_NS0_5tupleIJPmS6_EEENSE_IJSB_SB_EEENS0_18inequality_wrapperIN6hipcub16HIPCUB_304000_NS8EqualityEEEPlJS6_EEE10hipError_tPvRmT3_T4_T5_T6_T7_T9_mT8_P12ihipStream_tbDpT10_ENKUlT_T0_E_clISt17integral_constantIbLb0EES17_EEDaS12_S13_EUlS12_E_NS1_11comp_targetILNS1_3genE4ELNS1_11target_archE910ELNS1_3gpuE8ELNS1_3repE0EEENS1_30default_config_static_selectorELNS0_4arch9wavefront6targetE1EEEvT1_
	.globl	_ZN7rocprim17ROCPRIM_400000_NS6detail17trampoline_kernelINS0_14default_configENS1_25partition_config_selectorILNS1_17partition_subalgoE8EmNS0_10empty_typeEbEEZZNS1_14partition_implILS5_8ELb0ES3_jPKmPS6_PKS6_NS0_5tupleIJPmS6_EEENSE_IJSB_SB_EEENS0_18inequality_wrapperIN6hipcub16HIPCUB_304000_NS8EqualityEEEPlJS6_EEE10hipError_tPvRmT3_T4_T5_T6_T7_T9_mT8_P12ihipStream_tbDpT10_ENKUlT_T0_E_clISt17integral_constantIbLb0EES17_EEDaS12_S13_EUlS12_E_NS1_11comp_targetILNS1_3genE4ELNS1_11target_archE910ELNS1_3gpuE8ELNS1_3repE0EEENS1_30default_config_static_selectorELNS0_4arch9wavefront6targetE1EEEvT1_
	.p2align	8
	.type	_ZN7rocprim17ROCPRIM_400000_NS6detail17trampoline_kernelINS0_14default_configENS1_25partition_config_selectorILNS1_17partition_subalgoE8EmNS0_10empty_typeEbEEZZNS1_14partition_implILS5_8ELb0ES3_jPKmPS6_PKS6_NS0_5tupleIJPmS6_EEENSE_IJSB_SB_EEENS0_18inequality_wrapperIN6hipcub16HIPCUB_304000_NS8EqualityEEEPlJS6_EEE10hipError_tPvRmT3_T4_T5_T6_T7_T9_mT8_P12ihipStream_tbDpT10_ENKUlT_T0_E_clISt17integral_constantIbLb0EES17_EEDaS12_S13_EUlS12_E_NS1_11comp_targetILNS1_3genE4ELNS1_11target_archE910ELNS1_3gpuE8ELNS1_3repE0EEENS1_30default_config_static_selectorELNS0_4arch9wavefront6targetE1EEEvT1_,@function
_ZN7rocprim17ROCPRIM_400000_NS6detail17trampoline_kernelINS0_14default_configENS1_25partition_config_selectorILNS1_17partition_subalgoE8EmNS0_10empty_typeEbEEZZNS1_14partition_implILS5_8ELb0ES3_jPKmPS6_PKS6_NS0_5tupleIJPmS6_EEENSE_IJSB_SB_EEENS0_18inequality_wrapperIN6hipcub16HIPCUB_304000_NS8EqualityEEEPlJS6_EEE10hipError_tPvRmT3_T4_T5_T6_T7_T9_mT8_P12ihipStream_tbDpT10_ENKUlT_T0_E_clISt17integral_constantIbLb0EES17_EEDaS12_S13_EUlS12_E_NS1_11comp_targetILNS1_3genE4ELNS1_11target_archE910ELNS1_3gpuE8ELNS1_3repE0EEENS1_30default_config_static_selectorELNS0_4arch9wavefront6targetE1EEEvT1_: ; @_ZN7rocprim17ROCPRIM_400000_NS6detail17trampoline_kernelINS0_14default_configENS1_25partition_config_selectorILNS1_17partition_subalgoE8EmNS0_10empty_typeEbEEZZNS1_14partition_implILS5_8ELb0ES3_jPKmPS6_PKS6_NS0_5tupleIJPmS6_EEENSE_IJSB_SB_EEENS0_18inequality_wrapperIN6hipcub16HIPCUB_304000_NS8EqualityEEEPlJS6_EEE10hipError_tPvRmT3_T4_T5_T6_T7_T9_mT8_P12ihipStream_tbDpT10_ENKUlT_T0_E_clISt17integral_constantIbLb0EES17_EEDaS12_S13_EUlS12_E_NS1_11comp_targetILNS1_3genE4ELNS1_11target_archE910ELNS1_3gpuE8ELNS1_3repE0EEENS1_30default_config_static_selectorELNS0_4arch9wavefront6targetE1EEEvT1_
; %bb.0:
	.section	.rodata,"a",@progbits
	.p2align	6, 0x0
	.amdhsa_kernel _ZN7rocprim17ROCPRIM_400000_NS6detail17trampoline_kernelINS0_14default_configENS1_25partition_config_selectorILNS1_17partition_subalgoE8EmNS0_10empty_typeEbEEZZNS1_14partition_implILS5_8ELb0ES3_jPKmPS6_PKS6_NS0_5tupleIJPmS6_EEENSE_IJSB_SB_EEENS0_18inequality_wrapperIN6hipcub16HIPCUB_304000_NS8EqualityEEEPlJS6_EEE10hipError_tPvRmT3_T4_T5_T6_T7_T9_mT8_P12ihipStream_tbDpT10_ENKUlT_T0_E_clISt17integral_constantIbLb0EES17_EEDaS12_S13_EUlS12_E_NS1_11comp_targetILNS1_3genE4ELNS1_11target_archE910ELNS1_3gpuE8ELNS1_3repE0EEENS1_30default_config_static_selectorELNS0_4arch9wavefront6targetE1EEEvT1_
		.amdhsa_group_segment_fixed_size 0
		.amdhsa_private_segment_fixed_size 0
		.amdhsa_kernarg_size 112
		.amdhsa_user_sgpr_count 2
		.amdhsa_user_sgpr_dispatch_ptr 0
		.amdhsa_user_sgpr_queue_ptr 0
		.amdhsa_user_sgpr_kernarg_segment_ptr 1
		.amdhsa_user_sgpr_dispatch_id 0
		.amdhsa_user_sgpr_kernarg_preload_length 0
		.amdhsa_user_sgpr_kernarg_preload_offset 0
		.amdhsa_user_sgpr_private_segment_size 0
		.amdhsa_uses_dynamic_stack 0
		.amdhsa_enable_private_segment 0
		.amdhsa_system_sgpr_workgroup_id_x 1
		.amdhsa_system_sgpr_workgroup_id_y 0
		.amdhsa_system_sgpr_workgroup_id_z 0
		.amdhsa_system_sgpr_workgroup_info 0
		.amdhsa_system_vgpr_workitem_id 0
		.amdhsa_next_free_vgpr 1
		.amdhsa_next_free_sgpr 0
		.amdhsa_accum_offset 4
		.amdhsa_reserve_vcc 0
		.amdhsa_float_round_mode_32 0
		.amdhsa_float_round_mode_16_64 0
		.amdhsa_float_denorm_mode_32 3
		.amdhsa_float_denorm_mode_16_64 3
		.amdhsa_dx10_clamp 1
		.amdhsa_ieee_mode 1
		.amdhsa_fp16_overflow 0
		.amdhsa_tg_split 0
		.amdhsa_exception_fp_ieee_invalid_op 0
		.amdhsa_exception_fp_denorm_src 0
		.amdhsa_exception_fp_ieee_div_zero 0
		.amdhsa_exception_fp_ieee_overflow 0
		.amdhsa_exception_fp_ieee_underflow 0
		.amdhsa_exception_fp_ieee_inexact 0
		.amdhsa_exception_int_div_zero 0
	.end_amdhsa_kernel
	.section	.text._ZN7rocprim17ROCPRIM_400000_NS6detail17trampoline_kernelINS0_14default_configENS1_25partition_config_selectorILNS1_17partition_subalgoE8EmNS0_10empty_typeEbEEZZNS1_14partition_implILS5_8ELb0ES3_jPKmPS6_PKS6_NS0_5tupleIJPmS6_EEENSE_IJSB_SB_EEENS0_18inequality_wrapperIN6hipcub16HIPCUB_304000_NS8EqualityEEEPlJS6_EEE10hipError_tPvRmT3_T4_T5_T6_T7_T9_mT8_P12ihipStream_tbDpT10_ENKUlT_T0_E_clISt17integral_constantIbLb0EES17_EEDaS12_S13_EUlS12_E_NS1_11comp_targetILNS1_3genE4ELNS1_11target_archE910ELNS1_3gpuE8ELNS1_3repE0EEENS1_30default_config_static_selectorELNS0_4arch9wavefront6targetE1EEEvT1_,"axG",@progbits,_ZN7rocprim17ROCPRIM_400000_NS6detail17trampoline_kernelINS0_14default_configENS1_25partition_config_selectorILNS1_17partition_subalgoE8EmNS0_10empty_typeEbEEZZNS1_14partition_implILS5_8ELb0ES3_jPKmPS6_PKS6_NS0_5tupleIJPmS6_EEENSE_IJSB_SB_EEENS0_18inequality_wrapperIN6hipcub16HIPCUB_304000_NS8EqualityEEEPlJS6_EEE10hipError_tPvRmT3_T4_T5_T6_T7_T9_mT8_P12ihipStream_tbDpT10_ENKUlT_T0_E_clISt17integral_constantIbLb0EES17_EEDaS12_S13_EUlS12_E_NS1_11comp_targetILNS1_3genE4ELNS1_11target_archE910ELNS1_3gpuE8ELNS1_3repE0EEENS1_30default_config_static_selectorELNS0_4arch9wavefront6targetE1EEEvT1_,comdat
.Lfunc_end688:
	.size	_ZN7rocprim17ROCPRIM_400000_NS6detail17trampoline_kernelINS0_14default_configENS1_25partition_config_selectorILNS1_17partition_subalgoE8EmNS0_10empty_typeEbEEZZNS1_14partition_implILS5_8ELb0ES3_jPKmPS6_PKS6_NS0_5tupleIJPmS6_EEENSE_IJSB_SB_EEENS0_18inequality_wrapperIN6hipcub16HIPCUB_304000_NS8EqualityEEEPlJS6_EEE10hipError_tPvRmT3_T4_T5_T6_T7_T9_mT8_P12ihipStream_tbDpT10_ENKUlT_T0_E_clISt17integral_constantIbLb0EES17_EEDaS12_S13_EUlS12_E_NS1_11comp_targetILNS1_3genE4ELNS1_11target_archE910ELNS1_3gpuE8ELNS1_3repE0EEENS1_30default_config_static_selectorELNS0_4arch9wavefront6targetE1EEEvT1_, .Lfunc_end688-_ZN7rocprim17ROCPRIM_400000_NS6detail17trampoline_kernelINS0_14default_configENS1_25partition_config_selectorILNS1_17partition_subalgoE8EmNS0_10empty_typeEbEEZZNS1_14partition_implILS5_8ELb0ES3_jPKmPS6_PKS6_NS0_5tupleIJPmS6_EEENSE_IJSB_SB_EEENS0_18inequality_wrapperIN6hipcub16HIPCUB_304000_NS8EqualityEEEPlJS6_EEE10hipError_tPvRmT3_T4_T5_T6_T7_T9_mT8_P12ihipStream_tbDpT10_ENKUlT_T0_E_clISt17integral_constantIbLb0EES17_EEDaS12_S13_EUlS12_E_NS1_11comp_targetILNS1_3genE4ELNS1_11target_archE910ELNS1_3gpuE8ELNS1_3repE0EEENS1_30default_config_static_selectorELNS0_4arch9wavefront6targetE1EEEvT1_
                                        ; -- End function
	.section	.AMDGPU.csdata,"",@progbits
; Kernel info:
; codeLenInByte = 0
; NumSgprs: 6
; NumVgprs: 0
; NumAgprs: 0
; TotalNumVgprs: 0
; ScratchSize: 0
; MemoryBound: 0
; FloatMode: 240
; IeeeMode: 1
; LDSByteSize: 0 bytes/workgroup (compile time only)
; SGPRBlocks: 0
; VGPRBlocks: 0
; NumSGPRsForWavesPerEU: 6
; NumVGPRsForWavesPerEU: 1
; AccumOffset: 4
; Occupancy: 8
; WaveLimiterHint : 0
; COMPUTE_PGM_RSRC2:SCRATCH_EN: 0
; COMPUTE_PGM_RSRC2:USER_SGPR: 2
; COMPUTE_PGM_RSRC2:TRAP_HANDLER: 0
; COMPUTE_PGM_RSRC2:TGID_X_EN: 1
; COMPUTE_PGM_RSRC2:TGID_Y_EN: 0
; COMPUTE_PGM_RSRC2:TGID_Z_EN: 0
; COMPUTE_PGM_RSRC2:TIDIG_COMP_CNT: 0
; COMPUTE_PGM_RSRC3_GFX90A:ACCUM_OFFSET: 0
; COMPUTE_PGM_RSRC3_GFX90A:TG_SPLIT: 0
	.section	.text._ZN7rocprim17ROCPRIM_400000_NS6detail17trampoline_kernelINS0_14default_configENS1_25partition_config_selectorILNS1_17partition_subalgoE8EmNS0_10empty_typeEbEEZZNS1_14partition_implILS5_8ELb0ES3_jPKmPS6_PKS6_NS0_5tupleIJPmS6_EEENSE_IJSB_SB_EEENS0_18inequality_wrapperIN6hipcub16HIPCUB_304000_NS8EqualityEEEPlJS6_EEE10hipError_tPvRmT3_T4_T5_T6_T7_T9_mT8_P12ihipStream_tbDpT10_ENKUlT_T0_E_clISt17integral_constantIbLb0EES17_EEDaS12_S13_EUlS12_E_NS1_11comp_targetILNS1_3genE3ELNS1_11target_archE908ELNS1_3gpuE7ELNS1_3repE0EEENS1_30default_config_static_selectorELNS0_4arch9wavefront6targetE1EEEvT1_,"axG",@progbits,_ZN7rocprim17ROCPRIM_400000_NS6detail17trampoline_kernelINS0_14default_configENS1_25partition_config_selectorILNS1_17partition_subalgoE8EmNS0_10empty_typeEbEEZZNS1_14partition_implILS5_8ELb0ES3_jPKmPS6_PKS6_NS0_5tupleIJPmS6_EEENSE_IJSB_SB_EEENS0_18inequality_wrapperIN6hipcub16HIPCUB_304000_NS8EqualityEEEPlJS6_EEE10hipError_tPvRmT3_T4_T5_T6_T7_T9_mT8_P12ihipStream_tbDpT10_ENKUlT_T0_E_clISt17integral_constantIbLb0EES17_EEDaS12_S13_EUlS12_E_NS1_11comp_targetILNS1_3genE3ELNS1_11target_archE908ELNS1_3gpuE7ELNS1_3repE0EEENS1_30default_config_static_selectorELNS0_4arch9wavefront6targetE1EEEvT1_,comdat
	.protected	_ZN7rocprim17ROCPRIM_400000_NS6detail17trampoline_kernelINS0_14default_configENS1_25partition_config_selectorILNS1_17partition_subalgoE8EmNS0_10empty_typeEbEEZZNS1_14partition_implILS5_8ELb0ES3_jPKmPS6_PKS6_NS0_5tupleIJPmS6_EEENSE_IJSB_SB_EEENS0_18inequality_wrapperIN6hipcub16HIPCUB_304000_NS8EqualityEEEPlJS6_EEE10hipError_tPvRmT3_T4_T5_T6_T7_T9_mT8_P12ihipStream_tbDpT10_ENKUlT_T0_E_clISt17integral_constantIbLb0EES17_EEDaS12_S13_EUlS12_E_NS1_11comp_targetILNS1_3genE3ELNS1_11target_archE908ELNS1_3gpuE7ELNS1_3repE0EEENS1_30default_config_static_selectorELNS0_4arch9wavefront6targetE1EEEvT1_ ; -- Begin function _ZN7rocprim17ROCPRIM_400000_NS6detail17trampoline_kernelINS0_14default_configENS1_25partition_config_selectorILNS1_17partition_subalgoE8EmNS0_10empty_typeEbEEZZNS1_14partition_implILS5_8ELb0ES3_jPKmPS6_PKS6_NS0_5tupleIJPmS6_EEENSE_IJSB_SB_EEENS0_18inequality_wrapperIN6hipcub16HIPCUB_304000_NS8EqualityEEEPlJS6_EEE10hipError_tPvRmT3_T4_T5_T6_T7_T9_mT8_P12ihipStream_tbDpT10_ENKUlT_T0_E_clISt17integral_constantIbLb0EES17_EEDaS12_S13_EUlS12_E_NS1_11comp_targetILNS1_3genE3ELNS1_11target_archE908ELNS1_3gpuE7ELNS1_3repE0EEENS1_30default_config_static_selectorELNS0_4arch9wavefront6targetE1EEEvT1_
	.globl	_ZN7rocprim17ROCPRIM_400000_NS6detail17trampoline_kernelINS0_14default_configENS1_25partition_config_selectorILNS1_17partition_subalgoE8EmNS0_10empty_typeEbEEZZNS1_14partition_implILS5_8ELb0ES3_jPKmPS6_PKS6_NS0_5tupleIJPmS6_EEENSE_IJSB_SB_EEENS0_18inequality_wrapperIN6hipcub16HIPCUB_304000_NS8EqualityEEEPlJS6_EEE10hipError_tPvRmT3_T4_T5_T6_T7_T9_mT8_P12ihipStream_tbDpT10_ENKUlT_T0_E_clISt17integral_constantIbLb0EES17_EEDaS12_S13_EUlS12_E_NS1_11comp_targetILNS1_3genE3ELNS1_11target_archE908ELNS1_3gpuE7ELNS1_3repE0EEENS1_30default_config_static_selectorELNS0_4arch9wavefront6targetE1EEEvT1_
	.p2align	8
	.type	_ZN7rocprim17ROCPRIM_400000_NS6detail17trampoline_kernelINS0_14default_configENS1_25partition_config_selectorILNS1_17partition_subalgoE8EmNS0_10empty_typeEbEEZZNS1_14partition_implILS5_8ELb0ES3_jPKmPS6_PKS6_NS0_5tupleIJPmS6_EEENSE_IJSB_SB_EEENS0_18inequality_wrapperIN6hipcub16HIPCUB_304000_NS8EqualityEEEPlJS6_EEE10hipError_tPvRmT3_T4_T5_T6_T7_T9_mT8_P12ihipStream_tbDpT10_ENKUlT_T0_E_clISt17integral_constantIbLb0EES17_EEDaS12_S13_EUlS12_E_NS1_11comp_targetILNS1_3genE3ELNS1_11target_archE908ELNS1_3gpuE7ELNS1_3repE0EEENS1_30default_config_static_selectorELNS0_4arch9wavefront6targetE1EEEvT1_,@function
_ZN7rocprim17ROCPRIM_400000_NS6detail17trampoline_kernelINS0_14default_configENS1_25partition_config_selectorILNS1_17partition_subalgoE8EmNS0_10empty_typeEbEEZZNS1_14partition_implILS5_8ELb0ES3_jPKmPS6_PKS6_NS0_5tupleIJPmS6_EEENSE_IJSB_SB_EEENS0_18inequality_wrapperIN6hipcub16HIPCUB_304000_NS8EqualityEEEPlJS6_EEE10hipError_tPvRmT3_T4_T5_T6_T7_T9_mT8_P12ihipStream_tbDpT10_ENKUlT_T0_E_clISt17integral_constantIbLb0EES17_EEDaS12_S13_EUlS12_E_NS1_11comp_targetILNS1_3genE3ELNS1_11target_archE908ELNS1_3gpuE7ELNS1_3repE0EEENS1_30default_config_static_selectorELNS0_4arch9wavefront6targetE1EEEvT1_: ; @_ZN7rocprim17ROCPRIM_400000_NS6detail17trampoline_kernelINS0_14default_configENS1_25partition_config_selectorILNS1_17partition_subalgoE8EmNS0_10empty_typeEbEEZZNS1_14partition_implILS5_8ELb0ES3_jPKmPS6_PKS6_NS0_5tupleIJPmS6_EEENSE_IJSB_SB_EEENS0_18inequality_wrapperIN6hipcub16HIPCUB_304000_NS8EqualityEEEPlJS6_EEE10hipError_tPvRmT3_T4_T5_T6_T7_T9_mT8_P12ihipStream_tbDpT10_ENKUlT_T0_E_clISt17integral_constantIbLb0EES17_EEDaS12_S13_EUlS12_E_NS1_11comp_targetILNS1_3genE3ELNS1_11target_archE908ELNS1_3gpuE7ELNS1_3repE0EEENS1_30default_config_static_selectorELNS0_4arch9wavefront6targetE1EEEvT1_
; %bb.0:
	.section	.rodata,"a",@progbits
	.p2align	6, 0x0
	.amdhsa_kernel _ZN7rocprim17ROCPRIM_400000_NS6detail17trampoline_kernelINS0_14default_configENS1_25partition_config_selectorILNS1_17partition_subalgoE8EmNS0_10empty_typeEbEEZZNS1_14partition_implILS5_8ELb0ES3_jPKmPS6_PKS6_NS0_5tupleIJPmS6_EEENSE_IJSB_SB_EEENS0_18inequality_wrapperIN6hipcub16HIPCUB_304000_NS8EqualityEEEPlJS6_EEE10hipError_tPvRmT3_T4_T5_T6_T7_T9_mT8_P12ihipStream_tbDpT10_ENKUlT_T0_E_clISt17integral_constantIbLb0EES17_EEDaS12_S13_EUlS12_E_NS1_11comp_targetILNS1_3genE3ELNS1_11target_archE908ELNS1_3gpuE7ELNS1_3repE0EEENS1_30default_config_static_selectorELNS0_4arch9wavefront6targetE1EEEvT1_
		.amdhsa_group_segment_fixed_size 0
		.amdhsa_private_segment_fixed_size 0
		.amdhsa_kernarg_size 112
		.amdhsa_user_sgpr_count 2
		.amdhsa_user_sgpr_dispatch_ptr 0
		.amdhsa_user_sgpr_queue_ptr 0
		.amdhsa_user_sgpr_kernarg_segment_ptr 1
		.amdhsa_user_sgpr_dispatch_id 0
		.amdhsa_user_sgpr_kernarg_preload_length 0
		.amdhsa_user_sgpr_kernarg_preload_offset 0
		.amdhsa_user_sgpr_private_segment_size 0
		.amdhsa_uses_dynamic_stack 0
		.amdhsa_enable_private_segment 0
		.amdhsa_system_sgpr_workgroup_id_x 1
		.amdhsa_system_sgpr_workgroup_id_y 0
		.amdhsa_system_sgpr_workgroup_id_z 0
		.amdhsa_system_sgpr_workgroup_info 0
		.amdhsa_system_vgpr_workitem_id 0
		.amdhsa_next_free_vgpr 1
		.amdhsa_next_free_sgpr 0
		.amdhsa_accum_offset 4
		.amdhsa_reserve_vcc 0
		.amdhsa_float_round_mode_32 0
		.amdhsa_float_round_mode_16_64 0
		.amdhsa_float_denorm_mode_32 3
		.amdhsa_float_denorm_mode_16_64 3
		.amdhsa_dx10_clamp 1
		.amdhsa_ieee_mode 1
		.amdhsa_fp16_overflow 0
		.amdhsa_tg_split 0
		.amdhsa_exception_fp_ieee_invalid_op 0
		.amdhsa_exception_fp_denorm_src 0
		.amdhsa_exception_fp_ieee_div_zero 0
		.amdhsa_exception_fp_ieee_overflow 0
		.amdhsa_exception_fp_ieee_underflow 0
		.amdhsa_exception_fp_ieee_inexact 0
		.amdhsa_exception_int_div_zero 0
	.end_amdhsa_kernel
	.section	.text._ZN7rocprim17ROCPRIM_400000_NS6detail17trampoline_kernelINS0_14default_configENS1_25partition_config_selectorILNS1_17partition_subalgoE8EmNS0_10empty_typeEbEEZZNS1_14partition_implILS5_8ELb0ES3_jPKmPS6_PKS6_NS0_5tupleIJPmS6_EEENSE_IJSB_SB_EEENS0_18inequality_wrapperIN6hipcub16HIPCUB_304000_NS8EqualityEEEPlJS6_EEE10hipError_tPvRmT3_T4_T5_T6_T7_T9_mT8_P12ihipStream_tbDpT10_ENKUlT_T0_E_clISt17integral_constantIbLb0EES17_EEDaS12_S13_EUlS12_E_NS1_11comp_targetILNS1_3genE3ELNS1_11target_archE908ELNS1_3gpuE7ELNS1_3repE0EEENS1_30default_config_static_selectorELNS0_4arch9wavefront6targetE1EEEvT1_,"axG",@progbits,_ZN7rocprim17ROCPRIM_400000_NS6detail17trampoline_kernelINS0_14default_configENS1_25partition_config_selectorILNS1_17partition_subalgoE8EmNS0_10empty_typeEbEEZZNS1_14partition_implILS5_8ELb0ES3_jPKmPS6_PKS6_NS0_5tupleIJPmS6_EEENSE_IJSB_SB_EEENS0_18inequality_wrapperIN6hipcub16HIPCUB_304000_NS8EqualityEEEPlJS6_EEE10hipError_tPvRmT3_T4_T5_T6_T7_T9_mT8_P12ihipStream_tbDpT10_ENKUlT_T0_E_clISt17integral_constantIbLb0EES17_EEDaS12_S13_EUlS12_E_NS1_11comp_targetILNS1_3genE3ELNS1_11target_archE908ELNS1_3gpuE7ELNS1_3repE0EEENS1_30default_config_static_selectorELNS0_4arch9wavefront6targetE1EEEvT1_,comdat
.Lfunc_end689:
	.size	_ZN7rocprim17ROCPRIM_400000_NS6detail17trampoline_kernelINS0_14default_configENS1_25partition_config_selectorILNS1_17partition_subalgoE8EmNS0_10empty_typeEbEEZZNS1_14partition_implILS5_8ELb0ES3_jPKmPS6_PKS6_NS0_5tupleIJPmS6_EEENSE_IJSB_SB_EEENS0_18inequality_wrapperIN6hipcub16HIPCUB_304000_NS8EqualityEEEPlJS6_EEE10hipError_tPvRmT3_T4_T5_T6_T7_T9_mT8_P12ihipStream_tbDpT10_ENKUlT_T0_E_clISt17integral_constantIbLb0EES17_EEDaS12_S13_EUlS12_E_NS1_11comp_targetILNS1_3genE3ELNS1_11target_archE908ELNS1_3gpuE7ELNS1_3repE0EEENS1_30default_config_static_selectorELNS0_4arch9wavefront6targetE1EEEvT1_, .Lfunc_end689-_ZN7rocprim17ROCPRIM_400000_NS6detail17trampoline_kernelINS0_14default_configENS1_25partition_config_selectorILNS1_17partition_subalgoE8EmNS0_10empty_typeEbEEZZNS1_14partition_implILS5_8ELb0ES3_jPKmPS6_PKS6_NS0_5tupleIJPmS6_EEENSE_IJSB_SB_EEENS0_18inequality_wrapperIN6hipcub16HIPCUB_304000_NS8EqualityEEEPlJS6_EEE10hipError_tPvRmT3_T4_T5_T6_T7_T9_mT8_P12ihipStream_tbDpT10_ENKUlT_T0_E_clISt17integral_constantIbLb0EES17_EEDaS12_S13_EUlS12_E_NS1_11comp_targetILNS1_3genE3ELNS1_11target_archE908ELNS1_3gpuE7ELNS1_3repE0EEENS1_30default_config_static_selectorELNS0_4arch9wavefront6targetE1EEEvT1_
                                        ; -- End function
	.section	.AMDGPU.csdata,"",@progbits
; Kernel info:
; codeLenInByte = 0
; NumSgprs: 6
; NumVgprs: 0
; NumAgprs: 0
; TotalNumVgprs: 0
; ScratchSize: 0
; MemoryBound: 0
; FloatMode: 240
; IeeeMode: 1
; LDSByteSize: 0 bytes/workgroup (compile time only)
; SGPRBlocks: 0
; VGPRBlocks: 0
; NumSGPRsForWavesPerEU: 6
; NumVGPRsForWavesPerEU: 1
; AccumOffset: 4
; Occupancy: 8
; WaveLimiterHint : 0
; COMPUTE_PGM_RSRC2:SCRATCH_EN: 0
; COMPUTE_PGM_RSRC2:USER_SGPR: 2
; COMPUTE_PGM_RSRC2:TRAP_HANDLER: 0
; COMPUTE_PGM_RSRC2:TGID_X_EN: 1
; COMPUTE_PGM_RSRC2:TGID_Y_EN: 0
; COMPUTE_PGM_RSRC2:TGID_Z_EN: 0
; COMPUTE_PGM_RSRC2:TIDIG_COMP_CNT: 0
; COMPUTE_PGM_RSRC3_GFX90A:ACCUM_OFFSET: 0
; COMPUTE_PGM_RSRC3_GFX90A:TG_SPLIT: 0
	.section	.text._ZN7rocprim17ROCPRIM_400000_NS6detail17trampoline_kernelINS0_14default_configENS1_25partition_config_selectorILNS1_17partition_subalgoE8EmNS0_10empty_typeEbEEZZNS1_14partition_implILS5_8ELb0ES3_jPKmPS6_PKS6_NS0_5tupleIJPmS6_EEENSE_IJSB_SB_EEENS0_18inequality_wrapperIN6hipcub16HIPCUB_304000_NS8EqualityEEEPlJS6_EEE10hipError_tPvRmT3_T4_T5_T6_T7_T9_mT8_P12ihipStream_tbDpT10_ENKUlT_T0_E_clISt17integral_constantIbLb0EES17_EEDaS12_S13_EUlS12_E_NS1_11comp_targetILNS1_3genE2ELNS1_11target_archE906ELNS1_3gpuE6ELNS1_3repE0EEENS1_30default_config_static_selectorELNS0_4arch9wavefront6targetE1EEEvT1_,"axG",@progbits,_ZN7rocprim17ROCPRIM_400000_NS6detail17trampoline_kernelINS0_14default_configENS1_25partition_config_selectorILNS1_17partition_subalgoE8EmNS0_10empty_typeEbEEZZNS1_14partition_implILS5_8ELb0ES3_jPKmPS6_PKS6_NS0_5tupleIJPmS6_EEENSE_IJSB_SB_EEENS0_18inequality_wrapperIN6hipcub16HIPCUB_304000_NS8EqualityEEEPlJS6_EEE10hipError_tPvRmT3_T4_T5_T6_T7_T9_mT8_P12ihipStream_tbDpT10_ENKUlT_T0_E_clISt17integral_constantIbLb0EES17_EEDaS12_S13_EUlS12_E_NS1_11comp_targetILNS1_3genE2ELNS1_11target_archE906ELNS1_3gpuE6ELNS1_3repE0EEENS1_30default_config_static_selectorELNS0_4arch9wavefront6targetE1EEEvT1_,comdat
	.protected	_ZN7rocprim17ROCPRIM_400000_NS6detail17trampoline_kernelINS0_14default_configENS1_25partition_config_selectorILNS1_17partition_subalgoE8EmNS0_10empty_typeEbEEZZNS1_14partition_implILS5_8ELb0ES3_jPKmPS6_PKS6_NS0_5tupleIJPmS6_EEENSE_IJSB_SB_EEENS0_18inequality_wrapperIN6hipcub16HIPCUB_304000_NS8EqualityEEEPlJS6_EEE10hipError_tPvRmT3_T4_T5_T6_T7_T9_mT8_P12ihipStream_tbDpT10_ENKUlT_T0_E_clISt17integral_constantIbLb0EES17_EEDaS12_S13_EUlS12_E_NS1_11comp_targetILNS1_3genE2ELNS1_11target_archE906ELNS1_3gpuE6ELNS1_3repE0EEENS1_30default_config_static_selectorELNS0_4arch9wavefront6targetE1EEEvT1_ ; -- Begin function _ZN7rocprim17ROCPRIM_400000_NS6detail17trampoline_kernelINS0_14default_configENS1_25partition_config_selectorILNS1_17partition_subalgoE8EmNS0_10empty_typeEbEEZZNS1_14partition_implILS5_8ELb0ES3_jPKmPS6_PKS6_NS0_5tupleIJPmS6_EEENSE_IJSB_SB_EEENS0_18inequality_wrapperIN6hipcub16HIPCUB_304000_NS8EqualityEEEPlJS6_EEE10hipError_tPvRmT3_T4_T5_T6_T7_T9_mT8_P12ihipStream_tbDpT10_ENKUlT_T0_E_clISt17integral_constantIbLb0EES17_EEDaS12_S13_EUlS12_E_NS1_11comp_targetILNS1_3genE2ELNS1_11target_archE906ELNS1_3gpuE6ELNS1_3repE0EEENS1_30default_config_static_selectorELNS0_4arch9wavefront6targetE1EEEvT1_
	.globl	_ZN7rocprim17ROCPRIM_400000_NS6detail17trampoline_kernelINS0_14default_configENS1_25partition_config_selectorILNS1_17partition_subalgoE8EmNS0_10empty_typeEbEEZZNS1_14partition_implILS5_8ELb0ES3_jPKmPS6_PKS6_NS0_5tupleIJPmS6_EEENSE_IJSB_SB_EEENS0_18inequality_wrapperIN6hipcub16HIPCUB_304000_NS8EqualityEEEPlJS6_EEE10hipError_tPvRmT3_T4_T5_T6_T7_T9_mT8_P12ihipStream_tbDpT10_ENKUlT_T0_E_clISt17integral_constantIbLb0EES17_EEDaS12_S13_EUlS12_E_NS1_11comp_targetILNS1_3genE2ELNS1_11target_archE906ELNS1_3gpuE6ELNS1_3repE0EEENS1_30default_config_static_selectorELNS0_4arch9wavefront6targetE1EEEvT1_
	.p2align	8
	.type	_ZN7rocprim17ROCPRIM_400000_NS6detail17trampoline_kernelINS0_14default_configENS1_25partition_config_selectorILNS1_17partition_subalgoE8EmNS0_10empty_typeEbEEZZNS1_14partition_implILS5_8ELb0ES3_jPKmPS6_PKS6_NS0_5tupleIJPmS6_EEENSE_IJSB_SB_EEENS0_18inequality_wrapperIN6hipcub16HIPCUB_304000_NS8EqualityEEEPlJS6_EEE10hipError_tPvRmT3_T4_T5_T6_T7_T9_mT8_P12ihipStream_tbDpT10_ENKUlT_T0_E_clISt17integral_constantIbLb0EES17_EEDaS12_S13_EUlS12_E_NS1_11comp_targetILNS1_3genE2ELNS1_11target_archE906ELNS1_3gpuE6ELNS1_3repE0EEENS1_30default_config_static_selectorELNS0_4arch9wavefront6targetE1EEEvT1_,@function
_ZN7rocprim17ROCPRIM_400000_NS6detail17trampoline_kernelINS0_14default_configENS1_25partition_config_selectorILNS1_17partition_subalgoE8EmNS0_10empty_typeEbEEZZNS1_14partition_implILS5_8ELb0ES3_jPKmPS6_PKS6_NS0_5tupleIJPmS6_EEENSE_IJSB_SB_EEENS0_18inequality_wrapperIN6hipcub16HIPCUB_304000_NS8EqualityEEEPlJS6_EEE10hipError_tPvRmT3_T4_T5_T6_T7_T9_mT8_P12ihipStream_tbDpT10_ENKUlT_T0_E_clISt17integral_constantIbLb0EES17_EEDaS12_S13_EUlS12_E_NS1_11comp_targetILNS1_3genE2ELNS1_11target_archE906ELNS1_3gpuE6ELNS1_3repE0EEENS1_30default_config_static_selectorELNS0_4arch9wavefront6targetE1EEEvT1_: ; @_ZN7rocprim17ROCPRIM_400000_NS6detail17trampoline_kernelINS0_14default_configENS1_25partition_config_selectorILNS1_17partition_subalgoE8EmNS0_10empty_typeEbEEZZNS1_14partition_implILS5_8ELb0ES3_jPKmPS6_PKS6_NS0_5tupleIJPmS6_EEENSE_IJSB_SB_EEENS0_18inequality_wrapperIN6hipcub16HIPCUB_304000_NS8EqualityEEEPlJS6_EEE10hipError_tPvRmT3_T4_T5_T6_T7_T9_mT8_P12ihipStream_tbDpT10_ENKUlT_T0_E_clISt17integral_constantIbLb0EES17_EEDaS12_S13_EUlS12_E_NS1_11comp_targetILNS1_3genE2ELNS1_11target_archE906ELNS1_3gpuE6ELNS1_3repE0EEENS1_30default_config_static_selectorELNS0_4arch9wavefront6targetE1EEEvT1_
; %bb.0:
	.section	.rodata,"a",@progbits
	.p2align	6, 0x0
	.amdhsa_kernel _ZN7rocprim17ROCPRIM_400000_NS6detail17trampoline_kernelINS0_14default_configENS1_25partition_config_selectorILNS1_17partition_subalgoE8EmNS0_10empty_typeEbEEZZNS1_14partition_implILS5_8ELb0ES3_jPKmPS6_PKS6_NS0_5tupleIJPmS6_EEENSE_IJSB_SB_EEENS0_18inequality_wrapperIN6hipcub16HIPCUB_304000_NS8EqualityEEEPlJS6_EEE10hipError_tPvRmT3_T4_T5_T6_T7_T9_mT8_P12ihipStream_tbDpT10_ENKUlT_T0_E_clISt17integral_constantIbLb0EES17_EEDaS12_S13_EUlS12_E_NS1_11comp_targetILNS1_3genE2ELNS1_11target_archE906ELNS1_3gpuE6ELNS1_3repE0EEENS1_30default_config_static_selectorELNS0_4arch9wavefront6targetE1EEEvT1_
		.amdhsa_group_segment_fixed_size 0
		.amdhsa_private_segment_fixed_size 0
		.amdhsa_kernarg_size 112
		.amdhsa_user_sgpr_count 2
		.amdhsa_user_sgpr_dispatch_ptr 0
		.amdhsa_user_sgpr_queue_ptr 0
		.amdhsa_user_sgpr_kernarg_segment_ptr 1
		.amdhsa_user_sgpr_dispatch_id 0
		.amdhsa_user_sgpr_kernarg_preload_length 0
		.amdhsa_user_sgpr_kernarg_preload_offset 0
		.amdhsa_user_sgpr_private_segment_size 0
		.amdhsa_uses_dynamic_stack 0
		.amdhsa_enable_private_segment 0
		.amdhsa_system_sgpr_workgroup_id_x 1
		.amdhsa_system_sgpr_workgroup_id_y 0
		.amdhsa_system_sgpr_workgroup_id_z 0
		.amdhsa_system_sgpr_workgroup_info 0
		.amdhsa_system_vgpr_workitem_id 0
		.amdhsa_next_free_vgpr 1
		.amdhsa_next_free_sgpr 0
		.amdhsa_accum_offset 4
		.amdhsa_reserve_vcc 0
		.amdhsa_float_round_mode_32 0
		.amdhsa_float_round_mode_16_64 0
		.amdhsa_float_denorm_mode_32 3
		.amdhsa_float_denorm_mode_16_64 3
		.amdhsa_dx10_clamp 1
		.amdhsa_ieee_mode 1
		.amdhsa_fp16_overflow 0
		.amdhsa_tg_split 0
		.amdhsa_exception_fp_ieee_invalid_op 0
		.amdhsa_exception_fp_denorm_src 0
		.amdhsa_exception_fp_ieee_div_zero 0
		.amdhsa_exception_fp_ieee_overflow 0
		.amdhsa_exception_fp_ieee_underflow 0
		.amdhsa_exception_fp_ieee_inexact 0
		.amdhsa_exception_int_div_zero 0
	.end_amdhsa_kernel
	.section	.text._ZN7rocprim17ROCPRIM_400000_NS6detail17trampoline_kernelINS0_14default_configENS1_25partition_config_selectorILNS1_17partition_subalgoE8EmNS0_10empty_typeEbEEZZNS1_14partition_implILS5_8ELb0ES3_jPKmPS6_PKS6_NS0_5tupleIJPmS6_EEENSE_IJSB_SB_EEENS0_18inequality_wrapperIN6hipcub16HIPCUB_304000_NS8EqualityEEEPlJS6_EEE10hipError_tPvRmT3_T4_T5_T6_T7_T9_mT8_P12ihipStream_tbDpT10_ENKUlT_T0_E_clISt17integral_constantIbLb0EES17_EEDaS12_S13_EUlS12_E_NS1_11comp_targetILNS1_3genE2ELNS1_11target_archE906ELNS1_3gpuE6ELNS1_3repE0EEENS1_30default_config_static_selectorELNS0_4arch9wavefront6targetE1EEEvT1_,"axG",@progbits,_ZN7rocprim17ROCPRIM_400000_NS6detail17trampoline_kernelINS0_14default_configENS1_25partition_config_selectorILNS1_17partition_subalgoE8EmNS0_10empty_typeEbEEZZNS1_14partition_implILS5_8ELb0ES3_jPKmPS6_PKS6_NS0_5tupleIJPmS6_EEENSE_IJSB_SB_EEENS0_18inequality_wrapperIN6hipcub16HIPCUB_304000_NS8EqualityEEEPlJS6_EEE10hipError_tPvRmT3_T4_T5_T6_T7_T9_mT8_P12ihipStream_tbDpT10_ENKUlT_T0_E_clISt17integral_constantIbLb0EES17_EEDaS12_S13_EUlS12_E_NS1_11comp_targetILNS1_3genE2ELNS1_11target_archE906ELNS1_3gpuE6ELNS1_3repE0EEENS1_30default_config_static_selectorELNS0_4arch9wavefront6targetE1EEEvT1_,comdat
.Lfunc_end690:
	.size	_ZN7rocprim17ROCPRIM_400000_NS6detail17trampoline_kernelINS0_14default_configENS1_25partition_config_selectorILNS1_17partition_subalgoE8EmNS0_10empty_typeEbEEZZNS1_14partition_implILS5_8ELb0ES3_jPKmPS6_PKS6_NS0_5tupleIJPmS6_EEENSE_IJSB_SB_EEENS0_18inequality_wrapperIN6hipcub16HIPCUB_304000_NS8EqualityEEEPlJS6_EEE10hipError_tPvRmT3_T4_T5_T6_T7_T9_mT8_P12ihipStream_tbDpT10_ENKUlT_T0_E_clISt17integral_constantIbLb0EES17_EEDaS12_S13_EUlS12_E_NS1_11comp_targetILNS1_3genE2ELNS1_11target_archE906ELNS1_3gpuE6ELNS1_3repE0EEENS1_30default_config_static_selectorELNS0_4arch9wavefront6targetE1EEEvT1_, .Lfunc_end690-_ZN7rocprim17ROCPRIM_400000_NS6detail17trampoline_kernelINS0_14default_configENS1_25partition_config_selectorILNS1_17partition_subalgoE8EmNS0_10empty_typeEbEEZZNS1_14partition_implILS5_8ELb0ES3_jPKmPS6_PKS6_NS0_5tupleIJPmS6_EEENSE_IJSB_SB_EEENS0_18inequality_wrapperIN6hipcub16HIPCUB_304000_NS8EqualityEEEPlJS6_EEE10hipError_tPvRmT3_T4_T5_T6_T7_T9_mT8_P12ihipStream_tbDpT10_ENKUlT_T0_E_clISt17integral_constantIbLb0EES17_EEDaS12_S13_EUlS12_E_NS1_11comp_targetILNS1_3genE2ELNS1_11target_archE906ELNS1_3gpuE6ELNS1_3repE0EEENS1_30default_config_static_selectorELNS0_4arch9wavefront6targetE1EEEvT1_
                                        ; -- End function
	.section	.AMDGPU.csdata,"",@progbits
; Kernel info:
; codeLenInByte = 0
; NumSgprs: 6
; NumVgprs: 0
; NumAgprs: 0
; TotalNumVgprs: 0
; ScratchSize: 0
; MemoryBound: 0
; FloatMode: 240
; IeeeMode: 1
; LDSByteSize: 0 bytes/workgroup (compile time only)
; SGPRBlocks: 0
; VGPRBlocks: 0
; NumSGPRsForWavesPerEU: 6
; NumVGPRsForWavesPerEU: 1
; AccumOffset: 4
; Occupancy: 8
; WaveLimiterHint : 0
; COMPUTE_PGM_RSRC2:SCRATCH_EN: 0
; COMPUTE_PGM_RSRC2:USER_SGPR: 2
; COMPUTE_PGM_RSRC2:TRAP_HANDLER: 0
; COMPUTE_PGM_RSRC2:TGID_X_EN: 1
; COMPUTE_PGM_RSRC2:TGID_Y_EN: 0
; COMPUTE_PGM_RSRC2:TGID_Z_EN: 0
; COMPUTE_PGM_RSRC2:TIDIG_COMP_CNT: 0
; COMPUTE_PGM_RSRC3_GFX90A:ACCUM_OFFSET: 0
; COMPUTE_PGM_RSRC3_GFX90A:TG_SPLIT: 0
	.section	.text._ZN7rocprim17ROCPRIM_400000_NS6detail17trampoline_kernelINS0_14default_configENS1_25partition_config_selectorILNS1_17partition_subalgoE8EmNS0_10empty_typeEbEEZZNS1_14partition_implILS5_8ELb0ES3_jPKmPS6_PKS6_NS0_5tupleIJPmS6_EEENSE_IJSB_SB_EEENS0_18inequality_wrapperIN6hipcub16HIPCUB_304000_NS8EqualityEEEPlJS6_EEE10hipError_tPvRmT3_T4_T5_T6_T7_T9_mT8_P12ihipStream_tbDpT10_ENKUlT_T0_E_clISt17integral_constantIbLb0EES17_EEDaS12_S13_EUlS12_E_NS1_11comp_targetILNS1_3genE10ELNS1_11target_archE1200ELNS1_3gpuE4ELNS1_3repE0EEENS1_30default_config_static_selectorELNS0_4arch9wavefront6targetE1EEEvT1_,"axG",@progbits,_ZN7rocprim17ROCPRIM_400000_NS6detail17trampoline_kernelINS0_14default_configENS1_25partition_config_selectorILNS1_17partition_subalgoE8EmNS0_10empty_typeEbEEZZNS1_14partition_implILS5_8ELb0ES3_jPKmPS6_PKS6_NS0_5tupleIJPmS6_EEENSE_IJSB_SB_EEENS0_18inequality_wrapperIN6hipcub16HIPCUB_304000_NS8EqualityEEEPlJS6_EEE10hipError_tPvRmT3_T4_T5_T6_T7_T9_mT8_P12ihipStream_tbDpT10_ENKUlT_T0_E_clISt17integral_constantIbLb0EES17_EEDaS12_S13_EUlS12_E_NS1_11comp_targetILNS1_3genE10ELNS1_11target_archE1200ELNS1_3gpuE4ELNS1_3repE0EEENS1_30default_config_static_selectorELNS0_4arch9wavefront6targetE1EEEvT1_,comdat
	.protected	_ZN7rocprim17ROCPRIM_400000_NS6detail17trampoline_kernelINS0_14default_configENS1_25partition_config_selectorILNS1_17partition_subalgoE8EmNS0_10empty_typeEbEEZZNS1_14partition_implILS5_8ELb0ES3_jPKmPS6_PKS6_NS0_5tupleIJPmS6_EEENSE_IJSB_SB_EEENS0_18inequality_wrapperIN6hipcub16HIPCUB_304000_NS8EqualityEEEPlJS6_EEE10hipError_tPvRmT3_T4_T5_T6_T7_T9_mT8_P12ihipStream_tbDpT10_ENKUlT_T0_E_clISt17integral_constantIbLb0EES17_EEDaS12_S13_EUlS12_E_NS1_11comp_targetILNS1_3genE10ELNS1_11target_archE1200ELNS1_3gpuE4ELNS1_3repE0EEENS1_30default_config_static_selectorELNS0_4arch9wavefront6targetE1EEEvT1_ ; -- Begin function _ZN7rocprim17ROCPRIM_400000_NS6detail17trampoline_kernelINS0_14default_configENS1_25partition_config_selectorILNS1_17partition_subalgoE8EmNS0_10empty_typeEbEEZZNS1_14partition_implILS5_8ELb0ES3_jPKmPS6_PKS6_NS0_5tupleIJPmS6_EEENSE_IJSB_SB_EEENS0_18inequality_wrapperIN6hipcub16HIPCUB_304000_NS8EqualityEEEPlJS6_EEE10hipError_tPvRmT3_T4_T5_T6_T7_T9_mT8_P12ihipStream_tbDpT10_ENKUlT_T0_E_clISt17integral_constantIbLb0EES17_EEDaS12_S13_EUlS12_E_NS1_11comp_targetILNS1_3genE10ELNS1_11target_archE1200ELNS1_3gpuE4ELNS1_3repE0EEENS1_30default_config_static_selectorELNS0_4arch9wavefront6targetE1EEEvT1_
	.globl	_ZN7rocprim17ROCPRIM_400000_NS6detail17trampoline_kernelINS0_14default_configENS1_25partition_config_selectorILNS1_17partition_subalgoE8EmNS0_10empty_typeEbEEZZNS1_14partition_implILS5_8ELb0ES3_jPKmPS6_PKS6_NS0_5tupleIJPmS6_EEENSE_IJSB_SB_EEENS0_18inequality_wrapperIN6hipcub16HIPCUB_304000_NS8EqualityEEEPlJS6_EEE10hipError_tPvRmT3_T4_T5_T6_T7_T9_mT8_P12ihipStream_tbDpT10_ENKUlT_T0_E_clISt17integral_constantIbLb0EES17_EEDaS12_S13_EUlS12_E_NS1_11comp_targetILNS1_3genE10ELNS1_11target_archE1200ELNS1_3gpuE4ELNS1_3repE0EEENS1_30default_config_static_selectorELNS0_4arch9wavefront6targetE1EEEvT1_
	.p2align	8
	.type	_ZN7rocprim17ROCPRIM_400000_NS6detail17trampoline_kernelINS0_14default_configENS1_25partition_config_selectorILNS1_17partition_subalgoE8EmNS0_10empty_typeEbEEZZNS1_14partition_implILS5_8ELb0ES3_jPKmPS6_PKS6_NS0_5tupleIJPmS6_EEENSE_IJSB_SB_EEENS0_18inequality_wrapperIN6hipcub16HIPCUB_304000_NS8EqualityEEEPlJS6_EEE10hipError_tPvRmT3_T4_T5_T6_T7_T9_mT8_P12ihipStream_tbDpT10_ENKUlT_T0_E_clISt17integral_constantIbLb0EES17_EEDaS12_S13_EUlS12_E_NS1_11comp_targetILNS1_3genE10ELNS1_11target_archE1200ELNS1_3gpuE4ELNS1_3repE0EEENS1_30default_config_static_selectorELNS0_4arch9wavefront6targetE1EEEvT1_,@function
_ZN7rocprim17ROCPRIM_400000_NS6detail17trampoline_kernelINS0_14default_configENS1_25partition_config_selectorILNS1_17partition_subalgoE8EmNS0_10empty_typeEbEEZZNS1_14partition_implILS5_8ELb0ES3_jPKmPS6_PKS6_NS0_5tupleIJPmS6_EEENSE_IJSB_SB_EEENS0_18inequality_wrapperIN6hipcub16HIPCUB_304000_NS8EqualityEEEPlJS6_EEE10hipError_tPvRmT3_T4_T5_T6_T7_T9_mT8_P12ihipStream_tbDpT10_ENKUlT_T0_E_clISt17integral_constantIbLb0EES17_EEDaS12_S13_EUlS12_E_NS1_11comp_targetILNS1_3genE10ELNS1_11target_archE1200ELNS1_3gpuE4ELNS1_3repE0EEENS1_30default_config_static_selectorELNS0_4arch9wavefront6targetE1EEEvT1_: ; @_ZN7rocprim17ROCPRIM_400000_NS6detail17trampoline_kernelINS0_14default_configENS1_25partition_config_selectorILNS1_17partition_subalgoE8EmNS0_10empty_typeEbEEZZNS1_14partition_implILS5_8ELb0ES3_jPKmPS6_PKS6_NS0_5tupleIJPmS6_EEENSE_IJSB_SB_EEENS0_18inequality_wrapperIN6hipcub16HIPCUB_304000_NS8EqualityEEEPlJS6_EEE10hipError_tPvRmT3_T4_T5_T6_T7_T9_mT8_P12ihipStream_tbDpT10_ENKUlT_T0_E_clISt17integral_constantIbLb0EES17_EEDaS12_S13_EUlS12_E_NS1_11comp_targetILNS1_3genE10ELNS1_11target_archE1200ELNS1_3gpuE4ELNS1_3repE0EEENS1_30default_config_static_selectorELNS0_4arch9wavefront6targetE1EEEvT1_
; %bb.0:
	.section	.rodata,"a",@progbits
	.p2align	6, 0x0
	.amdhsa_kernel _ZN7rocprim17ROCPRIM_400000_NS6detail17trampoline_kernelINS0_14default_configENS1_25partition_config_selectorILNS1_17partition_subalgoE8EmNS0_10empty_typeEbEEZZNS1_14partition_implILS5_8ELb0ES3_jPKmPS6_PKS6_NS0_5tupleIJPmS6_EEENSE_IJSB_SB_EEENS0_18inequality_wrapperIN6hipcub16HIPCUB_304000_NS8EqualityEEEPlJS6_EEE10hipError_tPvRmT3_T4_T5_T6_T7_T9_mT8_P12ihipStream_tbDpT10_ENKUlT_T0_E_clISt17integral_constantIbLb0EES17_EEDaS12_S13_EUlS12_E_NS1_11comp_targetILNS1_3genE10ELNS1_11target_archE1200ELNS1_3gpuE4ELNS1_3repE0EEENS1_30default_config_static_selectorELNS0_4arch9wavefront6targetE1EEEvT1_
		.amdhsa_group_segment_fixed_size 0
		.amdhsa_private_segment_fixed_size 0
		.amdhsa_kernarg_size 112
		.amdhsa_user_sgpr_count 2
		.amdhsa_user_sgpr_dispatch_ptr 0
		.amdhsa_user_sgpr_queue_ptr 0
		.amdhsa_user_sgpr_kernarg_segment_ptr 1
		.amdhsa_user_sgpr_dispatch_id 0
		.amdhsa_user_sgpr_kernarg_preload_length 0
		.amdhsa_user_sgpr_kernarg_preload_offset 0
		.amdhsa_user_sgpr_private_segment_size 0
		.amdhsa_uses_dynamic_stack 0
		.amdhsa_enable_private_segment 0
		.amdhsa_system_sgpr_workgroup_id_x 1
		.amdhsa_system_sgpr_workgroup_id_y 0
		.amdhsa_system_sgpr_workgroup_id_z 0
		.amdhsa_system_sgpr_workgroup_info 0
		.amdhsa_system_vgpr_workitem_id 0
		.amdhsa_next_free_vgpr 1
		.amdhsa_next_free_sgpr 0
		.amdhsa_accum_offset 4
		.amdhsa_reserve_vcc 0
		.amdhsa_float_round_mode_32 0
		.amdhsa_float_round_mode_16_64 0
		.amdhsa_float_denorm_mode_32 3
		.amdhsa_float_denorm_mode_16_64 3
		.amdhsa_dx10_clamp 1
		.amdhsa_ieee_mode 1
		.amdhsa_fp16_overflow 0
		.amdhsa_tg_split 0
		.amdhsa_exception_fp_ieee_invalid_op 0
		.amdhsa_exception_fp_denorm_src 0
		.amdhsa_exception_fp_ieee_div_zero 0
		.amdhsa_exception_fp_ieee_overflow 0
		.amdhsa_exception_fp_ieee_underflow 0
		.amdhsa_exception_fp_ieee_inexact 0
		.amdhsa_exception_int_div_zero 0
	.end_amdhsa_kernel
	.section	.text._ZN7rocprim17ROCPRIM_400000_NS6detail17trampoline_kernelINS0_14default_configENS1_25partition_config_selectorILNS1_17partition_subalgoE8EmNS0_10empty_typeEbEEZZNS1_14partition_implILS5_8ELb0ES3_jPKmPS6_PKS6_NS0_5tupleIJPmS6_EEENSE_IJSB_SB_EEENS0_18inequality_wrapperIN6hipcub16HIPCUB_304000_NS8EqualityEEEPlJS6_EEE10hipError_tPvRmT3_T4_T5_T6_T7_T9_mT8_P12ihipStream_tbDpT10_ENKUlT_T0_E_clISt17integral_constantIbLb0EES17_EEDaS12_S13_EUlS12_E_NS1_11comp_targetILNS1_3genE10ELNS1_11target_archE1200ELNS1_3gpuE4ELNS1_3repE0EEENS1_30default_config_static_selectorELNS0_4arch9wavefront6targetE1EEEvT1_,"axG",@progbits,_ZN7rocprim17ROCPRIM_400000_NS6detail17trampoline_kernelINS0_14default_configENS1_25partition_config_selectorILNS1_17partition_subalgoE8EmNS0_10empty_typeEbEEZZNS1_14partition_implILS5_8ELb0ES3_jPKmPS6_PKS6_NS0_5tupleIJPmS6_EEENSE_IJSB_SB_EEENS0_18inequality_wrapperIN6hipcub16HIPCUB_304000_NS8EqualityEEEPlJS6_EEE10hipError_tPvRmT3_T4_T5_T6_T7_T9_mT8_P12ihipStream_tbDpT10_ENKUlT_T0_E_clISt17integral_constantIbLb0EES17_EEDaS12_S13_EUlS12_E_NS1_11comp_targetILNS1_3genE10ELNS1_11target_archE1200ELNS1_3gpuE4ELNS1_3repE0EEENS1_30default_config_static_selectorELNS0_4arch9wavefront6targetE1EEEvT1_,comdat
.Lfunc_end691:
	.size	_ZN7rocprim17ROCPRIM_400000_NS6detail17trampoline_kernelINS0_14default_configENS1_25partition_config_selectorILNS1_17partition_subalgoE8EmNS0_10empty_typeEbEEZZNS1_14partition_implILS5_8ELb0ES3_jPKmPS6_PKS6_NS0_5tupleIJPmS6_EEENSE_IJSB_SB_EEENS0_18inequality_wrapperIN6hipcub16HIPCUB_304000_NS8EqualityEEEPlJS6_EEE10hipError_tPvRmT3_T4_T5_T6_T7_T9_mT8_P12ihipStream_tbDpT10_ENKUlT_T0_E_clISt17integral_constantIbLb0EES17_EEDaS12_S13_EUlS12_E_NS1_11comp_targetILNS1_3genE10ELNS1_11target_archE1200ELNS1_3gpuE4ELNS1_3repE0EEENS1_30default_config_static_selectorELNS0_4arch9wavefront6targetE1EEEvT1_, .Lfunc_end691-_ZN7rocprim17ROCPRIM_400000_NS6detail17trampoline_kernelINS0_14default_configENS1_25partition_config_selectorILNS1_17partition_subalgoE8EmNS0_10empty_typeEbEEZZNS1_14partition_implILS5_8ELb0ES3_jPKmPS6_PKS6_NS0_5tupleIJPmS6_EEENSE_IJSB_SB_EEENS0_18inequality_wrapperIN6hipcub16HIPCUB_304000_NS8EqualityEEEPlJS6_EEE10hipError_tPvRmT3_T4_T5_T6_T7_T9_mT8_P12ihipStream_tbDpT10_ENKUlT_T0_E_clISt17integral_constantIbLb0EES17_EEDaS12_S13_EUlS12_E_NS1_11comp_targetILNS1_3genE10ELNS1_11target_archE1200ELNS1_3gpuE4ELNS1_3repE0EEENS1_30default_config_static_selectorELNS0_4arch9wavefront6targetE1EEEvT1_
                                        ; -- End function
	.section	.AMDGPU.csdata,"",@progbits
; Kernel info:
; codeLenInByte = 0
; NumSgprs: 6
; NumVgprs: 0
; NumAgprs: 0
; TotalNumVgprs: 0
; ScratchSize: 0
; MemoryBound: 0
; FloatMode: 240
; IeeeMode: 1
; LDSByteSize: 0 bytes/workgroup (compile time only)
; SGPRBlocks: 0
; VGPRBlocks: 0
; NumSGPRsForWavesPerEU: 6
; NumVGPRsForWavesPerEU: 1
; AccumOffset: 4
; Occupancy: 8
; WaveLimiterHint : 0
; COMPUTE_PGM_RSRC2:SCRATCH_EN: 0
; COMPUTE_PGM_RSRC2:USER_SGPR: 2
; COMPUTE_PGM_RSRC2:TRAP_HANDLER: 0
; COMPUTE_PGM_RSRC2:TGID_X_EN: 1
; COMPUTE_PGM_RSRC2:TGID_Y_EN: 0
; COMPUTE_PGM_RSRC2:TGID_Z_EN: 0
; COMPUTE_PGM_RSRC2:TIDIG_COMP_CNT: 0
; COMPUTE_PGM_RSRC3_GFX90A:ACCUM_OFFSET: 0
; COMPUTE_PGM_RSRC3_GFX90A:TG_SPLIT: 0
	.section	.text._ZN7rocprim17ROCPRIM_400000_NS6detail17trampoline_kernelINS0_14default_configENS1_25partition_config_selectorILNS1_17partition_subalgoE8EmNS0_10empty_typeEbEEZZNS1_14partition_implILS5_8ELb0ES3_jPKmPS6_PKS6_NS0_5tupleIJPmS6_EEENSE_IJSB_SB_EEENS0_18inequality_wrapperIN6hipcub16HIPCUB_304000_NS8EqualityEEEPlJS6_EEE10hipError_tPvRmT3_T4_T5_T6_T7_T9_mT8_P12ihipStream_tbDpT10_ENKUlT_T0_E_clISt17integral_constantIbLb0EES17_EEDaS12_S13_EUlS12_E_NS1_11comp_targetILNS1_3genE9ELNS1_11target_archE1100ELNS1_3gpuE3ELNS1_3repE0EEENS1_30default_config_static_selectorELNS0_4arch9wavefront6targetE1EEEvT1_,"axG",@progbits,_ZN7rocprim17ROCPRIM_400000_NS6detail17trampoline_kernelINS0_14default_configENS1_25partition_config_selectorILNS1_17partition_subalgoE8EmNS0_10empty_typeEbEEZZNS1_14partition_implILS5_8ELb0ES3_jPKmPS6_PKS6_NS0_5tupleIJPmS6_EEENSE_IJSB_SB_EEENS0_18inequality_wrapperIN6hipcub16HIPCUB_304000_NS8EqualityEEEPlJS6_EEE10hipError_tPvRmT3_T4_T5_T6_T7_T9_mT8_P12ihipStream_tbDpT10_ENKUlT_T0_E_clISt17integral_constantIbLb0EES17_EEDaS12_S13_EUlS12_E_NS1_11comp_targetILNS1_3genE9ELNS1_11target_archE1100ELNS1_3gpuE3ELNS1_3repE0EEENS1_30default_config_static_selectorELNS0_4arch9wavefront6targetE1EEEvT1_,comdat
	.protected	_ZN7rocprim17ROCPRIM_400000_NS6detail17trampoline_kernelINS0_14default_configENS1_25partition_config_selectorILNS1_17partition_subalgoE8EmNS0_10empty_typeEbEEZZNS1_14partition_implILS5_8ELb0ES3_jPKmPS6_PKS6_NS0_5tupleIJPmS6_EEENSE_IJSB_SB_EEENS0_18inequality_wrapperIN6hipcub16HIPCUB_304000_NS8EqualityEEEPlJS6_EEE10hipError_tPvRmT3_T4_T5_T6_T7_T9_mT8_P12ihipStream_tbDpT10_ENKUlT_T0_E_clISt17integral_constantIbLb0EES17_EEDaS12_S13_EUlS12_E_NS1_11comp_targetILNS1_3genE9ELNS1_11target_archE1100ELNS1_3gpuE3ELNS1_3repE0EEENS1_30default_config_static_selectorELNS0_4arch9wavefront6targetE1EEEvT1_ ; -- Begin function _ZN7rocprim17ROCPRIM_400000_NS6detail17trampoline_kernelINS0_14default_configENS1_25partition_config_selectorILNS1_17partition_subalgoE8EmNS0_10empty_typeEbEEZZNS1_14partition_implILS5_8ELb0ES3_jPKmPS6_PKS6_NS0_5tupleIJPmS6_EEENSE_IJSB_SB_EEENS0_18inequality_wrapperIN6hipcub16HIPCUB_304000_NS8EqualityEEEPlJS6_EEE10hipError_tPvRmT3_T4_T5_T6_T7_T9_mT8_P12ihipStream_tbDpT10_ENKUlT_T0_E_clISt17integral_constantIbLb0EES17_EEDaS12_S13_EUlS12_E_NS1_11comp_targetILNS1_3genE9ELNS1_11target_archE1100ELNS1_3gpuE3ELNS1_3repE0EEENS1_30default_config_static_selectorELNS0_4arch9wavefront6targetE1EEEvT1_
	.globl	_ZN7rocprim17ROCPRIM_400000_NS6detail17trampoline_kernelINS0_14default_configENS1_25partition_config_selectorILNS1_17partition_subalgoE8EmNS0_10empty_typeEbEEZZNS1_14partition_implILS5_8ELb0ES3_jPKmPS6_PKS6_NS0_5tupleIJPmS6_EEENSE_IJSB_SB_EEENS0_18inequality_wrapperIN6hipcub16HIPCUB_304000_NS8EqualityEEEPlJS6_EEE10hipError_tPvRmT3_T4_T5_T6_T7_T9_mT8_P12ihipStream_tbDpT10_ENKUlT_T0_E_clISt17integral_constantIbLb0EES17_EEDaS12_S13_EUlS12_E_NS1_11comp_targetILNS1_3genE9ELNS1_11target_archE1100ELNS1_3gpuE3ELNS1_3repE0EEENS1_30default_config_static_selectorELNS0_4arch9wavefront6targetE1EEEvT1_
	.p2align	8
	.type	_ZN7rocprim17ROCPRIM_400000_NS6detail17trampoline_kernelINS0_14default_configENS1_25partition_config_selectorILNS1_17partition_subalgoE8EmNS0_10empty_typeEbEEZZNS1_14partition_implILS5_8ELb0ES3_jPKmPS6_PKS6_NS0_5tupleIJPmS6_EEENSE_IJSB_SB_EEENS0_18inequality_wrapperIN6hipcub16HIPCUB_304000_NS8EqualityEEEPlJS6_EEE10hipError_tPvRmT3_T4_T5_T6_T7_T9_mT8_P12ihipStream_tbDpT10_ENKUlT_T0_E_clISt17integral_constantIbLb0EES17_EEDaS12_S13_EUlS12_E_NS1_11comp_targetILNS1_3genE9ELNS1_11target_archE1100ELNS1_3gpuE3ELNS1_3repE0EEENS1_30default_config_static_selectorELNS0_4arch9wavefront6targetE1EEEvT1_,@function
_ZN7rocprim17ROCPRIM_400000_NS6detail17trampoline_kernelINS0_14default_configENS1_25partition_config_selectorILNS1_17partition_subalgoE8EmNS0_10empty_typeEbEEZZNS1_14partition_implILS5_8ELb0ES3_jPKmPS6_PKS6_NS0_5tupleIJPmS6_EEENSE_IJSB_SB_EEENS0_18inequality_wrapperIN6hipcub16HIPCUB_304000_NS8EqualityEEEPlJS6_EEE10hipError_tPvRmT3_T4_T5_T6_T7_T9_mT8_P12ihipStream_tbDpT10_ENKUlT_T0_E_clISt17integral_constantIbLb0EES17_EEDaS12_S13_EUlS12_E_NS1_11comp_targetILNS1_3genE9ELNS1_11target_archE1100ELNS1_3gpuE3ELNS1_3repE0EEENS1_30default_config_static_selectorELNS0_4arch9wavefront6targetE1EEEvT1_: ; @_ZN7rocprim17ROCPRIM_400000_NS6detail17trampoline_kernelINS0_14default_configENS1_25partition_config_selectorILNS1_17partition_subalgoE8EmNS0_10empty_typeEbEEZZNS1_14partition_implILS5_8ELb0ES3_jPKmPS6_PKS6_NS0_5tupleIJPmS6_EEENSE_IJSB_SB_EEENS0_18inequality_wrapperIN6hipcub16HIPCUB_304000_NS8EqualityEEEPlJS6_EEE10hipError_tPvRmT3_T4_T5_T6_T7_T9_mT8_P12ihipStream_tbDpT10_ENKUlT_T0_E_clISt17integral_constantIbLb0EES17_EEDaS12_S13_EUlS12_E_NS1_11comp_targetILNS1_3genE9ELNS1_11target_archE1100ELNS1_3gpuE3ELNS1_3repE0EEENS1_30default_config_static_selectorELNS0_4arch9wavefront6targetE1EEEvT1_
; %bb.0:
	.section	.rodata,"a",@progbits
	.p2align	6, 0x0
	.amdhsa_kernel _ZN7rocprim17ROCPRIM_400000_NS6detail17trampoline_kernelINS0_14default_configENS1_25partition_config_selectorILNS1_17partition_subalgoE8EmNS0_10empty_typeEbEEZZNS1_14partition_implILS5_8ELb0ES3_jPKmPS6_PKS6_NS0_5tupleIJPmS6_EEENSE_IJSB_SB_EEENS0_18inequality_wrapperIN6hipcub16HIPCUB_304000_NS8EqualityEEEPlJS6_EEE10hipError_tPvRmT3_T4_T5_T6_T7_T9_mT8_P12ihipStream_tbDpT10_ENKUlT_T0_E_clISt17integral_constantIbLb0EES17_EEDaS12_S13_EUlS12_E_NS1_11comp_targetILNS1_3genE9ELNS1_11target_archE1100ELNS1_3gpuE3ELNS1_3repE0EEENS1_30default_config_static_selectorELNS0_4arch9wavefront6targetE1EEEvT1_
		.amdhsa_group_segment_fixed_size 0
		.amdhsa_private_segment_fixed_size 0
		.amdhsa_kernarg_size 112
		.amdhsa_user_sgpr_count 2
		.amdhsa_user_sgpr_dispatch_ptr 0
		.amdhsa_user_sgpr_queue_ptr 0
		.amdhsa_user_sgpr_kernarg_segment_ptr 1
		.amdhsa_user_sgpr_dispatch_id 0
		.amdhsa_user_sgpr_kernarg_preload_length 0
		.amdhsa_user_sgpr_kernarg_preload_offset 0
		.amdhsa_user_sgpr_private_segment_size 0
		.amdhsa_uses_dynamic_stack 0
		.amdhsa_enable_private_segment 0
		.amdhsa_system_sgpr_workgroup_id_x 1
		.amdhsa_system_sgpr_workgroup_id_y 0
		.amdhsa_system_sgpr_workgroup_id_z 0
		.amdhsa_system_sgpr_workgroup_info 0
		.amdhsa_system_vgpr_workitem_id 0
		.amdhsa_next_free_vgpr 1
		.amdhsa_next_free_sgpr 0
		.amdhsa_accum_offset 4
		.amdhsa_reserve_vcc 0
		.amdhsa_float_round_mode_32 0
		.amdhsa_float_round_mode_16_64 0
		.amdhsa_float_denorm_mode_32 3
		.amdhsa_float_denorm_mode_16_64 3
		.amdhsa_dx10_clamp 1
		.amdhsa_ieee_mode 1
		.amdhsa_fp16_overflow 0
		.amdhsa_tg_split 0
		.amdhsa_exception_fp_ieee_invalid_op 0
		.amdhsa_exception_fp_denorm_src 0
		.amdhsa_exception_fp_ieee_div_zero 0
		.amdhsa_exception_fp_ieee_overflow 0
		.amdhsa_exception_fp_ieee_underflow 0
		.amdhsa_exception_fp_ieee_inexact 0
		.amdhsa_exception_int_div_zero 0
	.end_amdhsa_kernel
	.section	.text._ZN7rocprim17ROCPRIM_400000_NS6detail17trampoline_kernelINS0_14default_configENS1_25partition_config_selectorILNS1_17partition_subalgoE8EmNS0_10empty_typeEbEEZZNS1_14partition_implILS5_8ELb0ES3_jPKmPS6_PKS6_NS0_5tupleIJPmS6_EEENSE_IJSB_SB_EEENS0_18inequality_wrapperIN6hipcub16HIPCUB_304000_NS8EqualityEEEPlJS6_EEE10hipError_tPvRmT3_T4_T5_T6_T7_T9_mT8_P12ihipStream_tbDpT10_ENKUlT_T0_E_clISt17integral_constantIbLb0EES17_EEDaS12_S13_EUlS12_E_NS1_11comp_targetILNS1_3genE9ELNS1_11target_archE1100ELNS1_3gpuE3ELNS1_3repE0EEENS1_30default_config_static_selectorELNS0_4arch9wavefront6targetE1EEEvT1_,"axG",@progbits,_ZN7rocprim17ROCPRIM_400000_NS6detail17trampoline_kernelINS0_14default_configENS1_25partition_config_selectorILNS1_17partition_subalgoE8EmNS0_10empty_typeEbEEZZNS1_14partition_implILS5_8ELb0ES3_jPKmPS6_PKS6_NS0_5tupleIJPmS6_EEENSE_IJSB_SB_EEENS0_18inequality_wrapperIN6hipcub16HIPCUB_304000_NS8EqualityEEEPlJS6_EEE10hipError_tPvRmT3_T4_T5_T6_T7_T9_mT8_P12ihipStream_tbDpT10_ENKUlT_T0_E_clISt17integral_constantIbLb0EES17_EEDaS12_S13_EUlS12_E_NS1_11comp_targetILNS1_3genE9ELNS1_11target_archE1100ELNS1_3gpuE3ELNS1_3repE0EEENS1_30default_config_static_selectorELNS0_4arch9wavefront6targetE1EEEvT1_,comdat
.Lfunc_end692:
	.size	_ZN7rocprim17ROCPRIM_400000_NS6detail17trampoline_kernelINS0_14default_configENS1_25partition_config_selectorILNS1_17partition_subalgoE8EmNS0_10empty_typeEbEEZZNS1_14partition_implILS5_8ELb0ES3_jPKmPS6_PKS6_NS0_5tupleIJPmS6_EEENSE_IJSB_SB_EEENS0_18inequality_wrapperIN6hipcub16HIPCUB_304000_NS8EqualityEEEPlJS6_EEE10hipError_tPvRmT3_T4_T5_T6_T7_T9_mT8_P12ihipStream_tbDpT10_ENKUlT_T0_E_clISt17integral_constantIbLb0EES17_EEDaS12_S13_EUlS12_E_NS1_11comp_targetILNS1_3genE9ELNS1_11target_archE1100ELNS1_3gpuE3ELNS1_3repE0EEENS1_30default_config_static_selectorELNS0_4arch9wavefront6targetE1EEEvT1_, .Lfunc_end692-_ZN7rocprim17ROCPRIM_400000_NS6detail17trampoline_kernelINS0_14default_configENS1_25partition_config_selectorILNS1_17partition_subalgoE8EmNS0_10empty_typeEbEEZZNS1_14partition_implILS5_8ELb0ES3_jPKmPS6_PKS6_NS0_5tupleIJPmS6_EEENSE_IJSB_SB_EEENS0_18inequality_wrapperIN6hipcub16HIPCUB_304000_NS8EqualityEEEPlJS6_EEE10hipError_tPvRmT3_T4_T5_T6_T7_T9_mT8_P12ihipStream_tbDpT10_ENKUlT_T0_E_clISt17integral_constantIbLb0EES17_EEDaS12_S13_EUlS12_E_NS1_11comp_targetILNS1_3genE9ELNS1_11target_archE1100ELNS1_3gpuE3ELNS1_3repE0EEENS1_30default_config_static_selectorELNS0_4arch9wavefront6targetE1EEEvT1_
                                        ; -- End function
	.section	.AMDGPU.csdata,"",@progbits
; Kernel info:
; codeLenInByte = 0
; NumSgprs: 6
; NumVgprs: 0
; NumAgprs: 0
; TotalNumVgprs: 0
; ScratchSize: 0
; MemoryBound: 0
; FloatMode: 240
; IeeeMode: 1
; LDSByteSize: 0 bytes/workgroup (compile time only)
; SGPRBlocks: 0
; VGPRBlocks: 0
; NumSGPRsForWavesPerEU: 6
; NumVGPRsForWavesPerEU: 1
; AccumOffset: 4
; Occupancy: 8
; WaveLimiterHint : 0
; COMPUTE_PGM_RSRC2:SCRATCH_EN: 0
; COMPUTE_PGM_RSRC2:USER_SGPR: 2
; COMPUTE_PGM_RSRC2:TRAP_HANDLER: 0
; COMPUTE_PGM_RSRC2:TGID_X_EN: 1
; COMPUTE_PGM_RSRC2:TGID_Y_EN: 0
; COMPUTE_PGM_RSRC2:TGID_Z_EN: 0
; COMPUTE_PGM_RSRC2:TIDIG_COMP_CNT: 0
; COMPUTE_PGM_RSRC3_GFX90A:ACCUM_OFFSET: 0
; COMPUTE_PGM_RSRC3_GFX90A:TG_SPLIT: 0
	.section	.text._ZN7rocprim17ROCPRIM_400000_NS6detail17trampoline_kernelINS0_14default_configENS1_25partition_config_selectorILNS1_17partition_subalgoE8EmNS0_10empty_typeEbEEZZNS1_14partition_implILS5_8ELb0ES3_jPKmPS6_PKS6_NS0_5tupleIJPmS6_EEENSE_IJSB_SB_EEENS0_18inequality_wrapperIN6hipcub16HIPCUB_304000_NS8EqualityEEEPlJS6_EEE10hipError_tPvRmT3_T4_T5_T6_T7_T9_mT8_P12ihipStream_tbDpT10_ENKUlT_T0_E_clISt17integral_constantIbLb0EES17_EEDaS12_S13_EUlS12_E_NS1_11comp_targetILNS1_3genE8ELNS1_11target_archE1030ELNS1_3gpuE2ELNS1_3repE0EEENS1_30default_config_static_selectorELNS0_4arch9wavefront6targetE1EEEvT1_,"axG",@progbits,_ZN7rocprim17ROCPRIM_400000_NS6detail17trampoline_kernelINS0_14default_configENS1_25partition_config_selectorILNS1_17partition_subalgoE8EmNS0_10empty_typeEbEEZZNS1_14partition_implILS5_8ELb0ES3_jPKmPS6_PKS6_NS0_5tupleIJPmS6_EEENSE_IJSB_SB_EEENS0_18inequality_wrapperIN6hipcub16HIPCUB_304000_NS8EqualityEEEPlJS6_EEE10hipError_tPvRmT3_T4_T5_T6_T7_T9_mT8_P12ihipStream_tbDpT10_ENKUlT_T0_E_clISt17integral_constantIbLb0EES17_EEDaS12_S13_EUlS12_E_NS1_11comp_targetILNS1_3genE8ELNS1_11target_archE1030ELNS1_3gpuE2ELNS1_3repE0EEENS1_30default_config_static_selectorELNS0_4arch9wavefront6targetE1EEEvT1_,comdat
	.protected	_ZN7rocprim17ROCPRIM_400000_NS6detail17trampoline_kernelINS0_14default_configENS1_25partition_config_selectorILNS1_17partition_subalgoE8EmNS0_10empty_typeEbEEZZNS1_14partition_implILS5_8ELb0ES3_jPKmPS6_PKS6_NS0_5tupleIJPmS6_EEENSE_IJSB_SB_EEENS0_18inequality_wrapperIN6hipcub16HIPCUB_304000_NS8EqualityEEEPlJS6_EEE10hipError_tPvRmT3_T4_T5_T6_T7_T9_mT8_P12ihipStream_tbDpT10_ENKUlT_T0_E_clISt17integral_constantIbLb0EES17_EEDaS12_S13_EUlS12_E_NS1_11comp_targetILNS1_3genE8ELNS1_11target_archE1030ELNS1_3gpuE2ELNS1_3repE0EEENS1_30default_config_static_selectorELNS0_4arch9wavefront6targetE1EEEvT1_ ; -- Begin function _ZN7rocprim17ROCPRIM_400000_NS6detail17trampoline_kernelINS0_14default_configENS1_25partition_config_selectorILNS1_17partition_subalgoE8EmNS0_10empty_typeEbEEZZNS1_14partition_implILS5_8ELb0ES3_jPKmPS6_PKS6_NS0_5tupleIJPmS6_EEENSE_IJSB_SB_EEENS0_18inequality_wrapperIN6hipcub16HIPCUB_304000_NS8EqualityEEEPlJS6_EEE10hipError_tPvRmT3_T4_T5_T6_T7_T9_mT8_P12ihipStream_tbDpT10_ENKUlT_T0_E_clISt17integral_constantIbLb0EES17_EEDaS12_S13_EUlS12_E_NS1_11comp_targetILNS1_3genE8ELNS1_11target_archE1030ELNS1_3gpuE2ELNS1_3repE0EEENS1_30default_config_static_selectorELNS0_4arch9wavefront6targetE1EEEvT1_
	.globl	_ZN7rocprim17ROCPRIM_400000_NS6detail17trampoline_kernelINS0_14default_configENS1_25partition_config_selectorILNS1_17partition_subalgoE8EmNS0_10empty_typeEbEEZZNS1_14partition_implILS5_8ELb0ES3_jPKmPS6_PKS6_NS0_5tupleIJPmS6_EEENSE_IJSB_SB_EEENS0_18inequality_wrapperIN6hipcub16HIPCUB_304000_NS8EqualityEEEPlJS6_EEE10hipError_tPvRmT3_T4_T5_T6_T7_T9_mT8_P12ihipStream_tbDpT10_ENKUlT_T0_E_clISt17integral_constantIbLb0EES17_EEDaS12_S13_EUlS12_E_NS1_11comp_targetILNS1_3genE8ELNS1_11target_archE1030ELNS1_3gpuE2ELNS1_3repE0EEENS1_30default_config_static_selectorELNS0_4arch9wavefront6targetE1EEEvT1_
	.p2align	8
	.type	_ZN7rocprim17ROCPRIM_400000_NS6detail17trampoline_kernelINS0_14default_configENS1_25partition_config_selectorILNS1_17partition_subalgoE8EmNS0_10empty_typeEbEEZZNS1_14partition_implILS5_8ELb0ES3_jPKmPS6_PKS6_NS0_5tupleIJPmS6_EEENSE_IJSB_SB_EEENS0_18inequality_wrapperIN6hipcub16HIPCUB_304000_NS8EqualityEEEPlJS6_EEE10hipError_tPvRmT3_T4_T5_T6_T7_T9_mT8_P12ihipStream_tbDpT10_ENKUlT_T0_E_clISt17integral_constantIbLb0EES17_EEDaS12_S13_EUlS12_E_NS1_11comp_targetILNS1_3genE8ELNS1_11target_archE1030ELNS1_3gpuE2ELNS1_3repE0EEENS1_30default_config_static_selectorELNS0_4arch9wavefront6targetE1EEEvT1_,@function
_ZN7rocprim17ROCPRIM_400000_NS6detail17trampoline_kernelINS0_14default_configENS1_25partition_config_selectorILNS1_17partition_subalgoE8EmNS0_10empty_typeEbEEZZNS1_14partition_implILS5_8ELb0ES3_jPKmPS6_PKS6_NS0_5tupleIJPmS6_EEENSE_IJSB_SB_EEENS0_18inequality_wrapperIN6hipcub16HIPCUB_304000_NS8EqualityEEEPlJS6_EEE10hipError_tPvRmT3_T4_T5_T6_T7_T9_mT8_P12ihipStream_tbDpT10_ENKUlT_T0_E_clISt17integral_constantIbLb0EES17_EEDaS12_S13_EUlS12_E_NS1_11comp_targetILNS1_3genE8ELNS1_11target_archE1030ELNS1_3gpuE2ELNS1_3repE0EEENS1_30default_config_static_selectorELNS0_4arch9wavefront6targetE1EEEvT1_: ; @_ZN7rocprim17ROCPRIM_400000_NS6detail17trampoline_kernelINS0_14default_configENS1_25partition_config_selectorILNS1_17partition_subalgoE8EmNS0_10empty_typeEbEEZZNS1_14partition_implILS5_8ELb0ES3_jPKmPS6_PKS6_NS0_5tupleIJPmS6_EEENSE_IJSB_SB_EEENS0_18inequality_wrapperIN6hipcub16HIPCUB_304000_NS8EqualityEEEPlJS6_EEE10hipError_tPvRmT3_T4_T5_T6_T7_T9_mT8_P12ihipStream_tbDpT10_ENKUlT_T0_E_clISt17integral_constantIbLb0EES17_EEDaS12_S13_EUlS12_E_NS1_11comp_targetILNS1_3genE8ELNS1_11target_archE1030ELNS1_3gpuE2ELNS1_3repE0EEENS1_30default_config_static_selectorELNS0_4arch9wavefront6targetE1EEEvT1_
; %bb.0:
	.section	.rodata,"a",@progbits
	.p2align	6, 0x0
	.amdhsa_kernel _ZN7rocprim17ROCPRIM_400000_NS6detail17trampoline_kernelINS0_14default_configENS1_25partition_config_selectorILNS1_17partition_subalgoE8EmNS0_10empty_typeEbEEZZNS1_14partition_implILS5_8ELb0ES3_jPKmPS6_PKS6_NS0_5tupleIJPmS6_EEENSE_IJSB_SB_EEENS0_18inequality_wrapperIN6hipcub16HIPCUB_304000_NS8EqualityEEEPlJS6_EEE10hipError_tPvRmT3_T4_T5_T6_T7_T9_mT8_P12ihipStream_tbDpT10_ENKUlT_T0_E_clISt17integral_constantIbLb0EES17_EEDaS12_S13_EUlS12_E_NS1_11comp_targetILNS1_3genE8ELNS1_11target_archE1030ELNS1_3gpuE2ELNS1_3repE0EEENS1_30default_config_static_selectorELNS0_4arch9wavefront6targetE1EEEvT1_
		.amdhsa_group_segment_fixed_size 0
		.amdhsa_private_segment_fixed_size 0
		.amdhsa_kernarg_size 112
		.amdhsa_user_sgpr_count 2
		.amdhsa_user_sgpr_dispatch_ptr 0
		.amdhsa_user_sgpr_queue_ptr 0
		.amdhsa_user_sgpr_kernarg_segment_ptr 1
		.amdhsa_user_sgpr_dispatch_id 0
		.amdhsa_user_sgpr_kernarg_preload_length 0
		.amdhsa_user_sgpr_kernarg_preload_offset 0
		.amdhsa_user_sgpr_private_segment_size 0
		.amdhsa_uses_dynamic_stack 0
		.amdhsa_enable_private_segment 0
		.amdhsa_system_sgpr_workgroup_id_x 1
		.amdhsa_system_sgpr_workgroup_id_y 0
		.amdhsa_system_sgpr_workgroup_id_z 0
		.amdhsa_system_sgpr_workgroup_info 0
		.amdhsa_system_vgpr_workitem_id 0
		.amdhsa_next_free_vgpr 1
		.amdhsa_next_free_sgpr 0
		.amdhsa_accum_offset 4
		.amdhsa_reserve_vcc 0
		.amdhsa_float_round_mode_32 0
		.amdhsa_float_round_mode_16_64 0
		.amdhsa_float_denorm_mode_32 3
		.amdhsa_float_denorm_mode_16_64 3
		.amdhsa_dx10_clamp 1
		.amdhsa_ieee_mode 1
		.amdhsa_fp16_overflow 0
		.amdhsa_tg_split 0
		.amdhsa_exception_fp_ieee_invalid_op 0
		.amdhsa_exception_fp_denorm_src 0
		.amdhsa_exception_fp_ieee_div_zero 0
		.amdhsa_exception_fp_ieee_overflow 0
		.amdhsa_exception_fp_ieee_underflow 0
		.amdhsa_exception_fp_ieee_inexact 0
		.amdhsa_exception_int_div_zero 0
	.end_amdhsa_kernel
	.section	.text._ZN7rocprim17ROCPRIM_400000_NS6detail17trampoline_kernelINS0_14default_configENS1_25partition_config_selectorILNS1_17partition_subalgoE8EmNS0_10empty_typeEbEEZZNS1_14partition_implILS5_8ELb0ES3_jPKmPS6_PKS6_NS0_5tupleIJPmS6_EEENSE_IJSB_SB_EEENS0_18inequality_wrapperIN6hipcub16HIPCUB_304000_NS8EqualityEEEPlJS6_EEE10hipError_tPvRmT3_T4_T5_T6_T7_T9_mT8_P12ihipStream_tbDpT10_ENKUlT_T0_E_clISt17integral_constantIbLb0EES17_EEDaS12_S13_EUlS12_E_NS1_11comp_targetILNS1_3genE8ELNS1_11target_archE1030ELNS1_3gpuE2ELNS1_3repE0EEENS1_30default_config_static_selectorELNS0_4arch9wavefront6targetE1EEEvT1_,"axG",@progbits,_ZN7rocprim17ROCPRIM_400000_NS6detail17trampoline_kernelINS0_14default_configENS1_25partition_config_selectorILNS1_17partition_subalgoE8EmNS0_10empty_typeEbEEZZNS1_14partition_implILS5_8ELb0ES3_jPKmPS6_PKS6_NS0_5tupleIJPmS6_EEENSE_IJSB_SB_EEENS0_18inequality_wrapperIN6hipcub16HIPCUB_304000_NS8EqualityEEEPlJS6_EEE10hipError_tPvRmT3_T4_T5_T6_T7_T9_mT8_P12ihipStream_tbDpT10_ENKUlT_T0_E_clISt17integral_constantIbLb0EES17_EEDaS12_S13_EUlS12_E_NS1_11comp_targetILNS1_3genE8ELNS1_11target_archE1030ELNS1_3gpuE2ELNS1_3repE0EEENS1_30default_config_static_selectorELNS0_4arch9wavefront6targetE1EEEvT1_,comdat
.Lfunc_end693:
	.size	_ZN7rocprim17ROCPRIM_400000_NS6detail17trampoline_kernelINS0_14default_configENS1_25partition_config_selectorILNS1_17partition_subalgoE8EmNS0_10empty_typeEbEEZZNS1_14partition_implILS5_8ELb0ES3_jPKmPS6_PKS6_NS0_5tupleIJPmS6_EEENSE_IJSB_SB_EEENS0_18inequality_wrapperIN6hipcub16HIPCUB_304000_NS8EqualityEEEPlJS6_EEE10hipError_tPvRmT3_T4_T5_T6_T7_T9_mT8_P12ihipStream_tbDpT10_ENKUlT_T0_E_clISt17integral_constantIbLb0EES17_EEDaS12_S13_EUlS12_E_NS1_11comp_targetILNS1_3genE8ELNS1_11target_archE1030ELNS1_3gpuE2ELNS1_3repE0EEENS1_30default_config_static_selectorELNS0_4arch9wavefront6targetE1EEEvT1_, .Lfunc_end693-_ZN7rocprim17ROCPRIM_400000_NS6detail17trampoline_kernelINS0_14default_configENS1_25partition_config_selectorILNS1_17partition_subalgoE8EmNS0_10empty_typeEbEEZZNS1_14partition_implILS5_8ELb0ES3_jPKmPS6_PKS6_NS0_5tupleIJPmS6_EEENSE_IJSB_SB_EEENS0_18inequality_wrapperIN6hipcub16HIPCUB_304000_NS8EqualityEEEPlJS6_EEE10hipError_tPvRmT3_T4_T5_T6_T7_T9_mT8_P12ihipStream_tbDpT10_ENKUlT_T0_E_clISt17integral_constantIbLb0EES17_EEDaS12_S13_EUlS12_E_NS1_11comp_targetILNS1_3genE8ELNS1_11target_archE1030ELNS1_3gpuE2ELNS1_3repE0EEENS1_30default_config_static_selectorELNS0_4arch9wavefront6targetE1EEEvT1_
                                        ; -- End function
	.section	.AMDGPU.csdata,"",@progbits
; Kernel info:
; codeLenInByte = 0
; NumSgprs: 6
; NumVgprs: 0
; NumAgprs: 0
; TotalNumVgprs: 0
; ScratchSize: 0
; MemoryBound: 0
; FloatMode: 240
; IeeeMode: 1
; LDSByteSize: 0 bytes/workgroup (compile time only)
; SGPRBlocks: 0
; VGPRBlocks: 0
; NumSGPRsForWavesPerEU: 6
; NumVGPRsForWavesPerEU: 1
; AccumOffset: 4
; Occupancy: 8
; WaveLimiterHint : 0
; COMPUTE_PGM_RSRC2:SCRATCH_EN: 0
; COMPUTE_PGM_RSRC2:USER_SGPR: 2
; COMPUTE_PGM_RSRC2:TRAP_HANDLER: 0
; COMPUTE_PGM_RSRC2:TGID_X_EN: 1
; COMPUTE_PGM_RSRC2:TGID_Y_EN: 0
; COMPUTE_PGM_RSRC2:TGID_Z_EN: 0
; COMPUTE_PGM_RSRC2:TIDIG_COMP_CNT: 0
; COMPUTE_PGM_RSRC3_GFX90A:ACCUM_OFFSET: 0
; COMPUTE_PGM_RSRC3_GFX90A:TG_SPLIT: 0
	.section	.text._ZN7rocprim17ROCPRIM_400000_NS6detail17trampoline_kernelINS0_14default_configENS1_25partition_config_selectorILNS1_17partition_subalgoE8EmNS0_10empty_typeEbEEZZNS1_14partition_implILS5_8ELb0ES3_jPKmPS6_PKS6_NS0_5tupleIJPmS6_EEENSE_IJSB_SB_EEENS0_18inequality_wrapperIN6hipcub16HIPCUB_304000_NS8EqualityEEEPlJS6_EEE10hipError_tPvRmT3_T4_T5_T6_T7_T9_mT8_P12ihipStream_tbDpT10_ENKUlT_T0_E_clISt17integral_constantIbLb1EES17_EEDaS12_S13_EUlS12_E_NS1_11comp_targetILNS1_3genE0ELNS1_11target_archE4294967295ELNS1_3gpuE0ELNS1_3repE0EEENS1_30default_config_static_selectorELNS0_4arch9wavefront6targetE1EEEvT1_,"axG",@progbits,_ZN7rocprim17ROCPRIM_400000_NS6detail17trampoline_kernelINS0_14default_configENS1_25partition_config_selectorILNS1_17partition_subalgoE8EmNS0_10empty_typeEbEEZZNS1_14partition_implILS5_8ELb0ES3_jPKmPS6_PKS6_NS0_5tupleIJPmS6_EEENSE_IJSB_SB_EEENS0_18inequality_wrapperIN6hipcub16HIPCUB_304000_NS8EqualityEEEPlJS6_EEE10hipError_tPvRmT3_T4_T5_T6_T7_T9_mT8_P12ihipStream_tbDpT10_ENKUlT_T0_E_clISt17integral_constantIbLb1EES17_EEDaS12_S13_EUlS12_E_NS1_11comp_targetILNS1_3genE0ELNS1_11target_archE4294967295ELNS1_3gpuE0ELNS1_3repE0EEENS1_30default_config_static_selectorELNS0_4arch9wavefront6targetE1EEEvT1_,comdat
	.protected	_ZN7rocprim17ROCPRIM_400000_NS6detail17trampoline_kernelINS0_14default_configENS1_25partition_config_selectorILNS1_17partition_subalgoE8EmNS0_10empty_typeEbEEZZNS1_14partition_implILS5_8ELb0ES3_jPKmPS6_PKS6_NS0_5tupleIJPmS6_EEENSE_IJSB_SB_EEENS0_18inequality_wrapperIN6hipcub16HIPCUB_304000_NS8EqualityEEEPlJS6_EEE10hipError_tPvRmT3_T4_T5_T6_T7_T9_mT8_P12ihipStream_tbDpT10_ENKUlT_T0_E_clISt17integral_constantIbLb1EES17_EEDaS12_S13_EUlS12_E_NS1_11comp_targetILNS1_3genE0ELNS1_11target_archE4294967295ELNS1_3gpuE0ELNS1_3repE0EEENS1_30default_config_static_selectorELNS0_4arch9wavefront6targetE1EEEvT1_ ; -- Begin function _ZN7rocprim17ROCPRIM_400000_NS6detail17trampoline_kernelINS0_14default_configENS1_25partition_config_selectorILNS1_17partition_subalgoE8EmNS0_10empty_typeEbEEZZNS1_14partition_implILS5_8ELb0ES3_jPKmPS6_PKS6_NS0_5tupleIJPmS6_EEENSE_IJSB_SB_EEENS0_18inequality_wrapperIN6hipcub16HIPCUB_304000_NS8EqualityEEEPlJS6_EEE10hipError_tPvRmT3_T4_T5_T6_T7_T9_mT8_P12ihipStream_tbDpT10_ENKUlT_T0_E_clISt17integral_constantIbLb1EES17_EEDaS12_S13_EUlS12_E_NS1_11comp_targetILNS1_3genE0ELNS1_11target_archE4294967295ELNS1_3gpuE0ELNS1_3repE0EEENS1_30default_config_static_selectorELNS0_4arch9wavefront6targetE1EEEvT1_
	.globl	_ZN7rocprim17ROCPRIM_400000_NS6detail17trampoline_kernelINS0_14default_configENS1_25partition_config_selectorILNS1_17partition_subalgoE8EmNS0_10empty_typeEbEEZZNS1_14partition_implILS5_8ELb0ES3_jPKmPS6_PKS6_NS0_5tupleIJPmS6_EEENSE_IJSB_SB_EEENS0_18inequality_wrapperIN6hipcub16HIPCUB_304000_NS8EqualityEEEPlJS6_EEE10hipError_tPvRmT3_T4_T5_T6_T7_T9_mT8_P12ihipStream_tbDpT10_ENKUlT_T0_E_clISt17integral_constantIbLb1EES17_EEDaS12_S13_EUlS12_E_NS1_11comp_targetILNS1_3genE0ELNS1_11target_archE4294967295ELNS1_3gpuE0ELNS1_3repE0EEENS1_30default_config_static_selectorELNS0_4arch9wavefront6targetE1EEEvT1_
	.p2align	8
	.type	_ZN7rocprim17ROCPRIM_400000_NS6detail17trampoline_kernelINS0_14default_configENS1_25partition_config_selectorILNS1_17partition_subalgoE8EmNS0_10empty_typeEbEEZZNS1_14partition_implILS5_8ELb0ES3_jPKmPS6_PKS6_NS0_5tupleIJPmS6_EEENSE_IJSB_SB_EEENS0_18inequality_wrapperIN6hipcub16HIPCUB_304000_NS8EqualityEEEPlJS6_EEE10hipError_tPvRmT3_T4_T5_T6_T7_T9_mT8_P12ihipStream_tbDpT10_ENKUlT_T0_E_clISt17integral_constantIbLb1EES17_EEDaS12_S13_EUlS12_E_NS1_11comp_targetILNS1_3genE0ELNS1_11target_archE4294967295ELNS1_3gpuE0ELNS1_3repE0EEENS1_30default_config_static_selectorELNS0_4arch9wavefront6targetE1EEEvT1_,@function
_ZN7rocprim17ROCPRIM_400000_NS6detail17trampoline_kernelINS0_14default_configENS1_25partition_config_selectorILNS1_17partition_subalgoE8EmNS0_10empty_typeEbEEZZNS1_14partition_implILS5_8ELb0ES3_jPKmPS6_PKS6_NS0_5tupleIJPmS6_EEENSE_IJSB_SB_EEENS0_18inequality_wrapperIN6hipcub16HIPCUB_304000_NS8EqualityEEEPlJS6_EEE10hipError_tPvRmT3_T4_T5_T6_T7_T9_mT8_P12ihipStream_tbDpT10_ENKUlT_T0_E_clISt17integral_constantIbLb1EES17_EEDaS12_S13_EUlS12_E_NS1_11comp_targetILNS1_3genE0ELNS1_11target_archE4294967295ELNS1_3gpuE0ELNS1_3repE0EEENS1_30default_config_static_selectorELNS0_4arch9wavefront6targetE1EEEvT1_: ; @_ZN7rocprim17ROCPRIM_400000_NS6detail17trampoline_kernelINS0_14default_configENS1_25partition_config_selectorILNS1_17partition_subalgoE8EmNS0_10empty_typeEbEEZZNS1_14partition_implILS5_8ELb0ES3_jPKmPS6_PKS6_NS0_5tupleIJPmS6_EEENSE_IJSB_SB_EEENS0_18inequality_wrapperIN6hipcub16HIPCUB_304000_NS8EqualityEEEPlJS6_EEE10hipError_tPvRmT3_T4_T5_T6_T7_T9_mT8_P12ihipStream_tbDpT10_ENKUlT_T0_E_clISt17integral_constantIbLb1EES17_EEDaS12_S13_EUlS12_E_NS1_11comp_targetILNS1_3genE0ELNS1_11target_archE4294967295ELNS1_3gpuE0ELNS1_3repE0EEENS1_30default_config_static_selectorELNS0_4arch9wavefront6targetE1EEEvT1_
; %bb.0:
	.section	.rodata,"a",@progbits
	.p2align	6, 0x0
	.amdhsa_kernel _ZN7rocprim17ROCPRIM_400000_NS6detail17trampoline_kernelINS0_14default_configENS1_25partition_config_selectorILNS1_17partition_subalgoE8EmNS0_10empty_typeEbEEZZNS1_14partition_implILS5_8ELb0ES3_jPKmPS6_PKS6_NS0_5tupleIJPmS6_EEENSE_IJSB_SB_EEENS0_18inequality_wrapperIN6hipcub16HIPCUB_304000_NS8EqualityEEEPlJS6_EEE10hipError_tPvRmT3_T4_T5_T6_T7_T9_mT8_P12ihipStream_tbDpT10_ENKUlT_T0_E_clISt17integral_constantIbLb1EES17_EEDaS12_S13_EUlS12_E_NS1_11comp_targetILNS1_3genE0ELNS1_11target_archE4294967295ELNS1_3gpuE0ELNS1_3repE0EEENS1_30default_config_static_selectorELNS0_4arch9wavefront6targetE1EEEvT1_
		.amdhsa_group_segment_fixed_size 0
		.amdhsa_private_segment_fixed_size 0
		.amdhsa_kernarg_size 128
		.amdhsa_user_sgpr_count 2
		.amdhsa_user_sgpr_dispatch_ptr 0
		.amdhsa_user_sgpr_queue_ptr 0
		.amdhsa_user_sgpr_kernarg_segment_ptr 1
		.amdhsa_user_sgpr_dispatch_id 0
		.amdhsa_user_sgpr_kernarg_preload_length 0
		.amdhsa_user_sgpr_kernarg_preload_offset 0
		.amdhsa_user_sgpr_private_segment_size 0
		.amdhsa_uses_dynamic_stack 0
		.amdhsa_enable_private_segment 0
		.amdhsa_system_sgpr_workgroup_id_x 1
		.amdhsa_system_sgpr_workgroup_id_y 0
		.amdhsa_system_sgpr_workgroup_id_z 0
		.amdhsa_system_sgpr_workgroup_info 0
		.amdhsa_system_vgpr_workitem_id 0
		.amdhsa_next_free_vgpr 1
		.amdhsa_next_free_sgpr 0
		.amdhsa_accum_offset 4
		.amdhsa_reserve_vcc 0
		.amdhsa_float_round_mode_32 0
		.amdhsa_float_round_mode_16_64 0
		.amdhsa_float_denorm_mode_32 3
		.amdhsa_float_denorm_mode_16_64 3
		.amdhsa_dx10_clamp 1
		.amdhsa_ieee_mode 1
		.amdhsa_fp16_overflow 0
		.amdhsa_tg_split 0
		.amdhsa_exception_fp_ieee_invalid_op 0
		.amdhsa_exception_fp_denorm_src 0
		.amdhsa_exception_fp_ieee_div_zero 0
		.amdhsa_exception_fp_ieee_overflow 0
		.amdhsa_exception_fp_ieee_underflow 0
		.amdhsa_exception_fp_ieee_inexact 0
		.amdhsa_exception_int_div_zero 0
	.end_amdhsa_kernel
	.section	.text._ZN7rocprim17ROCPRIM_400000_NS6detail17trampoline_kernelINS0_14default_configENS1_25partition_config_selectorILNS1_17partition_subalgoE8EmNS0_10empty_typeEbEEZZNS1_14partition_implILS5_8ELb0ES3_jPKmPS6_PKS6_NS0_5tupleIJPmS6_EEENSE_IJSB_SB_EEENS0_18inequality_wrapperIN6hipcub16HIPCUB_304000_NS8EqualityEEEPlJS6_EEE10hipError_tPvRmT3_T4_T5_T6_T7_T9_mT8_P12ihipStream_tbDpT10_ENKUlT_T0_E_clISt17integral_constantIbLb1EES17_EEDaS12_S13_EUlS12_E_NS1_11comp_targetILNS1_3genE0ELNS1_11target_archE4294967295ELNS1_3gpuE0ELNS1_3repE0EEENS1_30default_config_static_selectorELNS0_4arch9wavefront6targetE1EEEvT1_,"axG",@progbits,_ZN7rocprim17ROCPRIM_400000_NS6detail17trampoline_kernelINS0_14default_configENS1_25partition_config_selectorILNS1_17partition_subalgoE8EmNS0_10empty_typeEbEEZZNS1_14partition_implILS5_8ELb0ES3_jPKmPS6_PKS6_NS0_5tupleIJPmS6_EEENSE_IJSB_SB_EEENS0_18inequality_wrapperIN6hipcub16HIPCUB_304000_NS8EqualityEEEPlJS6_EEE10hipError_tPvRmT3_T4_T5_T6_T7_T9_mT8_P12ihipStream_tbDpT10_ENKUlT_T0_E_clISt17integral_constantIbLb1EES17_EEDaS12_S13_EUlS12_E_NS1_11comp_targetILNS1_3genE0ELNS1_11target_archE4294967295ELNS1_3gpuE0ELNS1_3repE0EEENS1_30default_config_static_selectorELNS0_4arch9wavefront6targetE1EEEvT1_,comdat
.Lfunc_end694:
	.size	_ZN7rocprim17ROCPRIM_400000_NS6detail17trampoline_kernelINS0_14default_configENS1_25partition_config_selectorILNS1_17partition_subalgoE8EmNS0_10empty_typeEbEEZZNS1_14partition_implILS5_8ELb0ES3_jPKmPS6_PKS6_NS0_5tupleIJPmS6_EEENSE_IJSB_SB_EEENS0_18inequality_wrapperIN6hipcub16HIPCUB_304000_NS8EqualityEEEPlJS6_EEE10hipError_tPvRmT3_T4_T5_T6_T7_T9_mT8_P12ihipStream_tbDpT10_ENKUlT_T0_E_clISt17integral_constantIbLb1EES17_EEDaS12_S13_EUlS12_E_NS1_11comp_targetILNS1_3genE0ELNS1_11target_archE4294967295ELNS1_3gpuE0ELNS1_3repE0EEENS1_30default_config_static_selectorELNS0_4arch9wavefront6targetE1EEEvT1_, .Lfunc_end694-_ZN7rocprim17ROCPRIM_400000_NS6detail17trampoline_kernelINS0_14default_configENS1_25partition_config_selectorILNS1_17partition_subalgoE8EmNS0_10empty_typeEbEEZZNS1_14partition_implILS5_8ELb0ES3_jPKmPS6_PKS6_NS0_5tupleIJPmS6_EEENSE_IJSB_SB_EEENS0_18inequality_wrapperIN6hipcub16HIPCUB_304000_NS8EqualityEEEPlJS6_EEE10hipError_tPvRmT3_T4_T5_T6_T7_T9_mT8_P12ihipStream_tbDpT10_ENKUlT_T0_E_clISt17integral_constantIbLb1EES17_EEDaS12_S13_EUlS12_E_NS1_11comp_targetILNS1_3genE0ELNS1_11target_archE4294967295ELNS1_3gpuE0ELNS1_3repE0EEENS1_30default_config_static_selectorELNS0_4arch9wavefront6targetE1EEEvT1_
                                        ; -- End function
	.section	.AMDGPU.csdata,"",@progbits
; Kernel info:
; codeLenInByte = 0
; NumSgprs: 6
; NumVgprs: 0
; NumAgprs: 0
; TotalNumVgprs: 0
; ScratchSize: 0
; MemoryBound: 0
; FloatMode: 240
; IeeeMode: 1
; LDSByteSize: 0 bytes/workgroup (compile time only)
; SGPRBlocks: 0
; VGPRBlocks: 0
; NumSGPRsForWavesPerEU: 6
; NumVGPRsForWavesPerEU: 1
; AccumOffset: 4
; Occupancy: 8
; WaveLimiterHint : 0
; COMPUTE_PGM_RSRC2:SCRATCH_EN: 0
; COMPUTE_PGM_RSRC2:USER_SGPR: 2
; COMPUTE_PGM_RSRC2:TRAP_HANDLER: 0
; COMPUTE_PGM_RSRC2:TGID_X_EN: 1
; COMPUTE_PGM_RSRC2:TGID_Y_EN: 0
; COMPUTE_PGM_RSRC2:TGID_Z_EN: 0
; COMPUTE_PGM_RSRC2:TIDIG_COMP_CNT: 0
; COMPUTE_PGM_RSRC3_GFX90A:ACCUM_OFFSET: 0
; COMPUTE_PGM_RSRC3_GFX90A:TG_SPLIT: 0
	.section	.text._ZN7rocprim17ROCPRIM_400000_NS6detail17trampoline_kernelINS0_14default_configENS1_25partition_config_selectorILNS1_17partition_subalgoE8EmNS0_10empty_typeEbEEZZNS1_14partition_implILS5_8ELb0ES3_jPKmPS6_PKS6_NS0_5tupleIJPmS6_EEENSE_IJSB_SB_EEENS0_18inequality_wrapperIN6hipcub16HIPCUB_304000_NS8EqualityEEEPlJS6_EEE10hipError_tPvRmT3_T4_T5_T6_T7_T9_mT8_P12ihipStream_tbDpT10_ENKUlT_T0_E_clISt17integral_constantIbLb1EES17_EEDaS12_S13_EUlS12_E_NS1_11comp_targetILNS1_3genE5ELNS1_11target_archE942ELNS1_3gpuE9ELNS1_3repE0EEENS1_30default_config_static_selectorELNS0_4arch9wavefront6targetE1EEEvT1_,"axG",@progbits,_ZN7rocprim17ROCPRIM_400000_NS6detail17trampoline_kernelINS0_14default_configENS1_25partition_config_selectorILNS1_17partition_subalgoE8EmNS0_10empty_typeEbEEZZNS1_14partition_implILS5_8ELb0ES3_jPKmPS6_PKS6_NS0_5tupleIJPmS6_EEENSE_IJSB_SB_EEENS0_18inequality_wrapperIN6hipcub16HIPCUB_304000_NS8EqualityEEEPlJS6_EEE10hipError_tPvRmT3_T4_T5_T6_T7_T9_mT8_P12ihipStream_tbDpT10_ENKUlT_T0_E_clISt17integral_constantIbLb1EES17_EEDaS12_S13_EUlS12_E_NS1_11comp_targetILNS1_3genE5ELNS1_11target_archE942ELNS1_3gpuE9ELNS1_3repE0EEENS1_30default_config_static_selectorELNS0_4arch9wavefront6targetE1EEEvT1_,comdat
	.protected	_ZN7rocprim17ROCPRIM_400000_NS6detail17trampoline_kernelINS0_14default_configENS1_25partition_config_selectorILNS1_17partition_subalgoE8EmNS0_10empty_typeEbEEZZNS1_14partition_implILS5_8ELb0ES3_jPKmPS6_PKS6_NS0_5tupleIJPmS6_EEENSE_IJSB_SB_EEENS0_18inequality_wrapperIN6hipcub16HIPCUB_304000_NS8EqualityEEEPlJS6_EEE10hipError_tPvRmT3_T4_T5_T6_T7_T9_mT8_P12ihipStream_tbDpT10_ENKUlT_T0_E_clISt17integral_constantIbLb1EES17_EEDaS12_S13_EUlS12_E_NS1_11comp_targetILNS1_3genE5ELNS1_11target_archE942ELNS1_3gpuE9ELNS1_3repE0EEENS1_30default_config_static_selectorELNS0_4arch9wavefront6targetE1EEEvT1_ ; -- Begin function _ZN7rocprim17ROCPRIM_400000_NS6detail17trampoline_kernelINS0_14default_configENS1_25partition_config_selectorILNS1_17partition_subalgoE8EmNS0_10empty_typeEbEEZZNS1_14partition_implILS5_8ELb0ES3_jPKmPS6_PKS6_NS0_5tupleIJPmS6_EEENSE_IJSB_SB_EEENS0_18inequality_wrapperIN6hipcub16HIPCUB_304000_NS8EqualityEEEPlJS6_EEE10hipError_tPvRmT3_T4_T5_T6_T7_T9_mT8_P12ihipStream_tbDpT10_ENKUlT_T0_E_clISt17integral_constantIbLb1EES17_EEDaS12_S13_EUlS12_E_NS1_11comp_targetILNS1_3genE5ELNS1_11target_archE942ELNS1_3gpuE9ELNS1_3repE0EEENS1_30default_config_static_selectorELNS0_4arch9wavefront6targetE1EEEvT1_
	.globl	_ZN7rocprim17ROCPRIM_400000_NS6detail17trampoline_kernelINS0_14default_configENS1_25partition_config_selectorILNS1_17partition_subalgoE8EmNS0_10empty_typeEbEEZZNS1_14partition_implILS5_8ELb0ES3_jPKmPS6_PKS6_NS0_5tupleIJPmS6_EEENSE_IJSB_SB_EEENS0_18inequality_wrapperIN6hipcub16HIPCUB_304000_NS8EqualityEEEPlJS6_EEE10hipError_tPvRmT3_T4_T5_T6_T7_T9_mT8_P12ihipStream_tbDpT10_ENKUlT_T0_E_clISt17integral_constantIbLb1EES17_EEDaS12_S13_EUlS12_E_NS1_11comp_targetILNS1_3genE5ELNS1_11target_archE942ELNS1_3gpuE9ELNS1_3repE0EEENS1_30default_config_static_selectorELNS0_4arch9wavefront6targetE1EEEvT1_
	.p2align	8
	.type	_ZN7rocprim17ROCPRIM_400000_NS6detail17trampoline_kernelINS0_14default_configENS1_25partition_config_selectorILNS1_17partition_subalgoE8EmNS0_10empty_typeEbEEZZNS1_14partition_implILS5_8ELb0ES3_jPKmPS6_PKS6_NS0_5tupleIJPmS6_EEENSE_IJSB_SB_EEENS0_18inequality_wrapperIN6hipcub16HIPCUB_304000_NS8EqualityEEEPlJS6_EEE10hipError_tPvRmT3_T4_T5_T6_T7_T9_mT8_P12ihipStream_tbDpT10_ENKUlT_T0_E_clISt17integral_constantIbLb1EES17_EEDaS12_S13_EUlS12_E_NS1_11comp_targetILNS1_3genE5ELNS1_11target_archE942ELNS1_3gpuE9ELNS1_3repE0EEENS1_30default_config_static_selectorELNS0_4arch9wavefront6targetE1EEEvT1_,@function
_ZN7rocprim17ROCPRIM_400000_NS6detail17trampoline_kernelINS0_14default_configENS1_25partition_config_selectorILNS1_17partition_subalgoE8EmNS0_10empty_typeEbEEZZNS1_14partition_implILS5_8ELb0ES3_jPKmPS6_PKS6_NS0_5tupleIJPmS6_EEENSE_IJSB_SB_EEENS0_18inequality_wrapperIN6hipcub16HIPCUB_304000_NS8EqualityEEEPlJS6_EEE10hipError_tPvRmT3_T4_T5_T6_T7_T9_mT8_P12ihipStream_tbDpT10_ENKUlT_T0_E_clISt17integral_constantIbLb1EES17_EEDaS12_S13_EUlS12_E_NS1_11comp_targetILNS1_3genE5ELNS1_11target_archE942ELNS1_3gpuE9ELNS1_3repE0EEENS1_30default_config_static_selectorELNS0_4arch9wavefront6targetE1EEEvT1_: ; @_ZN7rocprim17ROCPRIM_400000_NS6detail17trampoline_kernelINS0_14default_configENS1_25partition_config_selectorILNS1_17partition_subalgoE8EmNS0_10empty_typeEbEEZZNS1_14partition_implILS5_8ELb0ES3_jPKmPS6_PKS6_NS0_5tupleIJPmS6_EEENSE_IJSB_SB_EEENS0_18inequality_wrapperIN6hipcub16HIPCUB_304000_NS8EqualityEEEPlJS6_EEE10hipError_tPvRmT3_T4_T5_T6_T7_T9_mT8_P12ihipStream_tbDpT10_ENKUlT_T0_E_clISt17integral_constantIbLb1EES17_EEDaS12_S13_EUlS12_E_NS1_11comp_targetILNS1_3genE5ELNS1_11target_archE942ELNS1_3gpuE9ELNS1_3repE0EEENS1_30default_config_static_selectorELNS0_4arch9wavefront6targetE1EEEvT1_
; %bb.0:
	s_load_dwordx2 s[24:25], s[0:1], 0x28
	s_load_dwordx4 s[20:23], s[0:1], 0x40
	s_load_dwordx2 s[8:9], s[0:1], 0x50
	s_load_dwordx2 s[30:31], s[0:1], 0x60
	v_cmp_ne_u32_e64 s[2:3], 0, v0
	v_cmp_eq_u32_e64 s[18:19], 0, v0
	s_and_saveexec_b64 s[4:5], s[18:19]
	s_cbranch_execz .LBB695_4
; %bb.1:
	s_mov_b64 s[10:11], exec
	v_mbcnt_lo_u32_b32 v1, s10, 0
	v_mbcnt_hi_u32_b32 v1, s11, v1
	v_cmp_eq_u32_e32 vcc, 0, v1
                                        ; implicit-def: $vgpr2
	s_and_saveexec_b64 s[6:7], vcc
	s_cbranch_execz .LBB695_3
; %bb.2:
	s_load_dwordx2 s[12:13], s[0:1], 0x70
	s_bcnt1_i32_b64 s10, s[10:11]
	v_mov_b32_e32 v2, 0
	v_mov_b32_e32 v3, s10
	s_waitcnt lgkmcnt(0)
	global_atomic_add v2, v2, v3, s[12:13] sc0
.LBB695_3:
	s_or_b64 exec, exec, s[6:7]
	s_waitcnt vmcnt(0)
	v_readfirstlane_b32 s6, v2
	v_mov_b32_e32 v2, 0
	s_nop 0
	v_add_u32_e32 v1, s6, v1
	ds_write_b32 v2, v1
.LBB695_4:
	s_or_b64 exec, exec, s[4:5]
	v_mov_b32_e32 v3, 0
	s_load_dwordx4 s[4:7], s[0:1], 0x8
	s_load_dword s10, s[0:1], 0x68
	s_waitcnt lgkmcnt(0)
	s_barrier
	ds_read_b32 v1, v3
	s_waitcnt lgkmcnt(0)
	s_barrier
	global_load_dwordx2 v[4:5], v3, s[22:23]
	s_lshl_b64 s[12:13], s[6:7], 3
	v_mov_b32_e32 v7, s9
	s_mul_i32 s9, s10, 0xe00
	s_add_u32 s4, s4, s12
	s_addc_u32 s5, s5, s13
	s_add_i32 s12, s9, s6
	s_add_i32 s10, s10, -1
	s_sub_i32 s36, s8, s12
	v_mov_b32_e32 v6, s8
	s_add_u32 s8, s6, s9
	s_addc_u32 s9, s7, 0
	v_readfirstlane_b32 s33, v1
	s_cmp_eq_u32 s33, s10
	s_movk_i32 s11, 0xe00
	v_cmp_ge_u64_e32 vcc, s[8:9], v[6:7]
	s_cselect_b64 s[26:27], -1, 0
	v_mul_lo_u32 v2, v1, s11
	s_and_b64 s[14:15], vcc, s[26:27]
	v_lshlrev_b64 v[6:7], 3, v[2:3]
	s_xor_b64 s[28:29], s[14:15], -1
	s_mov_b64 s[0:1], -1
	v_lshl_add_u64 v[18:19], s[4:5], 0, v[6:7]
	s_and_b64 vcc, exec, s[28:29]
	s_waitcnt vmcnt(0)
	v_readfirstlane_b32 s22, v4
	v_readfirstlane_b32 s23, v5
	s_cbranch_vccz .LBB695_6
; %bb.5:
	v_lshlrev_b32_e32 v2, 3, v0
	v_lshl_add_u64 v[4:5], v[18:19], 0, v[2:3]
	v_add_co_u32_e32 v8, vcc, 0x1000, v4
	v_readfirstlane_b32 s0, v18
	s_nop 0
	v_addc_co_u32_e32 v9, vcc, 0, v5, vcc
	v_add_co_u32_e32 v10, vcc, 0x2000, v4
	v_readfirstlane_b32 s1, v19
	s_nop 0
	v_addc_co_u32_e32 v11, vcc, 0, v5, vcc
	v_add_co_u32_e32 v12, vcc, 0x3000, v4
	s_nop 1
	v_addc_co_u32_e32 v13, vcc, 0, v5, vcc
	v_add_co_u32_e32 v14, vcc, 0x4000, v4
	global_load_dwordx2 v[6:7], v2, s[0:1]
	s_nop 0
	v_addc_co_u32_e32 v15, vcc, 0, v5, vcc
	global_load_dwordx2 v[16:17], v[8:9], off
	global_load_dwordx2 v[20:21], v[10:11], off
	;; [unrolled: 1-line block ×4, first 2 shown]
	v_add_co_u32_e32 v8, vcc, 0x5000, v4
	s_mov_b64 s[0:1], 0
	s_nop 0
	v_addc_co_u32_e32 v9, vcc, 0, v5, vcc
	v_add_co_u32_e32 v4, vcc, 0x6000, v4
	global_load_dwordx2 v[8:9], v[8:9], off
	s_nop 0
	v_addc_co_u32_e32 v5, vcc, 0, v5, vcc
	global_load_dwordx2 v[4:5], v[4:5], off
	s_waitcnt vmcnt(5)
	ds_write2st64_b64 v2, v[6:7], v[16:17] offset1:8
	s_waitcnt vmcnt(3)
	ds_write2st64_b64 v2, v[20:21], v[22:23] offset0:16 offset1:24
	s_waitcnt vmcnt(1)
	ds_write2st64_b64 v2, v[24:25], v[8:9] offset0:32 offset1:40
	s_waitcnt vmcnt(0)
	ds_write_b64 v2, v[4:5] offset:24576
	s_waitcnt lgkmcnt(0)
	s_barrier
.LBB695_6:
	s_andn2_b64 vcc, exec, s[0:1]
	s_addk_i32 s36, 0xe00
	s_cbranch_vccnz .LBB695_22
; %bb.7:
	v_cmp_gt_u32_e32 vcc, s36, v0
                                        ; implicit-def: $vgpr2_vgpr3_vgpr4_vgpr5_vgpr6_vgpr7_vgpr8_vgpr9_vgpr10_vgpr11_vgpr12_vgpr13_vgpr14_vgpr15_vgpr16_vgpr17
	s_and_saveexec_b64 s[0:1], vcc
	s_cbranch_execz .LBB695_9
; %bb.8:
	v_lshlrev_b32_e32 v1, 3, v0
	v_readfirstlane_b32 s4, v18
	v_readfirstlane_b32 s5, v19
	s_nop 4
	global_load_dwordx2 v[2:3], v1, s[4:5]
.LBB695_9:
	s_or_b64 exec, exec, s[0:1]
	v_or_b32_e32 v1, 0x200, v0
	v_cmp_gt_u32_e32 vcc, s36, v1
	s_and_saveexec_b64 s[0:1], vcc
	s_cbranch_execz .LBB695_11
; %bb.10:
	v_lshlrev_b32_e32 v1, 3, v1
	v_readfirstlane_b32 s4, v18
	v_readfirstlane_b32 s5, v19
	s_nop 4
	global_load_dwordx2 v[4:5], v1, s[4:5]
.LBB695_11:
	s_or_b64 exec, exec, s[0:1]
	v_or_b32_e32 v1, 0x400, v0
	v_cmp_gt_u32_e32 vcc, s36, v1
	;; [unrolled: 12-line block ×6, first 2 shown]
	s_and_saveexec_b64 s[0:1], vcc
	s_cbranch_execz .LBB695_21
; %bb.20:
	v_lshlrev_b32_e32 v1, 3, v1
	v_readfirstlane_b32 s4, v18
	v_readfirstlane_b32 s5, v19
	s_nop 4
	global_load_dwordx2 v[14:15], v1, s[4:5]
.LBB695_21:
	s_or_b64 exec, exec, s[0:1]
	v_lshlrev_b32_e32 v1, 3, v0
	s_waitcnt vmcnt(0)
	ds_write2st64_b64 v1, v[2:3], v[4:5] offset1:8
	ds_write2st64_b64 v1, v[6:7], v[8:9] offset0:16 offset1:24
	ds_write2st64_b64 v1, v[10:11], v[12:13] offset0:32 offset1:40
	ds_write_b64 v1, v[14:15] offset:24576
	s_waitcnt lgkmcnt(0)
	s_barrier
.LBB695_22:
	v_mul_u32_u24_e32 v20, 7, v0
	v_lshlrev_b32_e32 v1, 3, v20
	ds_read2_b64 v[10:13], v1 offset1:1
	ds_read2_b64 v[6:9], v1 offset0:2 offset1:3
	ds_read2_b64 v[2:5], v1 offset0:4 offset1:5
	ds_read_b64 v[14:15], v1 offset:48
	s_cmp_lg_u32 s33, 0
	s_cselect_b64 s[16:17], -1, 0
	s_cmp_lg_u64 s[6:7], 0
	s_cselect_b64 s[0:1], -1, 0
	s_or_b64 s[0:1], s[0:1], s[16:17]
	v_mad_u32_u24 v22, v0, 7, 1
	v_mad_u32_u24 v21, v0, 7, 2
	;; [unrolled: 1-line block ×6, first 2 shown]
	s_mov_b64 s[34:35], 0
	s_and_b64 vcc, exec, s[0:1]
	s_waitcnt lgkmcnt(0)
	s_barrier
	s_cbranch_vccz .LBB695_27
; %bb.23:
	global_load_dwordx2 v[16:17], v[18:19], off offset:-8
	v_lshlrev_b32_e32 v30, 3, v0
	s_and_b64 vcc, exec, s[28:29]
	ds_write_b64 v30, v[14:15]
	s_cbranch_vccz .LBB695_29
; %bb.24:
	s_waitcnt vmcnt(0)
	v_mov_b64_e32 v[18:19], v[16:17]
	s_waitcnt lgkmcnt(0)
	s_barrier
	s_and_saveexec_b64 s[0:1], s[2:3]
	s_cbranch_execz .LBB695_26
; %bb.25:
	v_add_u32_e32 v18, -8, v30
	ds_read_b64 v[18:19], v18
.LBB695_26:
	s_or_b64 exec, exec, s[0:1]
	v_cmp_ne_u64_e32 vcc, v[4:5], v[14:15]
	s_waitcnt lgkmcnt(0)
	v_cmp_ne_u64_e64 s[0:1], v[18:19], v[10:11]
	v_cndmask_b32_e64 v29, 0, 1, vcc
	v_cmp_ne_u64_e32 vcc, v[2:3], v[4:5]
	s_nop 1
	v_cndmask_b32_e64 v27, 0, 1, vcc
	v_cmp_ne_u64_e32 vcc, v[8:9], v[2:3]
	s_nop 1
	;; [unrolled: 3-line block ×3, first 2 shown]
	v_cndmask_b32_e64 v31, 0, 1, vcc
	v_cmp_ne_u64_e32 vcc, v[12:13], v[6:7]
	v_lshlrev_b16_e32 v18, 8, v31
	s_nop 0
	v_cndmask_b32_e64 v32, 0, 1, vcc
	v_cmp_ne_u64_e32 vcc, v[10:11], v[12:13]
	v_or_b32_sdwa v18, v32, v18 dst_sel:WORD_1 dst_unused:UNUSED_PAD src0_sel:DWORD src1_sel:DWORD
	s_nop 0
	v_cndmask_b32_e64 v33, 0, 1, vcc
	v_lshlrev_b16_e32 v19, 8, v33
	v_or_b32_e32 v18, v19, v18
	s_branch .LBB695_33
.LBB695_27:
                                        ; implicit-def: $sgpr0_sgpr1
                                        ; implicit-def: $vgpr29
                                        ; implicit-def: $vgpr27
                                        ; implicit-def: $vgpr28
                                        ; implicit-def: $vgpr18
	s_branch .LBB695_34
.LBB695_28:
                                        ; implicit-def: $vgpr16_vgpr17
	s_and_saveexec_b64 s[2:3], s[34:35]
	s_cbranch_execnz .LBB695_42
	s_branch .LBB695_43
.LBB695_29:
                                        ; implicit-def: $sgpr0_sgpr1
                                        ; implicit-def: $vgpr29
                                        ; implicit-def: $vgpr27
                                        ; implicit-def: $vgpr28
                                        ; implicit-def: $vgpr18
	s_cbranch_execz .LBB695_33
; %bb.30:
	s_waitcnt lgkmcnt(0)
	s_barrier
	s_and_saveexec_b64 s[0:1], s[2:3]
	s_cbranch_execz .LBB695_32
; %bb.31:
	s_waitcnt vmcnt(0)
	v_add_u32_e32 v16, -8, v30
	ds_read_b64 v[16:17], v16
.LBB695_32:
	s_or_b64 exec, exec, s[0:1]
	v_cmp_gt_u32_e32 vcc, s36, v24
	v_cmp_ne_u64_e64 s[0:1], v[4:5], v[14:15]
	s_and_b64 s[0:1], vcc, s[0:1]
	v_cmp_gt_u32_e32 vcc, s36, v26
	v_cndmask_b32_e64 v29, 0, 1, s[0:1]
	v_cmp_ne_u64_e64 s[0:1], v[2:3], v[4:5]
	s_and_b64 s[0:1], vcc, s[0:1]
	v_cmp_gt_u32_e32 vcc, s36, v23
	v_cndmask_b32_e64 v27, 0, 1, s[0:1]
	;; [unrolled: 4-line block ×6, first 2 shown]
	s_waitcnt vmcnt(0) lgkmcnt(0)
	v_cmp_ne_u64_e64 s[0:1], v[16:17], v[10:11]
	v_lshlrev_b16_e32 v16, 8, v18
	v_or_b32_sdwa v16, v19, v16 dst_sel:WORD_1 dst_unused:UNUSED_PAD src0_sel:DWORD src1_sel:DWORD
	v_lshlrev_b16_e32 v17, 8, v30
	s_and_b64 s[0:1], vcc, s[0:1]
	v_or_b32_e32 v18, v17, v16
.LBB695_33:
	s_mov_b64 s[34:35], -1
	s_cbranch_execnz .LBB695_28
.LBB695_34:
	s_movk_i32 s0, 0xffd0
	v_mad_i32_i24 v19, v0, s0, v1
	s_and_b64 vcc, exec, s[28:29]
	v_cmp_ne_u64_e64 s[0:1], v[4:5], v[14:15]
	v_cmp_ne_u64_e64 s[4:5], v[2:3], v[4:5]
	v_cmp_ne_u64_e64 s[6:7], v[8:9], v[2:3]
	v_cmp_ne_u64_e64 s[8:9], v[6:7], v[8:9]
	v_cmp_ne_u64_e64 s[10:11], v[12:13], v[6:7]
	v_cmp_ne_u64_e64 s[12:13], v[10:11], v[12:13]
	ds_write_b64 v19, v[14:15]
	s_cbranch_vccz .LBB695_38
; %bb.35:
	v_cndmask_b32_e64 v27, 0, 1, s[4:5]
	s_waitcnt vmcnt(0)
	v_cndmask_b32_e64 v16, 0, 1, s[8:9]
	v_cndmask_b32_e64 v28, 0, 1, s[6:7]
	;; [unrolled: 1-line block ×4, first 2 shown]
	v_lshlrev_b16_e32 v17, 8, v27
	v_lshlrev_b16_e32 v16, 8, v16
	v_or_b32_e32 v17, v28, v17
	v_or_b32_sdwa v16, v18, v16 dst_sel:WORD_1 dst_unused:UNUSED_PAD src0_sel:DWORD src1_sel:DWORD
	v_lshlrev_b16_e32 v18, 8, v30
	v_and_b32_e32 v17, 0xffff, v17
	v_cndmask_b32_e64 v29, 0, 1, s[0:1]
	v_or_b32_e32 v18, 1, v18
	v_lshl_or_b32 v17, v29, 16, v17
	v_or_b32_sdwa v16, v18, v16 dst_sel:DWORD dst_unused:UNUSED_PAD src0_sel:WORD_0 src1_sel:DWORD
	s_waitcnt lgkmcnt(0)
	s_barrier
	s_waitcnt lgkmcnt(0)
                                        ; implicit-def: $sgpr0_sgpr1
                                        ; implicit-def: $vgpr18
	s_and_saveexec_b64 s[4:5], s[2:3]
	s_xor_b64 s[4:5], exec, s[4:5]
	s_cbranch_execz .LBB695_37
; %bb.36:
	v_add_u32_e32 v17, -8, v19
	ds_read_b64 v[30:31], v17
	s_mov_b32 s0, 0x3020104
	v_perm_b32 v18, v16, v16, s0
	s_or_b64 s[34:35], s[34:35], exec
                                        ; implicit-def: $vgpr16_vgpr17
	s_waitcnt lgkmcnt(0)
	v_cmp_ne_u64_e32 vcc, v[30:31], v[10:11]
	s_and_b64 s[0:1], vcc, exec
.LBB695_37:
	s_or_b64 exec, exec, s[4:5]
	s_branch .LBB695_41
.LBB695_38:
                                        ; implicit-def: $sgpr0_sgpr1
                                        ; implicit-def: $vgpr29
                                        ; implicit-def: $vgpr27
                                        ; implicit-def: $vgpr28
                                        ; implicit-def: $vgpr18
                                        ; implicit-def: $vgpr16_vgpr17
	s_cbranch_execz .LBB695_41
; %bb.39:
	v_cmp_gt_u32_e64 s[4:5], s36, v26
	v_cmp_ne_u64_e64 s[6:7], v[2:3], v[4:5]
	s_and_b64 s[4:5], s[4:5], s[6:7]
	v_cndmask_b32_e64 v27, 0, 1, s[4:5]
	v_cmp_gt_u32_e64 s[4:5], s36, v23
	v_cmp_ne_u64_e64 s[6:7], v[8:9], v[2:3]
	s_and_b64 s[4:5], s[4:5], s[6:7]
	v_cndmask_b32_e64 v28, 0, 1, s[4:5]
	v_cmp_gt_u32_e64 s[4:5], s36, v25
	v_cmp_ne_u64_e64 s[6:7], v[6:7], v[8:9]
	s_and_b64 s[4:5], s[4:5], s[6:7]
	s_waitcnt vmcnt(0)
	v_cndmask_b32_e64 v16, 0, 1, s[4:5]
	v_cmp_gt_u32_e64 s[4:5], s36, v21
	v_cmp_ne_u64_e64 s[6:7], v[12:13], v[6:7]
	s_and_b64 s[4:5], s[4:5], s[6:7]
	v_cndmask_b32_e64 v18, 0, 1, s[4:5]
	v_cmp_gt_u32_e64 s[4:5], s36, v22
	v_cmp_ne_u64_e64 s[6:7], v[10:11], v[12:13]
	s_and_b64 s[4:5], s[4:5], s[6:7]
	v_cmp_gt_u32_e32 vcc, s36, v24
	v_cmp_ne_u64_e64 s[0:1], v[4:5], v[14:15]
	v_cndmask_b32_e64 v30, 0, 1, s[4:5]
	v_lshlrev_b16_e32 v17, 8, v27
	v_lshlrev_b16_e32 v16, 8, v16
	v_or_b32_e32 v17, v28, v17
	s_and_b64 s[0:1], vcc, s[0:1]
	v_or_b32_sdwa v16, v18, v16 dst_sel:WORD_1 dst_unused:UNUSED_PAD src0_sel:DWORD src1_sel:DWORD
	v_lshlrev_b16_e32 v18, 8, v30
	v_and_b32_e32 v17, 0xffff, v17
	v_cndmask_b32_e64 v29, 0, 1, s[0:1]
	v_or_b32_e32 v18, 1, v18
	v_lshl_or_b32 v17, v29, 16, v17
	v_or_b32_sdwa v16, v18, v16 dst_sel:DWORD dst_unused:UNUSED_PAD src0_sel:WORD_0 src1_sel:DWORD
	s_waitcnt lgkmcnt(0)
	s_barrier
	s_waitcnt lgkmcnt(0)
                                        ; implicit-def: $sgpr0_sgpr1
                                        ; implicit-def: $vgpr18
	s_and_saveexec_b64 s[4:5], s[2:3]
	s_cbranch_execz .LBB695_131
; %bb.40:
	v_add_u32_e32 v17, -8, v19
	ds_read_b64 v[30:31], v17
	s_mov_b32 s0, 0x3020104
	v_cmp_gt_u32_e32 vcc, s36, v20
	v_perm_b32 v18, v16, v16, s0
	s_or_b64 s[34:35], s[34:35], exec
	s_waitcnt lgkmcnt(0)
	v_cmp_ne_u64_e64 s[0:1], v[30:31], v[10:11]
	s_and_b64 s[0:1], vcc, s[0:1]
	s_and_b64 s[0:1], s[0:1], exec
                                        ; implicit-def: $vgpr16_vgpr17
	s_or_b64 exec, exec, s[4:5]
.LBB695_41:
	s_and_saveexec_b64 s[2:3], s[34:35]
	s_cbranch_execz .LBB695_43
.LBB695_42:
	s_waitcnt vmcnt(0)
	v_lshlrev_b16_e32 v17, 8, v27
	v_and_b32_e32 v19, 0xff, v29
	v_or_b32_sdwa v17, v28, v17 dst_sel:DWORD dst_unused:UNUSED_PAD src0_sel:BYTE_0 src1_sel:DWORD
	v_lshlrev_b32_e32 v19, 16, v19
	v_cndmask_b32_e64 v16, 0, 1, s[0:1]
	s_movk_i32 s0, 0xff
	v_or_b32_sdwa v17, v17, v19 dst_sel:DWORD dst_unused:UNUSED_PAD src0_sel:WORD_0 src1_sel:DWORD
	v_lshrrev_b32_e32 v19, 24, v18
	v_lshlrev_b16_e32 v19, 8, v19
	v_and_b32_sdwa v27, v18, s0 dst_sel:DWORD dst_unused:UNUSED_PAD src0_sel:WORD_1 src1_sel:DWORD
	v_or_b32_sdwa v19, v27, v19 dst_sel:WORD_1 dst_unused:UNUSED_PAD src0_sel:DWORD src1_sel:DWORD
	v_mov_b32_e32 v27, 8
	v_lshrrev_b32_sdwa v18, v27, v18 dst_sel:BYTE_1 dst_unused:UNUSED_PAD src0_sel:DWORD src1_sel:DWORD
	s_nop 0
	v_or_b32_e32 v16, v16, v18
	v_or_b32_sdwa v16, v16, v19 dst_sel:DWORD dst_unused:UNUSED_PAD src0_sel:WORD_0 src1_sel:DWORD
.LBB695_43:
	s_or_b64 exec, exec, s[2:3]
	s_andn2_b64 vcc, exec, s[14:15]
	s_cbranch_vccnz .LBB695_45
; %bb.44:
	s_waitcnt vmcnt(0)
	v_and_b32_e32 v18, 0xffff0000, v16
	v_cmp_gt_u32_e32 vcc, s36, v20
	s_mov_b32 s0, 0x40c0100
	s_nop 0
	v_cndmask_b32_e32 v18, v18, v16, vcc
	v_and_b32_e32 v18, 0xffff00ff, v18
	v_cmp_gt_u32_e32 vcc, s36, v22
	s_nop 1
	v_cndmask_b32_e32 v18, v18, v16, vcc
	v_lshrrev_b32_e32 v19, 24, v18
	v_perm_b32 v18, v19, v18, s0
	v_cmp_gt_u32_e32 vcc, s36, v21
	v_and_b32_e32 v19, 0xffffff00, v17
	s_nop 0
	v_cndmask_b32_e32 v18, v18, v16, vcc
	v_and_b32_e32 v18, 0xffffff, v18
	v_cmp_gt_u32_e32 vcc, s36, v25
	s_nop 1
	v_cndmask_b32_e32 v18, v18, v16, vcc
	v_cmp_gt_u32_e32 vcc, s36, v23
	s_nop 1
	v_cndmask_b32_e32 v19, v19, v17, vcc
	v_and_b32_e32 v19, 0xffff00ff, v19
	v_cndmask_b32_e32 v18, v18, v16, vcc
	v_cmp_gt_u32_e32 vcc, s36, v26
	s_nop 1
	v_cndmask_b32_e32 v19, v19, v17, vcc
	v_lshrrev_b32_e32 v20, 24, v19
	v_cndmask_b32_e32 v18, v18, v16, vcc
	v_perm_b32 v19, v20, v19, s0
	v_cmp_gt_u32_e32 vcc, s36, v24
	s_mov_b32 s0, 0x3020104
	s_nop 0
	v_cndmask_b32_e32 v16, v18, v16, vcc
	v_cndmask_b32_e32 v17, v19, v17, vcc
	v_mov_b32_e32 v18, 8
	v_lshrrev_b32_sdwa v18, v18, v17 dst_sel:BYTE_1 dst_unused:UNUSED_PAD src0_sel:DWORD src1_sel:DWORD
	v_perm_b32 v16, v16, v16, s0
	v_or_b32_sdwa v18, v17, v18 dst_sel:DWORD dst_unused:UNUSED_PAD src0_sel:BYTE_0 src1_sel:DWORD
	v_and_b32_e32 v18, 0xffff, v18
	v_bfe_u32 v17, v17, 16, 8
	v_lshl_or_b32 v17, v17, 16, v18
.LBB695_45:
	s_waitcnt vmcnt(0)
	v_and_b32_e32 v29, 0xff, v16
	v_bfe_u32 v31, v16, 8, 8
	v_bfe_u32 v33, v16, 16, 8
	v_alignbit_b32 v18, v17, v16, 24
	v_and_b32_e32 v35, 0xff, v18
	v_and_b32_e32 v36, 0xff, v17
	v_add3_u32 v19, v31, v29, v33
	v_bfe_u32 v37, v17, 8, 8
	v_bfe_u32 v18, v17, 16, 8
	v_add3_u32 v19, v19, v35, v36
	v_add3_u32 v40, v19, v37, v18
	v_mbcnt_lo_u32_b32 v18, -1, 0
	v_mbcnt_hi_u32_b32 v38, -1, v18
	v_and_b32_e32 v18, 15, v38
	v_cmp_eq_u32_e64 s[14:15], 0, v18
	v_cmp_lt_u32_e64 s[12:13], 1, v18
	v_cmp_lt_u32_e64 s[10:11], 3, v18
	;; [unrolled: 1-line block ×3, first 2 shown]
	v_and_b32_e32 v18, 16, v38
	v_cmp_eq_u32_e64 s[6:7], 0, v18
	v_or_b32_e32 v18, 63, v0
	v_cmp_lt_u32_e64 s[2:3], 31, v38
	v_lshrrev_b32_e32 v39, 6, v0
	v_cmp_eq_u32_e64 s[4:5], v18, v0
	s_and_b64 vcc, exec, s[16:17]
	s_waitcnt lgkmcnt(0)
	s_barrier
	s_cbranch_vccz .LBB695_76
; %bb.46:
	v_mov_b32_dpp v18, v40 row_shr:1 row_mask:0xf bank_mask:0xf
	v_cndmask_b32_e64 v18, v18, 0, s[14:15]
	v_add_u32_e32 v18, v18, v40
	s_nop 1
	v_mov_b32_dpp v19, v18 row_shr:2 row_mask:0xf bank_mask:0xf
	v_cndmask_b32_e64 v19, 0, v19, s[12:13]
	v_add_u32_e32 v18, v18, v19
	s_nop 1
	;; [unrolled: 4-line block ×4, first 2 shown]
	v_mov_b32_dpp v19, v18 row_bcast:15 row_mask:0xf bank_mask:0xf
	v_cndmask_b32_e64 v19, v19, 0, s[6:7]
	v_add_u32_e32 v18, v18, v19
	s_nop 1
	v_mov_b32_dpp v19, v18 row_bcast:31 row_mask:0xf bank_mask:0xf
	v_cndmask_b32_e64 v19, 0, v19, s[2:3]
	v_add_u32_e32 v18, v18, v19
	s_and_saveexec_b64 s[0:1], s[4:5]
	s_cbranch_execz .LBB695_48
; %bb.47:
	v_lshlrev_b32_e32 v19, 2, v39
	ds_write_b32 v19, v18
.LBB695_48:
	s_or_b64 exec, exec, s[0:1]
	v_cmp_gt_u32_e32 vcc, 8, v0
	s_waitcnt lgkmcnt(0)
	s_barrier
	s_and_saveexec_b64 s[0:1], vcc
	s_cbranch_execz .LBB695_50
; %bb.49:
	v_lshlrev_b32_e32 v19, 2, v0
	ds_read_b32 v20, v19
	v_and_b32_e32 v21, 7, v38
	v_cmp_ne_u32_e32 vcc, 0, v21
	s_waitcnt lgkmcnt(0)
	v_mov_b32_dpp v22, v20 row_shr:1 row_mask:0xf bank_mask:0xf
	v_cndmask_b32_e32 v22, 0, v22, vcc
	v_add_u32_e32 v20, v22, v20
	v_cmp_lt_u32_e32 vcc, 1, v21
	s_nop 0
	v_mov_b32_dpp v22, v20 row_shr:2 row_mask:0xf bank_mask:0xf
	v_cndmask_b32_e32 v22, 0, v22, vcc
	v_add_u32_e32 v20, v20, v22
	v_cmp_lt_u32_e32 vcc, 3, v21
	s_nop 0
	v_mov_b32_dpp v22, v20 row_shr:4 row_mask:0xf bank_mask:0xf
	v_cndmask_b32_e32 v21, 0, v22, vcc
	v_add_u32_e32 v20, v20, v21
	ds_write_b32 v19, v20
.LBB695_50:
	s_or_b64 exec, exec, s[0:1]
	v_cmp_gt_u32_e32 vcc, 64, v0
	v_cmp_lt_u32_e64 s[0:1], 63, v0
	s_waitcnt lgkmcnt(0)
	s_barrier
	s_waitcnt lgkmcnt(0)
                                        ; implicit-def: $vgpr28
	s_and_saveexec_b64 s[16:17], s[0:1]
	s_cbranch_execz .LBB695_52
; %bb.51:
	v_lshl_add_u32 v19, v39, 2, -4
	ds_read_b32 v28, v19
	s_waitcnt lgkmcnt(0)
	v_add_u32_e32 v18, v28, v18
.LBB695_52:
	s_or_b64 exec, exec, s[16:17]
	v_add_u32_e32 v19, -1, v38
	v_and_b32_e32 v20, 64, v38
	v_cmp_lt_i32_e64 s[0:1], v19, v20
	v_cmp_eq_u32_e64 s[16:17], 0, v38
	s_nop 0
	v_cndmask_b32_e64 v19, v19, v38, s[0:1]
	v_lshlrev_b32_e32 v19, 2, v19
	ds_bpermute_b32 v30, v19, v18
	s_and_saveexec_b64 s[0:1], vcc
	s_cbranch_execz .LBB695_75
; %bb.53:
	v_mov_b32_e32 v27, 0
	ds_read_b32 v18, v27 offset:28
	s_and_saveexec_b64 s[34:35], s[16:17]
	s_cbranch_execz .LBB695_55
; %bb.54:
	s_add_i32 s36, s33, 64
	s_mov_b32 s37, 0
	s_lshl_b64 s[36:37], s[36:37], 3
	s_add_u32 s36, s30, s36
	v_mov_b32_e32 v19, 1
	s_addc_u32 s37, s31, s37
	s_waitcnt lgkmcnt(0)
	global_store_dwordx2 v27, v[18:19], s[36:37] sc1
.LBB695_55:
	s_or_b64 exec, exec, s[34:35]
	v_xad_u32 v20, v38, -1, s33
	v_add_u32_e32 v26, 64, v20
	v_lshl_add_u64 v[22:23], v[26:27], 3, s[30:31]
	global_load_dwordx2 v[24:25], v[22:23], off sc1
	s_waitcnt vmcnt(0)
	v_cmp_eq_u16_sdwa s[36:37], v25, v27 src0_sel:BYTE_0 src1_sel:DWORD
	s_and_saveexec_b64 s[34:35], s[36:37]
	s_cbranch_execz .LBB695_61
; %bb.56:
	s_mov_b32 s38, 1
	s_mov_b64 s[36:37], 0
	v_mov_b32_e32 v19, 0
.LBB695_57:                             ; =>This Loop Header: Depth=1
                                        ;     Child Loop BB695_58 Depth 2
	s_max_u32 s39, s38, 1
.LBB695_58:                             ;   Parent Loop BB695_57 Depth=1
                                        ; =>  This Inner Loop Header: Depth=2
	s_add_i32 s39, s39, -1
	s_cmp_eq_u32 s39, 0
	s_sleep 1
	s_cbranch_scc0 .LBB695_58
; %bb.59:                               ;   in Loop: Header=BB695_57 Depth=1
	global_load_dwordx2 v[24:25], v[22:23], off sc1
	s_cmp_lt_u32 s38, 32
	s_cselect_b64 s[40:41], -1, 0
	s_cmp_lg_u64 s[40:41], 0
	s_addc_u32 s38, s38, 0
	s_waitcnt vmcnt(0)
	v_cmp_ne_u16_sdwa s[40:41], v25, v19 src0_sel:BYTE_0 src1_sel:DWORD
	s_or_b64 s[36:37], s[40:41], s[36:37]
	s_andn2_b64 exec, exec, s[36:37]
	s_cbranch_execnz .LBB695_57
; %bb.60:
	s_or_b64 exec, exec, s[36:37]
.LBB695_61:
	s_or_b64 exec, exec, s[34:35]
	v_and_b32_e32 v34, 63, v38
	v_mov_b32_e32 v32, 2
	v_cmp_ne_u32_e32 vcc, 63, v34
	v_cmp_eq_u16_sdwa s[34:35], v25, v32 src0_sel:BYTE_0 src1_sel:DWORD
	v_lshlrev_b64 v[22:23], v38, -1
	v_addc_co_u32_e32 v26, vcc, 0, v38, vcc
	v_and_b32_e32 v19, s35, v23
	v_lshlrev_b32_e32 v41, 2, v26
	v_or_b32_e32 v19, 0x80000000, v19
	ds_bpermute_b32 v26, v41, v24
	v_and_b32_e32 v21, s34, v22
	v_ffbl_b32_e32 v19, v19
	v_add_u32_e32 v19, 32, v19
	v_ffbl_b32_e32 v21, v21
	v_min_u32_e32 v19, v21, v19
	v_cmp_lt_u32_e32 vcc, v34, v19
	v_add_u32_e32 v43, 2, v34
	v_add_u32_e32 v45, 4, v34
	s_waitcnt lgkmcnt(0)
	v_cndmask_b32_e32 v21, 0, v26, vcc
	v_cmp_gt_u32_e32 vcc, 62, v34
	v_add_u32_e32 v21, v21, v24
	v_add_u32_e32 v47, 8, v34
	v_cndmask_b32_e64 v24, 0, 1, vcc
	v_lshlrev_b32_e32 v24, 1, v24
	v_add_lshl_u32 v42, v24, v38, 2
	ds_bpermute_b32 v24, v42, v21
	v_cmp_le_u32_e32 vcc, v43, v19
	v_add_u32_e32 v49, 16, v34
	v_add_u32_e32 v51, 32, v34
	s_waitcnt lgkmcnt(0)
	v_cndmask_b32_e32 v24, 0, v24, vcc
	v_cmp_gt_u32_e32 vcc, 60, v34
	v_add_u32_e32 v21, v21, v24
	s_nop 0
	v_cndmask_b32_e64 v24, 0, 1, vcc
	v_lshlrev_b32_e32 v24, 2, v24
	v_add_lshl_u32 v44, v24, v38, 2
	ds_bpermute_b32 v24, v44, v21
	v_cmp_le_u32_e32 vcc, v45, v19
	s_waitcnt lgkmcnt(0)
	s_nop 0
	v_cndmask_b32_e32 v24, 0, v24, vcc
	v_cmp_gt_u32_e32 vcc, 56, v34
	v_add_u32_e32 v21, v21, v24
	s_nop 0
	v_cndmask_b32_e64 v24, 0, 1, vcc
	v_lshlrev_b32_e32 v24, 3, v24
	v_add_lshl_u32 v46, v24, v38, 2
	ds_bpermute_b32 v24, v46, v21
	v_cmp_le_u32_e32 vcc, v47, v19
	s_waitcnt lgkmcnt(0)
	s_nop 0
	;; [unrolled: 11-line block ×4, first 2 shown]
	v_cndmask_b32_e32 v19, 0, v24, vcc
	v_add_u32_e32 v24, v21, v19
	v_mov_b32_e32 v21, 0
	s_branch .LBB695_63
.LBB695_62:                             ;   in Loop: Header=BB695_63 Depth=1
	s_or_b64 exec, exec, s[34:35]
	v_cmp_eq_u16_sdwa s[34:35], v25, v32 src0_sel:BYTE_0 src1_sel:DWORD
	ds_bpermute_b32 v52, v41, v24
	v_subrev_u32_e32 v20, 64, v20
	v_and_b32_e32 v26, s35, v23
	v_or_b32_e32 v26, 0x80000000, v26
	v_and_b32_e32 v27, s34, v22
	v_ffbl_b32_e32 v26, v26
	v_add_u32_e32 v26, 32, v26
	v_ffbl_b32_e32 v27, v27
	v_min_u32_e32 v26, v27, v26
	v_cmp_lt_u32_e32 vcc, v34, v26
	s_waitcnt lgkmcnt(0)
	s_nop 0
	v_cndmask_b32_e32 v27, 0, v52, vcc
	v_add_u32_e32 v24, v27, v24
	ds_bpermute_b32 v27, v42, v24
	v_cmp_le_u32_e32 vcc, v43, v26
	s_waitcnt lgkmcnt(0)
	s_nop 0
	v_cndmask_b32_e32 v27, 0, v27, vcc
	v_add_u32_e32 v24, v24, v27
	ds_bpermute_b32 v27, v44, v24
	v_cmp_le_u32_e32 vcc, v45, v26
	;; [unrolled: 6-line block ×5, first 2 shown]
	s_waitcnt lgkmcnt(0)
	s_nop 0
	v_cndmask_b32_e32 v26, 0, v27, vcc
	v_add3_u32 v24, v26, v19, v24
.LBB695_63:                             ; =>This Loop Header: Depth=1
                                        ;     Child Loop BB695_66 Depth 2
                                        ;       Child Loop BB695_67 Depth 3
	v_cmp_ne_u16_sdwa s[34:35], v25, v32 src0_sel:BYTE_0 src1_sel:DWORD
	s_nop 1
	v_cndmask_b32_e64 v19, 0, 1, s[34:35]
	;;#ASMSTART
	;;#ASMEND
	s_nop 0
	v_cmp_ne_u32_e32 vcc, 0, v19
	s_cmp_lg_u64 vcc, exec
	v_mov_b32_e32 v19, v24
	s_cbranch_scc1 .LBB695_70
; %bb.64:                               ;   in Loop: Header=BB695_63 Depth=1
	v_lshl_add_u64 v[26:27], v[20:21], 3, s[30:31]
	global_load_dwordx2 v[24:25], v[26:27], off sc1
	s_waitcnt vmcnt(0)
	v_cmp_eq_u16_sdwa s[36:37], v25, v21 src0_sel:BYTE_0 src1_sel:DWORD
	s_and_saveexec_b64 s[34:35], s[36:37]
	s_cbranch_execz .LBB695_62
; %bb.65:                               ;   in Loop: Header=BB695_63 Depth=1
	s_mov_b32 s38, 1
	s_mov_b64 s[36:37], 0
.LBB695_66:                             ;   Parent Loop BB695_63 Depth=1
                                        ; =>  This Loop Header: Depth=2
                                        ;       Child Loop BB695_67 Depth 3
	s_max_u32 s39, s38, 1
.LBB695_67:                             ;   Parent Loop BB695_63 Depth=1
                                        ;     Parent Loop BB695_66 Depth=2
                                        ; =>    This Inner Loop Header: Depth=3
	s_add_i32 s39, s39, -1
	s_cmp_eq_u32 s39, 0
	s_sleep 1
	s_cbranch_scc0 .LBB695_67
; %bb.68:                               ;   in Loop: Header=BB695_66 Depth=2
	global_load_dwordx2 v[24:25], v[26:27], off sc1
	s_cmp_lt_u32 s38, 32
	s_cselect_b64 s[40:41], -1, 0
	s_cmp_lg_u64 s[40:41], 0
	s_addc_u32 s38, s38, 0
	s_waitcnt vmcnt(0)
	v_cmp_ne_u16_sdwa s[40:41], v25, v21 src0_sel:BYTE_0 src1_sel:DWORD
	s_or_b64 s[36:37], s[40:41], s[36:37]
	s_andn2_b64 exec, exec, s[36:37]
	s_cbranch_execnz .LBB695_66
; %bb.69:                               ;   in Loop: Header=BB695_63 Depth=1
	s_or_b64 exec, exec, s[36:37]
	s_branch .LBB695_62
.LBB695_70:                             ;   in Loop: Header=BB695_63 Depth=1
                                        ; implicit-def: $vgpr24
                                        ; implicit-def: $vgpr25
	s_cbranch_execz .LBB695_63
; %bb.71:
	s_and_saveexec_b64 s[34:35], s[16:17]
	s_cbranch_execz .LBB695_73
; %bb.72:
	s_add_i32 s36, s33, 64
	s_mov_b32 s37, 0
	s_lshl_b64 s[36:37], s[36:37], 3
	s_add_u32 s36, s30, s36
	v_add_u32_e32 v20, v19, v18
	v_mov_b32_e32 v21, 2
	s_addc_u32 s37, s31, s37
	v_mov_b32_e32 v22, 0
	global_store_dwordx2 v22, v[20:21], s[36:37] sc1
	ds_write_b64 v22, v[18:19] offset:28672
.LBB695_73:
	s_or_b64 exec, exec, s[34:35]
	s_and_b64 exec, exec, s[18:19]
	s_cbranch_execz .LBB695_75
; %bb.74:
	v_mov_b32_e32 v18, 0
	ds_write_b32 v18, v19 offset:28
.LBB695_75:
	s_or_b64 exec, exec, s[0:1]
	v_mov_b32_e32 v18, 0
	s_waitcnt lgkmcnt(0)
	s_barrier
	ds_read_b32 v19, v18 offset:28
	v_cndmask_b32_e64 v20, v30, v28, s[16:17]
	v_cndmask_b32_e64 v20, v20, 0, s[18:19]
	s_waitcnt lgkmcnt(0)
	s_barrier
	v_add_u32_e32 v34, v19, v20
	v_add_u32_e32 v32, v34, v29
	v_add_u32_e32 v30, v32, v31
	ds_read_b64 v[18:19], v18 offset:28672
	v_add_u32_e32 v28, v30, v33
	v_add_u32_e32 v26, v28, v35
	;; [unrolled: 1-line block ×4, first 2 shown]
	v_lshrrev_b64 v[20:21], 24, v[16:17]
	s_branch .LBB695_86
.LBB695_76:
                                        ; implicit-def: $vgpr19
                                        ; implicit-def: $vgpr22
                                        ; implicit-def: $vgpr24
                                        ; implicit-def: $vgpr26
                                        ; implicit-def: $vgpr28
                                        ; implicit-def: $vgpr30
                                        ; implicit-def: $vgpr32
                                        ; implicit-def: $vgpr34
	v_lshrrev_b64 v[20:21], 24, v[16:17]
	s_cbranch_execz .LBB695_86
; %bb.77:
	s_waitcnt lgkmcnt(0)
	v_mov_b32_dpp v18, v40 row_shr:1 row_mask:0xf bank_mask:0xf
	v_cndmask_b32_e64 v18, v18, 0, s[14:15]
	v_add_u32_e32 v18, v18, v40
	s_nop 1
	v_mov_b32_dpp v19, v18 row_shr:2 row_mask:0xf bank_mask:0xf
	v_cndmask_b32_e64 v19, 0, v19, s[12:13]
	v_add_u32_e32 v18, v18, v19
	s_nop 1
	;; [unrolled: 4-line block ×4, first 2 shown]
	v_mov_b32_dpp v19, v18 row_bcast:15 row_mask:0xf bank_mask:0xf
	v_cndmask_b32_e64 v19, v19, 0, s[6:7]
	v_add_u32_e32 v18, v18, v19
	s_nop 1
	v_mov_b32_dpp v19, v18 row_bcast:31 row_mask:0xf bank_mask:0xf
	v_cndmask_b32_e64 v19, 0, v19, s[2:3]
	v_add_u32_e32 v18, v18, v19
	s_and_saveexec_b64 s[0:1], s[4:5]
	s_cbranch_execz .LBB695_79
; %bb.78:
	v_lshlrev_b32_e32 v19, 2, v39
	ds_write_b32 v19, v18
.LBB695_79:
	s_or_b64 exec, exec, s[0:1]
	v_cmp_gt_u32_e32 vcc, 8, v0
	s_waitcnt lgkmcnt(0)
	s_barrier
	s_and_saveexec_b64 s[0:1], vcc
	s_cbranch_execz .LBB695_81
; %bb.80:
	s_movk_i32 s2, 0xffcc
	v_mad_i32_i24 v1, v0, s2, v1
	ds_read_b32 v19, v1
	v_and_b32_e32 v21, 7, v38
	v_cmp_ne_u32_e32 vcc, 0, v21
	s_waitcnt lgkmcnt(0)
	v_mov_b32_dpp v22, v19 row_shr:1 row_mask:0xf bank_mask:0xf
	v_cndmask_b32_e32 v22, 0, v22, vcc
	v_add_u32_e32 v19, v22, v19
	v_cmp_lt_u32_e32 vcc, 1, v21
	s_nop 0
	v_mov_b32_dpp v22, v19 row_shr:2 row_mask:0xf bank_mask:0xf
	v_cndmask_b32_e32 v22, 0, v22, vcc
	v_add_u32_e32 v19, v19, v22
	v_cmp_lt_u32_e32 vcc, 3, v21
	s_nop 0
	v_mov_b32_dpp v22, v19 row_shr:4 row_mask:0xf bank_mask:0xf
	v_cndmask_b32_e32 v21, 0, v22, vcc
	v_add_u32_e32 v19, v19, v21
	ds_write_b32 v1, v19
.LBB695_81:
	s_or_b64 exec, exec, s[0:1]
	v_cmp_lt_u32_e32 vcc, 63, v0
	v_mov_b32_e32 v19, 0
	v_mov_b32_e32 v1, 0
	s_waitcnt lgkmcnt(0)
	s_barrier
	s_and_saveexec_b64 s[0:1], vcc
	s_cbranch_execz .LBB695_83
; %bb.82:
	v_lshl_add_u32 v1, v39, 2, -4
	ds_read_b32 v1, v1
.LBB695_83:
	s_or_b64 exec, exec, s[0:1]
	v_add_u32_e32 v21, -1, v38
	v_and_b32_e32 v22, 64, v38
	v_cmp_lt_i32_e32 vcc, v21, v22
	s_waitcnt lgkmcnt(0)
	v_add_u32_e32 v18, v1, v18
	v_cndmask_b32_e32 v21, v21, v38, vcc
	v_lshlrev_b32_e32 v21, 2, v21
	ds_bpermute_b32 v21, v21, v18
	ds_read_b32 v18, v19 offset:28
	s_and_saveexec_b64 s[0:1], s[18:19]
	s_cbranch_execz .LBB695_85
; %bb.84:
	v_mov_b32_e32 v22, 0
	v_mov_b32_e32 v19, 2
	s_waitcnt lgkmcnt(0)
	global_store_dwordx2 v22, v[18:19], s[30:31] offset:512 sc1
.LBB695_85:
	s_or_b64 exec, exec, s[0:1]
	v_cmp_eq_u32_e32 vcc, 0, v38
	v_mov_b32_e32 v19, 0
	s_waitcnt lgkmcnt(0)
	v_cndmask_b32_e32 v1, v21, v1, vcc
	v_cndmask_b32_e64 v34, v1, 0, s[18:19]
	v_add_u32_e32 v32, v34, v29
	v_add_u32_e32 v30, v32, v31
	;; [unrolled: 1-line block ×6, first 2 shown]
	s_barrier
.LBB695_86:
	s_movk_i32 s0, 0x201
	s_waitcnt lgkmcnt(0)
	v_cmp_gt_u32_e32 vcc, s0, v18
	v_lshrrev_b32_e32 v21, 8, v16
	v_lshrrev_b32_e32 v1, 8, v17
	s_mov_b64 s[0:1], -1
	s_cbranch_vccnz .LBB695_90
; %bb.87:
	s_and_b64 vcc, exec, s[0:1]
	s_cbranch_vccnz .LBB695_112
.LBB695_88:
	s_and_b64 s[0:1], s[18:19], s[26:27]
	s_and_saveexec_b64 s[2:3], s[0:1]
	s_cbranch_execnz .LBB695_130
.LBB695_89:
	s_endpgm
.LBB695_90:
	v_add_u32_e32 v23, v19, v18
	v_cmp_lt_u32_e32 vcc, v34, v23
	s_or_b64 s[2:3], s[28:29], vcc
	s_and_saveexec_b64 s[0:1], s[2:3]
	s_cbranch_execz .LBB695_93
; %bb.91:
	v_and_b32_e32 v25, 1, v16
	v_cmp_eq_u32_e32 vcc, 1, v25
	s_and_b64 exec, exec, vcc
	s_cbranch_execz .LBB695_93
; %bb.92:
	s_lshl_b64 s[2:3], s[22:23], 3
	s_add_u32 s2, s24, s2
	s_addc_u32 s3, s25, s3
	v_mov_b32_e32 v35, 0
	v_lshl_add_u64 v[36:37], v[34:35], 3, s[2:3]
	global_store_dwordx2 v[36:37], v[10:11], off
.LBB695_93:
	s_or_b64 exec, exec, s[0:1]
	v_cmp_lt_u32_e32 vcc, v32, v23
	s_or_b64 s[2:3], s[28:29], vcc
	s_and_saveexec_b64 s[0:1], s[2:3]
	s_cbranch_execz .LBB695_96
; %bb.94:
	v_and_b32_e32 v25, 1, v21
	v_cmp_eq_u32_e32 vcc, 1, v25
	s_and_b64 exec, exec, vcc
	s_cbranch_execz .LBB695_96
; %bb.95:
	s_lshl_b64 s[2:3], s[22:23], 3
	s_add_u32 s2, s24, s2
	s_addc_u32 s3, s25, s3
	v_mov_b32_e32 v33, 0
	v_lshl_add_u64 v[36:37], v[32:33], 3, s[2:3]
	global_store_dwordx2 v[36:37], v[12:13], off
.LBB695_96:
	s_or_b64 exec, exec, s[0:1]
	v_cmp_lt_u32_e32 vcc, v30, v23
	s_or_b64 s[2:3], s[28:29], vcc
	s_and_saveexec_b64 s[0:1], s[2:3]
	s_cbranch_execz .LBB695_99
; %bb.97:
	v_mov_b32_e32 v25, 1
	v_and_b32_sdwa v25, v25, v16 dst_sel:DWORD dst_unused:UNUSED_PAD src0_sel:DWORD src1_sel:WORD_1
	v_cmp_eq_u32_e32 vcc, 1, v25
	s_and_b64 exec, exec, vcc
	s_cbranch_execz .LBB695_99
; %bb.98:
	s_lshl_b64 s[2:3], s[22:23], 3
	s_add_u32 s2, s24, s2
	s_addc_u32 s3, s25, s3
	v_mov_b32_e32 v31, 0
	v_lshl_add_u64 v[36:37], v[30:31], 3, s[2:3]
	global_store_dwordx2 v[36:37], v[6:7], off
.LBB695_99:
	s_or_b64 exec, exec, s[0:1]
	v_cmp_lt_u32_e32 vcc, v28, v23
	s_or_b64 s[2:3], s[28:29], vcc
	s_and_saveexec_b64 s[0:1], s[2:3]
	s_cbranch_execz .LBB695_102
; %bb.100:
	v_and_b32_e32 v25, 1, v20
	v_cmp_eq_u32_e32 vcc, 1, v25
	s_and_b64 exec, exec, vcc
	s_cbranch_execz .LBB695_102
; %bb.101:
	s_lshl_b64 s[2:3], s[22:23], 3
	s_add_u32 s2, s24, s2
	s_addc_u32 s3, s25, s3
	v_mov_b32_e32 v29, 0
	v_lshl_add_u64 v[36:37], v[28:29], 3, s[2:3]
	global_store_dwordx2 v[36:37], v[8:9], off
.LBB695_102:
	s_or_b64 exec, exec, s[0:1]
	v_cmp_lt_u32_e32 vcc, v26, v23
	s_or_b64 s[2:3], s[28:29], vcc
	s_and_saveexec_b64 s[0:1], s[2:3]
	s_cbranch_execz .LBB695_105
; %bb.103:
	v_and_b32_e32 v25, 1, v17
	v_cmp_eq_u32_e32 vcc, 1, v25
	s_and_b64 exec, exec, vcc
	s_cbranch_execz .LBB695_105
; %bb.104:
	s_lshl_b64 s[2:3], s[22:23], 3
	s_add_u32 s2, s24, s2
	s_addc_u32 s3, s25, s3
	v_mov_b32_e32 v27, 0
	v_lshl_add_u64 v[36:37], v[26:27], 3, s[2:3]
	global_store_dwordx2 v[36:37], v[2:3], off
.LBB695_105:
	;; [unrolled: 18-line block ×3, first 2 shown]
	s_or_b64 exec, exec, s[0:1]
	v_cmp_lt_u32_e32 vcc, v22, v23
	s_or_b64 s[2:3], s[28:29], vcc
	s_and_saveexec_b64 s[0:1], s[2:3]
	s_cbranch_execz .LBB695_111
; %bb.109:
	v_mov_b32_e32 v23, 1
	v_and_b32_sdwa v23, v23, v17 dst_sel:DWORD dst_unused:UNUSED_PAD src0_sel:DWORD src1_sel:WORD_1
	v_cmp_eq_u32_e32 vcc, 1, v23
	s_and_b64 exec, exec, vcc
	s_cbranch_execz .LBB695_111
; %bb.110:
	s_lshl_b64 s[2:3], s[22:23], 3
	s_add_u32 s2, s24, s2
	s_addc_u32 s3, s25, s3
	v_mov_b32_e32 v23, 0
	v_lshl_add_u64 v[36:37], v[22:23], 3, s[2:3]
	global_store_dwordx2 v[36:37], v[14:15], off
.LBB695_111:
	s_or_b64 exec, exec, s[0:1]
	s_branch .LBB695_88
.LBB695_112:
	v_and_b32_e32 v23, 1, v16
	v_cmp_eq_u32_e32 vcc, 1, v23
	s_and_saveexec_b64 s[0:1], vcc
	s_cbranch_execz .LBB695_114
; %bb.113:
	v_sub_u32_e32 v23, v34, v19
	v_lshlrev_b32_e32 v23, 3, v23
	ds_write_b64 v23, v[10:11]
.LBB695_114:
	s_or_b64 exec, exec, s[0:1]
	v_and_b32_e32 v10, 1, v21
	v_cmp_eq_u32_e32 vcc, 1, v10
	s_and_saveexec_b64 s[0:1], vcc
	s_cbranch_execz .LBB695_116
; %bb.115:
	v_sub_u32_e32 v10, v32, v19
	v_lshlrev_b32_e32 v10, 3, v10
	ds_write_b64 v10, v[12:13]
.LBB695_116:
	s_or_b64 exec, exec, s[0:1]
	v_mov_b32_e32 v10, 1
	v_and_b32_sdwa v10, v10, v16 dst_sel:DWORD dst_unused:UNUSED_PAD src0_sel:DWORD src1_sel:WORD_1
	v_cmp_eq_u32_e32 vcc, 1, v10
	s_and_saveexec_b64 s[0:1], vcc
	s_cbranch_execz .LBB695_118
; %bb.117:
	v_sub_u32_e32 v10, v30, v19
	v_lshlrev_b32_e32 v10, 3, v10
	ds_write_b64 v10, v[6:7]
.LBB695_118:
	s_or_b64 exec, exec, s[0:1]
	v_and_b32_e32 v6, 1, v20
	v_cmp_eq_u32_e32 vcc, 1, v6
	s_and_saveexec_b64 s[0:1], vcc
	s_cbranch_execz .LBB695_120
; %bb.119:
	v_sub_u32_e32 v6, v28, v19
	v_lshlrev_b32_e32 v6, 3, v6
	ds_write_b64 v6, v[8:9]
.LBB695_120:
	s_or_b64 exec, exec, s[0:1]
	v_and_b32_e32 v6, 1, v17
	v_cmp_eq_u32_e32 vcc, 1, v6
	s_and_saveexec_b64 s[0:1], vcc
	s_cbranch_execz .LBB695_122
; %bb.121:
	v_sub_u32_e32 v6, v26, v19
	v_lshlrev_b32_e32 v6, 3, v6
	ds_write_b64 v6, v[2:3]
.LBB695_122:
	s_or_b64 exec, exec, s[0:1]
	v_and_b32_e32 v1, 1, v1
	v_cmp_eq_u32_e32 vcc, 1, v1
	s_and_saveexec_b64 s[0:1], vcc
	s_cbranch_execz .LBB695_124
; %bb.123:
	v_sub_u32_e32 v1, v24, v19
	v_lshlrev_b32_e32 v1, 3, v1
	ds_write_b64 v1, v[4:5]
.LBB695_124:
	s_or_b64 exec, exec, s[0:1]
	v_mov_b32_e32 v1, 1
	v_and_b32_sdwa v1, v1, v17 dst_sel:DWORD dst_unused:UNUSED_PAD src0_sel:DWORD src1_sel:WORD_1
	v_cmp_eq_u32_e32 vcc, 1, v1
	s_and_saveexec_b64 s[0:1], vcc
	s_cbranch_execz .LBB695_126
; %bb.125:
	v_sub_u32_e32 v1, v22, v19
	v_lshlrev_b32_e32 v1, 3, v1
	ds_write_b64 v1, v[14:15]
.LBB695_126:
	s_or_b64 exec, exec, s[0:1]
	v_cmp_lt_u32_e32 vcc, v0, v18
	s_waitcnt lgkmcnt(0)
	s_barrier
	s_and_saveexec_b64 s[0:1], vcc
	s_cbranch_execz .LBB695_129
; %bb.127:
	v_mov_b32_e32 v5, 0
	v_mov_b32_e32 v4, v19
	s_lshl_b64 s[2:3], s[22:23], 3
	v_lshlrev_b64 v[6:7], 3, v[4:5]
	v_lshl_add_u64 v[6:7], s[2:3], 0, v[6:7]
	v_lshlrev_b32_e32 v2, 3, v0
	v_mov_b32_e32 v3, v5
	v_lshl_add_u64 v[4:5], s[24:25], 0, v[6:7]
	v_lshl_add_u64 v[4:5], v[4:5], 0, v[2:3]
	s_mov_b64 s[2:3], 0
	s_mov_b64 s[4:5], 0x1000
.LBB695_128:                            ; =>This Inner Loop Header: Depth=1
	ds_read_b64 v[6:7], v2
	v_add_u32_e32 v0, 0x200, v0
	v_cmp_ge_u32_e32 vcc, v0, v18
	v_add_u32_e32 v2, 0x1000, v2
	s_or_b64 s[2:3], vcc, s[2:3]
	s_waitcnt lgkmcnt(0)
	global_store_dwordx2 v[4:5], v[6:7], off
	v_lshl_add_u64 v[4:5], v[4:5], 0, s[4:5]
	s_andn2_b64 exec, exec, s[2:3]
	s_cbranch_execnz .LBB695_128
.LBB695_129:
	s_or_b64 exec, exec, s[0:1]
	s_and_b64 s[0:1], s[18:19], s[26:27]
	s_and_saveexec_b64 s[2:3], s[0:1]
	s_cbranch_execz .LBB695_89
.LBB695_130:
	v_mov_b32_e32 v1, 0
	v_mov_b32_e32 v0, v18
	v_lshl_add_u64 v[2:3], s[22:23], 0, v[0:1]
	v_mov_b32_e32 v0, v19
	v_lshl_add_u64 v[2:3], v[2:3], 0, v[0:1]
	global_store_dwordx2 v1, v[2:3], s[20:21]
	s_endpgm
.LBB695_131:
	s_or_b64 exec, exec, s[4:5]
	s_and_saveexec_b64 s[2:3], s[34:35]
	s_cbranch_execnz .LBB695_42
	s_branch .LBB695_43
	.section	.rodata,"a",@progbits
	.p2align	6, 0x0
	.amdhsa_kernel _ZN7rocprim17ROCPRIM_400000_NS6detail17trampoline_kernelINS0_14default_configENS1_25partition_config_selectorILNS1_17partition_subalgoE8EmNS0_10empty_typeEbEEZZNS1_14partition_implILS5_8ELb0ES3_jPKmPS6_PKS6_NS0_5tupleIJPmS6_EEENSE_IJSB_SB_EEENS0_18inequality_wrapperIN6hipcub16HIPCUB_304000_NS8EqualityEEEPlJS6_EEE10hipError_tPvRmT3_T4_T5_T6_T7_T9_mT8_P12ihipStream_tbDpT10_ENKUlT_T0_E_clISt17integral_constantIbLb1EES17_EEDaS12_S13_EUlS12_E_NS1_11comp_targetILNS1_3genE5ELNS1_11target_archE942ELNS1_3gpuE9ELNS1_3repE0EEENS1_30default_config_static_selectorELNS0_4arch9wavefront6targetE1EEEvT1_
		.amdhsa_group_segment_fixed_size 28680
		.amdhsa_private_segment_fixed_size 0
		.amdhsa_kernarg_size 128
		.amdhsa_user_sgpr_count 2
		.amdhsa_user_sgpr_dispatch_ptr 0
		.amdhsa_user_sgpr_queue_ptr 0
		.amdhsa_user_sgpr_kernarg_segment_ptr 1
		.amdhsa_user_sgpr_dispatch_id 0
		.amdhsa_user_sgpr_kernarg_preload_length 0
		.amdhsa_user_sgpr_kernarg_preload_offset 0
		.amdhsa_user_sgpr_private_segment_size 0
		.amdhsa_uses_dynamic_stack 0
		.amdhsa_enable_private_segment 0
		.amdhsa_system_sgpr_workgroup_id_x 1
		.amdhsa_system_sgpr_workgroup_id_y 0
		.amdhsa_system_sgpr_workgroup_id_z 0
		.amdhsa_system_sgpr_workgroup_info 0
		.amdhsa_system_vgpr_workitem_id 0
		.amdhsa_next_free_vgpr 53
		.amdhsa_next_free_sgpr 42
		.amdhsa_accum_offset 56
		.amdhsa_reserve_vcc 1
		.amdhsa_float_round_mode_32 0
		.amdhsa_float_round_mode_16_64 0
		.amdhsa_float_denorm_mode_32 3
		.amdhsa_float_denorm_mode_16_64 3
		.amdhsa_dx10_clamp 1
		.amdhsa_ieee_mode 1
		.amdhsa_fp16_overflow 0
		.amdhsa_tg_split 0
		.amdhsa_exception_fp_ieee_invalid_op 0
		.amdhsa_exception_fp_denorm_src 0
		.amdhsa_exception_fp_ieee_div_zero 0
		.amdhsa_exception_fp_ieee_overflow 0
		.amdhsa_exception_fp_ieee_underflow 0
		.amdhsa_exception_fp_ieee_inexact 0
		.amdhsa_exception_int_div_zero 0
	.end_amdhsa_kernel
	.section	.text._ZN7rocprim17ROCPRIM_400000_NS6detail17trampoline_kernelINS0_14default_configENS1_25partition_config_selectorILNS1_17partition_subalgoE8EmNS0_10empty_typeEbEEZZNS1_14partition_implILS5_8ELb0ES3_jPKmPS6_PKS6_NS0_5tupleIJPmS6_EEENSE_IJSB_SB_EEENS0_18inequality_wrapperIN6hipcub16HIPCUB_304000_NS8EqualityEEEPlJS6_EEE10hipError_tPvRmT3_T4_T5_T6_T7_T9_mT8_P12ihipStream_tbDpT10_ENKUlT_T0_E_clISt17integral_constantIbLb1EES17_EEDaS12_S13_EUlS12_E_NS1_11comp_targetILNS1_3genE5ELNS1_11target_archE942ELNS1_3gpuE9ELNS1_3repE0EEENS1_30default_config_static_selectorELNS0_4arch9wavefront6targetE1EEEvT1_,"axG",@progbits,_ZN7rocprim17ROCPRIM_400000_NS6detail17trampoline_kernelINS0_14default_configENS1_25partition_config_selectorILNS1_17partition_subalgoE8EmNS0_10empty_typeEbEEZZNS1_14partition_implILS5_8ELb0ES3_jPKmPS6_PKS6_NS0_5tupleIJPmS6_EEENSE_IJSB_SB_EEENS0_18inequality_wrapperIN6hipcub16HIPCUB_304000_NS8EqualityEEEPlJS6_EEE10hipError_tPvRmT3_T4_T5_T6_T7_T9_mT8_P12ihipStream_tbDpT10_ENKUlT_T0_E_clISt17integral_constantIbLb1EES17_EEDaS12_S13_EUlS12_E_NS1_11comp_targetILNS1_3genE5ELNS1_11target_archE942ELNS1_3gpuE9ELNS1_3repE0EEENS1_30default_config_static_selectorELNS0_4arch9wavefront6targetE1EEEvT1_,comdat
.Lfunc_end695:
	.size	_ZN7rocprim17ROCPRIM_400000_NS6detail17trampoline_kernelINS0_14default_configENS1_25partition_config_selectorILNS1_17partition_subalgoE8EmNS0_10empty_typeEbEEZZNS1_14partition_implILS5_8ELb0ES3_jPKmPS6_PKS6_NS0_5tupleIJPmS6_EEENSE_IJSB_SB_EEENS0_18inequality_wrapperIN6hipcub16HIPCUB_304000_NS8EqualityEEEPlJS6_EEE10hipError_tPvRmT3_T4_T5_T6_T7_T9_mT8_P12ihipStream_tbDpT10_ENKUlT_T0_E_clISt17integral_constantIbLb1EES17_EEDaS12_S13_EUlS12_E_NS1_11comp_targetILNS1_3genE5ELNS1_11target_archE942ELNS1_3gpuE9ELNS1_3repE0EEENS1_30default_config_static_selectorELNS0_4arch9wavefront6targetE1EEEvT1_, .Lfunc_end695-_ZN7rocprim17ROCPRIM_400000_NS6detail17trampoline_kernelINS0_14default_configENS1_25partition_config_selectorILNS1_17partition_subalgoE8EmNS0_10empty_typeEbEEZZNS1_14partition_implILS5_8ELb0ES3_jPKmPS6_PKS6_NS0_5tupleIJPmS6_EEENSE_IJSB_SB_EEENS0_18inequality_wrapperIN6hipcub16HIPCUB_304000_NS8EqualityEEEPlJS6_EEE10hipError_tPvRmT3_T4_T5_T6_T7_T9_mT8_P12ihipStream_tbDpT10_ENKUlT_T0_E_clISt17integral_constantIbLb1EES17_EEDaS12_S13_EUlS12_E_NS1_11comp_targetILNS1_3genE5ELNS1_11target_archE942ELNS1_3gpuE9ELNS1_3repE0EEENS1_30default_config_static_selectorELNS0_4arch9wavefront6targetE1EEEvT1_
                                        ; -- End function
	.section	.AMDGPU.csdata,"",@progbits
; Kernel info:
; codeLenInByte = 5700
; NumSgprs: 48
; NumVgprs: 53
; NumAgprs: 0
; TotalNumVgprs: 53
; ScratchSize: 0
; MemoryBound: 0
; FloatMode: 240
; IeeeMode: 1
; LDSByteSize: 28680 bytes/workgroup (compile time only)
; SGPRBlocks: 5
; VGPRBlocks: 6
; NumSGPRsForWavesPerEU: 48
; NumVGPRsForWavesPerEU: 53
; AccumOffset: 56
; Occupancy: 4
; WaveLimiterHint : 1
; COMPUTE_PGM_RSRC2:SCRATCH_EN: 0
; COMPUTE_PGM_RSRC2:USER_SGPR: 2
; COMPUTE_PGM_RSRC2:TRAP_HANDLER: 0
; COMPUTE_PGM_RSRC2:TGID_X_EN: 1
; COMPUTE_PGM_RSRC2:TGID_Y_EN: 0
; COMPUTE_PGM_RSRC2:TGID_Z_EN: 0
; COMPUTE_PGM_RSRC2:TIDIG_COMP_CNT: 0
; COMPUTE_PGM_RSRC3_GFX90A:ACCUM_OFFSET: 13
; COMPUTE_PGM_RSRC3_GFX90A:TG_SPLIT: 0
	.section	.text._ZN7rocprim17ROCPRIM_400000_NS6detail17trampoline_kernelINS0_14default_configENS1_25partition_config_selectorILNS1_17partition_subalgoE8EmNS0_10empty_typeEbEEZZNS1_14partition_implILS5_8ELb0ES3_jPKmPS6_PKS6_NS0_5tupleIJPmS6_EEENSE_IJSB_SB_EEENS0_18inequality_wrapperIN6hipcub16HIPCUB_304000_NS8EqualityEEEPlJS6_EEE10hipError_tPvRmT3_T4_T5_T6_T7_T9_mT8_P12ihipStream_tbDpT10_ENKUlT_T0_E_clISt17integral_constantIbLb1EES17_EEDaS12_S13_EUlS12_E_NS1_11comp_targetILNS1_3genE4ELNS1_11target_archE910ELNS1_3gpuE8ELNS1_3repE0EEENS1_30default_config_static_selectorELNS0_4arch9wavefront6targetE1EEEvT1_,"axG",@progbits,_ZN7rocprim17ROCPRIM_400000_NS6detail17trampoline_kernelINS0_14default_configENS1_25partition_config_selectorILNS1_17partition_subalgoE8EmNS0_10empty_typeEbEEZZNS1_14partition_implILS5_8ELb0ES3_jPKmPS6_PKS6_NS0_5tupleIJPmS6_EEENSE_IJSB_SB_EEENS0_18inequality_wrapperIN6hipcub16HIPCUB_304000_NS8EqualityEEEPlJS6_EEE10hipError_tPvRmT3_T4_T5_T6_T7_T9_mT8_P12ihipStream_tbDpT10_ENKUlT_T0_E_clISt17integral_constantIbLb1EES17_EEDaS12_S13_EUlS12_E_NS1_11comp_targetILNS1_3genE4ELNS1_11target_archE910ELNS1_3gpuE8ELNS1_3repE0EEENS1_30default_config_static_selectorELNS0_4arch9wavefront6targetE1EEEvT1_,comdat
	.protected	_ZN7rocprim17ROCPRIM_400000_NS6detail17trampoline_kernelINS0_14default_configENS1_25partition_config_selectorILNS1_17partition_subalgoE8EmNS0_10empty_typeEbEEZZNS1_14partition_implILS5_8ELb0ES3_jPKmPS6_PKS6_NS0_5tupleIJPmS6_EEENSE_IJSB_SB_EEENS0_18inequality_wrapperIN6hipcub16HIPCUB_304000_NS8EqualityEEEPlJS6_EEE10hipError_tPvRmT3_T4_T5_T6_T7_T9_mT8_P12ihipStream_tbDpT10_ENKUlT_T0_E_clISt17integral_constantIbLb1EES17_EEDaS12_S13_EUlS12_E_NS1_11comp_targetILNS1_3genE4ELNS1_11target_archE910ELNS1_3gpuE8ELNS1_3repE0EEENS1_30default_config_static_selectorELNS0_4arch9wavefront6targetE1EEEvT1_ ; -- Begin function _ZN7rocprim17ROCPRIM_400000_NS6detail17trampoline_kernelINS0_14default_configENS1_25partition_config_selectorILNS1_17partition_subalgoE8EmNS0_10empty_typeEbEEZZNS1_14partition_implILS5_8ELb0ES3_jPKmPS6_PKS6_NS0_5tupleIJPmS6_EEENSE_IJSB_SB_EEENS0_18inequality_wrapperIN6hipcub16HIPCUB_304000_NS8EqualityEEEPlJS6_EEE10hipError_tPvRmT3_T4_T5_T6_T7_T9_mT8_P12ihipStream_tbDpT10_ENKUlT_T0_E_clISt17integral_constantIbLb1EES17_EEDaS12_S13_EUlS12_E_NS1_11comp_targetILNS1_3genE4ELNS1_11target_archE910ELNS1_3gpuE8ELNS1_3repE0EEENS1_30default_config_static_selectorELNS0_4arch9wavefront6targetE1EEEvT1_
	.globl	_ZN7rocprim17ROCPRIM_400000_NS6detail17trampoline_kernelINS0_14default_configENS1_25partition_config_selectorILNS1_17partition_subalgoE8EmNS0_10empty_typeEbEEZZNS1_14partition_implILS5_8ELb0ES3_jPKmPS6_PKS6_NS0_5tupleIJPmS6_EEENSE_IJSB_SB_EEENS0_18inequality_wrapperIN6hipcub16HIPCUB_304000_NS8EqualityEEEPlJS6_EEE10hipError_tPvRmT3_T4_T5_T6_T7_T9_mT8_P12ihipStream_tbDpT10_ENKUlT_T0_E_clISt17integral_constantIbLb1EES17_EEDaS12_S13_EUlS12_E_NS1_11comp_targetILNS1_3genE4ELNS1_11target_archE910ELNS1_3gpuE8ELNS1_3repE0EEENS1_30default_config_static_selectorELNS0_4arch9wavefront6targetE1EEEvT1_
	.p2align	8
	.type	_ZN7rocprim17ROCPRIM_400000_NS6detail17trampoline_kernelINS0_14default_configENS1_25partition_config_selectorILNS1_17partition_subalgoE8EmNS0_10empty_typeEbEEZZNS1_14partition_implILS5_8ELb0ES3_jPKmPS6_PKS6_NS0_5tupleIJPmS6_EEENSE_IJSB_SB_EEENS0_18inequality_wrapperIN6hipcub16HIPCUB_304000_NS8EqualityEEEPlJS6_EEE10hipError_tPvRmT3_T4_T5_T6_T7_T9_mT8_P12ihipStream_tbDpT10_ENKUlT_T0_E_clISt17integral_constantIbLb1EES17_EEDaS12_S13_EUlS12_E_NS1_11comp_targetILNS1_3genE4ELNS1_11target_archE910ELNS1_3gpuE8ELNS1_3repE0EEENS1_30default_config_static_selectorELNS0_4arch9wavefront6targetE1EEEvT1_,@function
_ZN7rocprim17ROCPRIM_400000_NS6detail17trampoline_kernelINS0_14default_configENS1_25partition_config_selectorILNS1_17partition_subalgoE8EmNS0_10empty_typeEbEEZZNS1_14partition_implILS5_8ELb0ES3_jPKmPS6_PKS6_NS0_5tupleIJPmS6_EEENSE_IJSB_SB_EEENS0_18inequality_wrapperIN6hipcub16HIPCUB_304000_NS8EqualityEEEPlJS6_EEE10hipError_tPvRmT3_T4_T5_T6_T7_T9_mT8_P12ihipStream_tbDpT10_ENKUlT_T0_E_clISt17integral_constantIbLb1EES17_EEDaS12_S13_EUlS12_E_NS1_11comp_targetILNS1_3genE4ELNS1_11target_archE910ELNS1_3gpuE8ELNS1_3repE0EEENS1_30default_config_static_selectorELNS0_4arch9wavefront6targetE1EEEvT1_: ; @_ZN7rocprim17ROCPRIM_400000_NS6detail17trampoline_kernelINS0_14default_configENS1_25partition_config_selectorILNS1_17partition_subalgoE8EmNS0_10empty_typeEbEEZZNS1_14partition_implILS5_8ELb0ES3_jPKmPS6_PKS6_NS0_5tupleIJPmS6_EEENSE_IJSB_SB_EEENS0_18inequality_wrapperIN6hipcub16HIPCUB_304000_NS8EqualityEEEPlJS6_EEE10hipError_tPvRmT3_T4_T5_T6_T7_T9_mT8_P12ihipStream_tbDpT10_ENKUlT_T0_E_clISt17integral_constantIbLb1EES17_EEDaS12_S13_EUlS12_E_NS1_11comp_targetILNS1_3genE4ELNS1_11target_archE910ELNS1_3gpuE8ELNS1_3repE0EEENS1_30default_config_static_selectorELNS0_4arch9wavefront6targetE1EEEvT1_
; %bb.0:
	.section	.rodata,"a",@progbits
	.p2align	6, 0x0
	.amdhsa_kernel _ZN7rocprim17ROCPRIM_400000_NS6detail17trampoline_kernelINS0_14default_configENS1_25partition_config_selectorILNS1_17partition_subalgoE8EmNS0_10empty_typeEbEEZZNS1_14partition_implILS5_8ELb0ES3_jPKmPS6_PKS6_NS0_5tupleIJPmS6_EEENSE_IJSB_SB_EEENS0_18inequality_wrapperIN6hipcub16HIPCUB_304000_NS8EqualityEEEPlJS6_EEE10hipError_tPvRmT3_T4_T5_T6_T7_T9_mT8_P12ihipStream_tbDpT10_ENKUlT_T0_E_clISt17integral_constantIbLb1EES17_EEDaS12_S13_EUlS12_E_NS1_11comp_targetILNS1_3genE4ELNS1_11target_archE910ELNS1_3gpuE8ELNS1_3repE0EEENS1_30default_config_static_selectorELNS0_4arch9wavefront6targetE1EEEvT1_
		.amdhsa_group_segment_fixed_size 0
		.amdhsa_private_segment_fixed_size 0
		.amdhsa_kernarg_size 128
		.amdhsa_user_sgpr_count 2
		.amdhsa_user_sgpr_dispatch_ptr 0
		.amdhsa_user_sgpr_queue_ptr 0
		.amdhsa_user_sgpr_kernarg_segment_ptr 1
		.amdhsa_user_sgpr_dispatch_id 0
		.amdhsa_user_sgpr_kernarg_preload_length 0
		.amdhsa_user_sgpr_kernarg_preload_offset 0
		.amdhsa_user_sgpr_private_segment_size 0
		.amdhsa_uses_dynamic_stack 0
		.amdhsa_enable_private_segment 0
		.amdhsa_system_sgpr_workgroup_id_x 1
		.amdhsa_system_sgpr_workgroup_id_y 0
		.amdhsa_system_sgpr_workgroup_id_z 0
		.amdhsa_system_sgpr_workgroup_info 0
		.amdhsa_system_vgpr_workitem_id 0
		.amdhsa_next_free_vgpr 1
		.amdhsa_next_free_sgpr 0
		.amdhsa_accum_offset 4
		.amdhsa_reserve_vcc 0
		.amdhsa_float_round_mode_32 0
		.amdhsa_float_round_mode_16_64 0
		.amdhsa_float_denorm_mode_32 3
		.amdhsa_float_denorm_mode_16_64 3
		.amdhsa_dx10_clamp 1
		.amdhsa_ieee_mode 1
		.amdhsa_fp16_overflow 0
		.amdhsa_tg_split 0
		.amdhsa_exception_fp_ieee_invalid_op 0
		.amdhsa_exception_fp_denorm_src 0
		.amdhsa_exception_fp_ieee_div_zero 0
		.amdhsa_exception_fp_ieee_overflow 0
		.amdhsa_exception_fp_ieee_underflow 0
		.amdhsa_exception_fp_ieee_inexact 0
		.amdhsa_exception_int_div_zero 0
	.end_amdhsa_kernel
	.section	.text._ZN7rocprim17ROCPRIM_400000_NS6detail17trampoline_kernelINS0_14default_configENS1_25partition_config_selectorILNS1_17partition_subalgoE8EmNS0_10empty_typeEbEEZZNS1_14partition_implILS5_8ELb0ES3_jPKmPS6_PKS6_NS0_5tupleIJPmS6_EEENSE_IJSB_SB_EEENS0_18inequality_wrapperIN6hipcub16HIPCUB_304000_NS8EqualityEEEPlJS6_EEE10hipError_tPvRmT3_T4_T5_T6_T7_T9_mT8_P12ihipStream_tbDpT10_ENKUlT_T0_E_clISt17integral_constantIbLb1EES17_EEDaS12_S13_EUlS12_E_NS1_11comp_targetILNS1_3genE4ELNS1_11target_archE910ELNS1_3gpuE8ELNS1_3repE0EEENS1_30default_config_static_selectorELNS0_4arch9wavefront6targetE1EEEvT1_,"axG",@progbits,_ZN7rocprim17ROCPRIM_400000_NS6detail17trampoline_kernelINS0_14default_configENS1_25partition_config_selectorILNS1_17partition_subalgoE8EmNS0_10empty_typeEbEEZZNS1_14partition_implILS5_8ELb0ES3_jPKmPS6_PKS6_NS0_5tupleIJPmS6_EEENSE_IJSB_SB_EEENS0_18inequality_wrapperIN6hipcub16HIPCUB_304000_NS8EqualityEEEPlJS6_EEE10hipError_tPvRmT3_T4_T5_T6_T7_T9_mT8_P12ihipStream_tbDpT10_ENKUlT_T0_E_clISt17integral_constantIbLb1EES17_EEDaS12_S13_EUlS12_E_NS1_11comp_targetILNS1_3genE4ELNS1_11target_archE910ELNS1_3gpuE8ELNS1_3repE0EEENS1_30default_config_static_selectorELNS0_4arch9wavefront6targetE1EEEvT1_,comdat
.Lfunc_end696:
	.size	_ZN7rocprim17ROCPRIM_400000_NS6detail17trampoline_kernelINS0_14default_configENS1_25partition_config_selectorILNS1_17partition_subalgoE8EmNS0_10empty_typeEbEEZZNS1_14partition_implILS5_8ELb0ES3_jPKmPS6_PKS6_NS0_5tupleIJPmS6_EEENSE_IJSB_SB_EEENS0_18inequality_wrapperIN6hipcub16HIPCUB_304000_NS8EqualityEEEPlJS6_EEE10hipError_tPvRmT3_T4_T5_T6_T7_T9_mT8_P12ihipStream_tbDpT10_ENKUlT_T0_E_clISt17integral_constantIbLb1EES17_EEDaS12_S13_EUlS12_E_NS1_11comp_targetILNS1_3genE4ELNS1_11target_archE910ELNS1_3gpuE8ELNS1_3repE0EEENS1_30default_config_static_selectorELNS0_4arch9wavefront6targetE1EEEvT1_, .Lfunc_end696-_ZN7rocprim17ROCPRIM_400000_NS6detail17trampoline_kernelINS0_14default_configENS1_25partition_config_selectorILNS1_17partition_subalgoE8EmNS0_10empty_typeEbEEZZNS1_14partition_implILS5_8ELb0ES3_jPKmPS6_PKS6_NS0_5tupleIJPmS6_EEENSE_IJSB_SB_EEENS0_18inequality_wrapperIN6hipcub16HIPCUB_304000_NS8EqualityEEEPlJS6_EEE10hipError_tPvRmT3_T4_T5_T6_T7_T9_mT8_P12ihipStream_tbDpT10_ENKUlT_T0_E_clISt17integral_constantIbLb1EES17_EEDaS12_S13_EUlS12_E_NS1_11comp_targetILNS1_3genE4ELNS1_11target_archE910ELNS1_3gpuE8ELNS1_3repE0EEENS1_30default_config_static_selectorELNS0_4arch9wavefront6targetE1EEEvT1_
                                        ; -- End function
	.section	.AMDGPU.csdata,"",@progbits
; Kernel info:
; codeLenInByte = 0
; NumSgprs: 6
; NumVgprs: 0
; NumAgprs: 0
; TotalNumVgprs: 0
; ScratchSize: 0
; MemoryBound: 0
; FloatMode: 240
; IeeeMode: 1
; LDSByteSize: 0 bytes/workgroup (compile time only)
; SGPRBlocks: 0
; VGPRBlocks: 0
; NumSGPRsForWavesPerEU: 6
; NumVGPRsForWavesPerEU: 1
; AccumOffset: 4
; Occupancy: 8
; WaveLimiterHint : 0
; COMPUTE_PGM_RSRC2:SCRATCH_EN: 0
; COMPUTE_PGM_RSRC2:USER_SGPR: 2
; COMPUTE_PGM_RSRC2:TRAP_HANDLER: 0
; COMPUTE_PGM_RSRC2:TGID_X_EN: 1
; COMPUTE_PGM_RSRC2:TGID_Y_EN: 0
; COMPUTE_PGM_RSRC2:TGID_Z_EN: 0
; COMPUTE_PGM_RSRC2:TIDIG_COMP_CNT: 0
; COMPUTE_PGM_RSRC3_GFX90A:ACCUM_OFFSET: 0
; COMPUTE_PGM_RSRC3_GFX90A:TG_SPLIT: 0
	.section	.text._ZN7rocprim17ROCPRIM_400000_NS6detail17trampoline_kernelINS0_14default_configENS1_25partition_config_selectorILNS1_17partition_subalgoE8EmNS0_10empty_typeEbEEZZNS1_14partition_implILS5_8ELb0ES3_jPKmPS6_PKS6_NS0_5tupleIJPmS6_EEENSE_IJSB_SB_EEENS0_18inequality_wrapperIN6hipcub16HIPCUB_304000_NS8EqualityEEEPlJS6_EEE10hipError_tPvRmT3_T4_T5_T6_T7_T9_mT8_P12ihipStream_tbDpT10_ENKUlT_T0_E_clISt17integral_constantIbLb1EES17_EEDaS12_S13_EUlS12_E_NS1_11comp_targetILNS1_3genE3ELNS1_11target_archE908ELNS1_3gpuE7ELNS1_3repE0EEENS1_30default_config_static_selectorELNS0_4arch9wavefront6targetE1EEEvT1_,"axG",@progbits,_ZN7rocprim17ROCPRIM_400000_NS6detail17trampoline_kernelINS0_14default_configENS1_25partition_config_selectorILNS1_17partition_subalgoE8EmNS0_10empty_typeEbEEZZNS1_14partition_implILS5_8ELb0ES3_jPKmPS6_PKS6_NS0_5tupleIJPmS6_EEENSE_IJSB_SB_EEENS0_18inequality_wrapperIN6hipcub16HIPCUB_304000_NS8EqualityEEEPlJS6_EEE10hipError_tPvRmT3_T4_T5_T6_T7_T9_mT8_P12ihipStream_tbDpT10_ENKUlT_T0_E_clISt17integral_constantIbLb1EES17_EEDaS12_S13_EUlS12_E_NS1_11comp_targetILNS1_3genE3ELNS1_11target_archE908ELNS1_3gpuE7ELNS1_3repE0EEENS1_30default_config_static_selectorELNS0_4arch9wavefront6targetE1EEEvT1_,comdat
	.protected	_ZN7rocprim17ROCPRIM_400000_NS6detail17trampoline_kernelINS0_14default_configENS1_25partition_config_selectorILNS1_17partition_subalgoE8EmNS0_10empty_typeEbEEZZNS1_14partition_implILS5_8ELb0ES3_jPKmPS6_PKS6_NS0_5tupleIJPmS6_EEENSE_IJSB_SB_EEENS0_18inequality_wrapperIN6hipcub16HIPCUB_304000_NS8EqualityEEEPlJS6_EEE10hipError_tPvRmT3_T4_T5_T6_T7_T9_mT8_P12ihipStream_tbDpT10_ENKUlT_T0_E_clISt17integral_constantIbLb1EES17_EEDaS12_S13_EUlS12_E_NS1_11comp_targetILNS1_3genE3ELNS1_11target_archE908ELNS1_3gpuE7ELNS1_3repE0EEENS1_30default_config_static_selectorELNS0_4arch9wavefront6targetE1EEEvT1_ ; -- Begin function _ZN7rocprim17ROCPRIM_400000_NS6detail17trampoline_kernelINS0_14default_configENS1_25partition_config_selectorILNS1_17partition_subalgoE8EmNS0_10empty_typeEbEEZZNS1_14partition_implILS5_8ELb0ES3_jPKmPS6_PKS6_NS0_5tupleIJPmS6_EEENSE_IJSB_SB_EEENS0_18inequality_wrapperIN6hipcub16HIPCUB_304000_NS8EqualityEEEPlJS6_EEE10hipError_tPvRmT3_T4_T5_T6_T7_T9_mT8_P12ihipStream_tbDpT10_ENKUlT_T0_E_clISt17integral_constantIbLb1EES17_EEDaS12_S13_EUlS12_E_NS1_11comp_targetILNS1_3genE3ELNS1_11target_archE908ELNS1_3gpuE7ELNS1_3repE0EEENS1_30default_config_static_selectorELNS0_4arch9wavefront6targetE1EEEvT1_
	.globl	_ZN7rocprim17ROCPRIM_400000_NS6detail17trampoline_kernelINS0_14default_configENS1_25partition_config_selectorILNS1_17partition_subalgoE8EmNS0_10empty_typeEbEEZZNS1_14partition_implILS5_8ELb0ES3_jPKmPS6_PKS6_NS0_5tupleIJPmS6_EEENSE_IJSB_SB_EEENS0_18inequality_wrapperIN6hipcub16HIPCUB_304000_NS8EqualityEEEPlJS6_EEE10hipError_tPvRmT3_T4_T5_T6_T7_T9_mT8_P12ihipStream_tbDpT10_ENKUlT_T0_E_clISt17integral_constantIbLb1EES17_EEDaS12_S13_EUlS12_E_NS1_11comp_targetILNS1_3genE3ELNS1_11target_archE908ELNS1_3gpuE7ELNS1_3repE0EEENS1_30default_config_static_selectorELNS0_4arch9wavefront6targetE1EEEvT1_
	.p2align	8
	.type	_ZN7rocprim17ROCPRIM_400000_NS6detail17trampoline_kernelINS0_14default_configENS1_25partition_config_selectorILNS1_17partition_subalgoE8EmNS0_10empty_typeEbEEZZNS1_14partition_implILS5_8ELb0ES3_jPKmPS6_PKS6_NS0_5tupleIJPmS6_EEENSE_IJSB_SB_EEENS0_18inequality_wrapperIN6hipcub16HIPCUB_304000_NS8EqualityEEEPlJS6_EEE10hipError_tPvRmT3_T4_T5_T6_T7_T9_mT8_P12ihipStream_tbDpT10_ENKUlT_T0_E_clISt17integral_constantIbLb1EES17_EEDaS12_S13_EUlS12_E_NS1_11comp_targetILNS1_3genE3ELNS1_11target_archE908ELNS1_3gpuE7ELNS1_3repE0EEENS1_30default_config_static_selectorELNS0_4arch9wavefront6targetE1EEEvT1_,@function
_ZN7rocprim17ROCPRIM_400000_NS6detail17trampoline_kernelINS0_14default_configENS1_25partition_config_selectorILNS1_17partition_subalgoE8EmNS0_10empty_typeEbEEZZNS1_14partition_implILS5_8ELb0ES3_jPKmPS6_PKS6_NS0_5tupleIJPmS6_EEENSE_IJSB_SB_EEENS0_18inequality_wrapperIN6hipcub16HIPCUB_304000_NS8EqualityEEEPlJS6_EEE10hipError_tPvRmT3_T4_T5_T6_T7_T9_mT8_P12ihipStream_tbDpT10_ENKUlT_T0_E_clISt17integral_constantIbLb1EES17_EEDaS12_S13_EUlS12_E_NS1_11comp_targetILNS1_3genE3ELNS1_11target_archE908ELNS1_3gpuE7ELNS1_3repE0EEENS1_30default_config_static_selectorELNS0_4arch9wavefront6targetE1EEEvT1_: ; @_ZN7rocprim17ROCPRIM_400000_NS6detail17trampoline_kernelINS0_14default_configENS1_25partition_config_selectorILNS1_17partition_subalgoE8EmNS0_10empty_typeEbEEZZNS1_14partition_implILS5_8ELb0ES3_jPKmPS6_PKS6_NS0_5tupleIJPmS6_EEENSE_IJSB_SB_EEENS0_18inequality_wrapperIN6hipcub16HIPCUB_304000_NS8EqualityEEEPlJS6_EEE10hipError_tPvRmT3_T4_T5_T6_T7_T9_mT8_P12ihipStream_tbDpT10_ENKUlT_T0_E_clISt17integral_constantIbLb1EES17_EEDaS12_S13_EUlS12_E_NS1_11comp_targetILNS1_3genE3ELNS1_11target_archE908ELNS1_3gpuE7ELNS1_3repE0EEENS1_30default_config_static_selectorELNS0_4arch9wavefront6targetE1EEEvT1_
; %bb.0:
	.section	.rodata,"a",@progbits
	.p2align	6, 0x0
	.amdhsa_kernel _ZN7rocprim17ROCPRIM_400000_NS6detail17trampoline_kernelINS0_14default_configENS1_25partition_config_selectorILNS1_17partition_subalgoE8EmNS0_10empty_typeEbEEZZNS1_14partition_implILS5_8ELb0ES3_jPKmPS6_PKS6_NS0_5tupleIJPmS6_EEENSE_IJSB_SB_EEENS0_18inequality_wrapperIN6hipcub16HIPCUB_304000_NS8EqualityEEEPlJS6_EEE10hipError_tPvRmT3_T4_T5_T6_T7_T9_mT8_P12ihipStream_tbDpT10_ENKUlT_T0_E_clISt17integral_constantIbLb1EES17_EEDaS12_S13_EUlS12_E_NS1_11comp_targetILNS1_3genE3ELNS1_11target_archE908ELNS1_3gpuE7ELNS1_3repE0EEENS1_30default_config_static_selectorELNS0_4arch9wavefront6targetE1EEEvT1_
		.amdhsa_group_segment_fixed_size 0
		.amdhsa_private_segment_fixed_size 0
		.amdhsa_kernarg_size 128
		.amdhsa_user_sgpr_count 2
		.amdhsa_user_sgpr_dispatch_ptr 0
		.amdhsa_user_sgpr_queue_ptr 0
		.amdhsa_user_sgpr_kernarg_segment_ptr 1
		.amdhsa_user_sgpr_dispatch_id 0
		.amdhsa_user_sgpr_kernarg_preload_length 0
		.amdhsa_user_sgpr_kernarg_preload_offset 0
		.amdhsa_user_sgpr_private_segment_size 0
		.amdhsa_uses_dynamic_stack 0
		.amdhsa_enable_private_segment 0
		.amdhsa_system_sgpr_workgroup_id_x 1
		.amdhsa_system_sgpr_workgroup_id_y 0
		.amdhsa_system_sgpr_workgroup_id_z 0
		.amdhsa_system_sgpr_workgroup_info 0
		.amdhsa_system_vgpr_workitem_id 0
		.amdhsa_next_free_vgpr 1
		.amdhsa_next_free_sgpr 0
		.amdhsa_accum_offset 4
		.amdhsa_reserve_vcc 0
		.amdhsa_float_round_mode_32 0
		.amdhsa_float_round_mode_16_64 0
		.amdhsa_float_denorm_mode_32 3
		.amdhsa_float_denorm_mode_16_64 3
		.amdhsa_dx10_clamp 1
		.amdhsa_ieee_mode 1
		.amdhsa_fp16_overflow 0
		.amdhsa_tg_split 0
		.amdhsa_exception_fp_ieee_invalid_op 0
		.amdhsa_exception_fp_denorm_src 0
		.amdhsa_exception_fp_ieee_div_zero 0
		.amdhsa_exception_fp_ieee_overflow 0
		.amdhsa_exception_fp_ieee_underflow 0
		.amdhsa_exception_fp_ieee_inexact 0
		.amdhsa_exception_int_div_zero 0
	.end_amdhsa_kernel
	.section	.text._ZN7rocprim17ROCPRIM_400000_NS6detail17trampoline_kernelINS0_14default_configENS1_25partition_config_selectorILNS1_17partition_subalgoE8EmNS0_10empty_typeEbEEZZNS1_14partition_implILS5_8ELb0ES3_jPKmPS6_PKS6_NS0_5tupleIJPmS6_EEENSE_IJSB_SB_EEENS0_18inequality_wrapperIN6hipcub16HIPCUB_304000_NS8EqualityEEEPlJS6_EEE10hipError_tPvRmT3_T4_T5_T6_T7_T9_mT8_P12ihipStream_tbDpT10_ENKUlT_T0_E_clISt17integral_constantIbLb1EES17_EEDaS12_S13_EUlS12_E_NS1_11comp_targetILNS1_3genE3ELNS1_11target_archE908ELNS1_3gpuE7ELNS1_3repE0EEENS1_30default_config_static_selectorELNS0_4arch9wavefront6targetE1EEEvT1_,"axG",@progbits,_ZN7rocprim17ROCPRIM_400000_NS6detail17trampoline_kernelINS0_14default_configENS1_25partition_config_selectorILNS1_17partition_subalgoE8EmNS0_10empty_typeEbEEZZNS1_14partition_implILS5_8ELb0ES3_jPKmPS6_PKS6_NS0_5tupleIJPmS6_EEENSE_IJSB_SB_EEENS0_18inequality_wrapperIN6hipcub16HIPCUB_304000_NS8EqualityEEEPlJS6_EEE10hipError_tPvRmT3_T4_T5_T6_T7_T9_mT8_P12ihipStream_tbDpT10_ENKUlT_T0_E_clISt17integral_constantIbLb1EES17_EEDaS12_S13_EUlS12_E_NS1_11comp_targetILNS1_3genE3ELNS1_11target_archE908ELNS1_3gpuE7ELNS1_3repE0EEENS1_30default_config_static_selectorELNS0_4arch9wavefront6targetE1EEEvT1_,comdat
.Lfunc_end697:
	.size	_ZN7rocprim17ROCPRIM_400000_NS6detail17trampoline_kernelINS0_14default_configENS1_25partition_config_selectorILNS1_17partition_subalgoE8EmNS0_10empty_typeEbEEZZNS1_14partition_implILS5_8ELb0ES3_jPKmPS6_PKS6_NS0_5tupleIJPmS6_EEENSE_IJSB_SB_EEENS0_18inequality_wrapperIN6hipcub16HIPCUB_304000_NS8EqualityEEEPlJS6_EEE10hipError_tPvRmT3_T4_T5_T6_T7_T9_mT8_P12ihipStream_tbDpT10_ENKUlT_T0_E_clISt17integral_constantIbLb1EES17_EEDaS12_S13_EUlS12_E_NS1_11comp_targetILNS1_3genE3ELNS1_11target_archE908ELNS1_3gpuE7ELNS1_3repE0EEENS1_30default_config_static_selectorELNS0_4arch9wavefront6targetE1EEEvT1_, .Lfunc_end697-_ZN7rocprim17ROCPRIM_400000_NS6detail17trampoline_kernelINS0_14default_configENS1_25partition_config_selectorILNS1_17partition_subalgoE8EmNS0_10empty_typeEbEEZZNS1_14partition_implILS5_8ELb0ES3_jPKmPS6_PKS6_NS0_5tupleIJPmS6_EEENSE_IJSB_SB_EEENS0_18inequality_wrapperIN6hipcub16HIPCUB_304000_NS8EqualityEEEPlJS6_EEE10hipError_tPvRmT3_T4_T5_T6_T7_T9_mT8_P12ihipStream_tbDpT10_ENKUlT_T0_E_clISt17integral_constantIbLb1EES17_EEDaS12_S13_EUlS12_E_NS1_11comp_targetILNS1_3genE3ELNS1_11target_archE908ELNS1_3gpuE7ELNS1_3repE0EEENS1_30default_config_static_selectorELNS0_4arch9wavefront6targetE1EEEvT1_
                                        ; -- End function
	.section	.AMDGPU.csdata,"",@progbits
; Kernel info:
; codeLenInByte = 0
; NumSgprs: 6
; NumVgprs: 0
; NumAgprs: 0
; TotalNumVgprs: 0
; ScratchSize: 0
; MemoryBound: 0
; FloatMode: 240
; IeeeMode: 1
; LDSByteSize: 0 bytes/workgroup (compile time only)
; SGPRBlocks: 0
; VGPRBlocks: 0
; NumSGPRsForWavesPerEU: 6
; NumVGPRsForWavesPerEU: 1
; AccumOffset: 4
; Occupancy: 8
; WaveLimiterHint : 0
; COMPUTE_PGM_RSRC2:SCRATCH_EN: 0
; COMPUTE_PGM_RSRC2:USER_SGPR: 2
; COMPUTE_PGM_RSRC2:TRAP_HANDLER: 0
; COMPUTE_PGM_RSRC2:TGID_X_EN: 1
; COMPUTE_PGM_RSRC2:TGID_Y_EN: 0
; COMPUTE_PGM_RSRC2:TGID_Z_EN: 0
; COMPUTE_PGM_RSRC2:TIDIG_COMP_CNT: 0
; COMPUTE_PGM_RSRC3_GFX90A:ACCUM_OFFSET: 0
; COMPUTE_PGM_RSRC3_GFX90A:TG_SPLIT: 0
	.section	.text._ZN7rocprim17ROCPRIM_400000_NS6detail17trampoline_kernelINS0_14default_configENS1_25partition_config_selectorILNS1_17partition_subalgoE8EmNS0_10empty_typeEbEEZZNS1_14partition_implILS5_8ELb0ES3_jPKmPS6_PKS6_NS0_5tupleIJPmS6_EEENSE_IJSB_SB_EEENS0_18inequality_wrapperIN6hipcub16HIPCUB_304000_NS8EqualityEEEPlJS6_EEE10hipError_tPvRmT3_T4_T5_T6_T7_T9_mT8_P12ihipStream_tbDpT10_ENKUlT_T0_E_clISt17integral_constantIbLb1EES17_EEDaS12_S13_EUlS12_E_NS1_11comp_targetILNS1_3genE2ELNS1_11target_archE906ELNS1_3gpuE6ELNS1_3repE0EEENS1_30default_config_static_selectorELNS0_4arch9wavefront6targetE1EEEvT1_,"axG",@progbits,_ZN7rocprim17ROCPRIM_400000_NS6detail17trampoline_kernelINS0_14default_configENS1_25partition_config_selectorILNS1_17partition_subalgoE8EmNS0_10empty_typeEbEEZZNS1_14partition_implILS5_8ELb0ES3_jPKmPS6_PKS6_NS0_5tupleIJPmS6_EEENSE_IJSB_SB_EEENS0_18inequality_wrapperIN6hipcub16HIPCUB_304000_NS8EqualityEEEPlJS6_EEE10hipError_tPvRmT3_T4_T5_T6_T7_T9_mT8_P12ihipStream_tbDpT10_ENKUlT_T0_E_clISt17integral_constantIbLb1EES17_EEDaS12_S13_EUlS12_E_NS1_11comp_targetILNS1_3genE2ELNS1_11target_archE906ELNS1_3gpuE6ELNS1_3repE0EEENS1_30default_config_static_selectorELNS0_4arch9wavefront6targetE1EEEvT1_,comdat
	.protected	_ZN7rocprim17ROCPRIM_400000_NS6detail17trampoline_kernelINS0_14default_configENS1_25partition_config_selectorILNS1_17partition_subalgoE8EmNS0_10empty_typeEbEEZZNS1_14partition_implILS5_8ELb0ES3_jPKmPS6_PKS6_NS0_5tupleIJPmS6_EEENSE_IJSB_SB_EEENS0_18inequality_wrapperIN6hipcub16HIPCUB_304000_NS8EqualityEEEPlJS6_EEE10hipError_tPvRmT3_T4_T5_T6_T7_T9_mT8_P12ihipStream_tbDpT10_ENKUlT_T0_E_clISt17integral_constantIbLb1EES17_EEDaS12_S13_EUlS12_E_NS1_11comp_targetILNS1_3genE2ELNS1_11target_archE906ELNS1_3gpuE6ELNS1_3repE0EEENS1_30default_config_static_selectorELNS0_4arch9wavefront6targetE1EEEvT1_ ; -- Begin function _ZN7rocprim17ROCPRIM_400000_NS6detail17trampoline_kernelINS0_14default_configENS1_25partition_config_selectorILNS1_17partition_subalgoE8EmNS0_10empty_typeEbEEZZNS1_14partition_implILS5_8ELb0ES3_jPKmPS6_PKS6_NS0_5tupleIJPmS6_EEENSE_IJSB_SB_EEENS0_18inequality_wrapperIN6hipcub16HIPCUB_304000_NS8EqualityEEEPlJS6_EEE10hipError_tPvRmT3_T4_T5_T6_T7_T9_mT8_P12ihipStream_tbDpT10_ENKUlT_T0_E_clISt17integral_constantIbLb1EES17_EEDaS12_S13_EUlS12_E_NS1_11comp_targetILNS1_3genE2ELNS1_11target_archE906ELNS1_3gpuE6ELNS1_3repE0EEENS1_30default_config_static_selectorELNS0_4arch9wavefront6targetE1EEEvT1_
	.globl	_ZN7rocprim17ROCPRIM_400000_NS6detail17trampoline_kernelINS0_14default_configENS1_25partition_config_selectorILNS1_17partition_subalgoE8EmNS0_10empty_typeEbEEZZNS1_14partition_implILS5_8ELb0ES3_jPKmPS6_PKS6_NS0_5tupleIJPmS6_EEENSE_IJSB_SB_EEENS0_18inequality_wrapperIN6hipcub16HIPCUB_304000_NS8EqualityEEEPlJS6_EEE10hipError_tPvRmT3_T4_T5_T6_T7_T9_mT8_P12ihipStream_tbDpT10_ENKUlT_T0_E_clISt17integral_constantIbLb1EES17_EEDaS12_S13_EUlS12_E_NS1_11comp_targetILNS1_3genE2ELNS1_11target_archE906ELNS1_3gpuE6ELNS1_3repE0EEENS1_30default_config_static_selectorELNS0_4arch9wavefront6targetE1EEEvT1_
	.p2align	8
	.type	_ZN7rocprim17ROCPRIM_400000_NS6detail17trampoline_kernelINS0_14default_configENS1_25partition_config_selectorILNS1_17partition_subalgoE8EmNS0_10empty_typeEbEEZZNS1_14partition_implILS5_8ELb0ES3_jPKmPS6_PKS6_NS0_5tupleIJPmS6_EEENSE_IJSB_SB_EEENS0_18inequality_wrapperIN6hipcub16HIPCUB_304000_NS8EqualityEEEPlJS6_EEE10hipError_tPvRmT3_T4_T5_T6_T7_T9_mT8_P12ihipStream_tbDpT10_ENKUlT_T0_E_clISt17integral_constantIbLb1EES17_EEDaS12_S13_EUlS12_E_NS1_11comp_targetILNS1_3genE2ELNS1_11target_archE906ELNS1_3gpuE6ELNS1_3repE0EEENS1_30default_config_static_selectorELNS0_4arch9wavefront6targetE1EEEvT1_,@function
_ZN7rocprim17ROCPRIM_400000_NS6detail17trampoline_kernelINS0_14default_configENS1_25partition_config_selectorILNS1_17partition_subalgoE8EmNS0_10empty_typeEbEEZZNS1_14partition_implILS5_8ELb0ES3_jPKmPS6_PKS6_NS0_5tupleIJPmS6_EEENSE_IJSB_SB_EEENS0_18inequality_wrapperIN6hipcub16HIPCUB_304000_NS8EqualityEEEPlJS6_EEE10hipError_tPvRmT3_T4_T5_T6_T7_T9_mT8_P12ihipStream_tbDpT10_ENKUlT_T0_E_clISt17integral_constantIbLb1EES17_EEDaS12_S13_EUlS12_E_NS1_11comp_targetILNS1_3genE2ELNS1_11target_archE906ELNS1_3gpuE6ELNS1_3repE0EEENS1_30default_config_static_selectorELNS0_4arch9wavefront6targetE1EEEvT1_: ; @_ZN7rocprim17ROCPRIM_400000_NS6detail17trampoline_kernelINS0_14default_configENS1_25partition_config_selectorILNS1_17partition_subalgoE8EmNS0_10empty_typeEbEEZZNS1_14partition_implILS5_8ELb0ES3_jPKmPS6_PKS6_NS0_5tupleIJPmS6_EEENSE_IJSB_SB_EEENS0_18inequality_wrapperIN6hipcub16HIPCUB_304000_NS8EqualityEEEPlJS6_EEE10hipError_tPvRmT3_T4_T5_T6_T7_T9_mT8_P12ihipStream_tbDpT10_ENKUlT_T0_E_clISt17integral_constantIbLb1EES17_EEDaS12_S13_EUlS12_E_NS1_11comp_targetILNS1_3genE2ELNS1_11target_archE906ELNS1_3gpuE6ELNS1_3repE0EEENS1_30default_config_static_selectorELNS0_4arch9wavefront6targetE1EEEvT1_
; %bb.0:
	.section	.rodata,"a",@progbits
	.p2align	6, 0x0
	.amdhsa_kernel _ZN7rocprim17ROCPRIM_400000_NS6detail17trampoline_kernelINS0_14default_configENS1_25partition_config_selectorILNS1_17partition_subalgoE8EmNS0_10empty_typeEbEEZZNS1_14partition_implILS5_8ELb0ES3_jPKmPS6_PKS6_NS0_5tupleIJPmS6_EEENSE_IJSB_SB_EEENS0_18inequality_wrapperIN6hipcub16HIPCUB_304000_NS8EqualityEEEPlJS6_EEE10hipError_tPvRmT3_T4_T5_T6_T7_T9_mT8_P12ihipStream_tbDpT10_ENKUlT_T0_E_clISt17integral_constantIbLb1EES17_EEDaS12_S13_EUlS12_E_NS1_11comp_targetILNS1_3genE2ELNS1_11target_archE906ELNS1_3gpuE6ELNS1_3repE0EEENS1_30default_config_static_selectorELNS0_4arch9wavefront6targetE1EEEvT1_
		.amdhsa_group_segment_fixed_size 0
		.amdhsa_private_segment_fixed_size 0
		.amdhsa_kernarg_size 128
		.amdhsa_user_sgpr_count 2
		.amdhsa_user_sgpr_dispatch_ptr 0
		.amdhsa_user_sgpr_queue_ptr 0
		.amdhsa_user_sgpr_kernarg_segment_ptr 1
		.amdhsa_user_sgpr_dispatch_id 0
		.amdhsa_user_sgpr_kernarg_preload_length 0
		.amdhsa_user_sgpr_kernarg_preload_offset 0
		.amdhsa_user_sgpr_private_segment_size 0
		.amdhsa_uses_dynamic_stack 0
		.amdhsa_enable_private_segment 0
		.amdhsa_system_sgpr_workgroup_id_x 1
		.amdhsa_system_sgpr_workgroup_id_y 0
		.amdhsa_system_sgpr_workgroup_id_z 0
		.amdhsa_system_sgpr_workgroup_info 0
		.amdhsa_system_vgpr_workitem_id 0
		.amdhsa_next_free_vgpr 1
		.amdhsa_next_free_sgpr 0
		.amdhsa_accum_offset 4
		.amdhsa_reserve_vcc 0
		.amdhsa_float_round_mode_32 0
		.amdhsa_float_round_mode_16_64 0
		.amdhsa_float_denorm_mode_32 3
		.amdhsa_float_denorm_mode_16_64 3
		.amdhsa_dx10_clamp 1
		.amdhsa_ieee_mode 1
		.amdhsa_fp16_overflow 0
		.amdhsa_tg_split 0
		.amdhsa_exception_fp_ieee_invalid_op 0
		.amdhsa_exception_fp_denorm_src 0
		.amdhsa_exception_fp_ieee_div_zero 0
		.amdhsa_exception_fp_ieee_overflow 0
		.amdhsa_exception_fp_ieee_underflow 0
		.amdhsa_exception_fp_ieee_inexact 0
		.amdhsa_exception_int_div_zero 0
	.end_amdhsa_kernel
	.section	.text._ZN7rocprim17ROCPRIM_400000_NS6detail17trampoline_kernelINS0_14default_configENS1_25partition_config_selectorILNS1_17partition_subalgoE8EmNS0_10empty_typeEbEEZZNS1_14partition_implILS5_8ELb0ES3_jPKmPS6_PKS6_NS0_5tupleIJPmS6_EEENSE_IJSB_SB_EEENS0_18inequality_wrapperIN6hipcub16HIPCUB_304000_NS8EqualityEEEPlJS6_EEE10hipError_tPvRmT3_T4_T5_T6_T7_T9_mT8_P12ihipStream_tbDpT10_ENKUlT_T0_E_clISt17integral_constantIbLb1EES17_EEDaS12_S13_EUlS12_E_NS1_11comp_targetILNS1_3genE2ELNS1_11target_archE906ELNS1_3gpuE6ELNS1_3repE0EEENS1_30default_config_static_selectorELNS0_4arch9wavefront6targetE1EEEvT1_,"axG",@progbits,_ZN7rocprim17ROCPRIM_400000_NS6detail17trampoline_kernelINS0_14default_configENS1_25partition_config_selectorILNS1_17partition_subalgoE8EmNS0_10empty_typeEbEEZZNS1_14partition_implILS5_8ELb0ES3_jPKmPS6_PKS6_NS0_5tupleIJPmS6_EEENSE_IJSB_SB_EEENS0_18inequality_wrapperIN6hipcub16HIPCUB_304000_NS8EqualityEEEPlJS6_EEE10hipError_tPvRmT3_T4_T5_T6_T7_T9_mT8_P12ihipStream_tbDpT10_ENKUlT_T0_E_clISt17integral_constantIbLb1EES17_EEDaS12_S13_EUlS12_E_NS1_11comp_targetILNS1_3genE2ELNS1_11target_archE906ELNS1_3gpuE6ELNS1_3repE0EEENS1_30default_config_static_selectorELNS0_4arch9wavefront6targetE1EEEvT1_,comdat
.Lfunc_end698:
	.size	_ZN7rocprim17ROCPRIM_400000_NS6detail17trampoline_kernelINS0_14default_configENS1_25partition_config_selectorILNS1_17partition_subalgoE8EmNS0_10empty_typeEbEEZZNS1_14partition_implILS5_8ELb0ES3_jPKmPS6_PKS6_NS0_5tupleIJPmS6_EEENSE_IJSB_SB_EEENS0_18inequality_wrapperIN6hipcub16HIPCUB_304000_NS8EqualityEEEPlJS6_EEE10hipError_tPvRmT3_T4_T5_T6_T7_T9_mT8_P12ihipStream_tbDpT10_ENKUlT_T0_E_clISt17integral_constantIbLb1EES17_EEDaS12_S13_EUlS12_E_NS1_11comp_targetILNS1_3genE2ELNS1_11target_archE906ELNS1_3gpuE6ELNS1_3repE0EEENS1_30default_config_static_selectorELNS0_4arch9wavefront6targetE1EEEvT1_, .Lfunc_end698-_ZN7rocprim17ROCPRIM_400000_NS6detail17trampoline_kernelINS0_14default_configENS1_25partition_config_selectorILNS1_17partition_subalgoE8EmNS0_10empty_typeEbEEZZNS1_14partition_implILS5_8ELb0ES3_jPKmPS6_PKS6_NS0_5tupleIJPmS6_EEENSE_IJSB_SB_EEENS0_18inequality_wrapperIN6hipcub16HIPCUB_304000_NS8EqualityEEEPlJS6_EEE10hipError_tPvRmT3_T4_T5_T6_T7_T9_mT8_P12ihipStream_tbDpT10_ENKUlT_T0_E_clISt17integral_constantIbLb1EES17_EEDaS12_S13_EUlS12_E_NS1_11comp_targetILNS1_3genE2ELNS1_11target_archE906ELNS1_3gpuE6ELNS1_3repE0EEENS1_30default_config_static_selectorELNS0_4arch9wavefront6targetE1EEEvT1_
                                        ; -- End function
	.section	.AMDGPU.csdata,"",@progbits
; Kernel info:
; codeLenInByte = 0
; NumSgprs: 6
; NumVgprs: 0
; NumAgprs: 0
; TotalNumVgprs: 0
; ScratchSize: 0
; MemoryBound: 0
; FloatMode: 240
; IeeeMode: 1
; LDSByteSize: 0 bytes/workgroup (compile time only)
; SGPRBlocks: 0
; VGPRBlocks: 0
; NumSGPRsForWavesPerEU: 6
; NumVGPRsForWavesPerEU: 1
; AccumOffset: 4
; Occupancy: 8
; WaveLimiterHint : 0
; COMPUTE_PGM_RSRC2:SCRATCH_EN: 0
; COMPUTE_PGM_RSRC2:USER_SGPR: 2
; COMPUTE_PGM_RSRC2:TRAP_HANDLER: 0
; COMPUTE_PGM_RSRC2:TGID_X_EN: 1
; COMPUTE_PGM_RSRC2:TGID_Y_EN: 0
; COMPUTE_PGM_RSRC2:TGID_Z_EN: 0
; COMPUTE_PGM_RSRC2:TIDIG_COMP_CNT: 0
; COMPUTE_PGM_RSRC3_GFX90A:ACCUM_OFFSET: 0
; COMPUTE_PGM_RSRC3_GFX90A:TG_SPLIT: 0
	.section	.text._ZN7rocprim17ROCPRIM_400000_NS6detail17trampoline_kernelINS0_14default_configENS1_25partition_config_selectorILNS1_17partition_subalgoE8EmNS0_10empty_typeEbEEZZNS1_14partition_implILS5_8ELb0ES3_jPKmPS6_PKS6_NS0_5tupleIJPmS6_EEENSE_IJSB_SB_EEENS0_18inequality_wrapperIN6hipcub16HIPCUB_304000_NS8EqualityEEEPlJS6_EEE10hipError_tPvRmT3_T4_T5_T6_T7_T9_mT8_P12ihipStream_tbDpT10_ENKUlT_T0_E_clISt17integral_constantIbLb1EES17_EEDaS12_S13_EUlS12_E_NS1_11comp_targetILNS1_3genE10ELNS1_11target_archE1200ELNS1_3gpuE4ELNS1_3repE0EEENS1_30default_config_static_selectorELNS0_4arch9wavefront6targetE1EEEvT1_,"axG",@progbits,_ZN7rocprim17ROCPRIM_400000_NS6detail17trampoline_kernelINS0_14default_configENS1_25partition_config_selectorILNS1_17partition_subalgoE8EmNS0_10empty_typeEbEEZZNS1_14partition_implILS5_8ELb0ES3_jPKmPS6_PKS6_NS0_5tupleIJPmS6_EEENSE_IJSB_SB_EEENS0_18inequality_wrapperIN6hipcub16HIPCUB_304000_NS8EqualityEEEPlJS6_EEE10hipError_tPvRmT3_T4_T5_T6_T7_T9_mT8_P12ihipStream_tbDpT10_ENKUlT_T0_E_clISt17integral_constantIbLb1EES17_EEDaS12_S13_EUlS12_E_NS1_11comp_targetILNS1_3genE10ELNS1_11target_archE1200ELNS1_3gpuE4ELNS1_3repE0EEENS1_30default_config_static_selectorELNS0_4arch9wavefront6targetE1EEEvT1_,comdat
	.protected	_ZN7rocprim17ROCPRIM_400000_NS6detail17trampoline_kernelINS0_14default_configENS1_25partition_config_selectorILNS1_17partition_subalgoE8EmNS0_10empty_typeEbEEZZNS1_14partition_implILS5_8ELb0ES3_jPKmPS6_PKS6_NS0_5tupleIJPmS6_EEENSE_IJSB_SB_EEENS0_18inequality_wrapperIN6hipcub16HIPCUB_304000_NS8EqualityEEEPlJS6_EEE10hipError_tPvRmT3_T4_T5_T6_T7_T9_mT8_P12ihipStream_tbDpT10_ENKUlT_T0_E_clISt17integral_constantIbLb1EES17_EEDaS12_S13_EUlS12_E_NS1_11comp_targetILNS1_3genE10ELNS1_11target_archE1200ELNS1_3gpuE4ELNS1_3repE0EEENS1_30default_config_static_selectorELNS0_4arch9wavefront6targetE1EEEvT1_ ; -- Begin function _ZN7rocprim17ROCPRIM_400000_NS6detail17trampoline_kernelINS0_14default_configENS1_25partition_config_selectorILNS1_17partition_subalgoE8EmNS0_10empty_typeEbEEZZNS1_14partition_implILS5_8ELb0ES3_jPKmPS6_PKS6_NS0_5tupleIJPmS6_EEENSE_IJSB_SB_EEENS0_18inequality_wrapperIN6hipcub16HIPCUB_304000_NS8EqualityEEEPlJS6_EEE10hipError_tPvRmT3_T4_T5_T6_T7_T9_mT8_P12ihipStream_tbDpT10_ENKUlT_T0_E_clISt17integral_constantIbLb1EES17_EEDaS12_S13_EUlS12_E_NS1_11comp_targetILNS1_3genE10ELNS1_11target_archE1200ELNS1_3gpuE4ELNS1_3repE0EEENS1_30default_config_static_selectorELNS0_4arch9wavefront6targetE1EEEvT1_
	.globl	_ZN7rocprim17ROCPRIM_400000_NS6detail17trampoline_kernelINS0_14default_configENS1_25partition_config_selectorILNS1_17partition_subalgoE8EmNS0_10empty_typeEbEEZZNS1_14partition_implILS5_8ELb0ES3_jPKmPS6_PKS6_NS0_5tupleIJPmS6_EEENSE_IJSB_SB_EEENS0_18inequality_wrapperIN6hipcub16HIPCUB_304000_NS8EqualityEEEPlJS6_EEE10hipError_tPvRmT3_T4_T5_T6_T7_T9_mT8_P12ihipStream_tbDpT10_ENKUlT_T0_E_clISt17integral_constantIbLb1EES17_EEDaS12_S13_EUlS12_E_NS1_11comp_targetILNS1_3genE10ELNS1_11target_archE1200ELNS1_3gpuE4ELNS1_3repE0EEENS1_30default_config_static_selectorELNS0_4arch9wavefront6targetE1EEEvT1_
	.p2align	8
	.type	_ZN7rocprim17ROCPRIM_400000_NS6detail17trampoline_kernelINS0_14default_configENS1_25partition_config_selectorILNS1_17partition_subalgoE8EmNS0_10empty_typeEbEEZZNS1_14partition_implILS5_8ELb0ES3_jPKmPS6_PKS6_NS0_5tupleIJPmS6_EEENSE_IJSB_SB_EEENS0_18inequality_wrapperIN6hipcub16HIPCUB_304000_NS8EqualityEEEPlJS6_EEE10hipError_tPvRmT3_T4_T5_T6_T7_T9_mT8_P12ihipStream_tbDpT10_ENKUlT_T0_E_clISt17integral_constantIbLb1EES17_EEDaS12_S13_EUlS12_E_NS1_11comp_targetILNS1_3genE10ELNS1_11target_archE1200ELNS1_3gpuE4ELNS1_3repE0EEENS1_30default_config_static_selectorELNS0_4arch9wavefront6targetE1EEEvT1_,@function
_ZN7rocprim17ROCPRIM_400000_NS6detail17trampoline_kernelINS0_14default_configENS1_25partition_config_selectorILNS1_17partition_subalgoE8EmNS0_10empty_typeEbEEZZNS1_14partition_implILS5_8ELb0ES3_jPKmPS6_PKS6_NS0_5tupleIJPmS6_EEENSE_IJSB_SB_EEENS0_18inequality_wrapperIN6hipcub16HIPCUB_304000_NS8EqualityEEEPlJS6_EEE10hipError_tPvRmT3_T4_T5_T6_T7_T9_mT8_P12ihipStream_tbDpT10_ENKUlT_T0_E_clISt17integral_constantIbLb1EES17_EEDaS12_S13_EUlS12_E_NS1_11comp_targetILNS1_3genE10ELNS1_11target_archE1200ELNS1_3gpuE4ELNS1_3repE0EEENS1_30default_config_static_selectorELNS0_4arch9wavefront6targetE1EEEvT1_: ; @_ZN7rocprim17ROCPRIM_400000_NS6detail17trampoline_kernelINS0_14default_configENS1_25partition_config_selectorILNS1_17partition_subalgoE8EmNS0_10empty_typeEbEEZZNS1_14partition_implILS5_8ELb0ES3_jPKmPS6_PKS6_NS0_5tupleIJPmS6_EEENSE_IJSB_SB_EEENS0_18inequality_wrapperIN6hipcub16HIPCUB_304000_NS8EqualityEEEPlJS6_EEE10hipError_tPvRmT3_T4_T5_T6_T7_T9_mT8_P12ihipStream_tbDpT10_ENKUlT_T0_E_clISt17integral_constantIbLb1EES17_EEDaS12_S13_EUlS12_E_NS1_11comp_targetILNS1_3genE10ELNS1_11target_archE1200ELNS1_3gpuE4ELNS1_3repE0EEENS1_30default_config_static_selectorELNS0_4arch9wavefront6targetE1EEEvT1_
; %bb.0:
	.section	.rodata,"a",@progbits
	.p2align	6, 0x0
	.amdhsa_kernel _ZN7rocprim17ROCPRIM_400000_NS6detail17trampoline_kernelINS0_14default_configENS1_25partition_config_selectorILNS1_17partition_subalgoE8EmNS0_10empty_typeEbEEZZNS1_14partition_implILS5_8ELb0ES3_jPKmPS6_PKS6_NS0_5tupleIJPmS6_EEENSE_IJSB_SB_EEENS0_18inequality_wrapperIN6hipcub16HIPCUB_304000_NS8EqualityEEEPlJS6_EEE10hipError_tPvRmT3_T4_T5_T6_T7_T9_mT8_P12ihipStream_tbDpT10_ENKUlT_T0_E_clISt17integral_constantIbLb1EES17_EEDaS12_S13_EUlS12_E_NS1_11comp_targetILNS1_3genE10ELNS1_11target_archE1200ELNS1_3gpuE4ELNS1_3repE0EEENS1_30default_config_static_selectorELNS0_4arch9wavefront6targetE1EEEvT1_
		.amdhsa_group_segment_fixed_size 0
		.amdhsa_private_segment_fixed_size 0
		.amdhsa_kernarg_size 128
		.amdhsa_user_sgpr_count 2
		.amdhsa_user_sgpr_dispatch_ptr 0
		.amdhsa_user_sgpr_queue_ptr 0
		.amdhsa_user_sgpr_kernarg_segment_ptr 1
		.amdhsa_user_sgpr_dispatch_id 0
		.amdhsa_user_sgpr_kernarg_preload_length 0
		.amdhsa_user_sgpr_kernarg_preload_offset 0
		.amdhsa_user_sgpr_private_segment_size 0
		.amdhsa_uses_dynamic_stack 0
		.amdhsa_enable_private_segment 0
		.amdhsa_system_sgpr_workgroup_id_x 1
		.amdhsa_system_sgpr_workgroup_id_y 0
		.amdhsa_system_sgpr_workgroup_id_z 0
		.amdhsa_system_sgpr_workgroup_info 0
		.amdhsa_system_vgpr_workitem_id 0
		.amdhsa_next_free_vgpr 1
		.amdhsa_next_free_sgpr 0
		.amdhsa_accum_offset 4
		.amdhsa_reserve_vcc 0
		.amdhsa_float_round_mode_32 0
		.amdhsa_float_round_mode_16_64 0
		.amdhsa_float_denorm_mode_32 3
		.amdhsa_float_denorm_mode_16_64 3
		.amdhsa_dx10_clamp 1
		.amdhsa_ieee_mode 1
		.amdhsa_fp16_overflow 0
		.amdhsa_tg_split 0
		.amdhsa_exception_fp_ieee_invalid_op 0
		.amdhsa_exception_fp_denorm_src 0
		.amdhsa_exception_fp_ieee_div_zero 0
		.amdhsa_exception_fp_ieee_overflow 0
		.amdhsa_exception_fp_ieee_underflow 0
		.amdhsa_exception_fp_ieee_inexact 0
		.amdhsa_exception_int_div_zero 0
	.end_amdhsa_kernel
	.section	.text._ZN7rocprim17ROCPRIM_400000_NS6detail17trampoline_kernelINS0_14default_configENS1_25partition_config_selectorILNS1_17partition_subalgoE8EmNS0_10empty_typeEbEEZZNS1_14partition_implILS5_8ELb0ES3_jPKmPS6_PKS6_NS0_5tupleIJPmS6_EEENSE_IJSB_SB_EEENS0_18inequality_wrapperIN6hipcub16HIPCUB_304000_NS8EqualityEEEPlJS6_EEE10hipError_tPvRmT3_T4_T5_T6_T7_T9_mT8_P12ihipStream_tbDpT10_ENKUlT_T0_E_clISt17integral_constantIbLb1EES17_EEDaS12_S13_EUlS12_E_NS1_11comp_targetILNS1_3genE10ELNS1_11target_archE1200ELNS1_3gpuE4ELNS1_3repE0EEENS1_30default_config_static_selectorELNS0_4arch9wavefront6targetE1EEEvT1_,"axG",@progbits,_ZN7rocprim17ROCPRIM_400000_NS6detail17trampoline_kernelINS0_14default_configENS1_25partition_config_selectorILNS1_17partition_subalgoE8EmNS0_10empty_typeEbEEZZNS1_14partition_implILS5_8ELb0ES3_jPKmPS6_PKS6_NS0_5tupleIJPmS6_EEENSE_IJSB_SB_EEENS0_18inequality_wrapperIN6hipcub16HIPCUB_304000_NS8EqualityEEEPlJS6_EEE10hipError_tPvRmT3_T4_T5_T6_T7_T9_mT8_P12ihipStream_tbDpT10_ENKUlT_T0_E_clISt17integral_constantIbLb1EES17_EEDaS12_S13_EUlS12_E_NS1_11comp_targetILNS1_3genE10ELNS1_11target_archE1200ELNS1_3gpuE4ELNS1_3repE0EEENS1_30default_config_static_selectorELNS0_4arch9wavefront6targetE1EEEvT1_,comdat
.Lfunc_end699:
	.size	_ZN7rocprim17ROCPRIM_400000_NS6detail17trampoline_kernelINS0_14default_configENS1_25partition_config_selectorILNS1_17partition_subalgoE8EmNS0_10empty_typeEbEEZZNS1_14partition_implILS5_8ELb0ES3_jPKmPS6_PKS6_NS0_5tupleIJPmS6_EEENSE_IJSB_SB_EEENS0_18inequality_wrapperIN6hipcub16HIPCUB_304000_NS8EqualityEEEPlJS6_EEE10hipError_tPvRmT3_T4_T5_T6_T7_T9_mT8_P12ihipStream_tbDpT10_ENKUlT_T0_E_clISt17integral_constantIbLb1EES17_EEDaS12_S13_EUlS12_E_NS1_11comp_targetILNS1_3genE10ELNS1_11target_archE1200ELNS1_3gpuE4ELNS1_3repE0EEENS1_30default_config_static_selectorELNS0_4arch9wavefront6targetE1EEEvT1_, .Lfunc_end699-_ZN7rocprim17ROCPRIM_400000_NS6detail17trampoline_kernelINS0_14default_configENS1_25partition_config_selectorILNS1_17partition_subalgoE8EmNS0_10empty_typeEbEEZZNS1_14partition_implILS5_8ELb0ES3_jPKmPS6_PKS6_NS0_5tupleIJPmS6_EEENSE_IJSB_SB_EEENS0_18inequality_wrapperIN6hipcub16HIPCUB_304000_NS8EqualityEEEPlJS6_EEE10hipError_tPvRmT3_T4_T5_T6_T7_T9_mT8_P12ihipStream_tbDpT10_ENKUlT_T0_E_clISt17integral_constantIbLb1EES17_EEDaS12_S13_EUlS12_E_NS1_11comp_targetILNS1_3genE10ELNS1_11target_archE1200ELNS1_3gpuE4ELNS1_3repE0EEENS1_30default_config_static_selectorELNS0_4arch9wavefront6targetE1EEEvT1_
                                        ; -- End function
	.section	.AMDGPU.csdata,"",@progbits
; Kernel info:
; codeLenInByte = 0
; NumSgprs: 6
; NumVgprs: 0
; NumAgprs: 0
; TotalNumVgprs: 0
; ScratchSize: 0
; MemoryBound: 0
; FloatMode: 240
; IeeeMode: 1
; LDSByteSize: 0 bytes/workgroup (compile time only)
; SGPRBlocks: 0
; VGPRBlocks: 0
; NumSGPRsForWavesPerEU: 6
; NumVGPRsForWavesPerEU: 1
; AccumOffset: 4
; Occupancy: 8
; WaveLimiterHint : 0
; COMPUTE_PGM_RSRC2:SCRATCH_EN: 0
; COMPUTE_PGM_RSRC2:USER_SGPR: 2
; COMPUTE_PGM_RSRC2:TRAP_HANDLER: 0
; COMPUTE_PGM_RSRC2:TGID_X_EN: 1
; COMPUTE_PGM_RSRC2:TGID_Y_EN: 0
; COMPUTE_PGM_RSRC2:TGID_Z_EN: 0
; COMPUTE_PGM_RSRC2:TIDIG_COMP_CNT: 0
; COMPUTE_PGM_RSRC3_GFX90A:ACCUM_OFFSET: 0
; COMPUTE_PGM_RSRC3_GFX90A:TG_SPLIT: 0
	.section	.text._ZN7rocprim17ROCPRIM_400000_NS6detail17trampoline_kernelINS0_14default_configENS1_25partition_config_selectorILNS1_17partition_subalgoE8EmNS0_10empty_typeEbEEZZNS1_14partition_implILS5_8ELb0ES3_jPKmPS6_PKS6_NS0_5tupleIJPmS6_EEENSE_IJSB_SB_EEENS0_18inequality_wrapperIN6hipcub16HIPCUB_304000_NS8EqualityEEEPlJS6_EEE10hipError_tPvRmT3_T4_T5_T6_T7_T9_mT8_P12ihipStream_tbDpT10_ENKUlT_T0_E_clISt17integral_constantIbLb1EES17_EEDaS12_S13_EUlS12_E_NS1_11comp_targetILNS1_3genE9ELNS1_11target_archE1100ELNS1_3gpuE3ELNS1_3repE0EEENS1_30default_config_static_selectorELNS0_4arch9wavefront6targetE1EEEvT1_,"axG",@progbits,_ZN7rocprim17ROCPRIM_400000_NS6detail17trampoline_kernelINS0_14default_configENS1_25partition_config_selectorILNS1_17partition_subalgoE8EmNS0_10empty_typeEbEEZZNS1_14partition_implILS5_8ELb0ES3_jPKmPS6_PKS6_NS0_5tupleIJPmS6_EEENSE_IJSB_SB_EEENS0_18inequality_wrapperIN6hipcub16HIPCUB_304000_NS8EqualityEEEPlJS6_EEE10hipError_tPvRmT3_T4_T5_T6_T7_T9_mT8_P12ihipStream_tbDpT10_ENKUlT_T0_E_clISt17integral_constantIbLb1EES17_EEDaS12_S13_EUlS12_E_NS1_11comp_targetILNS1_3genE9ELNS1_11target_archE1100ELNS1_3gpuE3ELNS1_3repE0EEENS1_30default_config_static_selectorELNS0_4arch9wavefront6targetE1EEEvT1_,comdat
	.protected	_ZN7rocprim17ROCPRIM_400000_NS6detail17trampoline_kernelINS0_14default_configENS1_25partition_config_selectorILNS1_17partition_subalgoE8EmNS0_10empty_typeEbEEZZNS1_14partition_implILS5_8ELb0ES3_jPKmPS6_PKS6_NS0_5tupleIJPmS6_EEENSE_IJSB_SB_EEENS0_18inequality_wrapperIN6hipcub16HIPCUB_304000_NS8EqualityEEEPlJS6_EEE10hipError_tPvRmT3_T4_T5_T6_T7_T9_mT8_P12ihipStream_tbDpT10_ENKUlT_T0_E_clISt17integral_constantIbLb1EES17_EEDaS12_S13_EUlS12_E_NS1_11comp_targetILNS1_3genE9ELNS1_11target_archE1100ELNS1_3gpuE3ELNS1_3repE0EEENS1_30default_config_static_selectorELNS0_4arch9wavefront6targetE1EEEvT1_ ; -- Begin function _ZN7rocprim17ROCPRIM_400000_NS6detail17trampoline_kernelINS0_14default_configENS1_25partition_config_selectorILNS1_17partition_subalgoE8EmNS0_10empty_typeEbEEZZNS1_14partition_implILS5_8ELb0ES3_jPKmPS6_PKS6_NS0_5tupleIJPmS6_EEENSE_IJSB_SB_EEENS0_18inequality_wrapperIN6hipcub16HIPCUB_304000_NS8EqualityEEEPlJS6_EEE10hipError_tPvRmT3_T4_T5_T6_T7_T9_mT8_P12ihipStream_tbDpT10_ENKUlT_T0_E_clISt17integral_constantIbLb1EES17_EEDaS12_S13_EUlS12_E_NS1_11comp_targetILNS1_3genE9ELNS1_11target_archE1100ELNS1_3gpuE3ELNS1_3repE0EEENS1_30default_config_static_selectorELNS0_4arch9wavefront6targetE1EEEvT1_
	.globl	_ZN7rocprim17ROCPRIM_400000_NS6detail17trampoline_kernelINS0_14default_configENS1_25partition_config_selectorILNS1_17partition_subalgoE8EmNS0_10empty_typeEbEEZZNS1_14partition_implILS5_8ELb0ES3_jPKmPS6_PKS6_NS0_5tupleIJPmS6_EEENSE_IJSB_SB_EEENS0_18inequality_wrapperIN6hipcub16HIPCUB_304000_NS8EqualityEEEPlJS6_EEE10hipError_tPvRmT3_T4_T5_T6_T7_T9_mT8_P12ihipStream_tbDpT10_ENKUlT_T0_E_clISt17integral_constantIbLb1EES17_EEDaS12_S13_EUlS12_E_NS1_11comp_targetILNS1_3genE9ELNS1_11target_archE1100ELNS1_3gpuE3ELNS1_3repE0EEENS1_30default_config_static_selectorELNS0_4arch9wavefront6targetE1EEEvT1_
	.p2align	8
	.type	_ZN7rocprim17ROCPRIM_400000_NS6detail17trampoline_kernelINS0_14default_configENS1_25partition_config_selectorILNS1_17partition_subalgoE8EmNS0_10empty_typeEbEEZZNS1_14partition_implILS5_8ELb0ES3_jPKmPS6_PKS6_NS0_5tupleIJPmS6_EEENSE_IJSB_SB_EEENS0_18inequality_wrapperIN6hipcub16HIPCUB_304000_NS8EqualityEEEPlJS6_EEE10hipError_tPvRmT3_T4_T5_T6_T7_T9_mT8_P12ihipStream_tbDpT10_ENKUlT_T0_E_clISt17integral_constantIbLb1EES17_EEDaS12_S13_EUlS12_E_NS1_11comp_targetILNS1_3genE9ELNS1_11target_archE1100ELNS1_3gpuE3ELNS1_3repE0EEENS1_30default_config_static_selectorELNS0_4arch9wavefront6targetE1EEEvT1_,@function
_ZN7rocprim17ROCPRIM_400000_NS6detail17trampoline_kernelINS0_14default_configENS1_25partition_config_selectorILNS1_17partition_subalgoE8EmNS0_10empty_typeEbEEZZNS1_14partition_implILS5_8ELb0ES3_jPKmPS6_PKS6_NS0_5tupleIJPmS6_EEENSE_IJSB_SB_EEENS0_18inequality_wrapperIN6hipcub16HIPCUB_304000_NS8EqualityEEEPlJS6_EEE10hipError_tPvRmT3_T4_T5_T6_T7_T9_mT8_P12ihipStream_tbDpT10_ENKUlT_T0_E_clISt17integral_constantIbLb1EES17_EEDaS12_S13_EUlS12_E_NS1_11comp_targetILNS1_3genE9ELNS1_11target_archE1100ELNS1_3gpuE3ELNS1_3repE0EEENS1_30default_config_static_selectorELNS0_4arch9wavefront6targetE1EEEvT1_: ; @_ZN7rocprim17ROCPRIM_400000_NS6detail17trampoline_kernelINS0_14default_configENS1_25partition_config_selectorILNS1_17partition_subalgoE8EmNS0_10empty_typeEbEEZZNS1_14partition_implILS5_8ELb0ES3_jPKmPS6_PKS6_NS0_5tupleIJPmS6_EEENSE_IJSB_SB_EEENS0_18inequality_wrapperIN6hipcub16HIPCUB_304000_NS8EqualityEEEPlJS6_EEE10hipError_tPvRmT3_T4_T5_T6_T7_T9_mT8_P12ihipStream_tbDpT10_ENKUlT_T0_E_clISt17integral_constantIbLb1EES17_EEDaS12_S13_EUlS12_E_NS1_11comp_targetILNS1_3genE9ELNS1_11target_archE1100ELNS1_3gpuE3ELNS1_3repE0EEENS1_30default_config_static_selectorELNS0_4arch9wavefront6targetE1EEEvT1_
; %bb.0:
	.section	.rodata,"a",@progbits
	.p2align	6, 0x0
	.amdhsa_kernel _ZN7rocprim17ROCPRIM_400000_NS6detail17trampoline_kernelINS0_14default_configENS1_25partition_config_selectorILNS1_17partition_subalgoE8EmNS0_10empty_typeEbEEZZNS1_14partition_implILS5_8ELb0ES3_jPKmPS6_PKS6_NS0_5tupleIJPmS6_EEENSE_IJSB_SB_EEENS0_18inequality_wrapperIN6hipcub16HIPCUB_304000_NS8EqualityEEEPlJS6_EEE10hipError_tPvRmT3_T4_T5_T6_T7_T9_mT8_P12ihipStream_tbDpT10_ENKUlT_T0_E_clISt17integral_constantIbLb1EES17_EEDaS12_S13_EUlS12_E_NS1_11comp_targetILNS1_3genE9ELNS1_11target_archE1100ELNS1_3gpuE3ELNS1_3repE0EEENS1_30default_config_static_selectorELNS0_4arch9wavefront6targetE1EEEvT1_
		.amdhsa_group_segment_fixed_size 0
		.amdhsa_private_segment_fixed_size 0
		.amdhsa_kernarg_size 128
		.amdhsa_user_sgpr_count 2
		.amdhsa_user_sgpr_dispatch_ptr 0
		.amdhsa_user_sgpr_queue_ptr 0
		.amdhsa_user_sgpr_kernarg_segment_ptr 1
		.amdhsa_user_sgpr_dispatch_id 0
		.amdhsa_user_sgpr_kernarg_preload_length 0
		.amdhsa_user_sgpr_kernarg_preload_offset 0
		.amdhsa_user_sgpr_private_segment_size 0
		.amdhsa_uses_dynamic_stack 0
		.amdhsa_enable_private_segment 0
		.amdhsa_system_sgpr_workgroup_id_x 1
		.amdhsa_system_sgpr_workgroup_id_y 0
		.amdhsa_system_sgpr_workgroup_id_z 0
		.amdhsa_system_sgpr_workgroup_info 0
		.amdhsa_system_vgpr_workitem_id 0
		.amdhsa_next_free_vgpr 1
		.amdhsa_next_free_sgpr 0
		.amdhsa_accum_offset 4
		.amdhsa_reserve_vcc 0
		.amdhsa_float_round_mode_32 0
		.amdhsa_float_round_mode_16_64 0
		.amdhsa_float_denorm_mode_32 3
		.amdhsa_float_denorm_mode_16_64 3
		.amdhsa_dx10_clamp 1
		.amdhsa_ieee_mode 1
		.amdhsa_fp16_overflow 0
		.amdhsa_tg_split 0
		.amdhsa_exception_fp_ieee_invalid_op 0
		.amdhsa_exception_fp_denorm_src 0
		.amdhsa_exception_fp_ieee_div_zero 0
		.amdhsa_exception_fp_ieee_overflow 0
		.amdhsa_exception_fp_ieee_underflow 0
		.amdhsa_exception_fp_ieee_inexact 0
		.amdhsa_exception_int_div_zero 0
	.end_amdhsa_kernel
	.section	.text._ZN7rocprim17ROCPRIM_400000_NS6detail17trampoline_kernelINS0_14default_configENS1_25partition_config_selectorILNS1_17partition_subalgoE8EmNS0_10empty_typeEbEEZZNS1_14partition_implILS5_8ELb0ES3_jPKmPS6_PKS6_NS0_5tupleIJPmS6_EEENSE_IJSB_SB_EEENS0_18inequality_wrapperIN6hipcub16HIPCUB_304000_NS8EqualityEEEPlJS6_EEE10hipError_tPvRmT3_T4_T5_T6_T7_T9_mT8_P12ihipStream_tbDpT10_ENKUlT_T0_E_clISt17integral_constantIbLb1EES17_EEDaS12_S13_EUlS12_E_NS1_11comp_targetILNS1_3genE9ELNS1_11target_archE1100ELNS1_3gpuE3ELNS1_3repE0EEENS1_30default_config_static_selectorELNS0_4arch9wavefront6targetE1EEEvT1_,"axG",@progbits,_ZN7rocprim17ROCPRIM_400000_NS6detail17trampoline_kernelINS0_14default_configENS1_25partition_config_selectorILNS1_17partition_subalgoE8EmNS0_10empty_typeEbEEZZNS1_14partition_implILS5_8ELb0ES3_jPKmPS6_PKS6_NS0_5tupleIJPmS6_EEENSE_IJSB_SB_EEENS0_18inequality_wrapperIN6hipcub16HIPCUB_304000_NS8EqualityEEEPlJS6_EEE10hipError_tPvRmT3_T4_T5_T6_T7_T9_mT8_P12ihipStream_tbDpT10_ENKUlT_T0_E_clISt17integral_constantIbLb1EES17_EEDaS12_S13_EUlS12_E_NS1_11comp_targetILNS1_3genE9ELNS1_11target_archE1100ELNS1_3gpuE3ELNS1_3repE0EEENS1_30default_config_static_selectorELNS0_4arch9wavefront6targetE1EEEvT1_,comdat
.Lfunc_end700:
	.size	_ZN7rocprim17ROCPRIM_400000_NS6detail17trampoline_kernelINS0_14default_configENS1_25partition_config_selectorILNS1_17partition_subalgoE8EmNS0_10empty_typeEbEEZZNS1_14partition_implILS5_8ELb0ES3_jPKmPS6_PKS6_NS0_5tupleIJPmS6_EEENSE_IJSB_SB_EEENS0_18inequality_wrapperIN6hipcub16HIPCUB_304000_NS8EqualityEEEPlJS6_EEE10hipError_tPvRmT3_T4_T5_T6_T7_T9_mT8_P12ihipStream_tbDpT10_ENKUlT_T0_E_clISt17integral_constantIbLb1EES17_EEDaS12_S13_EUlS12_E_NS1_11comp_targetILNS1_3genE9ELNS1_11target_archE1100ELNS1_3gpuE3ELNS1_3repE0EEENS1_30default_config_static_selectorELNS0_4arch9wavefront6targetE1EEEvT1_, .Lfunc_end700-_ZN7rocprim17ROCPRIM_400000_NS6detail17trampoline_kernelINS0_14default_configENS1_25partition_config_selectorILNS1_17partition_subalgoE8EmNS0_10empty_typeEbEEZZNS1_14partition_implILS5_8ELb0ES3_jPKmPS6_PKS6_NS0_5tupleIJPmS6_EEENSE_IJSB_SB_EEENS0_18inequality_wrapperIN6hipcub16HIPCUB_304000_NS8EqualityEEEPlJS6_EEE10hipError_tPvRmT3_T4_T5_T6_T7_T9_mT8_P12ihipStream_tbDpT10_ENKUlT_T0_E_clISt17integral_constantIbLb1EES17_EEDaS12_S13_EUlS12_E_NS1_11comp_targetILNS1_3genE9ELNS1_11target_archE1100ELNS1_3gpuE3ELNS1_3repE0EEENS1_30default_config_static_selectorELNS0_4arch9wavefront6targetE1EEEvT1_
                                        ; -- End function
	.section	.AMDGPU.csdata,"",@progbits
; Kernel info:
; codeLenInByte = 0
; NumSgprs: 6
; NumVgprs: 0
; NumAgprs: 0
; TotalNumVgprs: 0
; ScratchSize: 0
; MemoryBound: 0
; FloatMode: 240
; IeeeMode: 1
; LDSByteSize: 0 bytes/workgroup (compile time only)
; SGPRBlocks: 0
; VGPRBlocks: 0
; NumSGPRsForWavesPerEU: 6
; NumVGPRsForWavesPerEU: 1
; AccumOffset: 4
; Occupancy: 8
; WaveLimiterHint : 0
; COMPUTE_PGM_RSRC2:SCRATCH_EN: 0
; COMPUTE_PGM_RSRC2:USER_SGPR: 2
; COMPUTE_PGM_RSRC2:TRAP_HANDLER: 0
; COMPUTE_PGM_RSRC2:TGID_X_EN: 1
; COMPUTE_PGM_RSRC2:TGID_Y_EN: 0
; COMPUTE_PGM_RSRC2:TGID_Z_EN: 0
; COMPUTE_PGM_RSRC2:TIDIG_COMP_CNT: 0
; COMPUTE_PGM_RSRC3_GFX90A:ACCUM_OFFSET: 0
; COMPUTE_PGM_RSRC3_GFX90A:TG_SPLIT: 0
	.section	.text._ZN7rocprim17ROCPRIM_400000_NS6detail17trampoline_kernelINS0_14default_configENS1_25partition_config_selectorILNS1_17partition_subalgoE8EmNS0_10empty_typeEbEEZZNS1_14partition_implILS5_8ELb0ES3_jPKmPS6_PKS6_NS0_5tupleIJPmS6_EEENSE_IJSB_SB_EEENS0_18inequality_wrapperIN6hipcub16HIPCUB_304000_NS8EqualityEEEPlJS6_EEE10hipError_tPvRmT3_T4_T5_T6_T7_T9_mT8_P12ihipStream_tbDpT10_ENKUlT_T0_E_clISt17integral_constantIbLb1EES17_EEDaS12_S13_EUlS12_E_NS1_11comp_targetILNS1_3genE8ELNS1_11target_archE1030ELNS1_3gpuE2ELNS1_3repE0EEENS1_30default_config_static_selectorELNS0_4arch9wavefront6targetE1EEEvT1_,"axG",@progbits,_ZN7rocprim17ROCPRIM_400000_NS6detail17trampoline_kernelINS0_14default_configENS1_25partition_config_selectorILNS1_17partition_subalgoE8EmNS0_10empty_typeEbEEZZNS1_14partition_implILS5_8ELb0ES3_jPKmPS6_PKS6_NS0_5tupleIJPmS6_EEENSE_IJSB_SB_EEENS0_18inequality_wrapperIN6hipcub16HIPCUB_304000_NS8EqualityEEEPlJS6_EEE10hipError_tPvRmT3_T4_T5_T6_T7_T9_mT8_P12ihipStream_tbDpT10_ENKUlT_T0_E_clISt17integral_constantIbLb1EES17_EEDaS12_S13_EUlS12_E_NS1_11comp_targetILNS1_3genE8ELNS1_11target_archE1030ELNS1_3gpuE2ELNS1_3repE0EEENS1_30default_config_static_selectorELNS0_4arch9wavefront6targetE1EEEvT1_,comdat
	.protected	_ZN7rocprim17ROCPRIM_400000_NS6detail17trampoline_kernelINS0_14default_configENS1_25partition_config_selectorILNS1_17partition_subalgoE8EmNS0_10empty_typeEbEEZZNS1_14partition_implILS5_8ELb0ES3_jPKmPS6_PKS6_NS0_5tupleIJPmS6_EEENSE_IJSB_SB_EEENS0_18inequality_wrapperIN6hipcub16HIPCUB_304000_NS8EqualityEEEPlJS6_EEE10hipError_tPvRmT3_T4_T5_T6_T7_T9_mT8_P12ihipStream_tbDpT10_ENKUlT_T0_E_clISt17integral_constantIbLb1EES17_EEDaS12_S13_EUlS12_E_NS1_11comp_targetILNS1_3genE8ELNS1_11target_archE1030ELNS1_3gpuE2ELNS1_3repE0EEENS1_30default_config_static_selectorELNS0_4arch9wavefront6targetE1EEEvT1_ ; -- Begin function _ZN7rocprim17ROCPRIM_400000_NS6detail17trampoline_kernelINS0_14default_configENS1_25partition_config_selectorILNS1_17partition_subalgoE8EmNS0_10empty_typeEbEEZZNS1_14partition_implILS5_8ELb0ES3_jPKmPS6_PKS6_NS0_5tupleIJPmS6_EEENSE_IJSB_SB_EEENS0_18inequality_wrapperIN6hipcub16HIPCUB_304000_NS8EqualityEEEPlJS6_EEE10hipError_tPvRmT3_T4_T5_T6_T7_T9_mT8_P12ihipStream_tbDpT10_ENKUlT_T0_E_clISt17integral_constantIbLb1EES17_EEDaS12_S13_EUlS12_E_NS1_11comp_targetILNS1_3genE8ELNS1_11target_archE1030ELNS1_3gpuE2ELNS1_3repE0EEENS1_30default_config_static_selectorELNS0_4arch9wavefront6targetE1EEEvT1_
	.globl	_ZN7rocprim17ROCPRIM_400000_NS6detail17trampoline_kernelINS0_14default_configENS1_25partition_config_selectorILNS1_17partition_subalgoE8EmNS0_10empty_typeEbEEZZNS1_14partition_implILS5_8ELb0ES3_jPKmPS6_PKS6_NS0_5tupleIJPmS6_EEENSE_IJSB_SB_EEENS0_18inequality_wrapperIN6hipcub16HIPCUB_304000_NS8EqualityEEEPlJS6_EEE10hipError_tPvRmT3_T4_T5_T6_T7_T9_mT8_P12ihipStream_tbDpT10_ENKUlT_T0_E_clISt17integral_constantIbLb1EES17_EEDaS12_S13_EUlS12_E_NS1_11comp_targetILNS1_3genE8ELNS1_11target_archE1030ELNS1_3gpuE2ELNS1_3repE0EEENS1_30default_config_static_selectorELNS0_4arch9wavefront6targetE1EEEvT1_
	.p2align	8
	.type	_ZN7rocprim17ROCPRIM_400000_NS6detail17trampoline_kernelINS0_14default_configENS1_25partition_config_selectorILNS1_17partition_subalgoE8EmNS0_10empty_typeEbEEZZNS1_14partition_implILS5_8ELb0ES3_jPKmPS6_PKS6_NS0_5tupleIJPmS6_EEENSE_IJSB_SB_EEENS0_18inequality_wrapperIN6hipcub16HIPCUB_304000_NS8EqualityEEEPlJS6_EEE10hipError_tPvRmT3_T4_T5_T6_T7_T9_mT8_P12ihipStream_tbDpT10_ENKUlT_T0_E_clISt17integral_constantIbLb1EES17_EEDaS12_S13_EUlS12_E_NS1_11comp_targetILNS1_3genE8ELNS1_11target_archE1030ELNS1_3gpuE2ELNS1_3repE0EEENS1_30default_config_static_selectorELNS0_4arch9wavefront6targetE1EEEvT1_,@function
_ZN7rocprim17ROCPRIM_400000_NS6detail17trampoline_kernelINS0_14default_configENS1_25partition_config_selectorILNS1_17partition_subalgoE8EmNS0_10empty_typeEbEEZZNS1_14partition_implILS5_8ELb0ES3_jPKmPS6_PKS6_NS0_5tupleIJPmS6_EEENSE_IJSB_SB_EEENS0_18inequality_wrapperIN6hipcub16HIPCUB_304000_NS8EqualityEEEPlJS6_EEE10hipError_tPvRmT3_T4_T5_T6_T7_T9_mT8_P12ihipStream_tbDpT10_ENKUlT_T0_E_clISt17integral_constantIbLb1EES17_EEDaS12_S13_EUlS12_E_NS1_11comp_targetILNS1_3genE8ELNS1_11target_archE1030ELNS1_3gpuE2ELNS1_3repE0EEENS1_30default_config_static_selectorELNS0_4arch9wavefront6targetE1EEEvT1_: ; @_ZN7rocprim17ROCPRIM_400000_NS6detail17trampoline_kernelINS0_14default_configENS1_25partition_config_selectorILNS1_17partition_subalgoE8EmNS0_10empty_typeEbEEZZNS1_14partition_implILS5_8ELb0ES3_jPKmPS6_PKS6_NS0_5tupleIJPmS6_EEENSE_IJSB_SB_EEENS0_18inequality_wrapperIN6hipcub16HIPCUB_304000_NS8EqualityEEEPlJS6_EEE10hipError_tPvRmT3_T4_T5_T6_T7_T9_mT8_P12ihipStream_tbDpT10_ENKUlT_T0_E_clISt17integral_constantIbLb1EES17_EEDaS12_S13_EUlS12_E_NS1_11comp_targetILNS1_3genE8ELNS1_11target_archE1030ELNS1_3gpuE2ELNS1_3repE0EEENS1_30default_config_static_selectorELNS0_4arch9wavefront6targetE1EEEvT1_
; %bb.0:
	.section	.rodata,"a",@progbits
	.p2align	6, 0x0
	.amdhsa_kernel _ZN7rocprim17ROCPRIM_400000_NS6detail17trampoline_kernelINS0_14default_configENS1_25partition_config_selectorILNS1_17partition_subalgoE8EmNS0_10empty_typeEbEEZZNS1_14partition_implILS5_8ELb0ES3_jPKmPS6_PKS6_NS0_5tupleIJPmS6_EEENSE_IJSB_SB_EEENS0_18inequality_wrapperIN6hipcub16HIPCUB_304000_NS8EqualityEEEPlJS6_EEE10hipError_tPvRmT3_T4_T5_T6_T7_T9_mT8_P12ihipStream_tbDpT10_ENKUlT_T0_E_clISt17integral_constantIbLb1EES17_EEDaS12_S13_EUlS12_E_NS1_11comp_targetILNS1_3genE8ELNS1_11target_archE1030ELNS1_3gpuE2ELNS1_3repE0EEENS1_30default_config_static_selectorELNS0_4arch9wavefront6targetE1EEEvT1_
		.amdhsa_group_segment_fixed_size 0
		.amdhsa_private_segment_fixed_size 0
		.amdhsa_kernarg_size 128
		.amdhsa_user_sgpr_count 2
		.amdhsa_user_sgpr_dispatch_ptr 0
		.amdhsa_user_sgpr_queue_ptr 0
		.amdhsa_user_sgpr_kernarg_segment_ptr 1
		.amdhsa_user_sgpr_dispatch_id 0
		.amdhsa_user_sgpr_kernarg_preload_length 0
		.amdhsa_user_sgpr_kernarg_preload_offset 0
		.amdhsa_user_sgpr_private_segment_size 0
		.amdhsa_uses_dynamic_stack 0
		.amdhsa_enable_private_segment 0
		.amdhsa_system_sgpr_workgroup_id_x 1
		.amdhsa_system_sgpr_workgroup_id_y 0
		.amdhsa_system_sgpr_workgroup_id_z 0
		.amdhsa_system_sgpr_workgroup_info 0
		.amdhsa_system_vgpr_workitem_id 0
		.amdhsa_next_free_vgpr 1
		.amdhsa_next_free_sgpr 0
		.amdhsa_accum_offset 4
		.amdhsa_reserve_vcc 0
		.amdhsa_float_round_mode_32 0
		.amdhsa_float_round_mode_16_64 0
		.amdhsa_float_denorm_mode_32 3
		.amdhsa_float_denorm_mode_16_64 3
		.amdhsa_dx10_clamp 1
		.amdhsa_ieee_mode 1
		.amdhsa_fp16_overflow 0
		.amdhsa_tg_split 0
		.amdhsa_exception_fp_ieee_invalid_op 0
		.amdhsa_exception_fp_denorm_src 0
		.amdhsa_exception_fp_ieee_div_zero 0
		.amdhsa_exception_fp_ieee_overflow 0
		.amdhsa_exception_fp_ieee_underflow 0
		.amdhsa_exception_fp_ieee_inexact 0
		.amdhsa_exception_int_div_zero 0
	.end_amdhsa_kernel
	.section	.text._ZN7rocprim17ROCPRIM_400000_NS6detail17trampoline_kernelINS0_14default_configENS1_25partition_config_selectorILNS1_17partition_subalgoE8EmNS0_10empty_typeEbEEZZNS1_14partition_implILS5_8ELb0ES3_jPKmPS6_PKS6_NS0_5tupleIJPmS6_EEENSE_IJSB_SB_EEENS0_18inequality_wrapperIN6hipcub16HIPCUB_304000_NS8EqualityEEEPlJS6_EEE10hipError_tPvRmT3_T4_T5_T6_T7_T9_mT8_P12ihipStream_tbDpT10_ENKUlT_T0_E_clISt17integral_constantIbLb1EES17_EEDaS12_S13_EUlS12_E_NS1_11comp_targetILNS1_3genE8ELNS1_11target_archE1030ELNS1_3gpuE2ELNS1_3repE0EEENS1_30default_config_static_selectorELNS0_4arch9wavefront6targetE1EEEvT1_,"axG",@progbits,_ZN7rocprim17ROCPRIM_400000_NS6detail17trampoline_kernelINS0_14default_configENS1_25partition_config_selectorILNS1_17partition_subalgoE8EmNS0_10empty_typeEbEEZZNS1_14partition_implILS5_8ELb0ES3_jPKmPS6_PKS6_NS0_5tupleIJPmS6_EEENSE_IJSB_SB_EEENS0_18inequality_wrapperIN6hipcub16HIPCUB_304000_NS8EqualityEEEPlJS6_EEE10hipError_tPvRmT3_T4_T5_T6_T7_T9_mT8_P12ihipStream_tbDpT10_ENKUlT_T0_E_clISt17integral_constantIbLb1EES17_EEDaS12_S13_EUlS12_E_NS1_11comp_targetILNS1_3genE8ELNS1_11target_archE1030ELNS1_3gpuE2ELNS1_3repE0EEENS1_30default_config_static_selectorELNS0_4arch9wavefront6targetE1EEEvT1_,comdat
.Lfunc_end701:
	.size	_ZN7rocprim17ROCPRIM_400000_NS6detail17trampoline_kernelINS0_14default_configENS1_25partition_config_selectorILNS1_17partition_subalgoE8EmNS0_10empty_typeEbEEZZNS1_14partition_implILS5_8ELb0ES3_jPKmPS6_PKS6_NS0_5tupleIJPmS6_EEENSE_IJSB_SB_EEENS0_18inequality_wrapperIN6hipcub16HIPCUB_304000_NS8EqualityEEEPlJS6_EEE10hipError_tPvRmT3_T4_T5_T6_T7_T9_mT8_P12ihipStream_tbDpT10_ENKUlT_T0_E_clISt17integral_constantIbLb1EES17_EEDaS12_S13_EUlS12_E_NS1_11comp_targetILNS1_3genE8ELNS1_11target_archE1030ELNS1_3gpuE2ELNS1_3repE0EEENS1_30default_config_static_selectorELNS0_4arch9wavefront6targetE1EEEvT1_, .Lfunc_end701-_ZN7rocprim17ROCPRIM_400000_NS6detail17trampoline_kernelINS0_14default_configENS1_25partition_config_selectorILNS1_17partition_subalgoE8EmNS0_10empty_typeEbEEZZNS1_14partition_implILS5_8ELb0ES3_jPKmPS6_PKS6_NS0_5tupleIJPmS6_EEENSE_IJSB_SB_EEENS0_18inequality_wrapperIN6hipcub16HIPCUB_304000_NS8EqualityEEEPlJS6_EEE10hipError_tPvRmT3_T4_T5_T6_T7_T9_mT8_P12ihipStream_tbDpT10_ENKUlT_T0_E_clISt17integral_constantIbLb1EES17_EEDaS12_S13_EUlS12_E_NS1_11comp_targetILNS1_3genE8ELNS1_11target_archE1030ELNS1_3gpuE2ELNS1_3repE0EEENS1_30default_config_static_selectorELNS0_4arch9wavefront6targetE1EEEvT1_
                                        ; -- End function
	.section	.AMDGPU.csdata,"",@progbits
; Kernel info:
; codeLenInByte = 0
; NumSgprs: 6
; NumVgprs: 0
; NumAgprs: 0
; TotalNumVgprs: 0
; ScratchSize: 0
; MemoryBound: 0
; FloatMode: 240
; IeeeMode: 1
; LDSByteSize: 0 bytes/workgroup (compile time only)
; SGPRBlocks: 0
; VGPRBlocks: 0
; NumSGPRsForWavesPerEU: 6
; NumVGPRsForWavesPerEU: 1
; AccumOffset: 4
; Occupancy: 8
; WaveLimiterHint : 0
; COMPUTE_PGM_RSRC2:SCRATCH_EN: 0
; COMPUTE_PGM_RSRC2:USER_SGPR: 2
; COMPUTE_PGM_RSRC2:TRAP_HANDLER: 0
; COMPUTE_PGM_RSRC2:TGID_X_EN: 1
; COMPUTE_PGM_RSRC2:TGID_Y_EN: 0
; COMPUTE_PGM_RSRC2:TGID_Z_EN: 0
; COMPUTE_PGM_RSRC2:TIDIG_COMP_CNT: 0
; COMPUTE_PGM_RSRC3_GFX90A:ACCUM_OFFSET: 0
; COMPUTE_PGM_RSRC3_GFX90A:TG_SPLIT: 0
	.section	.text._ZN7rocprim17ROCPRIM_400000_NS6detail17trampoline_kernelINS0_14default_configENS1_25partition_config_selectorILNS1_17partition_subalgoE8EmNS0_10empty_typeEbEEZZNS1_14partition_implILS5_8ELb0ES3_jPKmPS6_PKS6_NS0_5tupleIJPmS6_EEENSE_IJSB_SB_EEENS0_18inequality_wrapperIN6hipcub16HIPCUB_304000_NS8EqualityEEEPlJS6_EEE10hipError_tPvRmT3_T4_T5_T6_T7_T9_mT8_P12ihipStream_tbDpT10_ENKUlT_T0_E_clISt17integral_constantIbLb1EES16_IbLb0EEEEDaS12_S13_EUlS12_E_NS1_11comp_targetILNS1_3genE0ELNS1_11target_archE4294967295ELNS1_3gpuE0ELNS1_3repE0EEENS1_30default_config_static_selectorELNS0_4arch9wavefront6targetE1EEEvT1_,"axG",@progbits,_ZN7rocprim17ROCPRIM_400000_NS6detail17trampoline_kernelINS0_14default_configENS1_25partition_config_selectorILNS1_17partition_subalgoE8EmNS0_10empty_typeEbEEZZNS1_14partition_implILS5_8ELb0ES3_jPKmPS6_PKS6_NS0_5tupleIJPmS6_EEENSE_IJSB_SB_EEENS0_18inequality_wrapperIN6hipcub16HIPCUB_304000_NS8EqualityEEEPlJS6_EEE10hipError_tPvRmT3_T4_T5_T6_T7_T9_mT8_P12ihipStream_tbDpT10_ENKUlT_T0_E_clISt17integral_constantIbLb1EES16_IbLb0EEEEDaS12_S13_EUlS12_E_NS1_11comp_targetILNS1_3genE0ELNS1_11target_archE4294967295ELNS1_3gpuE0ELNS1_3repE0EEENS1_30default_config_static_selectorELNS0_4arch9wavefront6targetE1EEEvT1_,comdat
	.protected	_ZN7rocprim17ROCPRIM_400000_NS6detail17trampoline_kernelINS0_14default_configENS1_25partition_config_selectorILNS1_17partition_subalgoE8EmNS0_10empty_typeEbEEZZNS1_14partition_implILS5_8ELb0ES3_jPKmPS6_PKS6_NS0_5tupleIJPmS6_EEENSE_IJSB_SB_EEENS0_18inequality_wrapperIN6hipcub16HIPCUB_304000_NS8EqualityEEEPlJS6_EEE10hipError_tPvRmT3_T4_T5_T6_T7_T9_mT8_P12ihipStream_tbDpT10_ENKUlT_T0_E_clISt17integral_constantIbLb1EES16_IbLb0EEEEDaS12_S13_EUlS12_E_NS1_11comp_targetILNS1_3genE0ELNS1_11target_archE4294967295ELNS1_3gpuE0ELNS1_3repE0EEENS1_30default_config_static_selectorELNS0_4arch9wavefront6targetE1EEEvT1_ ; -- Begin function _ZN7rocprim17ROCPRIM_400000_NS6detail17trampoline_kernelINS0_14default_configENS1_25partition_config_selectorILNS1_17partition_subalgoE8EmNS0_10empty_typeEbEEZZNS1_14partition_implILS5_8ELb0ES3_jPKmPS6_PKS6_NS0_5tupleIJPmS6_EEENSE_IJSB_SB_EEENS0_18inequality_wrapperIN6hipcub16HIPCUB_304000_NS8EqualityEEEPlJS6_EEE10hipError_tPvRmT3_T4_T5_T6_T7_T9_mT8_P12ihipStream_tbDpT10_ENKUlT_T0_E_clISt17integral_constantIbLb1EES16_IbLb0EEEEDaS12_S13_EUlS12_E_NS1_11comp_targetILNS1_3genE0ELNS1_11target_archE4294967295ELNS1_3gpuE0ELNS1_3repE0EEENS1_30default_config_static_selectorELNS0_4arch9wavefront6targetE1EEEvT1_
	.globl	_ZN7rocprim17ROCPRIM_400000_NS6detail17trampoline_kernelINS0_14default_configENS1_25partition_config_selectorILNS1_17partition_subalgoE8EmNS0_10empty_typeEbEEZZNS1_14partition_implILS5_8ELb0ES3_jPKmPS6_PKS6_NS0_5tupleIJPmS6_EEENSE_IJSB_SB_EEENS0_18inequality_wrapperIN6hipcub16HIPCUB_304000_NS8EqualityEEEPlJS6_EEE10hipError_tPvRmT3_T4_T5_T6_T7_T9_mT8_P12ihipStream_tbDpT10_ENKUlT_T0_E_clISt17integral_constantIbLb1EES16_IbLb0EEEEDaS12_S13_EUlS12_E_NS1_11comp_targetILNS1_3genE0ELNS1_11target_archE4294967295ELNS1_3gpuE0ELNS1_3repE0EEENS1_30default_config_static_selectorELNS0_4arch9wavefront6targetE1EEEvT1_
	.p2align	8
	.type	_ZN7rocprim17ROCPRIM_400000_NS6detail17trampoline_kernelINS0_14default_configENS1_25partition_config_selectorILNS1_17partition_subalgoE8EmNS0_10empty_typeEbEEZZNS1_14partition_implILS5_8ELb0ES3_jPKmPS6_PKS6_NS0_5tupleIJPmS6_EEENSE_IJSB_SB_EEENS0_18inequality_wrapperIN6hipcub16HIPCUB_304000_NS8EqualityEEEPlJS6_EEE10hipError_tPvRmT3_T4_T5_T6_T7_T9_mT8_P12ihipStream_tbDpT10_ENKUlT_T0_E_clISt17integral_constantIbLb1EES16_IbLb0EEEEDaS12_S13_EUlS12_E_NS1_11comp_targetILNS1_3genE0ELNS1_11target_archE4294967295ELNS1_3gpuE0ELNS1_3repE0EEENS1_30default_config_static_selectorELNS0_4arch9wavefront6targetE1EEEvT1_,@function
_ZN7rocprim17ROCPRIM_400000_NS6detail17trampoline_kernelINS0_14default_configENS1_25partition_config_selectorILNS1_17partition_subalgoE8EmNS0_10empty_typeEbEEZZNS1_14partition_implILS5_8ELb0ES3_jPKmPS6_PKS6_NS0_5tupleIJPmS6_EEENSE_IJSB_SB_EEENS0_18inequality_wrapperIN6hipcub16HIPCUB_304000_NS8EqualityEEEPlJS6_EEE10hipError_tPvRmT3_T4_T5_T6_T7_T9_mT8_P12ihipStream_tbDpT10_ENKUlT_T0_E_clISt17integral_constantIbLb1EES16_IbLb0EEEEDaS12_S13_EUlS12_E_NS1_11comp_targetILNS1_3genE0ELNS1_11target_archE4294967295ELNS1_3gpuE0ELNS1_3repE0EEENS1_30default_config_static_selectorELNS0_4arch9wavefront6targetE1EEEvT1_: ; @_ZN7rocprim17ROCPRIM_400000_NS6detail17trampoline_kernelINS0_14default_configENS1_25partition_config_selectorILNS1_17partition_subalgoE8EmNS0_10empty_typeEbEEZZNS1_14partition_implILS5_8ELb0ES3_jPKmPS6_PKS6_NS0_5tupleIJPmS6_EEENSE_IJSB_SB_EEENS0_18inequality_wrapperIN6hipcub16HIPCUB_304000_NS8EqualityEEEPlJS6_EEE10hipError_tPvRmT3_T4_T5_T6_T7_T9_mT8_P12ihipStream_tbDpT10_ENKUlT_T0_E_clISt17integral_constantIbLb1EES16_IbLb0EEEEDaS12_S13_EUlS12_E_NS1_11comp_targetILNS1_3genE0ELNS1_11target_archE4294967295ELNS1_3gpuE0ELNS1_3repE0EEENS1_30default_config_static_selectorELNS0_4arch9wavefront6targetE1EEEvT1_
; %bb.0:
	.section	.rodata,"a",@progbits
	.p2align	6, 0x0
	.amdhsa_kernel _ZN7rocprim17ROCPRIM_400000_NS6detail17trampoline_kernelINS0_14default_configENS1_25partition_config_selectorILNS1_17partition_subalgoE8EmNS0_10empty_typeEbEEZZNS1_14partition_implILS5_8ELb0ES3_jPKmPS6_PKS6_NS0_5tupleIJPmS6_EEENSE_IJSB_SB_EEENS0_18inequality_wrapperIN6hipcub16HIPCUB_304000_NS8EqualityEEEPlJS6_EEE10hipError_tPvRmT3_T4_T5_T6_T7_T9_mT8_P12ihipStream_tbDpT10_ENKUlT_T0_E_clISt17integral_constantIbLb1EES16_IbLb0EEEEDaS12_S13_EUlS12_E_NS1_11comp_targetILNS1_3genE0ELNS1_11target_archE4294967295ELNS1_3gpuE0ELNS1_3repE0EEENS1_30default_config_static_selectorELNS0_4arch9wavefront6targetE1EEEvT1_
		.amdhsa_group_segment_fixed_size 0
		.amdhsa_private_segment_fixed_size 0
		.amdhsa_kernarg_size 112
		.amdhsa_user_sgpr_count 2
		.amdhsa_user_sgpr_dispatch_ptr 0
		.amdhsa_user_sgpr_queue_ptr 0
		.amdhsa_user_sgpr_kernarg_segment_ptr 1
		.amdhsa_user_sgpr_dispatch_id 0
		.amdhsa_user_sgpr_kernarg_preload_length 0
		.amdhsa_user_sgpr_kernarg_preload_offset 0
		.amdhsa_user_sgpr_private_segment_size 0
		.amdhsa_uses_dynamic_stack 0
		.amdhsa_enable_private_segment 0
		.amdhsa_system_sgpr_workgroup_id_x 1
		.amdhsa_system_sgpr_workgroup_id_y 0
		.amdhsa_system_sgpr_workgroup_id_z 0
		.amdhsa_system_sgpr_workgroup_info 0
		.amdhsa_system_vgpr_workitem_id 0
		.amdhsa_next_free_vgpr 1
		.amdhsa_next_free_sgpr 0
		.amdhsa_accum_offset 4
		.amdhsa_reserve_vcc 0
		.amdhsa_float_round_mode_32 0
		.amdhsa_float_round_mode_16_64 0
		.amdhsa_float_denorm_mode_32 3
		.amdhsa_float_denorm_mode_16_64 3
		.amdhsa_dx10_clamp 1
		.amdhsa_ieee_mode 1
		.amdhsa_fp16_overflow 0
		.amdhsa_tg_split 0
		.amdhsa_exception_fp_ieee_invalid_op 0
		.amdhsa_exception_fp_denorm_src 0
		.amdhsa_exception_fp_ieee_div_zero 0
		.amdhsa_exception_fp_ieee_overflow 0
		.amdhsa_exception_fp_ieee_underflow 0
		.amdhsa_exception_fp_ieee_inexact 0
		.amdhsa_exception_int_div_zero 0
	.end_amdhsa_kernel
	.section	.text._ZN7rocprim17ROCPRIM_400000_NS6detail17trampoline_kernelINS0_14default_configENS1_25partition_config_selectorILNS1_17partition_subalgoE8EmNS0_10empty_typeEbEEZZNS1_14partition_implILS5_8ELb0ES3_jPKmPS6_PKS6_NS0_5tupleIJPmS6_EEENSE_IJSB_SB_EEENS0_18inequality_wrapperIN6hipcub16HIPCUB_304000_NS8EqualityEEEPlJS6_EEE10hipError_tPvRmT3_T4_T5_T6_T7_T9_mT8_P12ihipStream_tbDpT10_ENKUlT_T0_E_clISt17integral_constantIbLb1EES16_IbLb0EEEEDaS12_S13_EUlS12_E_NS1_11comp_targetILNS1_3genE0ELNS1_11target_archE4294967295ELNS1_3gpuE0ELNS1_3repE0EEENS1_30default_config_static_selectorELNS0_4arch9wavefront6targetE1EEEvT1_,"axG",@progbits,_ZN7rocprim17ROCPRIM_400000_NS6detail17trampoline_kernelINS0_14default_configENS1_25partition_config_selectorILNS1_17partition_subalgoE8EmNS0_10empty_typeEbEEZZNS1_14partition_implILS5_8ELb0ES3_jPKmPS6_PKS6_NS0_5tupleIJPmS6_EEENSE_IJSB_SB_EEENS0_18inequality_wrapperIN6hipcub16HIPCUB_304000_NS8EqualityEEEPlJS6_EEE10hipError_tPvRmT3_T4_T5_T6_T7_T9_mT8_P12ihipStream_tbDpT10_ENKUlT_T0_E_clISt17integral_constantIbLb1EES16_IbLb0EEEEDaS12_S13_EUlS12_E_NS1_11comp_targetILNS1_3genE0ELNS1_11target_archE4294967295ELNS1_3gpuE0ELNS1_3repE0EEENS1_30default_config_static_selectorELNS0_4arch9wavefront6targetE1EEEvT1_,comdat
.Lfunc_end702:
	.size	_ZN7rocprim17ROCPRIM_400000_NS6detail17trampoline_kernelINS0_14default_configENS1_25partition_config_selectorILNS1_17partition_subalgoE8EmNS0_10empty_typeEbEEZZNS1_14partition_implILS5_8ELb0ES3_jPKmPS6_PKS6_NS0_5tupleIJPmS6_EEENSE_IJSB_SB_EEENS0_18inequality_wrapperIN6hipcub16HIPCUB_304000_NS8EqualityEEEPlJS6_EEE10hipError_tPvRmT3_T4_T5_T6_T7_T9_mT8_P12ihipStream_tbDpT10_ENKUlT_T0_E_clISt17integral_constantIbLb1EES16_IbLb0EEEEDaS12_S13_EUlS12_E_NS1_11comp_targetILNS1_3genE0ELNS1_11target_archE4294967295ELNS1_3gpuE0ELNS1_3repE0EEENS1_30default_config_static_selectorELNS0_4arch9wavefront6targetE1EEEvT1_, .Lfunc_end702-_ZN7rocprim17ROCPRIM_400000_NS6detail17trampoline_kernelINS0_14default_configENS1_25partition_config_selectorILNS1_17partition_subalgoE8EmNS0_10empty_typeEbEEZZNS1_14partition_implILS5_8ELb0ES3_jPKmPS6_PKS6_NS0_5tupleIJPmS6_EEENSE_IJSB_SB_EEENS0_18inequality_wrapperIN6hipcub16HIPCUB_304000_NS8EqualityEEEPlJS6_EEE10hipError_tPvRmT3_T4_T5_T6_T7_T9_mT8_P12ihipStream_tbDpT10_ENKUlT_T0_E_clISt17integral_constantIbLb1EES16_IbLb0EEEEDaS12_S13_EUlS12_E_NS1_11comp_targetILNS1_3genE0ELNS1_11target_archE4294967295ELNS1_3gpuE0ELNS1_3repE0EEENS1_30default_config_static_selectorELNS0_4arch9wavefront6targetE1EEEvT1_
                                        ; -- End function
	.section	.AMDGPU.csdata,"",@progbits
; Kernel info:
; codeLenInByte = 0
; NumSgprs: 6
; NumVgprs: 0
; NumAgprs: 0
; TotalNumVgprs: 0
; ScratchSize: 0
; MemoryBound: 0
; FloatMode: 240
; IeeeMode: 1
; LDSByteSize: 0 bytes/workgroup (compile time only)
; SGPRBlocks: 0
; VGPRBlocks: 0
; NumSGPRsForWavesPerEU: 6
; NumVGPRsForWavesPerEU: 1
; AccumOffset: 4
; Occupancy: 8
; WaveLimiterHint : 0
; COMPUTE_PGM_RSRC2:SCRATCH_EN: 0
; COMPUTE_PGM_RSRC2:USER_SGPR: 2
; COMPUTE_PGM_RSRC2:TRAP_HANDLER: 0
; COMPUTE_PGM_RSRC2:TGID_X_EN: 1
; COMPUTE_PGM_RSRC2:TGID_Y_EN: 0
; COMPUTE_PGM_RSRC2:TGID_Z_EN: 0
; COMPUTE_PGM_RSRC2:TIDIG_COMP_CNT: 0
; COMPUTE_PGM_RSRC3_GFX90A:ACCUM_OFFSET: 0
; COMPUTE_PGM_RSRC3_GFX90A:TG_SPLIT: 0
	.section	.text._ZN7rocprim17ROCPRIM_400000_NS6detail17trampoline_kernelINS0_14default_configENS1_25partition_config_selectorILNS1_17partition_subalgoE8EmNS0_10empty_typeEbEEZZNS1_14partition_implILS5_8ELb0ES3_jPKmPS6_PKS6_NS0_5tupleIJPmS6_EEENSE_IJSB_SB_EEENS0_18inequality_wrapperIN6hipcub16HIPCUB_304000_NS8EqualityEEEPlJS6_EEE10hipError_tPvRmT3_T4_T5_T6_T7_T9_mT8_P12ihipStream_tbDpT10_ENKUlT_T0_E_clISt17integral_constantIbLb1EES16_IbLb0EEEEDaS12_S13_EUlS12_E_NS1_11comp_targetILNS1_3genE5ELNS1_11target_archE942ELNS1_3gpuE9ELNS1_3repE0EEENS1_30default_config_static_selectorELNS0_4arch9wavefront6targetE1EEEvT1_,"axG",@progbits,_ZN7rocprim17ROCPRIM_400000_NS6detail17trampoline_kernelINS0_14default_configENS1_25partition_config_selectorILNS1_17partition_subalgoE8EmNS0_10empty_typeEbEEZZNS1_14partition_implILS5_8ELb0ES3_jPKmPS6_PKS6_NS0_5tupleIJPmS6_EEENSE_IJSB_SB_EEENS0_18inequality_wrapperIN6hipcub16HIPCUB_304000_NS8EqualityEEEPlJS6_EEE10hipError_tPvRmT3_T4_T5_T6_T7_T9_mT8_P12ihipStream_tbDpT10_ENKUlT_T0_E_clISt17integral_constantIbLb1EES16_IbLb0EEEEDaS12_S13_EUlS12_E_NS1_11comp_targetILNS1_3genE5ELNS1_11target_archE942ELNS1_3gpuE9ELNS1_3repE0EEENS1_30default_config_static_selectorELNS0_4arch9wavefront6targetE1EEEvT1_,comdat
	.protected	_ZN7rocprim17ROCPRIM_400000_NS6detail17trampoline_kernelINS0_14default_configENS1_25partition_config_selectorILNS1_17partition_subalgoE8EmNS0_10empty_typeEbEEZZNS1_14partition_implILS5_8ELb0ES3_jPKmPS6_PKS6_NS0_5tupleIJPmS6_EEENSE_IJSB_SB_EEENS0_18inequality_wrapperIN6hipcub16HIPCUB_304000_NS8EqualityEEEPlJS6_EEE10hipError_tPvRmT3_T4_T5_T6_T7_T9_mT8_P12ihipStream_tbDpT10_ENKUlT_T0_E_clISt17integral_constantIbLb1EES16_IbLb0EEEEDaS12_S13_EUlS12_E_NS1_11comp_targetILNS1_3genE5ELNS1_11target_archE942ELNS1_3gpuE9ELNS1_3repE0EEENS1_30default_config_static_selectorELNS0_4arch9wavefront6targetE1EEEvT1_ ; -- Begin function _ZN7rocprim17ROCPRIM_400000_NS6detail17trampoline_kernelINS0_14default_configENS1_25partition_config_selectorILNS1_17partition_subalgoE8EmNS0_10empty_typeEbEEZZNS1_14partition_implILS5_8ELb0ES3_jPKmPS6_PKS6_NS0_5tupleIJPmS6_EEENSE_IJSB_SB_EEENS0_18inequality_wrapperIN6hipcub16HIPCUB_304000_NS8EqualityEEEPlJS6_EEE10hipError_tPvRmT3_T4_T5_T6_T7_T9_mT8_P12ihipStream_tbDpT10_ENKUlT_T0_E_clISt17integral_constantIbLb1EES16_IbLb0EEEEDaS12_S13_EUlS12_E_NS1_11comp_targetILNS1_3genE5ELNS1_11target_archE942ELNS1_3gpuE9ELNS1_3repE0EEENS1_30default_config_static_selectorELNS0_4arch9wavefront6targetE1EEEvT1_
	.globl	_ZN7rocprim17ROCPRIM_400000_NS6detail17trampoline_kernelINS0_14default_configENS1_25partition_config_selectorILNS1_17partition_subalgoE8EmNS0_10empty_typeEbEEZZNS1_14partition_implILS5_8ELb0ES3_jPKmPS6_PKS6_NS0_5tupleIJPmS6_EEENSE_IJSB_SB_EEENS0_18inequality_wrapperIN6hipcub16HIPCUB_304000_NS8EqualityEEEPlJS6_EEE10hipError_tPvRmT3_T4_T5_T6_T7_T9_mT8_P12ihipStream_tbDpT10_ENKUlT_T0_E_clISt17integral_constantIbLb1EES16_IbLb0EEEEDaS12_S13_EUlS12_E_NS1_11comp_targetILNS1_3genE5ELNS1_11target_archE942ELNS1_3gpuE9ELNS1_3repE0EEENS1_30default_config_static_selectorELNS0_4arch9wavefront6targetE1EEEvT1_
	.p2align	8
	.type	_ZN7rocprim17ROCPRIM_400000_NS6detail17trampoline_kernelINS0_14default_configENS1_25partition_config_selectorILNS1_17partition_subalgoE8EmNS0_10empty_typeEbEEZZNS1_14partition_implILS5_8ELb0ES3_jPKmPS6_PKS6_NS0_5tupleIJPmS6_EEENSE_IJSB_SB_EEENS0_18inequality_wrapperIN6hipcub16HIPCUB_304000_NS8EqualityEEEPlJS6_EEE10hipError_tPvRmT3_T4_T5_T6_T7_T9_mT8_P12ihipStream_tbDpT10_ENKUlT_T0_E_clISt17integral_constantIbLb1EES16_IbLb0EEEEDaS12_S13_EUlS12_E_NS1_11comp_targetILNS1_3genE5ELNS1_11target_archE942ELNS1_3gpuE9ELNS1_3repE0EEENS1_30default_config_static_selectorELNS0_4arch9wavefront6targetE1EEEvT1_,@function
_ZN7rocprim17ROCPRIM_400000_NS6detail17trampoline_kernelINS0_14default_configENS1_25partition_config_selectorILNS1_17partition_subalgoE8EmNS0_10empty_typeEbEEZZNS1_14partition_implILS5_8ELb0ES3_jPKmPS6_PKS6_NS0_5tupleIJPmS6_EEENSE_IJSB_SB_EEENS0_18inequality_wrapperIN6hipcub16HIPCUB_304000_NS8EqualityEEEPlJS6_EEE10hipError_tPvRmT3_T4_T5_T6_T7_T9_mT8_P12ihipStream_tbDpT10_ENKUlT_T0_E_clISt17integral_constantIbLb1EES16_IbLb0EEEEDaS12_S13_EUlS12_E_NS1_11comp_targetILNS1_3genE5ELNS1_11target_archE942ELNS1_3gpuE9ELNS1_3repE0EEENS1_30default_config_static_selectorELNS0_4arch9wavefront6targetE1EEEvT1_: ; @_ZN7rocprim17ROCPRIM_400000_NS6detail17trampoline_kernelINS0_14default_configENS1_25partition_config_selectorILNS1_17partition_subalgoE8EmNS0_10empty_typeEbEEZZNS1_14partition_implILS5_8ELb0ES3_jPKmPS6_PKS6_NS0_5tupleIJPmS6_EEENSE_IJSB_SB_EEENS0_18inequality_wrapperIN6hipcub16HIPCUB_304000_NS8EqualityEEEPlJS6_EEE10hipError_tPvRmT3_T4_T5_T6_T7_T9_mT8_P12ihipStream_tbDpT10_ENKUlT_T0_E_clISt17integral_constantIbLb1EES16_IbLb0EEEEDaS12_S13_EUlS12_E_NS1_11comp_targetILNS1_3genE5ELNS1_11target_archE942ELNS1_3gpuE9ELNS1_3repE0EEENS1_30default_config_static_selectorELNS0_4arch9wavefront6targetE1EEEvT1_
; %bb.0:
	s_load_dwordx2 s[8:9], s[0:1], 0x50
	s_load_dwordx4 s[4:7], s[0:1], 0x8
	s_load_dwordx4 s[20:23], s[0:1], 0x40
	s_load_dword s3, s[0:1], 0x68
	s_waitcnt lgkmcnt(0)
	v_mov_b32_e32 v3, s9
	s_lshl_b64 s[10:11], s[6:7], 3
	s_add_u32 s10, s4, s10
	s_mul_i32 s9, s3, 0xe00
	s_addc_u32 s11, s5, s11
	s_add_i32 s12, s3, -1
	s_add_i32 s3, s9, s6
	s_sub_i32 s3, s8, s3
	v_mov_b32_e32 v2, s8
	s_add_u32 s8, s6, s9
	s_addc_u32 s9, s7, 0
	s_cmp_eq_u32 s2, s12
	s_load_dwordx2 s[22:23], s[22:23], 0x0
	v_cmp_ge_u64_e32 vcc, s[8:9], v[2:3]
	s_cselect_b64 s[24:25], -1, 0
	s_mul_i32 s4, s2, 0xe00
	s_mov_b32 s5, 0
	s_and_b64 s[16:17], s[24:25], vcc
	s_xor_b64 s[26:27], s[16:17], -1
	s_lshl_b64 s[4:5], s[4:5], 3
	s_add_u32 s4, s10, s4
	s_mov_b64 s[8:9], -1
	s_addc_u32 s5, s11, s5
	s_and_b64 vcc, exec, s[26:27]
	s_cbranch_vccz .LBB703_2
; %bb.1:
	v_lshlrev_b32_e32 v2, 3, v0
	v_mov_b32_e32 v3, 0
	v_lshl_add_u64 v[4:5], s[4:5], 0, v[2:3]
	v_add_co_u32_e32 v8, vcc, 0x1000, v4
	global_load_dwordx2 v[6:7], v2, s[4:5]
	s_nop 0
	v_addc_co_u32_e32 v9, vcc, 0, v5, vcc
	v_add_co_u32_e32 v10, vcc, 0x2000, v4
	s_mov_b64 s[8:9], 0
	s_nop 0
	v_addc_co_u32_e32 v11, vcc, 0, v5, vcc
	v_add_co_u32_e32 v12, vcc, 0x3000, v4
	s_nop 1
	v_addc_co_u32_e32 v13, vcc, 0, v5, vcc
	v_add_co_u32_e32 v14, vcc, 0x4000, v4
	s_nop 1
	v_addc_co_u32_e32 v15, vcc, 0, v5, vcc
	global_load_dwordx2 v[16:17], v[8:9], off
	global_load_dwordx2 v[18:19], v[10:11], off
	;; [unrolled: 1-line block ×4, first 2 shown]
	v_add_co_u32_e32 v8, vcc, 0x5000, v4
	s_nop 1
	v_addc_co_u32_e32 v9, vcc, 0, v5, vcc
	v_add_co_u32_e32 v4, vcc, 0x6000, v4
	global_load_dwordx2 v[8:9], v[8:9], off
	s_nop 0
	v_addc_co_u32_e32 v5, vcc, 0, v5, vcc
	global_load_dwordx2 v[4:5], v[4:5], off
	s_waitcnt vmcnt(5)
	ds_write2st64_b64 v2, v[6:7], v[16:17] offset1:8
	s_waitcnt vmcnt(3)
	ds_write2st64_b64 v2, v[18:19], v[20:21] offset0:16 offset1:24
	s_waitcnt vmcnt(1)
	ds_write2st64_b64 v2, v[22:23], v[8:9] offset0:32 offset1:40
	s_waitcnt vmcnt(0)
	ds_write_b64 v2, v[4:5] offset:24576
	s_waitcnt lgkmcnt(0)
	s_barrier
.LBB703_2:
	s_andn2_b64 vcc, exec, s[8:9]
	s_addk_i32 s3, 0xe00
	s_cbranch_vccnz .LBB703_18
; %bb.3:
	v_cmp_gt_u32_e32 vcc, s3, v0
                                        ; implicit-def: $vgpr2_vgpr3_vgpr4_vgpr5_vgpr6_vgpr7_vgpr8_vgpr9_vgpr10_vgpr11_vgpr12_vgpr13_vgpr14_vgpr15_vgpr16_vgpr17
	s_and_saveexec_b64 s[8:9], vcc
	s_cbranch_execz .LBB703_5
; %bb.4:
	v_lshlrev_b32_e32 v1, 3, v0
	global_load_dwordx2 v[2:3], v1, s[4:5]
.LBB703_5:
	s_or_b64 exec, exec, s[8:9]
	v_or_b32_e32 v1, 0x200, v0
	v_cmp_gt_u32_e32 vcc, s3, v1
	s_and_saveexec_b64 s[8:9], vcc
	s_cbranch_execz .LBB703_7
; %bb.6:
	v_lshlrev_b32_e32 v1, 3, v1
	global_load_dwordx2 v[4:5], v1, s[4:5]
.LBB703_7:
	s_or_b64 exec, exec, s[8:9]
	v_or_b32_e32 v1, 0x400, v0
	v_cmp_gt_u32_e32 vcc, s3, v1
	;; [unrolled: 9-line block ×6, first 2 shown]
	s_and_saveexec_b64 s[8:9], vcc
	s_cbranch_execz .LBB703_17
; %bb.16:
	v_lshlrev_b32_e32 v1, 3, v1
	global_load_dwordx2 v[14:15], v1, s[4:5]
.LBB703_17:
	s_or_b64 exec, exec, s[8:9]
	v_lshlrev_b32_e32 v1, 3, v0
	s_waitcnt vmcnt(0)
	ds_write2st64_b64 v1, v[2:3], v[4:5] offset1:8
	ds_write2st64_b64 v1, v[6:7], v[8:9] offset0:16 offset1:24
	ds_write2st64_b64 v1, v[10:11], v[12:13] offset0:32 offset1:40
	ds_write_b64 v1, v[14:15] offset:24576
	s_waitcnt lgkmcnt(0)
	s_barrier
.LBB703_18:
	v_mul_u32_u24_e32 v18, 7, v0
	v_lshlrev_b32_e32 v1, 3, v18
	s_waitcnt lgkmcnt(0)
	ds_read2_b64 v[10:13], v1 offset1:1
	ds_read2_b64 v[6:9], v1 offset0:2 offset1:3
	ds_read2_b64 v[2:5], v1 offset0:4 offset1:5
	ds_read_b64 v[14:15], v1 offset:48
	s_cmp_lg_u32 s2, 0
	s_cselect_b64 s[30:31], -1, 0
	s_cmp_lg_u64 s[6:7], 0
	s_cselect_b64 s[6:7], -1, 0
	s_or_b64 s[6:7], s[30:31], s[6:7]
	v_mad_u32_u24 v20, v0, 7, 1
	v_mad_u32_u24 v19, v0, 7, 2
	;; [unrolled: 1-line block ×6, first 2 shown]
	s_mov_b64 s[18:19], 0
	s_and_b64 vcc, exec, s[6:7]
	s_waitcnt lgkmcnt(0)
	s_barrier
	s_cbranch_vccz .LBB703_23
; %bb.19:
	s_add_u32 s4, s4, -8
	s_addc_u32 s5, s5, -1
	s_load_dwordx2 s[6:7], s[4:5], 0x0
	v_lshlrev_b32_e32 v29, 3, v0
	s_and_b64 vcc, exec, s[26:27]
	ds_write_b64 v29, v[14:15]
	s_cbranch_vccz .LBB703_25
; %bb.20:
	v_cmp_ne_u32_e32 vcc, 0, v0
	s_waitcnt lgkmcnt(0)
	v_mov_b64_e32 v[16:17], s[6:7]
	s_barrier
	s_and_saveexec_b64 s[4:5], vcc
	s_cbranch_execz .LBB703_22
; %bb.21:
	v_add_u32_e32 v16, -8, v29
	ds_read_b64 v[16:17], v16
.LBB703_22:
	s_or_b64 exec, exec, s[4:5]
	v_cmp_ne_u64_e32 vcc, v[4:5], v[14:15]
	s_waitcnt lgkmcnt(0)
	v_cmp_ne_u64_e64 s[4:5], v[16:17], v[10:11]
	v_cndmask_b32_e64 v27, 0, 1, vcc
	v_cmp_ne_u64_e32 vcc, v[2:3], v[4:5]
	s_nop 1
	v_cndmask_b32_e64 v25, 0, 1, vcc
	v_cmp_ne_u64_e32 vcc, v[8:9], v[2:3]
	s_nop 1
	;; [unrolled: 3-line block ×3, first 2 shown]
	v_cndmask_b32_e64 v28, 0, 1, vcc
	v_cmp_ne_u64_e32 vcc, v[12:13], v[6:7]
	v_lshlrev_b16_e32 v16, 8, v28
	s_nop 0
	v_cndmask_b32_e64 v30, 0, 1, vcc
	v_cmp_ne_u64_e32 vcc, v[10:11], v[12:13]
	v_or_b32_sdwa v16, v30, v16 dst_sel:WORD_1 dst_unused:UNUSED_PAD src0_sel:DWORD src1_sel:DWORD
	s_nop 0
	v_cndmask_b32_e64 v31, 0, 1, vcc
	v_lshlrev_b16_e32 v17, 8, v31
	v_or_b32_e32 v28, v17, v16
	s_branch .LBB703_29
.LBB703_23:
                                        ; implicit-def: $sgpr4_sgpr5
                                        ; implicit-def: $vgpr27
                                        ; implicit-def: $vgpr25
                                        ; implicit-def: $vgpr26
                                        ; implicit-def: $vgpr28
	s_branch .LBB703_30
.LBB703_24:
                                        ; implicit-def: $vgpr16_vgpr17
	s_and_saveexec_b64 s[6:7], s[18:19]
	s_cbranch_execnz .LBB703_38
	s_branch .LBB703_39
.LBB703_25:
                                        ; implicit-def: $sgpr4_sgpr5
                                        ; implicit-def: $vgpr27
                                        ; implicit-def: $vgpr25
                                        ; implicit-def: $vgpr26
                                        ; implicit-def: $vgpr28
	s_cbranch_execz .LBB703_29
; %bb.26:
	v_cmp_ne_u32_e32 vcc, 0, v0
	s_waitcnt lgkmcnt(0)
	v_mov_b64_e32 v[16:17], s[6:7]
	s_barrier
	s_and_saveexec_b64 s[4:5], vcc
	s_cbranch_execz .LBB703_28
; %bb.27:
	v_add_u32_e32 v16, -8, v29
	ds_read_b64 v[16:17], v16
.LBB703_28:
	s_or_b64 exec, exec, s[4:5]
	v_cmp_gt_u32_e32 vcc, s3, v22
	v_cmp_ne_u64_e64 s[4:5], v[4:5], v[14:15]
	s_and_b64 s[4:5], vcc, s[4:5]
	v_cmp_gt_u32_e32 vcc, s3, v24
	v_cndmask_b32_e64 v27, 0, 1, s[4:5]
	v_cmp_ne_u64_e64 s[4:5], v[2:3], v[4:5]
	s_and_b64 s[4:5], vcc, s[4:5]
	v_cmp_gt_u32_e32 vcc, s3, v21
	v_cndmask_b32_e64 v25, 0, 1, s[4:5]
	;; [unrolled: 4-line block ×6, first 2 shown]
	s_waitcnt lgkmcnt(0)
	v_cmp_ne_u64_e64 s[4:5], v[16:17], v[10:11]
	v_lshlrev_b16_e32 v16, 8, v28
	v_or_b32_sdwa v16, v29, v16 dst_sel:WORD_1 dst_unused:UNUSED_PAD src0_sel:DWORD src1_sel:DWORD
	v_lshlrev_b16_e32 v17, 8, v30
	s_and_b64 s[4:5], vcc, s[4:5]
	v_or_b32_e32 v28, v17, v16
.LBB703_29:
	s_waitcnt lgkmcnt(0)
	s_mov_b64 s[18:19], -1
	s_cbranch_execnz .LBB703_24
.LBB703_30:
	s_movk_i32 s4, 0xffd0
	v_mad_i32_i24 v29, v0, s4, v1
	s_and_b64 vcc, exec, s[26:27]
	v_cmp_ne_u64_e64 s[14:15], v[4:5], v[14:15]
	v_cmp_ne_u64_e64 s[4:5], v[2:3], v[4:5]
	;; [unrolled: 1-line block ×6, first 2 shown]
	ds_write_b64 v29, v[14:15]
	s_cbranch_vccz .LBB703_34
; %bb.31:
	v_cndmask_b32_e64 v25, 0, 1, s[4:5]
	v_cndmask_b32_e64 v16, 0, 1, s[8:9]
	v_cndmask_b32_e64 v26, 0, 1, s[6:7]
	v_cndmask_b32_e64 v28, 0, 1, s[10:11]
	v_cndmask_b32_e64 v30, 0, 1, s[12:13]
	v_lshlrev_b16_e32 v17, 8, v25
	v_lshlrev_b16_e32 v16, 8, v16
	v_or_b32_e32 v17, v26, v17
	v_or_b32_sdwa v16, v28, v16 dst_sel:WORD_1 dst_unused:UNUSED_PAD src0_sel:DWORD src1_sel:DWORD
	v_lshlrev_b16_e32 v28, 8, v30
	v_and_b32_e32 v17, 0xffff, v17
	v_cndmask_b32_e64 v27, 0, 1, s[14:15]
	v_or_b32_e32 v28, 1, v28
	v_lshl_or_b32 v17, v27, 16, v17
	v_or_b32_sdwa v16, v28, v16 dst_sel:DWORD dst_unused:UNUSED_PAD src0_sel:WORD_0 src1_sel:DWORD
	v_cmp_ne_u32_e32 vcc, 0, v0
	s_waitcnt lgkmcnt(0)
	s_barrier
	s_waitcnt lgkmcnt(0)
                                        ; implicit-def: $sgpr4_sgpr5
                                        ; implicit-def: $vgpr28
	s_and_saveexec_b64 s[6:7], vcc
	s_xor_b64 s[6:7], exec, s[6:7]
	s_cbranch_execz .LBB703_33
; %bb.32:
	v_add_u32_e32 v17, -8, v29
	ds_read_b64 v[30:31], v17
	s_mov_b32 s4, 0x3020104
	v_perm_b32 v28, v16, v16, s4
	s_or_b64 s[18:19], s[18:19], exec
                                        ; implicit-def: $vgpr16_vgpr17
	s_waitcnt lgkmcnt(0)
	v_cmp_ne_u64_e32 vcc, v[30:31], v[10:11]
	s_and_b64 s[4:5], vcc, exec
.LBB703_33:
	s_or_b64 exec, exec, s[6:7]
	s_branch .LBB703_37
.LBB703_34:
                                        ; implicit-def: $sgpr4_sgpr5
                                        ; implicit-def: $vgpr27
                                        ; implicit-def: $vgpr25
                                        ; implicit-def: $vgpr26
                                        ; implicit-def: $vgpr28
                                        ; implicit-def: $vgpr16_vgpr17
	s_cbranch_execz .LBB703_37
; %bb.35:
	v_cmp_gt_u32_e64 s[6:7], s3, v24
	v_cmp_ne_u64_e64 s[8:9], v[2:3], v[4:5]
	s_and_b64 s[6:7], s[6:7], s[8:9]
	v_cndmask_b32_e64 v25, 0, 1, s[6:7]
	v_cmp_gt_u32_e64 s[6:7], s3, v21
	v_cmp_ne_u64_e64 s[8:9], v[8:9], v[2:3]
	s_and_b64 s[6:7], s[6:7], s[8:9]
	v_cndmask_b32_e64 v26, 0, 1, s[6:7]
	;; [unrolled: 4-line block ×4, first 2 shown]
	v_cmp_gt_u32_e64 s[6:7], s3, v20
	v_cmp_ne_u64_e64 s[8:9], v[10:11], v[12:13]
	s_and_b64 s[6:7], s[6:7], s[8:9]
	v_cmp_gt_u32_e32 vcc, s3, v22
	v_cmp_ne_u64_e64 s[4:5], v[4:5], v[14:15]
	v_cndmask_b32_e64 v30, 0, 1, s[6:7]
	v_lshlrev_b16_e32 v17, 8, v25
	v_lshlrev_b16_e32 v16, 8, v16
	v_or_b32_e32 v17, v26, v17
	s_and_b64 s[4:5], vcc, s[4:5]
	v_or_b32_sdwa v16, v28, v16 dst_sel:WORD_1 dst_unused:UNUSED_PAD src0_sel:DWORD src1_sel:DWORD
	v_lshlrev_b16_e32 v28, 8, v30
	v_and_b32_e32 v17, 0xffff, v17
	v_cndmask_b32_e64 v27, 0, 1, s[4:5]
	v_or_b32_e32 v28, 1, v28
	v_lshl_or_b32 v17, v27, 16, v17
	v_or_b32_sdwa v16, v28, v16 dst_sel:DWORD dst_unused:UNUSED_PAD src0_sel:WORD_0 src1_sel:DWORD
	v_cmp_ne_u32_e32 vcc, 0, v0
	s_waitcnt lgkmcnt(0)
	s_barrier
	s_waitcnt lgkmcnt(0)
                                        ; implicit-def: $sgpr4_sgpr5
                                        ; implicit-def: $vgpr28
	s_and_saveexec_b64 s[6:7], vcc
	s_cbranch_execz .LBB703_127
; %bb.36:
	v_add_u32_e32 v17, -8, v29
	ds_read_b64 v[30:31], v17
	s_mov_b32 s4, 0x3020104
	v_cmp_gt_u32_e32 vcc, s3, v18
	v_perm_b32 v28, v16, v16, s4
	s_or_b64 s[18:19], s[18:19], exec
	s_waitcnt lgkmcnt(0)
	v_cmp_ne_u64_e64 s[4:5], v[30:31], v[10:11]
	s_and_b64 s[4:5], vcc, s[4:5]
	s_and_b64 s[4:5], s[4:5], exec
                                        ; implicit-def: $vgpr16_vgpr17
	s_or_b64 exec, exec, s[6:7]
.LBB703_37:
	s_and_saveexec_b64 s[6:7], s[18:19]
	s_cbranch_execz .LBB703_39
.LBB703_38:
	v_lshlrev_b16_e32 v17, 8, v25
	v_and_b32_e32 v25, 0xff, v27
	v_or_b32_sdwa v17, v26, v17 dst_sel:DWORD dst_unused:UNUSED_PAD src0_sel:BYTE_0 src1_sel:DWORD
	v_lshlrev_b32_e32 v25, 16, v25
	v_cndmask_b32_e64 v16, 0, 1, s[4:5]
	s_movk_i32 s4, 0xff
	v_or_b32_sdwa v17, v17, v25 dst_sel:DWORD dst_unused:UNUSED_PAD src0_sel:WORD_0 src1_sel:DWORD
	v_lshrrev_b32_e32 v25, 24, v28
	v_lshlrev_b16_e32 v25, 8, v25
	v_and_b32_sdwa v26, v28, s4 dst_sel:DWORD dst_unused:UNUSED_PAD src0_sel:WORD_1 src1_sel:DWORD
	v_or_b32_sdwa v25, v26, v25 dst_sel:WORD_1 dst_unused:UNUSED_PAD src0_sel:DWORD src1_sel:DWORD
	v_mov_b32_e32 v26, 8
	v_lshrrev_b32_sdwa v26, v26, v28 dst_sel:BYTE_1 dst_unused:UNUSED_PAD src0_sel:DWORD src1_sel:DWORD
	s_nop 0
	v_or_b32_e32 v16, v16, v26
	v_or_b32_sdwa v16, v16, v25 dst_sel:DWORD dst_unused:UNUSED_PAD src0_sel:WORD_0 src1_sel:DWORD
.LBB703_39:
	s_or_b64 exec, exec, s[6:7]
	s_load_dwordx2 s[28:29], s[0:1], 0x60
	s_andn2_b64 vcc, exec, s[16:17]
	s_cbranch_vccnz .LBB703_41
; %bb.40:
	v_and_b32_e32 v25, 0xffff0000, v16
	v_cmp_gt_u32_e32 vcc, s3, v18
	s_mov_b32 s4, 0x40c0100
	s_nop 0
	v_cndmask_b32_e32 v18, v25, v16, vcc
	v_and_b32_e32 v18, 0xffff00ff, v18
	v_cmp_gt_u32_e32 vcc, s3, v20
	s_nop 1
	v_cndmask_b32_e32 v18, v18, v16, vcc
	v_lshrrev_b32_e32 v20, 24, v18
	v_perm_b32 v18, v20, v18, s4
	v_cmp_gt_u32_e32 vcc, s3, v19
	v_and_b32_e32 v19, 0xffffff00, v17
	s_nop 0
	v_cndmask_b32_e32 v18, v18, v16, vcc
	v_and_b32_e32 v18, 0xffffff, v18
	v_cmp_gt_u32_e32 vcc, s3, v23
	s_nop 1
	v_cndmask_b32_e32 v18, v18, v16, vcc
	v_cmp_gt_u32_e32 vcc, s3, v21
	s_nop 1
	v_cndmask_b32_e32 v19, v19, v17, vcc
	v_and_b32_e32 v19, 0xffff00ff, v19
	v_cndmask_b32_e32 v18, v18, v16, vcc
	v_cmp_gt_u32_e32 vcc, s3, v24
	s_nop 1
	v_cndmask_b32_e32 v19, v19, v17, vcc
	v_lshrrev_b32_e32 v20, 24, v19
	v_cndmask_b32_e32 v18, v18, v16, vcc
	v_perm_b32 v19, v20, v19, s4
	v_cmp_gt_u32_e32 vcc, s3, v22
	s_mov_b32 s3, 0x3020104
	s_nop 0
	v_cndmask_b32_e32 v16, v18, v16, vcc
	v_cndmask_b32_e32 v17, v19, v17, vcc
	v_mov_b32_e32 v18, 8
	v_lshrrev_b32_sdwa v18, v18, v17 dst_sel:BYTE_1 dst_unused:UNUSED_PAD src0_sel:DWORD src1_sel:DWORD
	v_perm_b32 v16, v16, v16, s3
	v_or_b32_sdwa v18, v17, v18 dst_sel:DWORD dst_unused:UNUSED_PAD src0_sel:BYTE_0 src1_sel:DWORD
	v_and_b32_e32 v18, 0xffff, v18
	v_bfe_u32 v17, v17, 16, 8
	v_lshl_or_b32 v17, v17, 16, v18
.LBB703_41:
	v_and_b32_e32 v29, 0xff, v16
	v_bfe_u32 v31, v16, 8, 8
	v_bfe_u32 v33, v16, 16, 8
	v_alignbit_b32 v18, v17, v16, 24
	v_and_b32_e32 v35, 0xff, v18
	v_and_b32_e32 v36, 0xff, v17
	v_add3_u32 v19, v31, v29, v33
	v_bfe_u32 v37, v17, 8, 8
	v_bfe_u32 v18, v17, 16, 8
	v_add3_u32 v19, v19, v35, v36
	v_add3_u32 v40, v19, v37, v18
	v_mbcnt_lo_u32_b32 v18, -1, 0
	v_mbcnt_hi_u32_b32 v38, -1, v18
	v_and_b32_e32 v18, 15, v38
	v_cmp_eq_u32_e64 s[14:15], 0, v18
	v_cmp_lt_u32_e64 s[12:13], 1, v18
	v_cmp_lt_u32_e64 s[10:11], 3, v18
	;; [unrolled: 1-line block ×3, first 2 shown]
	v_and_b32_e32 v18, 16, v38
	v_cmp_eq_u32_e64 s[6:7], 0, v18
	v_or_b32_e32 v18, 63, v0
	v_cmp_lt_u32_e64 s[18:19], 31, v38
	v_lshrrev_b32_e32 v39, 6, v0
	v_cmp_eq_u32_e64 s[4:5], v18, v0
	s_and_b64 vcc, exec, s[30:31]
	s_waitcnt lgkmcnt(0)
	s_barrier
	s_cbranch_vccz .LBB703_72
; %bb.42:
	v_mov_b32_dpp v18, v40 row_shr:1 row_mask:0xf bank_mask:0xf
	v_cndmask_b32_e64 v18, v18, 0, s[14:15]
	v_add_u32_e32 v18, v18, v40
	s_nop 1
	v_mov_b32_dpp v19, v18 row_shr:2 row_mask:0xf bank_mask:0xf
	v_cndmask_b32_e64 v19, 0, v19, s[12:13]
	v_add_u32_e32 v18, v18, v19
	s_nop 1
	;; [unrolled: 4-line block ×4, first 2 shown]
	v_mov_b32_dpp v19, v18 row_bcast:15 row_mask:0xf bank_mask:0xf
	v_cndmask_b32_e64 v19, v19, 0, s[6:7]
	v_add_u32_e32 v18, v18, v19
	s_nop 1
	v_mov_b32_dpp v19, v18 row_bcast:31 row_mask:0xf bank_mask:0xf
	v_cndmask_b32_e64 v19, 0, v19, s[18:19]
	v_add_u32_e32 v18, v18, v19
	s_and_saveexec_b64 s[16:17], s[4:5]
	s_cbranch_execz .LBB703_44
; %bb.43:
	v_lshlrev_b32_e32 v19, 2, v39
	ds_write_b32 v19, v18
.LBB703_44:
	s_or_b64 exec, exec, s[16:17]
	v_cmp_gt_u32_e32 vcc, 8, v0
	s_waitcnt lgkmcnt(0)
	s_barrier
	s_and_saveexec_b64 s[16:17], vcc
	s_cbranch_execz .LBB703_46
; %bb.45:
	v_lshlrev_b32_e32 v19, 2, v0
	ds_read_b32 v20, v19
	v_and_b32_e32 v21, 7, v38
	v_cmp_ne_u32_e32 vcc, 0, v21
	s_waitcnt lgkmcnt(0)
	v_mov_b32_dpp v22, v20 row_shr:1 row_mask:0xf bank_mask:0xf
	v_cndmask_b32_e32 v22, 0, v22, vcc
	v_add_u32_e32 v20, v22, v20
	v_cmp_lt_u32_e32 vcc, 1, v21
	s_nop 0
	v_mov_b32_dpp v22, v20 row_shr:2 row_mask:0xf bank_mask:0xf
	v_cndmask_b32_e32 v22, 0, v22, vcc
	v_add_u32_e32 v20, v20, v22
	v_cmp_lt_u32_e32 vcc, 3, v21
	s_nop 0
	v_mov_b32_dpp v22, v20 row_shr:4 row_mask:0xf bank_mask:0xf
	v_cndmask_b32_e32 v21, 0, v22, vcc
	v_add_u32_e32 v20, v20, v21
	ds_write_b32 v19, v20
.LBB703_46:
	s_or_b64 exec, exec, s[16:17]
	v_cmp_gt_u32_e32 vcc, 64, v0
	v_cmp_lt_u32_e64 s[16:17], 63, v0
	s_waitcnt lgkmcnt(0)
	s_barrier
	s_waitcnt lgkmcnt(0)
                                        ; implicit-def: $vgpr28
	s_and_saveexec_b64 s[30:31], s[16:17]
	s_cbranch_execz .LBB703_48
; %bb.47:
	v_lshl_add_u32 v19, v39, 2, -4
	ds_read_b32 v28, v19
	s_waitcnt lgkmcnt(0)
	v_add_u32_e32 v18, v28, v18
.LBB703_48:
	s_or_b64 exec, exec, s[30:31]
	v_add_u32_e32 v19, -1, v38
	v_and_b32_e32 v20, 64, v38
	v_cmp_lt_i32_e64 s[16:17], v19, v20
	s_nop 1
	v_cndmask_b32_e64 v19, v19, v38, s[16:17]
	v_lshlrev_b32_e32 v19, 2, v19
	ds_bpermute_b32 v30, v19, v18
	v_cmp_eq_u32_e64 s[16:17], 0, v38
	s_and_saveexec_b64 s[30:31], vcc
	s_cbranch_execz .LBB703_71
; %bb.49:
	v_mov_b32_e32 v27, 0
	ds_read_b32 v18, v27 offset:28
	s_and_saveexec_b64 s[34:35], s[16:17]
	s_cbranch_execz .LBB703_51
; %bb.50:
	s_add_i32 s36, s2, 64
	s_mov_b32 s37, 0
	s_lshl_b64 s[36:37], s[36:37], 3
	s_add_u32 s36, s28, s36
	v_mov_b32_e32 v19, 1
	s_addc_u32 s37, s29, s37
	s_waitcnt lgkmcnt(0)
	global_store_dwordx2 v27, v[18:19], s[36:37] sc1
.LBB703_51:
	s_or_b64 exec, exec, s[34:35]
	v_xad_u32 v20, v38, -1, s2
	v_add_u32_e32 v26, 64, v20
	v_lshl_add_u64 v[22:23], v[26:27], 3, s[28:29]
	global_load_dwordx2 v[24:25], v[22:23], off sc1
	s_waitcnt vmcnt(0)
	v_cmp_eq_u16_sdwa s[36:37], v25, v27 src0_sel:BYTE_0 src1_sel:DWORD
	s_and_saveexec_b64 s[34:35], s[36:37]
	s_cbranch_execz .LBB703_57
; %bb.52:
	s_mov_b32 s3, 1
	s_mov_b64 s[36:37], 0
	v_mov_b32_e32 v19, 0
.LBB703_53:                             ; =>This Loop Header: Depth=1
                                        ;     Child Loop BB703_54 Depth 2
	s_max_u32 s33, s3, 1
.LBB703_54:                             ;   Parent Loop BB703_53 Depth=1
                                        ; =>  This Inner Loop Header: Depth=2
	s_add_i32 s33, s33, -1
	s_cmp_eq_u32 s33, 0
	s_sleep 1
	s_cbranch_scc0 .LBB703_54
; %bb.55:                               ;   in Loop: Header=BB703_53 Depth=1
	global_load_dwordx2 v[24:25], v[22:23], off sc1
	s_cmp_lt_u32 s3, 32
	s_cselect_b64 s[38:39], -1, 0
	s_cmp_lg_u64 s[38:39], 0
	s_addc_u32 s3, s3, 0
	s_waitcnt vmcnt(0)
	v_cmp_ne_u16_sdwa s[38:39], v25, v19 src0_sel:BYTE_0 src1_sel:DWORD
	s_or_b64 s[36:37], s[38:39], s[36:37]
	s_andn2_b64 exec, exec, s[36:37]
	s_cbranch_execnz .LBB703_53
; %bb.56:
	s_or_b64 exec, exec, s[36:37]
.LBB703_57:
	s_or_b64 exec, exec, s[34:35]
	v_and_b32_e32 v34, 63, v38
	v_mov_b32_e32 v32, 2
	v_cmp_ne_u32_e32 vcc, 63, v34
	v_cmp_eq_u16_sdwa s[34:35], v25, v32 src0_sel:BYTE_0 src1_sel:DWORD
	v_lshlrev_b64 v[22:23], v38, -1
	v_addc_co_u32_e32 v26, vcc, 0, v38, vcc
	v_and_b32_e32 v19, s35, v23
	v_lshlrev_b32_e32 v41, 2, v26
	v_or_b32_e32 v19, 0x80000000, v19
	ds_bpermute_b32 v26, v41, v24
	v_and_b32_e32 v21, s34, v22
	v_ffbl_b32_e32 v19, v19
	v_add_u32_e32 v19, 32, v19
	v_ffbl_b32_e32 v21, v21
	v_min_u32_e32 v19, v21, v19
	v_cmp_lt_u32_e32 vcc, v34, v19
	v_add_u32_e32 v43, 2, v34
	v_add_u32_e32 v45, 4, v34
	s_waitcnt lgkmcnt(0)
	v_cndmask_b32_e32 v21, 0, v26, vcc
	v_cmp_gt_u32_e32 vcc, 62, v34
	v_add_u32_e32 v21, v21, v24
	v_add_u32_e32 v47, 8, v34
	v_cndmask_b32_e64 v24, 0, 1, vcc
	v_lshlrev_b32_e32 v24, 1, v24
	v_add_lshl_u32 v42, v24, v38, 2
	ds_bpermute_b32 v24, v42, v21
	v_cmp_le_u32_e32 vcc, v43, v19
	v_add_u32_e32 v49, 16, v34
	v_add_u32_e32 v51, 32, v34
	s_waitcnt lgkmcnt(0)
	v_cndmask_b32_e32 v24, 0, v24, vcc
	v_cmp_gt_u32_e32 vcc, 60, v34
	v_add_u32_e32 v21, v21, v24
	s_nop 0
	v_cndmask_b32_e64 v24, 0, 1, vcc
	v_lshlrev_b32_e32 v24, 2, v24
	v_add_lshl_u32 v44, v24, v38, 2
	ds_bpermute_b32 v24, v44, v21
	v_cmp_le_u32_e32 vcc, v45, v19
	s_waitcnt lgkmcnt(0)
	s_nop 0
	v_cndmask_b32_e32 v24, 0, v24, vcc
	v_cmp_gt_u32_e32 vcc, 56, v34
	v_add_u32_e32 v21, v21, v24
	s_nop 0
	v_cndmask_b32_e64 v24, 0, 1, vcc
	v_lshlrev_b32_e32 v24, 3, v24
	v_add_lshl_u32 v46, v24, v38, 2
	ds_bpermute_b32 v24, v46, v21
	v_cmp_le_u32_e32 vcc, v47, v19
	s_waitcnt lgkmcnt(0)
	s_nop 0
	;; [unrolled: 11-line block ×4, first 2 shown]
	v_cndmask_b32_e32 v19, 0, v24, vcc
	v_add_u32_e32 v24, v21, v19
	v_mov_b32_e32 v21, 0
	s_branch .LBB703_59
.LBB703_58:                             ;   in Loop: Header=BB703_59 Depth=1
	s_or_b64 exec, exec, s[34:35]
	v_cmp_eq_u16_sdwa s[34:35], v25, v32 src0_sel:BYTE_0 src1_sel:DWORD
	ds_bpermute_b32 v52, v41, v24
	v_subrev_u32_e32 v20, 64, v20
	v_and_b32_e32 v26, s35, v23
	v_or_b32_e32 v26, 0x80000000, v26
	v_and_b32_e32 v27, s34, v22
	v_ffbl_b32_e32 v26, v26
	v_add_u32_e32 v26, 32, v26
	v_ffbl_b32_e32 v27, v27
	v_min_u32_e32 v26, v27, v26
	v_cmp_lt_u32_e32 vcc, v34, v26
	s_waitcnt lgkmcnt(0)
	s_nop 0
	v_cndmask_b32_e32 v27, 0, v52, vcc
	v_add_u32_e32 v24, v27, v24
	ds_bpermute_b32 v27, v42, v24
	v_cmp_le_u32_e32 vcc, v43, v26
	s_waitcnt lgkmcnt(0)
	s_nop 0
	v_cndmask_b32_e32 v27, 0, v27, vcc
	v_add_u32_e32 v24, v24, v27
	ds_bpermute_b32 v27, v44, v24
	v_cmp_le_u32_e32 vcc, v45, v26
	;; [unrolled: 6-line block ×5, first 2 shown]
	s_waitcnt lgkmcnt(0)
	s_nop 0
	v_cndmask_b32_e32 v26, 0, v27, vcc
	v_add3_u32 v24, v26, v19, v24
.LBB703_59:                             ; =>This Loop Header: Depth=1
                                        ;     Child Loop BB703_62 Depth 2
                                        ;       Child Loop BB703_63 Depth 3
	v_cmp_ne_u16_sdwa s[34:35], v25, v32 src0_sel:BYTE_0 src1_sel:DWORD
	s_nop 1
	v_cndmask_b32_e64 v19, 0, 1, s[34:35]
	;;#ASMSTART
	;;#ASMEND
	s_nop 0
	v_cmp_ne_u32_e32 vcc, 0, v19
	s_cmp_lg_u64 vcc, exec
	v_mov_b32_e32 v19, v24
	s_cbranch_scc1 .LBB703_66
; %bb.60:                               ;   in Loop: Header=BB703_59 Depth=1
	v_lshl_add_u64 v[26:27], v[20:21], 3, s[28:29]
	global_load_dwordx2 v[24:25], v[26:27], off sc1
	s_waitcnt vmcnt(0)
	v_cmp_eq_u16_sdwa s[36:37], v25, v21 src0_sel:BYTE_0 src1_sel:DWORD
	s_and_saveexec_b64 s[34:35], s[36:37]
	s_cbranch_execz .LBB703_58
; %bb.61:                               ;   in Loop: Header=BB703_59 Depth=1
	s_mov_b32 s3, 1
	s_mov_b64 s[36:37], 0
.LBB703_62:                             ;   Parent Loop BB703_59 Depth=1
                                        ; =>  This Loop Header: Depth=2
                                        ;       Child Loop BB703_63 Depth 3
	s_max_u32 s33, s3, 1
.LBB703_63:                             ;   Parent Loop BB703_59 Depth=1
                                        ;     Parent Loop BB703_62 Depth=2
                                        ; =>    This Inner Loop Header: Depth=3
	s_add_i32 s33, s33, -1
	s_cmp_eq_u32 s33, 0
	s_sleep 1
	s_cbranch_scc0 .LBB703_63
; %bb.64:                               ;   in Loop: Header=BB703_62 Depth=2
	global_load_dwordx2 v[24:25], v[26:27], off sc1
	s_cmp_lt_u32 s3, 32
	s_cselect_b64 s[38:39], -1, 0
	s_cmp_lg_u64 s[38:39], 0
	s_addc_u32 s3, s3, 0
	s_waitcnt vmcnt(0)
	v_cmp_ne_u16_sdwa s[38:39], v25, v21 src0_sel:BYTE_0 src1_sel:DWORD
	s_or_b64 s[36:37], s[38:39], s[36:37]
	s_andn2_b64 exec, exec, s[36:37]
	s_cbranch_execnz .LBB703_62
; %bb.65:                               ;   in Loop: Header=BB703_59 Depth=1
	s_or_b64 exec, exec, s[36:37]
	s_branch .LBB703_58
.LBB703_66:                             ;   in Loop: Header=BB703_59 Depth=1
                                        ; implicit-def: $vgpr24
                                        ; implicit-def: $vgpr25
	s_cbranch_execz .LBB703_59
; %bb.67:
	s_and_saveexec_b64 s[34:35], s[16:17]
	s_cbranch_execz .LBB703_69
; %bb.68:
	s_add_i32 s2, s2, 64
	s_mov_b32 s3, 0
	s_lshl_b64 s[2:3], s[2:3], 3
	s_add_u32 s2, s28, s2
	v_add_u32_e32 v20, v19, v18
	v_mov_b32_e32 v21, 2
	s_addc_u32 s3, s29, s3
	v_mov_b32_e32 v22, 0
	global_store_dwordx2 v22, v[20:21], s[2:3] sc1
	ds_write_b64 v22, v[18:19] offset:28672
.LBB703_69:
	s_or_b64 exec, exec, s[34:35]
	v_cmp_eq_u32_e32 vcc, 0, v0
	s_and_b64 exec, exec, vcc
	s_cbranch_execz .LBB703_71
; %bb.70:
	v_mov_b32_e32 v18, 0
	ds_write_b32 v18, v19 offset:28
.LBB703_71:
	s_or_b64 exec, exec, s[30:31]
	v_mov_b32_e32 v18, 0
	s_waitcnt lgkmcnt(0)
	s_barrier
	ds_read_b32 v19, v18 offset:28
	v_cndmask_b32_e64 v20, v30, v28, s[16:17]
	v_cmp_ne_u32_e32 vcc, 0, v0
	s_waitcnt lgkmcnt(0)
	s_barrier
	v_cndmask_b32_e32 v20, 0, v20, vcc
	v_add_u32_e32 v34, v19, v20
	v_add_u32_e32 v32, v34, v29
	;; [unrolled: 1-line block ×3, first 2 shown]
	ds_read_b64 v[18:19], v18 offset:28672
	v_add_u32_e32 v28, v30, v33
	v_add_u32_e32 v26, v28, v35
	;; [unrolled: 1-line block ×4, first 2 shown]
	s_load_dwordx2 s[2:3], s[0:1], 0x28
	v_lshrrev_b64 v[20:21], 24, v[16:17]
	s_branch .LBB703_82
.LBB703_72:
                                        ; implicit-def: $vgpr19
                                        ; implicit-def: $vgpr22
                                        ; implicit-def: $vgpr24
                                        ; implicit-def: $vgpr26
                                        ; implicit-def: $vgpr28
                                        ; implicit-def: $vgpr30
                                        ; implicit-def: $vgpr32
                                        ; implicit-def: $vgpr34
	s_load_dwordx2 s[2:3], s[0:1], 0x28
	v_lshrrev_b64 v[20:21], 24, v[16:17]
	s_cbranch_execz .LBB703_82
; %bb.73:
	s_waitcnt lgkmcnt(0)
	v_mov_b32_dpp v18, v40 row_shr:1 row_mask:0xf bank_mask:0xf
	v_cndmask_b32_e64 v18, v18, 0, s[14:15]
	v_add_u32_e32 v18, v18, v40
	s_nop 1
	v_mov_b32_dpp v19, v18 row_shr:2 row_mask:0xf bank_mask:0xf
	v_cndmask_b32_e64 v19, 0, v19, s[12:13]
	v_add_u32_e32 v18, v18, v19
	s_nop 1
	;; [unrolled: 4-line block ×4, first 2 shown]
	v_mov_b32_dpp v19, v18 row_bcast:15 row_mask:0xf bank_mask:0xf
	v_cndmask_b32_e64 v19, v19, 0, s[6:7]
	v_add_u32_e32 v18, v18, v19
	s_nop 1
	v_mov_b32_dpp v19, v18 row_bcast:31 row_mask:0xf bank_mask:0xf
	v_cndmask_b32_e64 v19, 0, v19, s[18:19]
	v_add_u32_e32 v18, v18, v19
	s_and_saveexec_b64 s[0:1], s[4:5]
	s_cbranch_execz .LBB703_75
; %bb.74:
	v_lshlrev_b32_e32 v19, 2, v39
	ds_write_b32 v19, v18
.LBB703_75:
	s_or_b64 exec, exec, s[0:1]
	v_cmp_gt_u32_e32 vcc, 8, v0
	s_waitcnt lgkmcnt(0)
	s_barrier
	s_and_saveexec_b64 s[0:1], vcc
	s_cbranch_execz .LBB703_77
; %bb.76:
	s_movk_i32 s4, 0xffcc
	v_mad_i32_i24 v1, v0, s4, v1
	ds_read_b32 v19, v1
	v_and_b32_e32 v21, 7, v38
	v_cmp_ne_u32_e32 vcc, 0, v21
	s_waitcnt lgkmcnt(0)
	v_mov_b32_dpp v22, v19 row_shr:1 row_mask:0xf bank_mask:0xf
	v_cndmask_b32_e32 v22, 0, v22, vcc
	v_add_u32_e32 v19, v22, v19
	v_cmp_lt_u32_e32 vcc, 1, v21
	s_nop 0
	v_mov_b32_dpp v22, v19 row_shr:2 row_mask:0xf bank_mask:0xf
	v_cndmask_b32_e32 v22, 0, v22, vcc
	v_add_u32_e32 v19, v19, v22
	v_cmp_lt_u32_e32 vcc, 3, v21
	s_nop 0
	v_mov_b32_dpp v22, v19 row_shr:4 row_mask:0xf bank_mask:0xf
	v_cndmask_b32_e32 v21, 0, v22, vcc
	v_add_u32_e32 v19, v19, v21
	ds_write_b32 v1, v19
.LBB703_77:
	s_or_b64 exec, exec, s[0:1]
	v_cmp_lt_u32_e32 vcc, 63, v0
	v_mov_b32_e32 v19, 0
	v_mov_b32_e32 v1, 0
	s_waitcnt lgkmcnt(0)
	s_barrier
	s_and_saveexec_b64 s[0:1], vcc
	s_cbranch_execz .LBB703_79
; %bb.78:
	v_lshl_add_u32 v1, v39, 2, -4
	ds_read_b32 v1, v1
.LBB703_79:
	s_or_b64 exec, exec, s[0:1]
	v_add_u32_e32 v21, -1, v38
	v_and_b32_e32 v22, 64, v38
	v_cmp_lt_i32_e32 vcc, v21, v22
	s_waitcnt lgkmcnt(0)
	v_add_u32_e32 v18, v1, v18
	v_cndmask_b32_e32 v21, v21, v38, vcc
	v_lshlrev_b32_e32 v21, 2, v21
	ds_bpermute_b32 v21, v21, v18
	ds_read_b32 v18, v19 offset:28
	v_cmp_eq_u32_e32 vcc, 0, v0
	s_and_saveexec_b64 s[0:1], vcc
	s_cbranch_execz .LBB703_81
; %bb.80:
	v_mov_b32_e32 v22, 0
	v_mov_b32_e32 v19, 2
	s_waitcnt lgkmcnt(0)
	global_store_dwordx2 v22, v[18:19], s[28:29] offset:512 sc1
.LBB703_81:
	s_or_b64 exec, exec, s[0:1]
	v_cmp_eq_u32_e64 s[0:1], 0, v38
	v_mov_b32_e32 v19, 0
	s_waitcnt lgkmcnt(0)
	v_cndmask_b32_e64 v1, v21, v1, s[0:1]
	v_cndmask_b32_e64 v34, v1, 0, vcc
	v_add_u32_e32 v32, v34, v29
	v_add_u32_e32 v30, v32, v31
	;; [unrolled: 1-line block ×6, first 2 shown]
	s_barrier
.LBB703_82:
	s_movk_i32 s0, 0x201
	s_waitcnt lgkmcnt(0)
	v_cmp_gt_u32_e32 vcc, s0, v18
	v_lshrrev_b32_e32 v21, 8, v16
	v_lshrrev_b32_e32 v1, 8, v17
	s_mov_b64 s[0:1], -1
	s_cbranch_vccnz .LBB703_86
; %bb.83:
	s_and_b64 vcc, exec, s[0:1]
	s_cbranch_vccnz .LBB703_108
.LBB703_84:
	v_cmp_eq_u32_e32 vcc, 0, v0
	s_and_b64 s[0:1], vcc, s[24:25]
	s_and_saveexec_b64 s[2:3], s[0:1]
	s_cbranch_execnz .LBB703_126
.LBB703_85:
	s_endpgm
.LBB703_86:
	v_add_u32_e32 v23, v19, v18
	v_cmp_lt_u32_e32 vcc, v34, v23
	s_or_b64 s[4:5], s[26:27], vcc
	s_and_saveexec_b64 s[0:1], s[4:5]
	s_cbranch_execz .LBB703_89
; %bb.87:
	v_and_b32_e32 v25, 1, v16
	v_cmp_eq_u32_e32 vcc, 1, v25
	s_and_b64 exec, exec, vcc
	s_cbranch_execz .LBB703_89
; %bb.88:
	s_lshl_b64 s[4:5], s[22:23], 3
	s_add_u32 s4, s2, s4
	s_addc_u32 s5, s3, s5
	v_mov_b32_e32 v35, 0
	v_lshl_add_u64 v[36:37], v[34:35], 3, s[4:5]
	global_store_dwordx2 v[36:37], v[10:11], off
.LBB703_89:
	s_or_b64 exec, exec, s[0:1]
	v_cmp_lt_u32_e32 vcc, v32, v23
	s_or_b64 s[4:5], s[26:27], vcc
	s_and_saveexec_b64 s[0:1], s[4:5]
	s_cbranch_execz .LBB703_92
; %bb.90:
	v_and_b32_e32 v25, 1, v21
	v_cmp_eq_u32_e32 vcc, 1, v25
	s_and_b64 exec, exec, vcc
	s_cbranch_execz .LBB703_92
; %bb.91:
	s_lshl_b64 s[4:5], s[22:23], 3
	s_add_u32 s4, s2, s4
	s_addc_u32 s5, s3, s5
	v_mov_b32_e32 v33, 0
	v_lshl_add_u64 v[36:37], v[32:33], 3, s[4:5]
	global_store_dwordx2 v[36:37], v[12:13], off
.LBB703_92:
	s_or_b64 exec, exec, s[0:1]
	v_cmp_lt_u32_e32 vcc, v30, v23
	s_or_b64 s[4:5], s[26:27], vcc
	s_and_saveexec_b64 s[0:1], s[4:5]
	s_cbranch_execz .LBB703_95
; %bb.93:
	v_mov_b32_e32 v25, 1
	v_and_b32_sdwa v25, v25, v16 dst_sel:DWORD dst_unused:UNUSED_PAD src0_sel:DWORD src1_sel:WORD_1
	v_cmp_eq_u32_e32 vcc, 1, v25
	s_and_b64 exec, exec, vcc
	s_cbranch_execz .LBB703_95
; %bb.94:
	s_lshl_b64 s[4:5], s[22:23], 3
	s_add_u32 s4, s2, s4
	s_addc_u32 s5, s3, s5
	v_mov_b32_e32 v31, 0
	v_lshl_add_u64 v[36:37], v[30:31], 3, s[4:5]
	global_store_dwordx2 v[36:37], v[6:7], off
.LBB703_95:
	s_or_b64 exec, exec, s[0:1]
	v_cmp_lt_u32_e32 vcc, v28, v23
	s_or_b64 s[4:5], s[26:27], vcc
	s_and_saveexec_b64 s[0:1], s[4:5]
	s_cbranch_execz .LBB703_98
; %bb.96:
	v_and_b32_e32 v25, 1, v20
	v_cmp_eq_u32_e32 vcc, 1, v25
	s_and_b64 exec, exec, vcc
	s_cbranch_execz .LBB703_98
; %bb.97:
	s_lshl_b64 s[4:5], s[22:23], 3
	s_add_u32 s4, s2, s4
	s_addc_u32 s5, s3, s5
	v_mov_b32_e32 v29, 0
	v_lshl_add_u64 v[36:37], v[28:29], 3, s[4:5]
	global_store_dwordx2 v[36:37], v[8:9], off
.LBB703_98:
	s_or_b64 exec, exec, s[0:1]
	v_cmp_lt_u32_e32 vcc, v26, v23
	s_or_b64 s[4:5], s[26:27], vcc
	s_and_saveexec_b64 s[0:1], s[4:5]
	s_cbranch_execz .LBB703_101
; %bb.99:
	v_and_b32_e32 v25, 1, v17
	v_cmp_eq_u32_e32 vcc, 1, v25
	s_and_b64 exec, exec, vcc
	s_cbranch_execz .LBB703_101
; %bb.100:
	s_lshl_b64 s[4:5], s[22:23], 3
	s_add_u32 s4, s2, s4
	s_addc_u32 s5, s3, s5
	v_mov_b32_e32 v27, 0
	v_lshl_add_u64 v[36:37], v[26:27], 3, s[4:5]
	global_store_dwordx2 v[36:37], v[2:3], off
.LBB703_101:
	;; [unrolled: 18-line block ×3, first 2 shown]
	s_or_b64 exec, exec, s[0:1]
	v_cmp_lt_u32_e32 vcc, v22, v23
	s_or_b64 s[4:5], s[26:27], vcc
	s_and_saveexec_b64 s[0:1], s[4:5]
	s_cbranch_execz .LBB703_107
; %bb.105:
	v_mov_b32_e32 v23, 1
	v_and_b32_sdwa v23, v23, v17 dst_sel:DWORD dst_unused:UNUSED_PAD src0_sel:DWORD src1_sel:WORD_1
	v_cmp_eq_u32_e32 vcc, 1, v23
	s_and_b64 exec, exec, vcc
	s_cbranch_execz .LBB703_107
; %bb.106:
	s_lshl_b64 s[4:5], s[22:23], 3
	s_add_u32 s4, s2, s4
	s_addc_u32 s5, s3, s5
	v_mov_b32_e32 v23, 0
	v_lshl_add_u64 v[36:37], v[22:23], 3, s[4:5]
	global_store_dwordx2 v[36:37], v[14:15], off
.LBB703_107:
	s_or_b64 exec, exec, s[0:1]
	s_branch .LBB703_84
.LBB703_108:
	v_and_b32_e32 v23, 1, v16
	v_cmp_eq_u32_e32 vcc, 1, v23
	s_and_saveexec_b64 s[0:1], vcc
	s_cbranch_execz .LBB703_110
; %bb.109:
	v_sub_u32_e32 v23, v34, v19
	v_lshlrev_b32_e32 v23, 3, v23
	ds_write_b64 v23, v[10:11]
.LBB703_110:
	s_or_b64 exec, exec, s[0:1]
	v_and_b32_e32 v10, 1, v21
	v_cmp_eq_u32_e32 vcc, 1, v10
	s_and_saveexec_b64 s[0:1], vcc
	s_cbranch_execz .LBB703_112
; %bb.111:
	v_sub_u32_e32 v10, v32, v19
	v_lshlrev_b32_e32 v10, 3, v10
	ds_write_b64 v10, v[12:13]
.LBB703_112:
	s_or_b64 exec, exec, s[0:1]
	v_mov_b32_e32 v10, 1
	v_and_b32_sdwa v10, v10, v16 dst_sel:DWORD dst_unused:UNUSED_PAD src0_sel:DWORD src1_sel:WORD_1
	v_cmp_eq_u32_e32 vcc, 1, v10
	s_and_saveexec_b64 s[0:1], vcc
	s_cbranch_execz .LBB703_114
; %bb.113:
	v_sub_u32_e32 v10, v30, v19
	v_lshlrev_b32_e32 v10, 3, v10
	ds_write_b64 v10, v[6:7]
.LBB703_114:
	s_or_b64 exec, exec, s[0:1]
	v_and_b32_e32 v6, 1, v20
	v_cmp_eq_u32_e32 vcc, 1, v6
	s_and_saveexec_b64 s[0:1], vcc
	s_cbranch_execz .LBB703_116
; %bb.115:
	v_sub_u32_e32 v6, v28, v19
	v_lshlrev_b32_e32 v6, 3, v6
	ds_write_b64 v6, v[8:9]
.LBB703_116:
	s_or_b64 exec, exec, s[0:1]
	v_and_b32_e32 v6, 1, v17
	;; [unrolled: 10-line block ×3, first 2 shown]
	v_cmp_eq_u32_e32 vcc, 1, v1
	s_and_saveexec_b64 s[0:1], vcc
	s_cbranch_execz .LBB703_120
; %bb.119:
	v_sub_u32_e32 v1, v24, v19
	v_lshlrev_b32_e32 v1, 3, v1
	ds_write_b64 v1, v[4:5]
.LBB703_120:
	s_or_b64 exec, exec, s[0:1]
	v_mov_b32_e32 v1, 1
	v_and_b32_sdwa v1, v1, v17 dst_sel:DWORD dst_unused:UNUSED_PAD src0_sel:DWORD src1_sel:WORD_1
	v_cmp_eq_u32_e32 vcc, 1, v1
	s_and_saveexec_b64 s[0:1], vcc
	s_cbranch_execz .LBB703_122
; %bb.121:
	v_sub_u32_e32 v1, v22, v19
	v_lshlrev_b32_e32 v1, 3, v1
	ds_write_b64 v1, v[14:15]
.LBB703_122:
	s_or_b64 exec, exec, s[0:1]
	v_cmp_lt_u32_e32 vcc, v0, v18
	s_waitcnt lgkmcnt(0)
	s_barrier
	s_and_saveexec_b64 s[0:1], vcc
	s_cbranch_execz .LBB703_125
; %bb.123:
	v_mov_b32_e32 v5, 0
	v_mov_b32_e32 v4, v19
	s_lshl_b64 s[4:5], s[22:23], 3
	v_lshlrev_b64 v[6:7], 3, v[4:5]
	v_lshl_add_u64 v[6:7], s[4:5], 0, v[6:7]
	v_lshlrev_b32_e32 v2, 3, v0
	v_mov_b32_e32 v3, v5
	v_lshl_add_u64 v[4:5], s[2:3], 0, v[6:7]
	v_lshl_add_u64 v[4:5], v[4:5], 0, v[2:3]
	s_mov_b64 s[2:3], 0
	s_mov_b64 s[4:5], 0x1000
	v_mov_b32_e32 v1, v0
.LBB703_124:                            ; =>This Inner Loop Header: Depth=1
	ds_read_b64 v[6:7], v2
	v_add_u32_e32 v1, 0x200, v1
	v_cmp_ge_u32_e32 vcc, v1, v18
	v_add_u32_e32 v2, 0x1000, v2
	s_or_b64 s[2:3], vcc, s[2:3]
	s_waitcnt lgkmcnt(0)
	global_store_dwordx2 v[4:5], v[6:7], off
	v_lshl_add_u64 v[4:5], v[4:5], 0, s[4:5]
	s_andn2_b64 exec, exec, s[2:3]
	s_cbranch_execnz .LBB703_124
.LBB703_125:
	s_or_b64 exec, exec, s[0:1]
	v_cmp_eq_u32_e32 vcc, 0, v0
	s_and_b64 s[0:1], vcc, s[24:25]
	s_and_saveexec_b64 s[2:3], s[0:1]
	s_cbranch_execz .LBB703_85
.LBB703_126:
	v_mov_b32_e32 v1, 0
	v_mov_b32_e32 v0, v18
	v_lshl_add_u64 v[2:3], s[22:23], 0, v[0:1]
	v_mov_b32_e32 v0, v19
	v_lshl_add_u64 v[2:3], v[2:3], 0, v[0:1]
	global_store_dwordx2 v1, v[2:3], s[20:21]
	s_endpgm
.LBB703_127:
	s_or_b64 exec, exec, s[6:7]
	s_and_saveexec_b64 s[6:7], s[18:19]
	s_cbranch_execnz .LBB703_38
	s_branch .LBB703_39
	.section	.rodata,"a",@progbits
	.p2align	6, 0x0
	.amdhsa_kernel _ZN7rocprim17ROCPRIM_400000_NS6detail17trampoline_kernelINS0_14default_configENS1_25partition_config_selectorILNS1_17partition_subalgoE8EmNS0_10empty_typeEbEEZZNS1_14partition_implILS5_8ELb0ES3_jPKmPS6_PKS6_NS0_5tupleIJPmS6_EEENSE_IJSB_SB_EEENS0_18inequality_wrapperIN6hipcub16HIPCUB_304000_NS8EqualityEEEPlJS6_EEE10hipError_tPvRmT3_T4_T5_T6_T7_T9_mT8_P12ihipStream_tbDpT10_ENKUlT_T0_E_clISt17integral_constantIbLb1EES16_IbLb0EEEEDaS12_S13_EUlS12_E_NS1_11comp_targetILNS1_3genE5ELNS1_11target_archE942ELNS1_3gpuE9ELNS1_3repE0EEENS1_30default_config_static_selectorELNS0_4arch9wavefront6targetE1EEEvT1_
		.amdhsa_group_segment_fixed_size 28680
		.amdhsa_private_segment_fixed_size 0
		.amdhsa_kernarg_size 112
		.amdhsa_user_sgpr_count 2
		.amdhsa_user_sgpr_dispatch_ptr 0
		.amdhsa_user_sgpr_queue_ptr 0
		.amdhsa_user_sgpr_kernarg_segment_ptr 1
		.amdhsa_user_sgpr_dispatch_id 0
		.amdhsa_user_sgpr_kernarg_preload_length 0
		.amdhsa_user_sgpr_kernarg_preload_offset 0
		.amdhsa_user_sgpr_private_segment_size 0
		.amdhsa_uses_dynamic_stack 0
		.amdhsa_enable_private_segment 0
		.amdhsa_system_sgpr_workgroup_id_x 1
		.amdhsa_system_sgpr_workgroup_id_y 0
		.amdhsa_system_sgpr_workgroup_id_z 0
		.amdhsa_system_sgpr_workgroup_info 0
		.amdhsa_system_vgpr_workitem_id 0
		.amdhsa_next_free_vgpr 53
		.amdhsa_next_free_sgpr 40
		.amdhsa_accum_offset 56
		.amdhsa_reserve_vcc 1
		.amdhsa_float_round_mode_32 0
		.amdhsa_float_round_mode_16_64 0
		.amdhsa_float_denorm_mode_32 3
		.amdhsa_float_denorm_mode_16_64 3
		.amdhsa_dx10_clamp 1
		.amdhsa_ieee_mode 1
		.amdhsa_fp16_overflow 0
		.amdhsa_tg_split 0
		.amdhsa_exception_fp_ieee_invalid_op 0
		.amdhsa_exception_fp_denorm_src 0
		.amdhsa_exception_fp_ieee_div_zero 0
		.amdhsa_exception_fp_ieee_overflow 0
		.amdhsa_exception_fp_ieee_underflow 0
		.amdhsa_exception_fp_ieee_inexact 0
		.amdhsa_exception_int_div_zero 0
	.end_amdhsa_kernel
	.section	.text._ZN7rocprim17ROCPRIM_400000_NS6detail17trampoline_kernelINS0_14default_configENS1_25partition_config_selectorILNS1_17partition_subalgoE8EmNS0_10empty_typeEbEEZZNS1_14partition_implILS5_8ELb0ES3_jPKmPS6_PKS6_NS0_5tupleIJPmS6_EEENSE_IJSB_SB_EEENS0_18inequality_wrapperIN6hipcub16HIPCUB_304000_NS8EqualityEEEPlJS6_EEE10hipError_tPvRmT3_T4_T5_T6_T7_T9_mT8_P12ihipStream_tbDpT10_ENKUlT_T0_E_clISt17integral_constantIbLb1EES16_IbLb0EEEEDaS12_S13_EUlS12_E_NS1_11comp_targetILNS1_3genE5ELNS1_11target_archE942ELNS1_3gpuE9ELNS1_3repE0EEENS1_30default_config_static_selectorELNS0_4arch9wavefront6targetE1EEEvT1_,"axG",@progbits,_ZN7rocprim17ROCPRIM_400000_NS6detail17trampoline_kernelINS0_14default_configENS1_25partition_config_selectorILNS1_17partition_subalgoE8EmNS0_10empty_typeEbEEZZNS1_14partition_implILS5_8ELb0ES3_jPKmPS6_PKS6_NS0_5tupleIJPmS6_EEENSE_IJSB_SB_EEENS0_18inequality_wrapperIN6hipcub16HIPCUB_304000_NS8EqualityEEEPlJS6_EEE10hipError_tPvRmT3_T4_T5_T6_T7_T9_mT8_P12ihipStream_tbDpT10_ENKUlT_T0_E_clISt17integral_constantIbLb1EES16_IbLb0EEEEDaS12_S13_EUlS12_E_NS1_11comp_targetILNS1_3genE5ELNS1_11target_archE942ELNS1_3gpuE9ELNS1_3repE0EEENS1_30default_config_static_selectorELNS0_4arch9wavefront6targetE1EEEvT1_,comdat
.Lfunc_end703:
	.size	_ZN7rocprim17ROCPRIM_400000_NS6detail17trampoline_kernelINS0_14default_configENS1_25partition_config_selectorILNS1_17partition_subalgoE8EmNS0_10empty_typeEbEEZZNS1_14partition_implILS5_8ELb0ES3_jPKmPS6_PKS6_NS0_5tupleIJPmS6_EEENSE_IJSB_SB_EEENS0_18inequality_wrapperIN6hipcub16HIPCUB_304000_NS8EqualityEEEPlJS6_EEE10hipError_tPvRmT3_T4_T5_T6_T7_T9_mT8_P12ihipStream_tbDpT10_ENKUlT_T0_E_clISt17integral_constantIbLb1EES16_IbLb0EEEEDaS12_S13_EUlS12_E_NS1_11comp_targetILNS1_3genE5ELNS1_11target_archE942ELNS1_3gpuE9ELNS1_3repE0EEENS1_30default_config_static_selectorELNS0_4arch9wavefront6targetE1EEEvT1_, .Lfunc_end703-_ZN7rocprim17ROCPRIM_400000_NS6detail17trampoline_kernelINS0_14default_configENS1_25partition_config_selectorILNS1_17partition_subalgoE8EmNS0_10empty_typeEbEEZZNS1_14partition_implILS5_8ELb0ES3_jPKmPS6_PKS6_NS0_5tupleIJPmS6_EEENSE_IJSB_SB_EEENS0_18inequality_wrapperIN6hipcub16HIPCUB_304000_NS8EqualityEEEPlJS6_EEE10hipError_tPvRmT3_T4_T5_T6_T7_T9_mT8_P12ihipStream_tbDpT10_ENKUlT_T0_E_clISt17integral_constantIbLb1EES16_IbLb0EEEEDaS12_S13_EUlS12_E_NS1_11comp_targetILNS1_3genE5ELNS1_11target_archE942ELNS1_3gpuE9ELNS1_3repE0EEENS1_30default_config_static_selectorELNS0_4arch9wavefront6targetE1EEEvT1_
                                        ; -- End function
	.section	.AMDGPU.csdata,"",@progbits
; Kernel info:
; codeLenInByte = 5488
; NumSgprs: 46
; NumVgprs: 53
; NumAgprs: 0
; TotalNumVgprs: 53
; ScratchSize: 0
; MemoryBound: 0
; FloatMode: 240
; IeeeMode: 1
; LDSByteSize: 28680 bytes/workgroup (compile time only)
; SGPRBlocks: 5
; VGPRBlocks: 6
; NumSGPRsForWavesPerEU: 46
; NumVGPRsForWavesPerEU: 53
; AccumOffset: 56
; Occupancy: 4
; WaveLimiterHint : 1
; COMPUTE_PGM_RSRC2:SCRATCH_EN: 0
; COMPUTE_PGM_RSRC2:USER_SGPR: 2
; COMPUTE_PGM_RSRC2:TRAP_HANDLER: 0
; COMPUTE_PGM_RSRC2:TGID_X_EN: 1
; COMPUTE_PGM_RSRC2:TGID_Y_EN: 0
; COMPUTE_PGM_RSRC2:TGID_Z_EN: 0
; COMPUTE_PGM_RSRC2:TIDIG_COMP_CNT: 0
; COMPUTE_PGM_RSRC3_GFX90A:ACCUM_OFFSET: 13
; COMPUTE_PGM_RSRC3_GFX90A:TG_SPLIT: 0
	.section	.text._ZN7rocprim17ROCPRIM_400000_NS6detail17trampoline_kernelINS0_14default_configENS1_25partition_config_selectorILNS1_17partition_subalgoE8EmNS0_10empty_typeEbEEZZNS1_14partition_implILS5_8ELb0ES3_jPKmPS6_PKS6_NS0_5tupleIJPmS6_EEENSE_IJSB_SB_EEENS0_18inequality_wrapperIN6hipcub16HIPCUB_304000_NS8EqualityEEEPlJS6_EEE10hipError_tPvRmT3_T4_T5_T6_T7_T9_mT8_P12ihipStream_tbDpT10_ENKUlT_T0_E_clISt17integral_constantIbLb1EES16_IbLb0EEEEDaS12_S13_EUlS12_E_NS1_11comp_targetILNS1_3genE4ELNS1_11target_archE910ELNS1_3gpuE8ELNS1_3repE0EEENS1_30default_config_static_selectorELNS0_4arch9wavefront6targetE1EEEvT1_,"axG",@progbits,_ZN7rocprim17ROCPRIM_400000_NS6detail17trampoline_kernelINS0_14default_configENS1_25partition_config_selectorILNS1_17partition_subalgoE8EmNS0_10empty_typeEbEEZZNS1_14partition_implILS5_8ELb0ES3_jPKmPS6_PKS6_NS0_5tupleIJPmS6_EEENSE_IJSB_SB_EEENS0_18inequality_wrapperIN6hipcub16HIPCUB_304000_NS8EqualityEEEPlJS6_EEE10hipError_tPvRmT3_T4_T5_T6_T7_T9_mT8_P12ihipStream_tbDpT10_ENKUlT_T0_E_clISt17integral_constantIbLb1EES16_IbLb0EEEEDaS12_S13_EUlS12_E_NS1_11comp_targetILNS1_3genE4ELNS1_11target_archE910ELNS1_3gpuE8ELNS1_3repE0EEENS1_30default_config_static_selectorELNS0_4arch9wavefront6targetE1EEEvT1_,comdat
	.protected	_ZN7rocprim17ROCPRIM_400000_NS6detail17trampoline_kernelINS0_14default_configENS1_25partition_config_selectorILNS1_17partition_subalgoE8EmNS0_10empty_typeEbEEZZNS1_14partition_implILS5_8ELb0ES3_jPKmPS6_PKS6_NS0_5tupleIJPmS6_EEENSE_IJSB_SB_EEENS0_18inequality_wrapperIN6hipcub16HIPCUB_304000_NS8EqualityEEEPlJS6_EEE10hipError_tPvRmT3_T4_T5_T6_T7_T9_mT8_P12ihipStream_tbDpT10_ENKUlT_T0_E_clISt17integral_constantIbLb1EES16_IbLb0EEEEDaS12_S13_EUlS12_E_NS1_11comp_targetILNS1_3genE4ELNS1_11target_archE910ELNS1_3gpuE8ELNS1_3repE0EEENS1_30default_config_static_selectorELNS0_4arch9wavefront6targetE1EEEvT1_ ; -- Begin function _ZN7rocprim17ROCPRIM_400000_NS6detail17trampoline_kernelINS0_14default_configENS1_25partition_config_selectorILNS1_17partition_subalgoE8EmNS0_10empty_typeEbEEZZNS1_14partition_implILS5_8ELb0ES3_jPKmPS6_PKS6_NS0_5tupleIJPmS6_EEENSE_IJSB_SB_EEENS0_18inequality_wrapperIN6hipcub16HIPCUB_304000_NS8EqualityEEEPlJS6_EEE10hipError_tPvRmT3_T4_T5_T6_T7_T9_mT8_P12ihipStream_tbDpT10_ENKUlT_T0_E_clISt17integral_constantIbLb1EES16_IbLb0EEEEDaS12_S13_EUlS12_E_NS1_11comp_targetILNS1_3genE4ELNS1_11target_archE910ELNS1_3gpuE8ELNS1_3repE0EEENS1_30default_config_static_selectorELNS0_4arch9wavefront6targetE1EEEvT1_
	.globl	_ZN7rocprim17ROCPRIM_400000_NS6detail17trampoline_kernelINS0_14default_configENS1_25partition_config_selectorILNS1_17partition_subalgoE8EmNS0_10empty_typeEbEEZZNS1_14partition_implILS5_8ELb0ES3_jPKmPS6_PKS6_NS0_5tupleIJPmS6_EEENSE_IJSB_SB_EEENS0_18inequality_wrapperIN6hipcub16HIPCUB_304000_NS8EqualityEEEPlJS6_EEE10hipError_tPvRmT3_T4_T5_T6_T7_T9_mT8_P12ihipStream_tbDpT10_ENKUlT_T0_E_clISt17integral_constantIbLb1EES16_IbLb0EEEEDaS12_S13_EUlS12_E_NS1_11comp_targetILNS1_3genE4ELNS1_11target_archE910ELNS1_3gpuE8ELNS1_3repE0EEENS1_30default_config_static_selectorELNS0_4arch9wavefront6targetE1EEEvT1_
	.p2align	8
	.type	_ZN7rocprim17ROCPRIM_400000_NS6detail17trampoline_kernelINS0_14default_configENS1_25partition_config_selectorILNS1_17partition_subalgoE8EmNS0_10empty_typeEbEEZZNS1_14partition_implILS5_8ELb0ES3_jPKmPS6_PKS6_NS0_5tupleIJPmS6_EEENSE_IJSB_SB_EEENS0_18inequality_wrapperIN6hipcub16HIPCUB_304000_NS8EqualityEEEPlJS6_EEE10hipError_tPvRmT3_T4_T5_T6_T7_T9_mT8_P12ihipStream_tbDpT10_ENKUlT_T0_E_clISt17integral_constantIbLb1EES16_IbLb0EEEEDaS12_S13_EUlS12_E_NS1_11comp_targetILNS1_3genE4ELNS1_11target_archE910ELNS1_3gpuE8ELNS1_3repE0EEENS1_30default_config_static_selectorELNS0_4arch9wavefront6targetE1EEEvT1_,@function
_ZN7rocprim17ROCPRIM_400000_NS6detail17trampoline_kernelINS0_14default_configENS1_25partition_config_selectorILNS1_17partition_subalgoE8EmNS0_10empty_typeEbEEZZNS1_14partition_implILS5_8ELb0ES3_jPKmPS6_PKS6_NS0_5tupleIJPmS6_EEENSE_IJSB_SB_EEENS0_18inequality_wrapperIN6hipcub16HIPCUB_304000_NS8EqualityEEEPlJS6_EEE10hipError_tPvRmT3_T4_T5_T6_T7_T9_mT8_P12ihipStream_tbDpT10_ENKUlT_T0_E_clISt17integral_constantIbLb1EES16_IbLb0EEEEDaS12_S13_EUlS12_E_NS1_11comp_targetILNS1_3genE4ELNS1_11target_archE910ELNS1_3gpuE8ELNS1_3repE0EEENS1_30default_config_static_selectorELNS0_4arch9wavefront6targetE1EEEvT1_: ; @_ZN7rocprim17ROCPRIM_400000_NS6detail17trampoline_kernelINS0_14default_configENS1_25partition_config_selectorILNS1_17partition_subalgoE8EmNS0_10empty_typeEbEEZZNS1_14partition_implILS5_8ELb0ES3_jPKmPS6_PKS6_NS0_5tupleIJPmS6_EEENSE_IJSB_SB_EEENS0_18inequality_wrapperIN6hipcub16HIPCUB_304000_NS8EqualityEEEPlJS6_EEE10hipError_tPvRmT3_T4_T5_T6_T7_T9_mT8_P12ihipStream_tbDpT10_ENKUlT_T0_E_clISt17integral_constantIbLb1EES16_IbLb0EEEEDaS12_S13_EUlS12_E_NS1_11comp_targetILNS1_3genE4ELNS1_11target_archE910ELNS1_3gpuE8ELNS1_3repE0EEENS1_30default_config_static_selectorELNS0_4arch9wavefront6targetE1EEEvT1_
; %bb.0:
	.section	.rodata,"a",@progbits
	.p2align	6, 0x0
	.amdhsa_kernel _ZN7rocprim17ROCPRIM_400000_NS6detail17trampoline_kernelINS0_14default_configENS1_25partition_config_selectorILNS1_17partition_subalgoE8EmNS0_10empty_typeEbEEZZNS1_14partition_implILS5_8ELb0ES3_jPKmPS6_PKS6_NS0_5tupleIJPmS6_EEENSE_IJSB_SB_EEENS0_18inequality_wrapperIN6hipcub16HIPCUB_304000_NS8EqualityEEEPlJS6_EEE10hipError_tPvRmT3_T4_T5_T6_T7_T9_mT8_P12ihipStream_tbDpT10_ENKUlT_T0_E_clISt17integral_constantIbLb1EES16_IbLb0EEEEDaS12_S13_EUlS12_E_NS1_11comp_targetILNS1_3genE4ELNS1_11target_archE910ELNS1_3gpuE8ELNS1_3repE0EEENS1_30default_config_static_selectorELNS0_4arch9wavefront6targetE1EEEvT1_
		.amdhsa_group_segment_fixed_size 0
		.amdhsa_private_segment_fixed_size 0
		.amdhsa_kernarg_size 112
		.amdhsa_user_sgpr_count 2
		.amdhsa_user_sgpr_dispatch_ptr 0
		.amdhsa_user_sgpr_queue_ptr 0
		.amdhsa_user_sgpr_kernarg_segment_ptr 1
		.amdhsa_user_sgpr_dispatch_id 0
		.amdhsa_user_sgpr_kernarg_preload_length 0
		.amdhsa_user_sgpr_kernarg_preload_offset 0
		.amdhsa_user_sgpr_private_segment_size 0
		.amdhsa_uses_dynamic_stack 0
		.amdhsa_enable_private_segment 0
		.amdhsa_system_sgpr_workgroup_id_x 1
		.amdhsa_system_sgpr_workgroup_id_y 0
		.amdhsa_system_sgpr_workgroup_id_z 0
		.amdhsa_system_sgpr_workgroup_info 0
		.amdhsa_system_vgpr_workitem_id 0
		.amdhsa_next_free_vgpr 1
		.amdhsa_next_free_sgpr 0
		.amdhsa_accum_offset 4
		.amdhsa_reserve_vcc 0
		.amdhsa_float_round_mode_32 0
		.amdhsa_float_round_mode_16_64 0
		.amdhsa_float_denorm_mode_32 3
		.amdhsa_float_denorm_mode_16_64 3
		.amdhsa_dx10_clamp 1
		.amdhsa_ieee_mode 1
		.amdhsa_fp16_overflow 0
		.amdhsa_tg_split 0
		.amdhsa_exception_fp_ieee_invalid_op 0
		.amdhsa_exception_fp_denorm_src 0
		.amdhsa_exception_fp_ieee_div_zero 0
		.amdhsa_exception_fp_ieee_overflow 0
		.amdhsa_exception_fp_ieee_underflow 0
		.amdhsa_exception_fp_ieee_inexact 0
		.amdhsa_exception_int_div_zero 0
	.end_amdhsa_kernel
	.section	.text._ZN7rocprim17ROCPRIM_400000_NS6detail17trampoline_kernelINS0_14default_configENS1_25partition_config_selectorILNS1_17partition_subalgoE8EmNS0_10empty_typeEbEEZZNS1_14partition_implILS5_8ELb0ES3_jPKmPS6_PKS6_NS0_5tupleIJPmS6_EEENSE_IJSB_SB_EEENS0_18inequality_wrapperIN6hipcub16HIPCUB_304000_NS8EqualityEEEPlJS6_EEE10hipError_tPvRmT3_T4_T5_T6_T7_T9_mT8_P12ihipStream_tbDpT10_ENKUlT_T0_E_clISt17integral_constantIbLb1EES16_IbLb0EEEEDaS12_S13_EUlS12_E_NS1_11comp_targetILNS1_3genE4ELNS1_11target_archE910ELNS1_3gpuE8ELNS1_3repE0EEENS1_30default_config_static_selectorELNS0_4arch9wavefront6targetE1EEEvT1_,"axG",@progbits,_ZN7rocprim17ROCPRIM_400000_NS6detail17trampoline_kernelINS0_14default_configENS1_25partition_config_selectorILNS1_17partition_subalgoE8EmNS0_10empty_typeEbEEZZNS1_14partition_implILS5_8ELb0ES3_jPKmPS6_PKS6_NS0_5tupleIJPmS6_EEENSE_IJSB_SB_EEENS0_18inequality_wrapperIN6hipcub16HIPCUB_304000_NS8EqualityEEEPlJS6_EEE10hipError_tPvRmT3_T4_T5_T6_T7_T9_mT8_P12ihipStream_tbDpT10_ENKUlT_T0_E_clISt17integral_constantIbLb1EES16_IbLb0EEEEDaS12_S13_EUlS12_E_NS1_11comp_targetILNS1_3genE4ELNS1_11target_archE910ELNS1_3gpuE8ELNS1_3repE0EEENS1_30default_config_static_selectorELNS0_4arch9wavefront6targetE1EEEvT1_,comdat
.Lfunc_end704:
	.size	_ZN7rocprim17ROCPRIM_400000_NS6detail17trampoline_kernelINS0_14default_configENS1_25partition_config_selectorILNS1_17partition_subalgoE8EmNS0_10empty_typeEbEEZZNS1_14partition_implILS5_8ELb0ES3_jPKmPS6_PKS6_NS0_5tupleIJPmS6_EEENSE_IJSB_SB_EEENS0_18inequality_wrapperIN6hipcub16HIPCUB_304000_NS8EqualityEEEPlJS6_EEE10hipError_tPvRmT3_T4_T5_T6_T7_T9_mT8_P12ihipStream_tbDpT10_ENKUlT_T0_E_clISt17integral_constantIbLb1EES16_IbLb0EEEEDaS12_S13_EUlS12_E_NS1_11comp_targetILNS1_3genE4ELNS1_11target_archE910ELNS1_3gpuE8ELNS1_3repE0EEENS1_30default_config_static_selectorELNS0_4arch9wavefront6targetE1EEEvT1_, .Lfunc_end704-_ZN7rocprim17ROCPRIM_400000_NS6detail17trampoline_kernelINS0_14default_configENS1_25partition_config_selectorILNS1_17partition_subalgoE8EmNS0_10empty_typeEbEEZZNS1_14partition_implILS5_8ELb0ES3_jPKmPS6_PKS6_NS0_5tupleIJPmS6_EEENSE_IJSB_SB_EEENS0_18inequality_wrapperIN6hipcub16HIPCUB_304000_NS8EqualityEEEPlJS6_EEE10hipError_tPvRmT3_T4_T5_T6_T7_T9_mT8_P12ihipStream_tbDpT10_ENKUlT_T0_E_clISt17integral_constantIbLb1EES16_IbLb0EEEEDaS12_S13_EUlS12_E_NS1_11comp_targetILNS1_3genE4ELNS1_11target_archE910ELNS1_3gpuE8ELNS1_3repE0EEENS1_30default_config_static_selectorELNS0_4arch9wavefront6targetE1EEEvT1_
                                        ; -- End function
	.section	.AMDGPU.csdata,"",@progbits
; Kernel info:
; codeLenInByte = 0
; NumSgprs: 6
; NumVgprs: 0
; NumAgprs: 0
; TotalNumVgprs: 0
; ScratchSize: 0
; MemoryBound: 0
; FloatMode: 240
; IeeeMode: 1
; LDSByteSize: 0 bytes/workgroup (compile time only)
; SGPRBlocks: 0
; VGPRBlocks: 0
; NumSGPRsForWavesPerEU: 6
; NumVGPRsForWavesPerEU: 1
; AccumOffset: 4
; Occupancy: 8
; WaveLimiterHint : 0
; COMPUTE_PGM_RSRC2:SCRATCH_EN: 0
; COMPUTE_PGM_RSRC2:USER_SGPR: 2
; COMPUTE_PGM_RSRC2:TRAP_HANDLER: 0
; COMPUTE_PGM_RSRC2:TGID_X_EN: 1
; COMPUTE_PGM_RSRC2:TGID_Y_EN: 0
; COMPUTE_PGM_RSRC2:TGID_Z_EN: 0
; COMPUTE_PGM_RSRC2:TIDIG_COMP_CNT: 0
; COMPUTE_PGM_RSRC3_GFX90A:ACCUM_OFFSET: 0
; COMPUTE_PGM_RSRC3_GFX90A:TG_SPLIT: 0
	.section	.text._ZN7rocprim17ROCPRIM_400000_NS6detail17trampoline_kernelINS0_14default_configENS1_25partition_config_selectorILNS1_17partition_subalgoE8EmNS0_10empty_typeEbEEZZNS1_14partition_implILS5_8ELb0ES3_jPKmPS6_PKS6_NS0_5tupleIJPmS6_EEENSE_IJSB_SB_EEENS0_18inequality_wrapperIN6hipcub16HIPCUB_304000_NS8EqualityEEEPlJS6_EEE10hipError_tPvRmT3_T4_T5_T6_T7_T9_mT8_P12ihipStream_tbDpT10_ENKUlT_T0_E_clISt17integral_constantIbLb1EES16_IbLb0EEEEDaS12_S13_EUlS12_E_NS1_11comp_targetILNS1_3genE3ELNS1_11target_archE908ELNS1_3gpuE7ELNS1_3repE0EEENS1_30default_config_static_selectorELNS0_4arch9wavefront6targetE1EEEvT1_,"axG",@progbits,_ZN7rocprim17ROCPRIM_400000_NS6detail17trampoline_kernelINS0_14default_configENS1_25partition_config_selectorILNS1_17partition_subalgoE8EmNS0_10empty_typeEbEEZZNS1_14partition_implILS5_8ELb0ES3_jPKmPS6_PKS6_NS0_5tupleIJPmS6_EEENSE_IJSB_SB_EEENS0_18inequality_wrapperIN6hipcub16HIPCUB_304000_NS8EqualityEEEPlJS6_EEE10hipError_tPvRmT3_T4_T5_T6_T7_T9_mT8_P12ihipStream_tbDpT10_ENKUlT_T0_E_clISt17integral_constantIbLb1EES16_IbLb0EEEEDaS12_S13_EUlS12_E_NS1_11comp_targetILNS1_3genE3ELNS1_11target_archE908ELNS1_3gpuE7ELNS1_3repE0EEENS1_30default_config_static_selectorELNS0_4arch9wavefront6targetE1EEEvT1_,comdat
	.protected	_ZN7rocprim17ROCPRIM_400000_NS6detail17trampoline_kernelINS0_14default_configENS1_25partition_config_selectorILNS1_17partition_subalgoE8EmNS0_10empty_typeEbEEZZNS1_14partition_implILS5_8ELb0ES3_jPKmPS6_PKS6_NS0_5tupleIJPmS6_EEENSE_IJSB_SB_EEENS0_18inequality_wrapperIN6hipcub16HIPCUB_304000_NS8EqualityEEEPlJS6_EEE10hipError_tPvRmT3_T4_T5_T6_T7_T9_mT8_P12ihipStream_tbDpT10_ENKUlT_T0_E_clISt17integral_constantIbLb1EES16_IbLb0EEEEDaS12_S13_EUlS12_E_NS1_11comp_targetILNS1_3genE3ELNS1_11target_archE908ELNS1_3gpuE7ELNS1_3repE0EEENS1_30default_config_static_selectorELNS0_4arch9wavefront6targetE1EEEvT1_ ; -- Begin function _ZN7rocprim17ROCPRIM_400000_NS6detail17trampoline_kernelINS0_14default_configENS1_25partition_config_selectorILNS1_17partition_subalgoE8EmNS0_10empty_typeEbEEZZNS1_14partition_implILS5_8ELb0ES3_jPKmPS6_PKS6_NS0_5tupleIJPmS6_EEENSE_IJSB_SB_EEENS0_18inequality_wrapperIN6hipcub16HIPCUB_304000_NS8EqualityEEEPlJS6_EEE10hipError_tPvRmT3_T4_T5_T6_T7_T9_mT8_P12ihipStream_tbDpT10_ENKUlT_T0_E_clISt17integral_constantIbLb1EES16_IbLb0EEEEDaS12_S13_EUlS12_E_NS1_11comp_targetILNS1_3genE3ELNS1_11target_archE908ELNS1_3gpuE7ELNS1_3repE0EEENS1_30default_config_static_selectorELNS0_4arch9wavefront6targetE1EEEvT1_
	.globl	_ZN7rocprim17ROCPRIM_400000_NS6detail17trampoline_kernelINS0_14default_configENS1_25partition_config_selectorILNS1_17partition_subalgoE8EmNS0_10empty_typeEbEEZZNS1_14partition_implILS5_8ELb0ES3_jPKmPS6_PKS6_NS0_5tupleIJPmS6_EEENSE_IJSB_SB_EEENS0_18inequality_wrapperIN6hipcub16HIPCUB_304000_NS8EqualityEEEPlJS6_EEE10hipError_tPvRmT3_T4_T5_T6_T7_T9_mT8_P12ihipStream_tbDpT10_ENKUlT_T0_E_clISt17integral_constantIbLb1EES16_IbLb0EEEEDaS12_S13_EUlS12_E_NS1_11comp_targetILNS1_3genE3ELNS1_11target_archE908ELNS1_3gpuE7ELNS1_3repE0EEENS1_30default_config_static_selectorELNS0_4arch9wavefront6targetE1EEEvT1_
	.p2align	8
	.type	_ZN7rocprim17ROCPRIM_400000_NS6detail17trampoline_kernelINS0_14default_configENS1_25partition_config_selectorILNS1_17partition_subalgoE8EmNS0_10empty_typeEbEEZZNS1_14partition_implILS5_8ELb0ES3_jPKmPS6_PKS6_NS0_5tupleIJPmS6_EEENSE_IJSB_SB_EEENS0_18inequality_wrapperIN6hipcub16HIPCUB_304000_NS8EqualityEEEPlJS6_EEE10hipError_tPvRmT3_T4_T5_T6_T7_T9_mT8_P12ihipStream_tbDpT10_ENKUlT_T0_E_clISt17integral_constantIbLb1EES16_IbLb0EEEEDaS12_S13_EUlS12_E_NS1_11comp_targetILNS1_3genE3ELNS1_11target_archE908ELNS1_3gpuE7ELNS1_3repE0EEENS1_30default_config_static_selectorELNS0_4arch9wavefront6targetE1EEEvT1_,@function
_ZN7rocprim17ROCPRIM_400000_NS6detail17trampoline_kernelINS0_14default_configENS1_25partition_config_selectorILNS1_17partition_subalgoE8EmNS0_10empty_typeEbEEZZNS1_14partition_implILS5_8ELb0ES3_jPKmPS6_PKS6_NS0_5tupleIJPmS6_EEENSE_IJSB_SB_EEENS0_18inequality_wrapperIN6hipcub16HIPCUB_304000_NS8EqualityEEEPlJS6_EEE10hipError_tPvRmT3_T4_T5_T6_T7_T9_mT8_P12ihipStream_tbDpT10_ENKUlT_T0_E_clISt17integral_constantIbLb1EES16_IbLb0EEEEDaS12_S13_EUlS12_E_NS1_11comp_targetILNS1_3genE3ELNS1_11target_archE908ELNS1_3gpuE7ELNS1_3repE0EEENS1_30default_config_static_selectorELNS0_4arch9wavefront6targetE1EEEvT1_: ; @_ZN7rocprim17ROCPRIM_400000_NS6detail17trampoline_kernelINS0_14default_configENS1_25partition_config_selectorILNS1_17partition_subalgoE8EmNS0_10empty_typeEbEEZZNS1_14partition_implILS5_8ELb0ES3_jPKmPS6_PKS6_NS0_5tupleIJPmS6_EEENSE_IJSB_SB_EEENS0_18inequality_wrapperIN6hipcub16HIPCUB_304000_NS8EqualityEEEPlJS6_EEE10hipError_tPvRmT3_T4_T5_T6_T7_T9_mT8_P12ihipStream_tbDpT10_ENKUlT_T0_E_clISt17integral_constantIbLb1EES16_IbLb0EEEEDaS12_S13_EUlS12_E_NS1_11comp_targetILNS1_3genE3ELNS1_11target_archE908ELNS1_3gpuE7ELNS1_3repE0EEENS1_30default_config_static_selectorELNS0_4arch9wavefront6targetE1EEEvT1_
; %bb.0:
	.section	.rodata,"a",@progbits
	.p2align	6, 0x0
	.amdhsa_kernel _ZN7rocprim17ROCPRIM_400000_NS6detail17trampoline_kernelINS0_14default_configENS1_25partition_config_selectorILNS1_17partition_subalgoE8EmNS0_10empty_typeEbEEZZNS1_14partition_implILS5_8ELb0ES3_jPKmPS6_PKS6_NS0_5tupleIJPmS6_EEENSE_IJSB_SB_EEENS0_18inequality_wrapperIN6hipcub16HIPCUB_304000_NS8EqualityEEEPlJS6_EEE10hipError_tPvRmT3_T4_T5_T6_T7_T9_mT8_P12ihipStream_tbDpT10_ENKUlT_T0_E_clISt17integral_constantIbLb1EES16_IbLb0EEEEDaS12_S13_EUlS12_E_NS1_11comp_targetILNS1_3genE3ELNS1_11target_archE908ELNS1_3gpuE7ELNS1_3repE0EEENS1_30default_config_static_selectorELNS0_4arch9wavefront6targetE1EEEvT1_
		.amdhsa_group_segment_fixed_size 0
		.amdhsa_private_segment_fixed_size 0
		.amdhsa_kernarg_size 112
		.amdhsa_user_sgpr_count 2
		.amdhsa_user_sgpr_dispatch_ptr 0
		.amdhsa_user_sgpr_queue_ptr 0
		.amdhsa_user_sgpr_kernarg_segment_ptr 1
		.amdhsa_user_sgpr_dispatch_id 0
		.amdhsa_user_sgpr_kernarg_preload_length 0
		.amdhsa_user_sgpr_kernarg_preload_offset 0
		.amdhsa_user_sgpr_private_segment_size 0
		.amdhsa_uses_dynamic_stack 0
		.amdhsa_enable_private_segment 0
		.amdhsa_system_sgpr_workgroup_id_x 1
		.amdhsa_system_sgpr_workgroup_id_y 0
		.amdhsa_system_sgpr_workgroup_id_z 0
		.amdhsa_system_sgpr_workgroup_info 0
		.amdhsa_system_vgpr_workitem_id 0
		.amdhsa_next_free_vgpr 1
		.amdhsa_next_free_sgpr 0
		.amdhsa_accum_offset 4
		.amdhsa_reserve_vcc 0
		.amdhsa_float_round_mode_32 0
		.amdhsa_float_round_mode_16_64 0
		.amdhsa_float_denorm_mode_32 3
		.amdhsa_float_denorm_mode_16_64 3
		.amdhsa_dx10_clamp 1
		.amdhsa_ieee_mode 1
		.amdhsa_fp16_overflow 0
		.amdhsa_tg_split 0
		.amdhsa_exception_fp_ieee_invalid_op 0
		.amdhsa_exception_fp_denorm_src 0
		.amdhsa_exception_fp_ieee_div_zero 0
		.amdhsa_exception_fp_ieee_overflow 0
		.amdhsa_exception_fp_ieee_underflow 0
		.amdhsa_exception_fp_ieee_inexact 0
		.amdhsa_exception_int_div_zero 0
	.end_amdhsa_kernel
	.section	.text._ZN7rocprim17ROCPRIM_400000_NS6detail17trampoline_kernelINS0_14default_configENS1_25partition_config_selectorILNS1_17partition_subalgoE8EmNS0_10empty_typeEbEEZZNS1_14partition_implILS5_8ELb0ES3_jPKmPS6_PKS6_NS0_5tupleIJPmS6_EEENSE_IJSB_SB_EEENS0_18inequality_wrapperIN6hipcub16HIPCUB_304000_NS8EqualityEEEPlJS6_EEE10hipError_tPvRmT3_T4_T5_T6_T7_T9_mT8_P12ihipStream_tbDpT10_ENKUlT_T0_E_clISt17integral_constantIbLb1EES16_IbLb0EEEEDaS12_S13_EUlS12_E_NS1_11comp_targetILNS1_3genE3ELNS1_11target_archE908ELNS1_3gpuE7ELNS1_3repE0EEENS1_30default_config_static_selectorELNS0_4arch9wavefront6targetE1EEEvT1_,"axG",@progbits,_ZN7rocprim17ROCPRIM_400000_NS6detail17trampoline_kernelINS0_14default_configENS1_25partition_config_selectorILNS1_17partition_subalgoE8EmNS0_10empty_typeEbEEZZNS1_14partition_implILS5_8ELb0ES3_jPKmPS6_PKS6_NS0_5tupleIJPmS6_EEENSE_IJSB_SB_EEENS0_18inequality_wrapperIN6hipcub16HIPCUB_304000_NS8EqualityEEEPlJS6_EEE10hipError_tPvRmT3_T4_T5_T6_T7_T9_mT8_P12ihipStream_tbDpT10_ENKUlT_T0_E_clISt17integral_constantIbLb1EES16_IbLb0EEEEDaS12_S13_EUlS12_E_NS1_11comp_targetILNS1_3genE3ELNS1_11target_archE908ELNS1_3gpuE7ELNS1_3repE0EEENS1_30default_config_static_selectorELNS0_4arch9wavefront6targetE1EEEvT1_,comdat
.Lfunc_end705:
	.size	_ZN7rocprim17ROCPRIM_400000_NS6detail17trampoline_kernelINS0_14default_configENS1_25partition_config_selectorILNS1_17partition_subalgoE8EmNS0_10empty_typeEbEEZZNS1_14partition_implILS5_8ELb0ES3_jPKmPS6_PKS6_NS0_5tupleIJPmS6_EEENSE_IJSB_SB_EEENS0_18inequality_wrapperIN6hipcub16HIPCUB_304000_NS8EqualityEEEPlJS6_EEE10hipError_tPvRmT3_T4_T5_T6_T7_T9_mT8_P12ihipStream_tbDpT10_ENKUlT_T0_E_clISt17integral_constantIbLb1EES16_IbLb0EEEEDaS12_S13_EUlS12_E_NS1_11comp_targetILNS1_3genE3ELNS1_11target_archE908ELNS1_3gpuE7ELNS1_3repE0EEENS1_30default_config_static_selectorELNS0_4arch9wavefront6targetE1EEEvT1_, .Lfunc_end705-_ZN7rocprim17ROCPRIM_400000_NS6detail17trampoline_kernelINS0_14default_configENS1_25partition_config_selectorILNS1_17partition_subalgoE8EmNS0_10empty_typeEbEEZZNS1_14partition_implILS5_8ELb0ES3_jPKmPS6_PKS6_NS0_5tupleIJPmS6_EEENSE_IJSB_SB_EEENS0_18inequality_wrapperIN6hipcub16HIPCUB_304000_NS8EqualityEEEPlJS6_EEE10hipError_tPvRmT3_T4_T5_T6_T7_T9_mT8_P12ihipStream_tbDpT10_ENKUlT_T0_E_clISt17integral_constantIbLb1EES16_IbLb0EEEEDaS12_S13_EUlS12_E_NS1_11comp_targetILNS1_3genE3ELNS1_11target_archE908ELNS1_3gpuE7ELNS1_3repE0EEENS1_30default_config_static_selectorELNS0_4arch9wavefront6targetE1EEEvT1_
                                        ; -- End function
	.section	.AMDGPU.csdata,"",@progbits
; Kernel info:
; codeLenInByte = 0
; NumSgprs: 6
; NumVgprs: 0
; NumAgprs: 0
; TotalNumVgprs: 0
; ScratchSize: 0
; MemoryBound: 0
; FloatMode: 240
; IeeeMode: 1
; LDSByteSize: 0 bytes/workgroup (compile time only)
; SGPRBlocks: 0
; VGPRBlocks: 0
; NumSGPRsForWavesPerEU: 6
; NumVGPRsForWavesPerEU: 1
; AccumOffset: 4
; Occupancy: 8
; WaveLimiterHint : 0
; COMPUTE_PGM_RSRC2:SCRATCH_EN: 0
; COMPUTE_PGM_RSRC2:USER_SGPR: 2
; COMPUTE_PGM_RSRC2:TRAP_HANDLER: 0
; COMPUTE_PGM_RSRC2:TGID_X_EN: 1
; COMPUTE_PGM_RSRC2:TGID_Y_EN: 0
; COMPUTE_PGM_RSRC2:TGID_Z_EN: 0
; COMPUTE_PGM_RSRC2:TIDIG_COMP_CNT: 0
; COMPUTE_PGM_RSRC3_GFX90A:ACCUM_OFFSET: 0
; COMPUTE_PGM_RSRC3_GFX90A:TG_SPLIT: 0
	.section	.text._ZN7rocprim17ROCPRIM_400000_NS6detail17trampoline_kernelINS0_14default_configENS1_25partition_config_selectorILNS1_17partition_subalgoE8EmNS0_10empty_typeEbEEZZNS1_14partition_implILS5_8ELb0ES3_jPKmPS6_PKS6_NS0_5tupleIJPmS6_EEENSE_IJSB_SB_EEENS0_18inequality_wrapperIN6hipcub16HIPCUB_304000_NS8EqualityEEEPlJS6_EEE10hipError_tPvRmT3_T4_T5_T6_T7_T9_mT8_P12ihipStream_tbDpT10_ENKUlT_T0_E_clISt17integral_constantIbLb1EES16_IbLb0EEEEDaS12_S13_EUlS12_E_NS1_11comp_targetILNS1_3genE2ELNS1_11target_archE906ELNS1_3gpuE6ELNS1_3repE0EEENS1_30default_config_static_selectorELNS0_4arch9wavefront6targetE1EEEvT1_,"axG",@progbits,_ZN7rocprim17ROCPRIM_400000_NS6detail17trampoline_kernelINS0_14default_configENS1_25partition_config_selectorILNS1_17partition_subalgoE8EmNS0_10empty_typeEbEEZZNS1_14partition_implILS5_8ELb0ES3_jPKmPS6_PKS6_NS0_5tupleIJPmS6_EEENSE_IJSB_SB_EEENS0_18inequality_wrapperIN6hipcub16HIPCUB_304000_NS8EqualityEEEPlJS6_EEE10hipError_tPvRmT3_T4_T5_T6_T7_T9_mT8_P12ihipStream_tbDpT10_ENKUlT_T0_E_clISt17integral_constantIbLb1EES16_IbLb0EEEEDaS12_S13_EUlS12_E_NS1_11comp_targetILNS1_3genE2ELNS1_11target_archE906ELNS1_3gpuE6ELNS1_3repE0EEENS1_30default_config_static_selectorELNS0_4arch9wavefront6targetE1EEEvT1_,comdat
	.protected	_ZN7rocprim17ROCPRIM_400000_NS6detail17trampoline_kernelINS0_14default_configENS1_25partition_config_selectorILNS1_17partition_subalgoE8EmNS0_10empty_typeEbEEZZNS1_14partition_implILS5_8ELb0ES3_jPKmPS6_PKS6_NS0_5tupleIJPmS6_EEENSE_IJSB_SB_EEENS0_18inequality_wrapperIN6hipcub16HIPCUB_304000_NS8EqualityEEEPlJS6_EEE10hipError_tPvRmT3_T4_T5_T6_T7_T9_mT8_P12ihipStream_tbDpT10_ENKUlT_T0_E_clISt17integral_constantIbLb1EES16_IbLb0EEEEDaS12_S13_EUlS12_E_NS1_11comp_targetILNS1_3genE2ELNS1_11target_archE906ELNS1_3gpuE6ELNS1_3repE0EEENS1_30default_config_static_selectorELNS0_4arch9wavefront6targetE1EEEvT1_ ; -- Begin function _ZN7rocprim17ROCPRIM_400000_NS6detail17trampoline_kernelINS0_14default_configENS1_25partition_config_selectorILNS1_17partition_subalgoE8EmNS0_10empty_typeEbEEZZNS1_14partition_implILS5_8ELb0ES3_jPKmPS6_PKS6_NS0_5tupleIJPmS6_EEENSE_IJSB_SB_EEENS0_18inequality_wrapperIN6hipcub16HIPCUB_304000_NS8EqualityEEEPlJS6_EEE10hipError_tPvRmT3_T4_T5_T6_T7_T9_mT8_P12ihipStream_tbDpT10_ENKUlT_T0_E_clISt17integral_constantIbLb1EES16_IbLb0EEEEDaS12_S13_EUlS12_E_NS1_11comp_targetILNS1_3genE2ELNS1_11target_archE906ELNS1_3gpuE6ELNS1_3repE0EEENS1_30default_config_static_selectorELNS0_4arch9wavefront6targetE1EEEvT1_
	.globl	_ZN7rocprim17ROCPRIM_400000_NS6detail17trampoline_kernelINS0_14default_configENS1_25partition_config_selectorILNS1_17partition_subalgoE8EmNS0_10empty_typeEbEEZZNS1_14partition_implILS5_8ELb0ES3_jPKmPS6_PKS6_NS0_5tupleIJPmS6_EEENSE_IJSB_SB_EEENS0_18inequality_wrapperIN6hipcub16HIPCUB_304000_NS8EqualityEEEPlJS6_EEE10hipError_tPvRmT3_T4_T5_T6_T7_T9_mT8_P12ihipStream_tbDpT10_ENKUlT_T0_E_clISt17integral_constantIbLb1EES16_IbLb0EEEEDaS12_S13_EUlS12_E_NS1_11comp_targetILNS1_3genE2ELNS1_11target_archE906ELNS1_3gpuE6ELNS1_3repE0EEENS1_30default_config_static_selectorELNS0_4arch9wavefront6targetE1EEEvT1_
	.p2align	8
	.type	_ZN7rocprim17ROCPRIM_400000_NS6detail17trampoline_kernelINS0_14default_configENS1_25partition_config_selectorILNS1_17partition_subalgoE8EmNS0_10empty_typeEbEEZZNS1_14partition_implILS5_8ELb0ES3_jPKmPS6_PKS6_NS0_5tupleIJPmS6_EEENSE_IJSB_SB_EEENS0_18inequality_wrapperIN6hipcub16HIPCUB_304000_NS8EqualityEEEPlJS6_EEE10hipError_tPvRmT3_T4_T5_T6_T7_T9_mT8_P12ihipStream_tbDpT10_ENKUlT_T0_E_clISt17integral_constantIbLb1EES16_IbLb0EEEEDaS12_S13_EUlS12_E_NS1_11comp_targetILNS1_3genE2ELNS1_11target_archE906ELNS1_3gpuE6ELNS1_3repE0EEENS1_30default_config_static_selectorELNS0_4arch9wavefront6targetE1EEEvT1_,@function
_ZN7rocprim17ROCPRIM_400000_NS6detail17trampoline_kernelINS0_14default_configENS1_25partition_config_selectorILNS1_17partition_subalgoE8EmNS0_10empty_typeEbEEZZNS1_14partition_implILS5_8ELb0ES3_jPKmPS6_PKS6_NS0_5tupleIJPmS6_EEENSE_IJSB_SB_EEENS0_18inequality_wrapperIN6hipcub16HIPCUB_304000_NS8EqualityEEEPlJS6_EEE10hipError_tPvRmT3_T4_T5_T6_T7_T9_mT8_P12ihipStream_tbDpT10_ENKUlT_T0_E_clISt17integral_constantIbLb1EES16_IbLb0EEEEDaS12_S13_EUlS12_E_NS1_11comp_targetILNS1_3genE2ELNS1_11target_archE906ELNS1_3gpuE6ELNS1_3repE0EEENS1_30default_config_static_selectorELNS0_4arch9wavefront6targetE1EEEvT1_: ; @_ZN7rocprim17ROCPRIM_400000_NS6detail17trampoline_kernelINS0_14default_configENS1_25partition_config_selectorILNS1_17partition_subalgoE8EmNS0_10empty_typeEbEEZZNS1_14partition_implILS5_8ELb0ES3_jPKmPS6_PKS6_NS0_5tupleIJPmS6_EEENSE_IJSB_SB_EEENS0_18inequality_wrapperIN6hipcub16HIPCUB_304000_NS8EqualityEEEPlJS6_EEE10hipError_tPvRmT3_T4_T5_T6_T7_T9_mT8_P12ihipStream_tbDpT10_ENKUlT_T0_E_clISt17integral_constantIbLb1EES16_IbLb0EEEEDaS12_S13_EUlS12_E_NS1_11comp_targetILNS1_3genE2ELNS1_11target_archE906ELNS1_3gpuE6ELNS1_3repE0EEENS1_30default_config_static_selectorELNS0_4arch9wavefront6targetE1EEEvT1_
; %bb.0:
	.section	.rodata,"a",@progbits
	.p2align	6, 0x0
	.amdhsa_kernel _ZN7rocprim17ROCPRIM_400000_NS6detail17trampoline_kernelINS0_14default_configENS1_25partition_config_selectorILNS1_17partition_subalgoE8EmNS0_10empty_typeEbEEZZNS1_14partition_implILS5_8ELb0ES3_jPKmPS6_PKS6_NS0_5tupleIJPmS6_EEENSE_IJSB_SB_EEENS0_18inequality_wrapperIN6hipcub16HIPCUB_304000_NS8EqualityEEEPlJS6_EEE10hipError_tPvRmT3_T4_T5_T6_T7_T9_mT8_P12ihipStream_tbDpT10_ENKUlT_T0_E_clISt17integral_constantIbLb1EES16_IbLb0EEEEDaS12_S13_EUlS12_E_NS1_11comp_targetILNS1_3genE2ELNS1_11target_archE906ELNS1_3gpuE6ELNS1_3repE0EEENS1_30default_config_static_selectorELNS0_4arch9wavefront6targetE1EEEvT1_
		.amdhsa_group_segment_fixed_size 0
		.amdhsa_private_segment_fixed_size 0
		.amdhsa_kernarg_size 112
		.amdhsa_user_sgpr_count 2
		.amdhsa_user_sgpr_dispatch_ptr 0
		.amdhsa_user_sgpr_queue_ptr 0
		.amdhsa_user_sgpr_kernarg_segment_ptr 1
		.amdhsa_user_sgpr_dispatch_id 0
		.amdhsa_user_sgpr_kernarg_preload_length 0
		.amdhsa_user_sgpr_kernarg_preload_offset 0
		.amdhsa_user_sgpr_private_segment_size 0
		.amdhsa_uses_dynamic_stack 0
		.amdhsa_enable_private_segment 0
		.amdhsa_system_sgpr_workgroup_id_x 1
		.amdhsa_system_sgpr_workgroup_id_y 0
		.amdhsa_system_sgpr_workgroup_id_z 0
		.amdhsa_system_sgpr_workgroup_info 0
		.amdhsa_system_vgpr_workitem_id 0
		.amdhsa_next_free_vgpr 1
		.amdhsa_next_free_sgpr 0
		.amdhsa_accum_offset 4
		.amdhsa_reserve_vcc 0
		.amdhsa_float_round_mode_32 0
		.amdhsa_float_round_mode_16_64 0
		.amdhsa_float_denorm_mode_32 3
		.amdhsa_float_denorm_mode_16_64 3
		.amdhsa_dx10_clamp 1
		.amdhsa_ieee_mode 1
		.amdhsa_fp16_overflow 0
		.amdhsa_tg_split 0
		.amdhsa_exception_fp_ieee_invalid_op 0
		.amdhsa_exception_fp_denorm_src 0
		.amdhsa_exception_fp_ieee_div_zero 0
		.amdhsa_exception_fp_ieee_overflow 0
		.amdhsa_exception_fp_ieee_underflow 0
		.amdhsa_exception_fp_ieee_inexact 0
		.amdhsa_exception_int_div_zero 0
	.end_amdhsa_kernel
	.section	.text._ZN7rocprim17ROCPRIM_400000_NS6detail17trampoline_kernelINS0_14default_configENS1_25partition_config_selectorILNS1_17partition_subalgoE8EmNS0_10empty_typeEbEEZZNS1_14partition_implILS5_8ELb0ES3_jPKmPS6_PKS6_NS0_5tupleIJPmS6_EEENSE_IJSB_SB_EEENS0_18inequality_wrapperIN6hipcub16HIPCUB_304000_NS8EqualityEEEPlJS6_EEE10hipError_tPvRmT3_T4_T5_T6_T7_T9_mT8_P12ihipStream_tbDpT10_ENKUlT_T0_E_clISt17integral_constantIbLb1EES16_IbLb0EEEEDaS12_S13_EUlS12_E_NS1_11comp_targetILNS1_3genE2ELNS1_11target_archE906ELNS1_3gpuE6ELNS1_3repE0EEENS1_30default_config_static_selectorELNS0_4arch9wavefront6targetE1EEEvT1_,"axG",@progbits,_ZN7rocprim17ROCPRIM_400000_NS6detail17trampoline_kernelINS0_14default_configENS1_25partition_config_selectorILNS1_17partition_subalgoE8EmNS0_10empty_typeEbEEZZNS1_14partition_implILS5_8ELb0ES3_jPKmPS6_PKS6_NS0_5tupleIJPmS6_EEENSE_IJSB_SB_EEENS0_18inequality_wrapperIN6hipcub16HIPCUB_304000_NS8EqualityEEEPlJS6_EEE10hipError_tPvRmT3_T4_T5_T6_T7_T9_mT8_P12ihipStream_tbDpT10_ENKUlT_T0_E_clISt17integral_constantIbLb1EES16_IbLb0EEEEDaS12_S13_EUlS12_E_NS1_11comp_targetILNS1_3genE2ELNS1_11target_archE906ELNS1_3gpuE6ELNS1_3repE0EEENS1_30default_config_static_selectorELNS0_4arch9wavefront6targetE1EEEvT1_,comdat
.Lfunc_end706:
	.size	_ZN7rocprim17ROCPRIM_400000_NS6detail17trampoline_kernelINS0_14default_configENS1_25partition_config_selectorILNS1_17partition_subalgoE8EmNS0_10empty_typeEbEEZZNS1_14partition_implILS5_8ELb0ES3_jPKmPS6_PKS6_NS0_5tupleIJPmS6_EEENSE_IJSB_SB_EEENS0_18inequality_wrapperIN6hipcub16HIPCUB_304000_NS8EqualityEEEPlJS6_EEE10hipError_tPvRmT3_T4_T5_T6_T7_T9_mT8_P12ihipStream_tbDpT10_ENKUlT_T0_E_clISt17integral_constantIbLb1EES16_IbLb0EEEEDaS12_S13_EUlS12_E_NS1_11comp_targetILNS1_3genE2ELNS1_11target_archE906ELNS1_3gpuE6ELNS1_3repE0EEENS1_30default_config_static_selectorELNS0_4arch9wavefront6targetE1EEEvT1_, .Lfunc_end706-_ZN7rocprim17ROCPRIM_400000_NS6detail17trampoline_kernelINS0_14default_configENS1_25partition_config_selectorILNS1_17partition_subalgoE8EmNS0_10empty_typeEbEEZZNS1_14partition_implILS5_8ELb0ES3_jPKmPS6_PKS6_NS0_5tupleIJPmS6_EEENSE_IJSB_SB_EEENS0_18inequality_wrapperIN6hipcub16HIPCUB_304000_NS8EqualityEEEPlJS6_EEE10hipError_tPvRmT3_T4_T5_T6_T7_T9_mT8_P12ihipStream_tbDpT10_ENKUlT_T0_E_clISt17integral_constantIbLb1EES16_IbLb0EEEEDaS12_S13_EUlS12_E_NS1_11comp_targetILNS1_3genE2ELNS1_11target_archE906ELNS1_3gpuE6ELNS1_3repE0EEENS1_30default_config_static_selectorELNS0_4arch9wavefront6targetE1EEEvT1_
                                        ; -- End function
	.section	.AMDGPU.csdata,"",@progbits
; Kernel info:
; codeLenInByte = 0
; NumSgprs: 6
; NumVgprs: 0
; NumAgprs: 0
; TotalNumVgprs: 0
; ScratchSize: 0
; MemoryBound: 0
; FloatMode: 240
; IeeeMode: 1
; LDSByteSize: 0 bytes/workgroup (compile time only)
; SGPRBlocks: 0
; VGPRBlocks: 0
; NumSGPRsForWavesPerEU: 6
; NumVGPRsForWavesPerEU: 1
; AccumOffset: 4
; Occupancy: 8
; WaveLimiterHint : 0
; COMPUTE_PGM_RSRC2:SCRATCH_EN: 0
; COMPUTE_PGM_RSRC2:USER_SGPR: 2
; COMPUTE_PGM_RSRC2:TRAP_HANDLER: 0
; COMPUTE_PGM_RSRC2:TGID_X_EN: 1
; COMPUTE_PGM_RSRC2:TGID_Y_EN: 0
; COMPUTE_PGM_RSRC2:TGID_Z_EN: 0
; COMPUTE_PGM_RSRC2:TIDIG_COMP_CNT: 0
; COMPUTE_PGM_RSRC3_GFX90A:ACCUM_OFFSET: 0
; COMPUTE_PGM_RSRC3_GFX90A:TG_SPLIT: 0
	.section	.text._ZN7rocprim17ROCPRIM_400000_NS6detail17trampoline_kernelINS0_14default_configENS1_25partition_config_selectorILNS1_17partition_subalgoE8EmNS0_10empty_typeEbEEZZNS1_14partition_implILS5_8ELb0ES3_jPKmPS6_PKS6_NS0_5tupleIJPmS6_EEENSE_IJSB_SB_EEENS0_18inequality_wrapperIN6hipcub16HIPCUB_304000_NS8EqualityEEEPlJS6_EEE10hipError_tPvRmT3_T4_T5_T6_T7_T9_mT8_P12ihipStream_tbDpT10_ENKUlT_T0_E_clISt17integral_constantIbLb1EES16_IbLb0EEEEDaS12_S13_EUlS12_E_NS1_11comp_targetILNS1_3genE10ELNS1_11target_archE1200ELNS1_3gpuE4ELNS1_3repE0EEENS1_30default_config_static_selectorELNS0_4arch9wavefront6targetE1EEEvT1_,"axG",@progbits,_ZN7rocprim17ROCPRIM_400000_NS6detail17trampoline_kernelINS0_14default_configENS1_25partition_config_selectorILNS1_17partition_subalgoE8EmNS0_10empty_typeEbEEZZNS1_14partition_implILS5_8ELb0ES3_jPKmPS6_PKS6_NS0_5tupleIJPmS6_EEENSE_IJSB_SB_EEENS0_18inequality_wrapperIN6hipcub16HIPCUB_304000_NS8EqualityEEEPlJS6_EEE10hipError_tPvRmT3_T4_T5_T6_T7_T9_mT8_P12ihipStream_tbDpT10_ENKUlT_T0_E_clISt17integral_constantIbLb1EES16_IbLb0EEEEDaS12_S13_EUlS12_E_NS1_11comp_targetILNS1_3genE10ELNS1_11target_archE1200ELNS1_3gpuE4ELNS1_3repE0EEENS1_30default_config_static_selectorELNS0_4arch9wavefront6targetE1EEEvT1_,comdat
	.protected	_ZN7rocprim17ROCPRIM_400000_NS6detail17trampoline_kernelINS0_14default_configENS1_25partition_config_selectorILNS1_17partition_subalgoE8EmNS0_10empty_typeEbEEZZNS1_14partition_implILS5_8ELb0ES3_jPKmPS6_PKS6_NS0_5tupleIJPmS6_EEENSE_IJSB_SB_EEENS0_18inequality_wrapperIN6hipcub16HIPCUB_304000_NS8EqualityEEEPlJS6_EEE10hipError_tPvRmT3_T4_T5_T6_T7_T9_mT8_P12ihipStream_tbDpT10_ENKUlT_T0_E_clISt17integral_constantIbLb1EES16_IbLb0EEEEDaS12_S13_EUlS12_E_NS1_11comp_targetILNS1_3genE10ELNS1_11target_archE1200ELNS1_3gpuE4ELNS1_3repE0EEENS1_30default_config_static_selectorELNS0_4arch9wavefront6targetE1EEEvT1_ ; -- Begin function _ZN7rocprim17ROCPRIM_400000_NS6detail17trampoline_kernelINS0_14default_configENS1_25partition_config_selectorILNS1_17partition_subalgoE8EmNS0_10empty_typeEbEEZZNS1_14partition_implILS5_8ELb0ES3_jPKmPS6_PKS6_NS0_5tupleIJPmS6_EEENSE_IJSB_SB_EEENS0_18inequality_wrapperIN6hipcub16HIPCUB_304000_NS8EqualityEEEPlJS6_EEE10hipError_tPvRmT3_T4_T5_T6_T7_T9_mT8_P12ihipStream_tbDpT10_ENKUlT_T0_E_clISt17integral_constantIbLb1EES16_IbLb0EEEEDaS12_S13_EUlS12_E_NS1_11comp_targetILNS1_3genE10ELNS1_11target_archE1200ELNS1_3gpuE4ELNS1_3repE0EEENS1_30default_config_static_selectorELNS0_4arch9wavefront6targetE1EEEvT1_
	.globl	_ZN7rocprim17ROCPRIM_400000_NS6detail17trampoline_kernelINS0_14default_configENS1_25partition_config_selectorILNS1_17partition_subalgoE8EmNS0_10empty_typeEbEEZZNS1_14partition_implILS5_8ELb0ES3_jPKmPS6_PKS6_NS0_5tupleIJPmS6_EEENSE_IJSB_SB_EEENS0_18inequality_wrapperIN6hipcub16HIPCUB_304000_NS8EqualityEEEPlJS6_EEE10hipError_tPvRmT3_T4_T5_T6_T7_T9_mT8_P12ihipStream_tbDpT10_ENKUlT_T0_E_clISt17integral_constantIbLb1EES16_IbLb0EEEEDaS12_S13_EUlS12_E_NS1_11comp_targetILNS1_3genE10ELNS1_11target_archE1200ELNS1_3gpuE4ELNS1_3repE0EEENS1_30default_config_static_selectorELNS0_4arch9wavefront6targetE1EEEvT1_
	.p2align	8
	.type	_ZN7rocprim17ROCPRIM_400000_NS6detail17trampoline_kernelINS0_14default_configENS1_25partition_config_selectorILNS1_17partition_subalgoE8EmNS0_10empty_typeEbEEZZNS1_14partition_implILS5_8ELb0ES3_jPKmPS6_PKS6_NS0_5tupleIJPmS6_EEENSE_IJSB_SB_EEENS0_18inequality_wrapperIN6hipcub16HIPCUB_304000_NS8EqualityEEEPlJS6_EEE10hipError_tPvRmT3_T4_T5_T6_T7_T9_mT8_P12ihipStream_tbDpT10_ENKUlT_T0_E_clISt17integral_constantIbLb1EES16_IbLb0EEEEDaS12_S13_EUlS12_E_NS1_11comp_targetILNS1_3genE10ELNS1_11target_archE1200ELNS1_3gpuE4ELNS1_3repE0EEENS1_30default_config_static_selectorELNS0_4arch9wavefront6targetE1EEEvT1_,@function
_ZN7rocprim17ROCPRIM_400000_NS6detail17trampoline_kernelINS0_14default_configENS1_25partition_config_selectorILNS1_17partition_subalgoE8EmNS0_10empty_typeEbEEZZNS1_14partition_implILS5_8ELb0ES3_jPKmPS6_PKS6_NS0_5tupleIJPmS6_EEENSE_IJSB_SB_EEENS0_18inequality_wrapperIN6hipcub16HIPCUB_304000_NS8EqualityEEEPlJS6_EEE10hipError_tPvRmT3_T4_T5_T6_T7_T9_mT8_P12ihipStream_tbDpT10_ENKUlT_T0_E_clISt17integral_constantIbLb1EES16_IbLb0EEEEDaS12_S13_EUlS12_E_NS1_11comp_targetILNS1_3genE10ELNS1_11target_archE1200ELNS1_3gpuE4ELNS1_3repE0EEENS1_30default_config_static_selectorELNS0_4arch9wavefront6targetE1EEEvT1_: ; @_ZN7rocprim17ROCPRIM_400000_NS6detail17trampoline_kernelINS0_14default_configENS1_25partition_config_selectorILNS1_17partition_subalgoE8EmNS0_10empty_typeEbEEZZNS1_14partition_implILS5_8ELb0ES3_jPKmPS6_PKS6_NS0_5tupleIJPmS6_EEENSE_IJSB_SB_EEENS0_18inequality_wrapperIN6hipcub16HIPCUB_304000_NS8EqualityEEEPlJS6_EEE10hipError_tPvRmT3_T4_T5_T6_T7_T9_mT8_P12ihipStream_tbDpT10_ENKUlT_T0_E_clISt17integral_constantIbLb1EES16_IbLb0EEEEDaS12_S13_EUlS12_E_NS1_11comp_targetILNS1_3genE10ELNS1_11target_archE1200ELNS1_3gpuE4ELNS1_3repE0EEENS1_30default_config_static_selectorELNS0_4arch9wavefront6targetE1EEEvT1_
; %bb.0:
	.section	.rodata,"a",@progbits
	.p2align	6, 0x0
	.amdhsa_kernel _ZN7rocprim17ROCPRIM_400000_NS6detail17trampoline_kernelINS0_14default_configENS1_25partition_config_selectorILNS1_17partition_subalgoE8EmNS0_10empty_typeEbEEZZNS1_14partition_implILS5_8ELb0ES3_jPKmPS6_PKS6_NS0_5tupleIJPmS6_EEENSE_IJSB_SB_EEENS0_18inequality_wrapperIN6hipcub16HIPCUB_304000_NS8EqualityEEEPlJS6_EEE10hipError_tPvRmT3_T4_T5_T6_T7_T9_mT8_P12ihipStream_tbDpT10_ENKUlT_T0_E_clISt17integral_constantIbLb1EES16_IbLb0EEEEDaS12_S13_EUlS12_E_NS1_11comp_targetILNS1_3genE10ELNS1_11target_archE1200ELNS1_3gpuE4ELNS1_3repE0EEENS1_30default_config_static_selectorELNS0_4arch9wavefront6targetE1EEEvT1_
		.amdhsa_group_segment_fixed_size 0
		.amdhsa_private_segment_fixed_size 0
		.amdhsa_kernarg_size 112
		.amdhsa_user_sgpr_count 2
		.amdhsa_user_sgpr_dispatch_ptr 0
		.amdhsa_user_sgpr_queue_ptr 0
		.amdhsa_user_sgpr_kernarg_segment_ptr 1
		.amdhsa_user_sgpr_dispatch_id 0
		.amdhsa_user_sgpr_kernarg_preload_length 0
		.amdhsa_user_sgpr_kernarg_preload_offset 0
		.amdhsa_user_sgpr_private_segment_size 0
		.amdhsa_uses_dynamic_stack 0
		.amdhsa_enable_private_segment 0
		.amdhsa_system_sgpr_workgroup_id_x 1
		.amdhsa_system_sgpr_workgroup_id_y 0
		.amdhsa_system_sgpr_workgroup_id_z 0
		.amdhsa_system_sgpr_workgroup_info 0
		.amdhsa_system_vgpr_workitem_id 0
		.amdhsa_next_free_vgpr 1
		.amdhsa_next_free_sgpr 0
		.amdhsa_accum_offset 4
		.amdhsa_reserve_vcc 0
		.amdhsa_float_round_mode_32 0
		.amdhsa_float_round_mode_16_64 0
		.amdhsa_float_denorm_mode_32 3
		.amdhsa_float_denorm_mode_16_64 3
		.amdhsa_dx10_clamp 1
		.amdhsa_ieee_mode 1
		.amdhsa_fp16_overflow 0
		.amdhsa_tg_split 0
		.amdhsa_exception_fp_ieee_invalid_op 0
		.amdhsa_exception_fp_denorm_src 0
		.amdhsa_exception_fp_ieee_div_zero 0
		.amdhsa_exception_fp_ieee_overflow 0
		.amdhsa_exception_fp_ieee_underflow 0
		.amdhsa_exception_fp_ieee_inexact 0
		.amdhsa_exception_int_div_zero 0
	.end_amdhsa_kernel
	.section	.text._ZN7rocprim17ROCPRIM_400000_NS6detail17trampoline_kernelINS0_14default_configENS1_25partition_config_selectorILNS1_17partition_subalgoE8EmNS0_10empty_typeEbEEZZNS1_14partition_implILS5_8ELb0ES3_jPKmPS6_PKS6_NS0_5tupleIJPmS6_EEENSE_IJSB_SB_EEENS0_18inequality_wrapperIN6hipcub16HIPCUB_304000_NS8EqualityEEEPlJS6_EEE10hipError_tPvRmT3_T4_T5_T6_T7_T9_mT8_P12ihipStream_tbDpT10_ENKUlT_T0_E_clISt17integral_constantIbLb1EES16_IbLb0EEEEDaS12_S13_EUlS12_E_NS1_11comp_targetILNS1_3genE10ELNS1_11target_archE1200ELNS1_3gpuE4ELNS1_3repE0EEENS1_30default_config_static_selectorELNS0_4arch9wavefront6targetE1EEEvT1_,"axG",@progbits,_ZN7rocprim17ROCPRIM_400000_NS6detail17trampoline_kernelINS0_14default_configENS1_25partition_config_selectorILNS1_17partition_subalgoE8EmNS0_10empty_typeEbEEZZNS1_14partition_implILS5_8ELb0ES3_jPKmPS6_PKS6_NS0_5tupleIJPmS6_EEENSE_IJSB_SB_EEENS0_18inequality_wrapperIN6hipcub16HIPCUB_304000_NS8EqualityEEEPlJS6_EEE10hipError_tPvRmT3_T4_T5_T6_T7_T9_mT8_P12ihipStream_tbDpT10_ENKUlT_T0_E_clISt17integral_constantIbLb1EES16_IbLb0EEEEDaS12_S13_EUlS12_E_NS1_11comp_targetILNS1_3genE10ELNS1_11target_archE1200ELNS1_3gpuE4ELNS1_3repE0EEENS1_30default_config_static_selectorELNS0_4arch9wavefront6targetE1EEEvT1_,comdat
.Lfunc_end707:
	.size	_ZN7rocprim17ROCPRIM_400000_NS6detail17trampoline_kernelINS0_14default_configENS1_25partition_config_selectorILNS1_17partition_subalgoE8EmNS0_10empty_typeEbEEZZNS1_14partition_implILS5_8ELb0ES3_jPKmPS6_PKS6_NS0_5tupleIJPmS6_EEENSE_IJSB_SB_EEENS0_18inequality_wrapperIN6hipcub16HIPCUB_304000_NS8EqualityEEEPlJS6_EEE10hipError_tPvRmT3_T4_T5_T6_T7_T9_mT8_P12ihipStream_tbDpT10_ENKUlT_T0_E_clISt17integral_constantIbLb1EES16_IbLb0EEEEDaS12_S13_EUlS12_E_NS1_11comp_targetILNS1_3genE10ELNS1_11target_archE1200ELNS1_3gpuE4ELNS1_3repE0EEENS1_30default_config_static_selectorELNS0_4arch9wavefront6targetE1EEEvT1_, .Lfunc_end707-_ZN7rocprim17ROCPRIM_400000_NS6detail17trampoline_kernelINS0_14default_configENS1_25partition_config_selectorILNS1_17partition_subalgoE8EmNS0_10empty_typeEbEEZZNS1_14partition_implILS5_8ELb0ES3_jPKmPS6_PKS6_NS0_5tupleIJPmS6_EEENSE_IJSB_SB_EEENS0_18inequality_wrapperIN6hipcub16HIPCUB_304000_NS8EqualityEEEPlJS6_EEE10hipError_tPvRmT3_T4_T5_T6_T7_T9_mT8_P12ihipStream_tbDpT10_ENKUlT_T0_E_clISt17integral_constantIbLb1EES16_IbLb0EEEEDaS12_S13_EUlS12_E_NS1_11comp_targetILNS1_3genE10ELNS1_11target_archE1200ELNS1_3gpuE4ELNS1_3repE0EEENS1_30default_config_static_selectorELNS0_4arch9wavefront6targetE1EEEvT1_
                                        ; -- End function
	.section	.AMDGPU.csdata,"",@progbits
; Kernel info:
; codeLenInByte = 0
; NumSgprs: 6
; NumVgprs: 0
; NumAgprs: 0
; TotalNumVgprs: 0
; ScratchSize: 0
; MemoryBound: 0
; FloatMode: 240
; IeeeMode: 1
; LDSByteSize: 0 bytes/workgroup (compile time only)
; SGPRBlocks: 0
; VGPRBlocks: 0
; NumSGPRsForWavesPerEU: 6
; NumVGPRsForWavesPerEU: 1
; AccumOffset: 4
; Occupancy: 8
; WaveLimiterHint : 0
; COMPUTE_PGM_RSRC2:SCRATCH_EN: 0
; COMPUTE_PGM_RSRC2:USER_SGPR: 2
; COMPUTE_PGM_RSRC2:TRAP_HANDLER: 0
; COMPUTE_PGM_RSRC2:TGID_X_EN: 1
; COMPUTE_PGM_RSRC2:TGID_Y_EN: 0
; COMPUTE_PGM_RSRC2:TGID_Z_EN: 0
; COMPUTE_PGM_RSRC2:TIDIG_COMP_CNT: 0
; COMPUTE_PGM_RSRC3_GFX90A:ACCUM_OFFSET: 0
; COMPUTE_PGM_RSRC3_GFX90A:TG_SPLIT: 0
	.section	.text._ZN7rocprim17ROCPRIM_400000_NS6detail17trampoline_kernelINS0_14default_configENS1_25partition_config_selectorILNS1_17partition_subalgoE8EmNS0_10empty_typeEbEEZZNS1_14partition_implILS5_8ELb0ES3_jPKmPS6_PKS6_NS0_5tupleIJPmS6_EEENSE_IJSB_SB_EEENS0_18inequality_wrapperIN6hipcub16HIPCUB_304000_NS8EqualityEEEPlJS6_EEE10hipError_tPvRmT3_T4_T5_T6_T7_T9_mT8_P12ihipStream_tbDpT10_ENKUlT_T0_E_clISt17integral_constantIbLb1EES16_IbLb0EEEEDaS12_S13_EUlS12_E_NS1_11comp_targetILNS1_3genE9ELNS1_11target_archE1100ELNS1_3gpuE3ELNS1_3repE0EEENS1_30default_config_static_selectorELNS0_4arch9wavefront6targetE1EEEvT1_,"axG",@progbits,_ZN7rocprim17ROCPRIM_400000_NS6detail17trampoline_kernelINS0_14default_configENS1_25partition_config_selectorILNS1_17partition_subalgoE8EmNS0_10empty_typeEbEEZZNS1_14partition_implILS5_8ELb0ES3_jPKmPS6_PKS6_NS0_5tupleIJPmS6_EEENSE_IJSB_SB_EEENS0_18inequality_wrapperIN6hipcub16HIPCUB_304000_NS8EqualityEEEPlJS6_EEE10hipError_tPvRmT3_T4_T5_T6_T7_T9_mT8_P12ihipStream_tbDpT10_ENKUlT_T0_E_clISt17integral_constantIbLb1EES16_IbLb0EEEEDaS12_S13_EUlS12_E_NS1_11comp_targetILNS1_3genE9ELNS1_11target_archE1100ELNS1_3gpuE3ELNS1_3repE0EEENS1_30default_config_static_selectorELNS0_4arch9wavefront6targetE1EEEvT1_,comdat
	.protected	_ZN7rocprim17ROCPRIM_400000_NS6detail17trampoline_kernelINS0_14default_configENS1_25partition_config_selectorILNS1_17partition_subalgoE8EmNS0_10empty_typeEbEEZZNS1_14partition_implILS5_8ELb0ES3_jPKmPS6_PKS6_NS0_5tupleIJPmS6_EEENSE_IJSB_SB_EEENS0_18inequality_wrapperIN6hipcub16HIPCUB_304000_NS8EqualityEEEPlJS6_EEE10hipError_tPvRmT3_T4_T5_T6_T7_T9_mT8_P12ihipStream_tbDpT10_ENKUlT_T0_E_clISt17integral_constantIbLb1EES16_IbLb0EEEEDaS12_S13_EUlS12_E_NS1_11comp_targetILNS1_3genE9ELNS1_11target_archE1100ELNS1_3gpuE3ELNS1_3repE0EEENS1_30default_config_static_selectorELNS0_4arch9wavefront6targetE1EEEvT1_ ; -- Begin function _ZN7rocprim17ROCPRIM_400000_NS6detail17trampoline_kernelINS0_14default_configENS1_25partition_config_selectorILNS1_17partition_subalgoE8EmNS0_10empty_typeEbEEZZNS1_14partition_implILS5_8ELb0ES3_jPKmPS6_PKS6_NS0_5tupleIJPmS6_EEENSE_IJSB_SB_EEENS0_18inequality_wrapperIN6hipcub16HIPCUB_304000_NS8EqualityEEEPlJS6_EEE10hipError_tPvRmT3_T4_T5_T6_T7_T9_mT8_P12ihipStream_tbDpT10_ENKUlT_T0_E_clISt17integral_constantIbLb1EES16_IbLb0EEEEDaS12_S13_EUlS12_E_NS1_11comp_targetILNS1_3genE9ELNS1_11target_archE1100ELNS1_3gpuE3ELNS1_3repE0EEENS1_30default_config_static_selectorELNS0_4arch9wavefront6targetE1EEEvT1_
	.globl	_ZN7rocprim17ROCPRIM_400000_NS6detail17trampoline_kernelINS0_14default_configENS1_25partition_config_selectorILNS1_17partition_subalgoE8EmNS0_10empty_typeEbEEZZNS1_14partition_implILS5_8ELb0ES3_jPKmPS6_PKS6_NS0_5tupleIJPmS6_EEENSE_IJSB_SB_EEENS0_18inequality_wrapperIN6hipcub16HIPCUB_304000_NS8EqualityEEEPlJS6_EEE10hipError_tPvRmT3_T4_T5_T6_T7_T9_mT8_P12ihipStream_tbDpT10_ENKUlT_T0_E_clISt17integral_constantIbLb1EES16_IbLb0EEEEDaS12_S13_EUlS12_E_NS1_11comp_targetILNS1_3genE9ELNS1_11target_archE1100ELNS1_3gpuE3ELNS1_3repE0EEENS1_30default_config_static_selectorELNS0_4arch9wavefront6targetE1EEEvT1_
	.p2align	8
	.type	_ZN7rocprim17ROCPRIM_400000_NS6detail17trampoline_kernelINS0_14default_configENS1_25partition_config_selectorILNS1_17partition_subalgoE8EmNS0_10empty_typeEbEEZZNS1_14partition_implILS5_8ELb0ES3_jPKmPS6_PKS6_NS0_5tupleIJPmS6_EEENSE_IJSB_SB_EEENS0_18inequality_wrapperIN6hipcub16HIPCUB_304000_NS8EqualityEEEPlJS6_EEE10hipError_tPvRmT3_T4_T5_T6_T7_T9_mT8_P12ihipStream_tbDpT10_ENKUlT_T0_E_clISt17integral_constantIbLb1EES16_IbLb0EEEEDaS12_S13_EUlS12_E_NS1_11comp_targetILNS1_3genE9ELNS1_11target_archE1100ELNS1_3gpuE3ELNS1_3repE0EEENS1_30default_config_static_selectorELNS0_4arch9wavefront6targetE1EEEvT1_,@function
_ZN7rocprim17ROCPRIM_400000_NS6detail17trampoline_kernelINS0_14default_configENS1_25partition_config_selectorILNS1_17partition_subalgoE8EmNS0_10empty_typeEbEEZZNS1_14partition_implILS5_8ELb0ES3_jPKmPS6_PKS6_NS0_5tupleIJPmS6_EEENSE_IJSB_SB_EEENS0_18inequality_wrapperIN6hipcub16HIPCUB_304000_NS8EqualityEEEPlJS6_EEE10hipError_tPvRmT3_T4_T5_T6_T7_T9_mT8_P12ihipStream_tbDpT10_ENKUlT_T0_E_clISt17integral_constantIbLb1EES16_IbLb0EEEEDaS12_S13_EUlS12_E_NS1_11comp_targetILNS1_3genE9ELNS1_11target_archE1100ELNS1_3gpuE3ELNS1_3repE0EEENS1_30default_config_static_selectorELNS0_4arch9wavefront6targetE1EEEvT1_: ; @_ZN7rocprim17ROCPRIM_400000_NS6detail17trampoline_kernelINS0_14default_configENS1_25partition_config_selectorILNS1_17partition_subalgoE8EmNS0_10empty_typeEbEEZZNS1_14partition_implILS5_8ELb0ES3_jPKmPS6_PKS6_NS0_5tupleIJPmS6_EEENSE_IJSB_SB_EEENS0_18inequality_wrapperIN6hipcub16HIPCUB_304000_NS8EqualityEEEPlJS6_EEE10hipError_tPvRmT3_T4_T5_T6_T7_T9_mT8_P12ihipStream_tbDpT10_ENKUlT_T0_E_clISt17integral_constantIbLb1EES16_IbLb0EEEEDaS12_S13_EUlS12_E_NS1_11comp_targetILNS1_3genE9ELNS1_11target_archE1100ELNS1_3gpuE3ELNS1_3repE0EEENS1_30default_config_static_selectorELNS0_4arch9wavefront6targetE1EEEvT1_
; %bb.0:
	.section	.rodata,"a",@progbits
	.p2align	6, 0x0
	.amdhsa_kernel _ZN7rocprim17ROCPRIM_400000_NS6detail17trampoline_kernelINS0_14default_configENS1_25partition_config_selectorILNS1_17partition_subalgoE8EmNS0_10empty_typeEbEEZZNS1_14partition_implILS5_8ELb0ES3_jPKmPS6_PKS6_NS0_5tupleIJPmS6_EEENSE_IJSB_SB_EEENS0_18inequality_wrapperIN6hipcub16HIPCUB_304000_NS8EqualityEEEPlJS6_EEE10hipError_tPvRmT3_T4_T5_T6_T7_T9_mT8_P12ihipStream_tbDpT10_ENKUlT_T0_E_clISt17integral_constantIbLb1EES16_IbLb0EEEEDaS12_S13_EUlS12_E_NS1_11comp_targetILNS1_3genE9ELNS1_11target_archE1100ELNS1_3gpuE3ELNS1_3repE0EEENS1_30default_config_static_selectorELNS0_4arch9wavefront6targetE1EEEvT1_
		.amdhsa_group_segment_fixed_size 0
		.amdhsa_private_segment_fixed_size 0
		.amdhsa_kernarg_size 112
		.amdhsa_user_sgpr_count 2
		.amdhsa_user_sgpr_dispatch_ptr 0
		.amdhsa_user_sgpr_queue_ptr 0
		.amdhsa_user_sgpr_kernarg_segment_ptr 1
		.amdhsa_user_sgpr_dispatch_id 0
		.amdhsa_user_sgpr_kernarg_preload_length 0
		.amdhsa_user_sgpr_kernarg_preload_offset 0
		.amdhsa_user_sgpr_private_segment_size 0
		.amdhsa_uses_dynamic_stack 0
		.amdhsa_enable_private_segment 0
		.amdhsa_system_sgpr_workgroup_id_x 1
		.amdhsa_system_sgpr_workgroup_id_y 0
		.amdhsa_system_sgpr_workgroup_id_z 0
		.amdhsa_system_sgpr_workgroup_info 0
		.amdhsa_system_vgpr_workitem_id 0
		.amdhsa_next_free_vgpr 1
		.amdhsa_next_free_sgpr 0
		.amdhsa_accum_offset 4
		.amdhsa_reserve_vcc 0
		.amdhsa_float_round_mode_32 0
		.amdhsa_float_round_mode_16_64 0
		.amdhsa_float_denorm_mode_32 3
		.amdhsa_float_denorm_mode_16_64 3
		.amdhsa_dx10_clamp 1
		.amdhsa_ieee_mode 1
		.amdhsa_fp16_overflow 0
		.amdhsa_tg_split 0
		.amdhsa_exception_fp_ieee_invalid_op 0
		.amdhsa_exception_fp_denorm_src 0
		.amdhsa_exception_fp_ieee_div_zero 0
		.amdhsa_exception_fp_ieee_overflow 0
		.amdhsa_exception_fp_ieee_underflow 0
		.amdhsa_exception_fp_ieee_inexact 0
		.amdhsa_exception_int_div_zero 0
	.end_amdhsa_kernel
	.section	.text._ZN7rocprim17ROCPRIM_400000_NS6detail17trampoline_kernelINS0_14default_configENS1_25partition_config_selectorILNS1_17partition_subalgoE8EmNS0_10empty_typeEbEEZZNS1_14partition_implILS5_8ELb0ES3_jPKmPS6_PKS6_NS0_5tupleIJPmS6_EEENSE_IJSB_SB_EEENS0_18inequality_wrapperIN6hipcub16HIPCUB_304000_NS8EqualityEEEPlJS6_EEE10hipError_tPvRmT3_T4_T5_T6_T7_T9_mT8_P12ihipStream_tbDpT10_ENKUlT_T0_E_clISt17integral_constantIbLb1EES16_IbLb0EEEEDaS12_S13_EUlS12_E_NS1_11comp_targetILNS1_3genE9ELNS1_11target_archE1100ELNS1_3gpuE3ELNS1_3repE0EEENS1_30default_config_static_selectorELNS0_4arch9wavefront6targetE1EEEvT1_,"axG",@progbits,_ZN7rocprim17ROCPRIM_400000_NS6detail17trampoline_kernelINS0_14default_configENS1_25partition_config_selectorILNS1_17partition_subalgoE8EmNS0_10empty_typeEbEEZZNS1_14partition_implILS5_8ELb0ES3_jPKmPS6_PKS6_NS0_5tupleIJPmS6_EEENSE_IJSB_SB_EEENS0_18inequality_wrapperIN6hipcub16HIPCUB_304000_NS8EqualityEEEPlJS6_EEE10hipError_tPvRmT3_T4_T5_T6_T7_T9_mT8_P12ihipStream_tbDpT10_ENKUlT_T0_E_clISt17integral_constantIbLb1EES16_IbLb0EEEEDaS12_S13_EUlS12_E_NS1_11comp_targetILNS1_3genE9ELNS1_11target_archE1100ELNS1_3gpuE3ELNS1_3repE0EEENS1_30default_config_static_selectorELNS0_4arch9wavefront6targetE1EEEvT1_,comdat
.Lfunc_end708:
	.size	_ZN7rocprim17ROCPRIM_400000_NS6detail17trampoline_kernelINS0_14default_configENS1_25partition_config_selectorILNS1_17partition_subalgoE8EmNS0_10empty_typeEbEEZZNS1_14partition_implILS5_8ELb0ES3_jPKmPS6_PKS6_NS0_5tupleIJPmS6_EEENSE_IJSB_SB_EEENS0_18inequality_wrapperIN6hipcub16HIPCUB_304000_NS8EqualityEEEPlJS6_EEE10hipError_tPvRmT3_T4_T5_T6_T7_T9_mT8_P12ihipStream_tbDpT10_ENKUlT_T0_E_clISt17integral_constantIbLb1EES16_IbLb0EEEEDaS12_S13_EUlS12_E_NS1_11comp_targetILNS1_3genE9ELNS1_11target_archE1100ELNS1_3gpuE3ELNS1_3repE0EEENS1_30default_config_static_selectorELNS0_4arch9wavefront6targetE1EEEvT1_, .Lfunc_end708-_ZN7rocprim17ROCPRIM_400000_NS6detail17trampoline_kernelINS0_14default_configENS1_25partition_config_selectorILNS1_17partition_subalgoE8EmNS0_10empty_typeEbEEZZNS1_14partition_implILS5_8ELb0ES3_jPKmPS6_PKS6_NS0_5tupleIJPmS6_EEENSE_IJSB_SB_EEENS0_18inequality_wrapperIN6hipcub16HIPCUB_304000_NS8EqualityEEEPlJS6_EEE10hipError_tPvRmT3_T4_T5_T6_T7_T9_mT8_P12ihipStream_tbDpT10_ENKUlT_T0_E_clISt17integral_constantIbLb1EES16_IbLb0EEEEDaS12_S13_EUlS12_E_NS1_11comp_targetILNS1_3genE9ELNS1_11target_archE1100ELNS1_3gpuE3ELNS1_3repE0EEENS1_30default_config_static_selectorELNS0_4arch9wavefront6targetE1EEEvT1_
                                        ; -- End function
	.section	.AMDGPU.csdata,"",@progbits
; Kernel info:
; codeLenInByte = 0
; NumSgprs: 6
; NumVgprs: 0
; NumAgprs: 0
; TotalNumVgprs: 0
; ScratchSize: 0
; MemoryBound: 0
; FloatMode: 240
; IeeeMode: 1
; LDSByteSize: 0 bytes/workgroup (compile time only)
; SGPRBlocks: 0
; VGPRBlocks: 0
; NumSGPRsForWavesPerEU: 6
; NumVGPRsForWavesPerEU: 1
; AccumOffset: 4
; Occupancy: 8
; WaveLimiterHint : 0
; COMPUTE_PGM_RSRC2:SCRATCH_EN: 0
; COMPUTE_PGM_RSRC2:USER_SGPR: 2
; COMPUTE_PGM_RSRC2:TRAP_HANDLER: 0
; COMPUTE_PGM_RSRC2:TGID_X_EN: 1
; COMPUTE_PGM_RSRC2:TGID_Y_EN: 0
; COMPUTE_PGM_RSRC2:TGID_Z_EN: 0
; COMPUTE_PGM_RSRC2:TIDIG_COMP_CNT: 0
; COMPUTE_PGM_RSRC3_GFX90A:ACCUM_OFFSET: 0
; COMPUTE_PGM_RSRC3_GFX90A:TG_SPLIT: 0
	.section	.text._ZN7rocprim17ROCPRIM_400000_NS6detail17trampoline_kernelINS0_14default_configENS1_25partition_config_selectorILNS1_17partition_subalgoE8EmNS0_10empty_typeEbEEZZNS1_14partition_implILS5_8ELb0ES3_jPKmPS6_PKS6_NS0_5tupleIJPmS6_EEENSE_IJSB_SB_EEENS0_18inequality_wrapperIN6hipcub16HIPCUB_304000_NS8EqualityEEEPlJS6_EEE10hipError_tPvRmT3_T4_T5_T6_T7_T9_mT8_P12ihipStream_tbDpT10_ENKUlT_T0_E_clISt17integral_constantIbLb1EES16_IbLb0EEEEDaS12_S13_EUlS12_E_NS1_11comp_targetILNS1_3genE8ELNS1_11target_archE1030ELNS1_3gpuE2ELNS1_3repE0EEENS1_30default_config_static_selectorELNS0_4arch9wavefront6targetE1EEEvT1_,"axG",@progbits,_ZN7rocprim17ROCPRIM_400000_NS6detail17trampoline_kernelINS0_14default_configENS1_25partition_config_selectorILNS1_17partition_subalgoE8EmNS0_10empty_typeEbEEZZNS1_14partition_implILS5_8ELb0ES3_jPKmPS6_PKS6_NS0_5tupleIJPmS6_EEENSE_IJSB_SB_EEENS0_18inequality_wrapperIN6hipcub16HIPCUB_304000_NS8EqualityEEEPlJS6_EEE10hipError_tPvRmT3_T4_T5_T6_T7_T9_mT8_P12ihipStream_tbDpT10_ENKUlT_T0_E_clISt17integral_constantIbLb1EES16_IbLb0EEEEDaS12_S13_EUlS12_E_NS1_11comp_targetILNS1_3genE8ELNS1_11target_archE1030ELNS1_3gpuE2ELNS1_3repE0EEENS1_30default_config_static_selectorELNS0_4arch9wavefront6targetE1EEEvT1_,comdat
	.protected	_ZN7rocprim17ROCPRIM_400000_NS6detail17trampoline_kernelINS0_14default_configENS1_25partition_config_selectorILNS1_17partition_subalgoE8EmNS0_10empty_typeEbEEZZNS1_14partition_implILS5_8ELb0ES3_jPKmPS6_PKS6_NS0_5tupleIJPmS6_EEENSE_IJSB_SB_EEENS0_18inequality_wrapperIN6hipcub16HIPCUB_304000_NS8EqualityEEEPlJS6_EEE10hipError_tPvRmT3_T4_T5_T6_T7_T9_mT8_P12ihipStream_tbDpT10_ENKUlT_T0_E_clISt17integral_constantIbLb1EES16_IbLb0EEEEDaS12_S13_EUlS12_E_NS1_11comp_targetILNS1_3genE8ELNS1_11target_archE1030ELNS1_3gpuE2ELNS1_3repE0EEENS1_30default_config_static_selectorELNS0_4arch9wavefront6targetE1EEEvT1_ ; -- Begin function _ZN7rocprim17ROCPRIM_400000_NS6detail17trampoline_kernelINS0_14default_configENS1_25partition_config_selectorILNS1_17partition_subalgoE8EmNS0_10empty_typeEbEEZZNS1_14partition_implILS5_8ELb0ES3_jPKmPS6_PKS6_NS0_5tupleIJPmS6_EEENSE_IJSB_SB_EEENS0_18inequality_wrapperIN6hipcub16HIPCUB_304000_NS8EqualityEEEPlJS6_EEE10hipError_tPvRmT3_T4_T5_T6_T7_T9_mT8_P12ihipStream_tbDpT10_ENKUlT_T0_E_clISt17integral_constantIbLb1EES16_IbLb0EEEEDaS12_S13_EUlS12_E_NS1_11comp_targetILNS1_3genE8ELNS1_11target_archE1030ELNS1_3gpuE2ELNS1_3repE0EEENS1_30default_config_static_selectorELNS0_4arch9wavefront6targetE1EEEvT1_
	.globl	_ZN7rocprim17ROCPRIM_400000_NS6detail17trampoline_kernelINS0_14default_configENS1_25partition_config_selectorILNS1_17partition_subalgoE8EmNS0_10empty_typeEbEEZZNS1_14partition_implILS5_8ELb0ES3_jPKmPS6_PKS6_NS0_5tupleIJPmS6_EEENSE_IJSB_SB_EEENS0_18inequality_wrapperIN6hipcub16HIPCUB_304000_NS8EqualityEEEPlJS6_EEE10hipError_tPvRmT3_T4_T5_T6_T7_T9_mT8_P12ihipStream_tbDpT10_ENKUlT_T0_E_clISt17integral_constantIbLb1EES16_IbLb0EEEEDaS12_S13_EUlS12_E_NS1_11comp_targetILNS1_3genE8ELNS1_11target_archE1030ELNS1_3gpuE2ELNS1_3repE0EEENS1_30default_config_static_selectorELNS0_4arch9wavefront6targetE1EEEvT1_
	.p2align	8
	.type	_ZN7rocprim17ROCPRIM_400000_NS6detail17trampoline_kernelINS0_14default_configENS1_25partition_config_selectorILNS1_17partition_subalgoE8EmNS0_10empty_typeEbEEZZNS1_14partition_implILS5_8ELb0ES3_jPKmPS6_PKS6_NS0_5tupleIJPmS6_EEENSE_IJSB_SB_EEENS0_18inequality_wrapperIN6hipcub16HIPCUB_304000_NS8EqualityEEEPlJS6_EEE10hipError_tPvRmT3_T4_T5_T6_T7_T9_mT8_P12ihipStream_tbDpT10_ENKUlT_T0_E_clISt17integral_constantIbLb1EES16_IbLb0EEEEDaS12_S13_EUlS12_E_NS1_11comp_targetILNS1_3genE8ELNS1_11target_archE1030ELNS1_3gpuE2ELNS1_3repE0EEENS1_30default_config_static_selectorELNS0_4arch9wavefront6targetE1EEEvT1_,@function
_ZN7rocprim17ROCPRIM_400000_NS6detail17trampoline_kernelINS0_14default_configENS1_25partition_config_selectorILNS1_17partition_subalgoE8EmNS0_10empty_typeEbEEZZNS1_14partition_implILS5_8ELb0ES3_jPKmPS6_PKS6_NS0_5tupleIJPmS6_EEENSE_IJSB_SB_EEENS0_18inequality_wrapperIN6hipcub16HIPCUB_304000_NS8EqualityEEEPlJS6_EEE10hipError_tPvRmT3_T4_T5_T6_T7_T9_mT8_P12ihipStream_tbDpT10_ENKUlT_T0_E_clISt17integral_constantIbLb1EES16_IbLb0EEEEDaS12_S13_EUlS12_E_NS1_11comp_targetILNS1_3genE8ELNS1_11target_archE1030ELNS1_3gpuE2ELNS1_3repE0EEENS1_30default_config_static_selectorELNS0_4arch9wavefront6targetE1EEEvT1_: ; @_ZN7rocprim17ROCPRIM_400000_NS6detail17trampoline_kernelINS0_14default_configENS1_25partition_config_selectorILNS1_17partition_subalgoE8EmNS0_10empty_typeEbEEZZNS1_14partition_implILS5_8ELb0ES3_jPKmPS6_PKS6_NS0_5tupleIJPmS6_EEENSE_IJSB_SB_EEENS0_18inequality_wrapperIN6hipcub16HIPCUB_304000_NS8EqualityEEEPlJS6_EEE10hipError_tPvRmT3_T4_T5_T6_T7_T9_mT8_P12ihipStream_tbDpT10_ENKUlT_T0_E_clISt17integral_constantIbLb1EES16_IbLb0EEEEDaS12_S13_EUlS12_E_NS1_11comp_targetILNS1_3genE8ELNS1_11target_archE1030ELNS1_3gpuE2ELNS1_3repE0EEENS1_30default_config_static_selectorELNS0_4arch9wavefront6targetE1EEEvT1_
; %bb.0:
	.section	.rodata,"a",@progbits
	.p2align	6, 0x0
	.amdhsa_kernel _ZN7rocprim17ROCPRIM_400000_NS6detail17trampoline_kernelINS0_14default_configENS1_25partition_config_selectorILNS1_17partition_subalgoE8EmNS0_10empty_typeEbEEZZNS1_14partition_implILS5_8ELb0ES3_jPKmPS6_PKS6_NS0_5tupleIJPmS6_EEENSE_IJSB_SB_EEENS0_18inequality_wrapperIN6hipcub16HIPCUB_304000_NS8EqualityEEEPlJS6_EEE10hipError_tPvRmT3_T4_T5_T6_T7_T9_mT8_P12ihipStream_tbDpT10_ENKUlT_T0_E_clISt17integral_constantIbLb1EES16_IbLb0EEEEDaS12_S13_EUlS12_E_NS1_11comp_targetILNS1_3genE8ELNS1_11target_archE1030ELNS1_3gpuE2ELNS1_3repE0EEENS1_30default_config_static_selectorELNS0_4arch9wavefront6targetE1EEEvT1_
		.amdhsa_group_segment_fixed_size 0
		.amdhsa_private_segment_fixed_size 0
		.amdhsa_kernarg_size 112
		.amdhsa_user_sgpr_count 2
		.amdhsa_user_sgpr_dispatch_ptr 0
		.amdhsa_user_sgpr_queue_ptr 0
		.amdhsa_user_sgpr_kernarg_segment_ptr 1
		.amdhsa_user_sgpr_dispatch_id 0
		.amdhsa_user_sgpr_kernarg_preload_length 0
		.amdhsa_user_sgpr_kernarg_preload_offset 0
		.amdhsa_user_sgpr_private_segment_size 0
		.amdhsa_uses_dynamic_stack 0
		.amdhsa_enable_private_segment 0
		.amdhsa_system_sgpr_workgroup_id_x 1
		.amdhsa_system_sgpr_workgroup_id_y 0
		.amdhsa_system_sgpr_workgroup_id_z 0
		.amdhsa_system_sgpr_workgroup_info 0
		.amdhsa_system_vgpr_workitem_id 0
		.amdhsa_next_free_vgpr 1
		.amdhsa_next_free_sgpr 0
		.amdhsa_accum_offset 4
		.amdhsa_reserve_vcc 0
		.amdhsa_float_round_mode_32 0
		.amdhsa_float_round_mode_16_64 0
		.amdhsa_float_denorm_mode_32 3
		.amdhsa_float_denorm_mode_16_64 3
		.amdhsa_dx10_clamp 1
		.amdhsa_ieee_mode 1
		.amdhsa_fp16_overflow 0
		.amdhsa_tg_split 0
		.amdhsa_exception_fp_ieee_invalid_op 0
		.amdhsa_exception_fp_denorm_src 0
		.amdhsa_exception_fp_ieee_div_zero 0
		.amdhsa_exception_fp_ieee_overflow 0
		.amdhsa_exception_fp_ieee_underflow 0
		.amdhsa_exception_fp_ieee_inexact 0
		.amdhsa_exception_int_div_zero 0
	.end_amdhsa_kernel
	.section	.text._ZN7rocprim17ROCPRIM_400000_NS6detail17trampoline_kernelINS0_14default_configENS1_25partition_config_selectorILNS1_17partition_subalgoE8EmNS0_10empty_typeEbEEZZNS1_14partition_implILS5_8ELb0ES3_jPKmPS6_PKS6_NS0_5tupleIJPmS6_EEENSE_IJSB_SB_EEENS0_18inequality_wrapperIN6hipcub16HIPCUB_304000_NS8EqualityEEEPlJS6_EEE10hipError_tPvRmT3_T4_T5_T6_T7_T9_mT8_P12ihipStream_tbDpT10_ENKUlT_T0_E_clISt17integral_constantIbLb1EES16_IbLb0EEEEDaS12_S13_EUlS12_E_NS1_11comp_targetILNS1_3genE8ELNS1_11target_archE1030ELNS1_3gpuE2ELNS1_3repE0EEENS1_30default_config_static_selectorELNS0_4arch9wavefront6targetE1EEEvT1_,"axG",@progbits,_ZN7rocprim17ROCPRIM_400000_NS6detail17trampoline_kernelINS0_14default_configENS1_25partition_config_selectorILNS1_17partition_subalgoE8EmNS0_10empty_typeEbEEZZNS1_14partition_implILS5_8ELb0ES3_jPKmPS6_PKS6_NS0_5tupleIJPmS6_EEENSE_IJSB_SB_EEENS0_18inequality_wrapperIN6hipcub16HIPCUB_304000_NS8EqualityEEEPlJS6_EEE10hipError_tPvRmT3_T4_T5_T6_T7_T9_mT8_P12ihipStream_tbDpT10_ENKUlT_T0_E_clISt17integral_constantIbLb1EES16_IbLb0EEEEDaS12_S13_EUlS12_E_NS1_11comp_targetILNS1_3genE8ELNS1_11target_archE1030ELNS1_3gpuE2ELNS1_3repE0EEENS1_30default_config_static_selectorELNS0_4arch9wavefront6targetE1EEEvT1_,comdat
.Lfunc_end709:
	.size	_ZN7rocprim17ROCPRIM_400000_NS6detail17trampoline_kernelINS0_14default_configENS1_25partition_config_selectorILNS1_17partition_subalgoE8EmNS0_10empty_typeEbEEZZNS1_14partition_implILS5_8ELb0ES3_jPKmPS6_PKS6_NS0_5tupleIJPmS6_EEENSE_IJSB_SB_EEENS0_18inequality_wrapperIN6hipcub16HIPCUB_304000_NS8EqualityEEEPlJS6_EEE10hipError_tPvRmT3_T4_T5_T6_T7_T9_mT8_P12ihipStream_tbDpT10_ENKUlT_T0_E_clISt17integral_constantIbLb1EES16_IbLb0EEEEDaS12_S13_EUlS12_E_NS1_11comp_targetILNS1_3genE8ELNS1_11target_archE1030ELNS1_3gpuE2ELNS1_3repE0EEENS1_30default_config_static_selectorELNS0_4arch9wavefront6targetE1EEEvT1_, .Lfunc_end709-_ZN7rocprim17ROCPRIM_400000_NS6detail17trampoline_kernelINS0_14default_configENS1_25partition_config_selectorILNS1_17partition_subalgoE8EmNS0_10empty_typeEbEEZZNS1_14partition_implILS5_8ELb0ES3_jPKmPS6_PKS6_NS0_5tupleIJPmS6_EEENSE_IJSB_SB_EEENS0_18inequality_wrapperIN6hipcub16HIPCUB_304000_NS8EqualityEEEPlJS6_EEE10hipError_tPvRmT3_T4_T5_T6_T7_T9_mT8_P12ihipStream_tbDpT10_ENKUlT_T0_E_clISt17integral_constantIbLb1EES16_IbLb0EEEEDaS12_S13_EUlS12_E_NS1_11comp_targetILNS1_3genE8ELNS1_11target_archE1030ELNS1_3gpuE2ELNS1_3repE0EEENS1_30default_config_static_selectorELNS0_4arch9wavefront6targetE1EEEvT1_
                                        ; -- End function
	.section	.AMDGPU.csdata,"",@progbits
; Kernel info:
; codeLenInByte = 0
; NumSgprs: 6
; NumVgprs: 0
; NumAgprs: 0
; TotalNumVgprs: 0
; ScratchSize: 0
; MemoryBound: 0
; FloatMode: 240
; IeeeMode: 1
; LDSByteSize: 0 bytes/workgroup (compile time only)
; SGPRBlocks: 0
; VGPRBlocks: 0
; NumSGPRsForWavesPerEU: 6
; NumVGPRsForWavesPerEU: 1
; AccumOffset: 4
; Occupancy: 8
; WaveLimiterHint : 0
; COMPUTE_PGM_RSRC2:SCRATCH_EN: 0
; COMPUTE_PGM_RSRC2:USER_SGPR: 2
; COMPUTE_PGM_RSRC2:TRAP_HANDLER: 0
; COMPUTE_PGM_RSRC2:TGID_X_EN: 1
; COMPUTE_PGM_RSRC2:TGID_Y_EN: 0
; COMPUTE_PGM_RSRC2:TGID_Z_EN: 0
; COMPUTE_PGM_RSRC2:TIDIG_COMP_CNT: 0
; COMPUTE_PGM_RSRC3_GFX90A:ACCUM_OFFSET: 0
; COMPUTE_PGM_RSRC3_GFX90A:TG_SPLIT: 0
	.section	.text._ZN7rocprim17ROCPRIM_400000_NS6detail17trampoline_kernelINS0_14default_configENS1_25partition_config_selectorILNS1_17partition_subalgoE8EmNS0_10empty_typeEbEEZZNS1_14partition_implILS5_8ELb0ES3_jPKmPS6_PKS6_NS0_5tupleIJPmS6_EEENSE_IJSB_SB_EEENS0_18inequality_wrapperIN6hipcub16HIPCUB_304000_NS8EqualityEEEPlJS6_EEE10hipError_tPvRmT3_T4_T5_T6_T7_T9_mT8_P12ihipStream_tbDpT10_ENKUlT_T0_E_clISt17integral_constantIbLb0EES16_IbLb1EEEEDaS12_S13_EUlS12_E_NS1_11comp_targetILNS1_3genE0ELNS1_11target_archE4294967295ELNS1_3gpuE0ELNS1_3repE0EEENS1_30default_config_static_selectorELNS0_4arch9wavefront6targetE1EEEvT1_,"axG",@progbits,_ZN7rocprim17ROCPRIM_400000_NS6detail17trampoline_kernelINS0_14default_configENS1_25partition_config_selectorILNS1_17partition_subalgoE8EmNS0_10empty_typeEbEEZZNS1_14partition_implILS5_8ELb0ES3_jPKmPS6_PKS6_NS0_5tupleIJPmS6_EEENSE_IJSB_SB_EEENS0_18inequality_wrapperIN6hipcub16HIPCUB_304000_NS8EqualityEEEPlJS6_EEE10hipError_tPvRmT3_T4_T5_T6_T7_T9_mT8_P12ihipStream_tbDpT10_ENKUlT_T0_E_clISt17integral_constantIbLb0EES16_IbLb1EEEEDaS12_S13_EUlS12_E_NS1_11comp_targetILNS1_3genE0ELNS1_11target_archE4294967295ELNS1_3gpuE0ELNS1_3repE0EEENS1_30default_config_static_selectorELNS0_4arch9wavefront6targetE1EEEvT1_,comdat
	.protected	_ZN7rocprim17ROCPRIM_400000_NS6detail17trampoline_kernelINS0_14default_configENS1_25partition_config_selectorILNS1_17partition_subalgoE8EmNS0_10empty_typeEbEEZZNS1_14partition_implILS5_8ELb0ES3_jPKmPS6_PKS6_NS0_5tupleIJPmS6_EEENSE_IJSB_SB_EEENS0_18inequality_wrapperIN6hipcub16HIPCUB_304000_NS8EqualityEEEPlJS6_EEE10hipError_tPvRmT3_T4_T5_T6_T7_T9_mT8_P12ihipStream_tbDpT10_ENKUlT_T0_E_clISt17integral_constantIbLb0EES16_IbLb1EEEEDaS12_S13_EUlS12_E_NS1_11comp_targetILNS1_3genE0ELNS1_11target_archE4294967295ELNS1_3gpuE0ELNS1_3repE0EEENS1_30default_config_static_selectorELNS0_4arch9wavefront6targetE1EEEvT1_ ; -- Begin function _ZN7rocprim17ROCPRIM_400000_NS6detail17trampoline_kernelINS0_14default_configENS1_25partition_config_selectorILNS1_17partition_subalgoE8EmNS0_10empty_typeEbEEZZNS1_14partition_implILS5_8ELb0ES3_jPKmPS6_PKS6_NS0_5tupleIJPmS6_EEENSE_IJSB_SB_EEENS0_18inequality_wrapperIN6hipcub16HIPCUB_304000_NS8EqualityEEEPlJS6_EEE10hipError_tPvRmT3_T4_T5_T6_T7_T9_mT8_P12ihipStream_tbDpT10_ENKUlT_T0_E_clISt17integral_constantIbLb0EES16_IbLb1EEEEDaS12_S13_EUlS12_E_NS1_11comp_targetILNS1_3genE0ELNS1_11target_archE4294967295ELNS1_3gpuE0ELNS1_3repE0EEENS1_30default_config_static_selectorELNS0_4arch9wavefront6targetE1EEEvT1_
	.globl	_ZN7rocprim17ROCPRIM_400000_NS6detail17trampoline_kernelINS0_14default_configENS1_25partition_config_selectorILNS1_17partition_subalgoE8EmNS0_10empty_typeEbEEZZNS1_14partition_implILS5_8ELb0ES3_jPKmPS6_PKS6_NS0_5tupleIJPmS6_EEENSE_IJSB_SB_EEENS0_18inequality_wrapperIN6hipcub16HIPCUB_304000_NS8EqualityEEEPlJS6_EEE10hipError_tPvRmT3_T4_T5_T6_T7_T9_mT8_P12ihipStream_tbDpT10_ENKUlT_T0_E_clISt17integral_constantIbLb0EES16_IbLb1EEEEDaS12_S13_EUlS12_E_NS1_11comp_targetILNS1_3genE0ELNS1_11target_archE4294967295ELNS1_3gpuE0ELNS1_3repE0EEENS1_30default_config_static_selectorELNS0_4arch9wavefront6targetE1EEEvT1_
	.p2align	8
	.type	_ZN7rocprim17ROCPRIM_400000_NS6detail17trampoline_kernelINS0_14default_configENS1_25partition_config_selectorILNS1_17partition_subalgoE8EmNS0_10empty_typeEbEEZZNS1_14partition_implILS5_8ELb0ES3_jPKmPS6_PKS6_NS0_5tupleIJPmS6_EEENSE_IJSB_SB_EEENS0_18inequality_wrapperIN6hipcub16HIPCUB_304000_NS8EqualityEEEPlJS6_EEE10hipError_tPvRmT3_T4_T5_T6_T7_T9_mT8_P12ihipStream_tbDpT10_ENKUlT_T0_E_clISt17integral_constantIbLb0EES16_IbLb1EEEEDaS12_S13_EUlS12_E_NS1_11comp_targetILNS1_3genE0ELNS1_11target_archE4294967295ELNS1_3gpuE0ELNS1_3repE0EEENS1_30default_config_static_selectorELNS0_4arch9wavefront6targetE1EEEvT1_,@function
_ZN7rocprim17ROCPRIM_400000_NS6detail17trampoline_kernelINS0_14default_configENS1_25partition_config_selectorILNS1_17partition_subalgoE8EmNS0_10empty_typeEbEEZZNS1_14partition_implILS5_8ELb0ES3_jPKmPS6_PKS6_NS0_5tupleIJPmS6_EEENSE_IJSB_SB_EEENS0_18inequality_wrapperIN6hipcub16HIPCUB_304000_NS8EqualityEEEPlJS6_EEE10hipError_tPvRmT3_T4_T5_T6_T7_T9_mT8_P12ihipStream_tbDpT10_ENKUlT_T0_E_clISt17integral_constantIbLb0EES16_IbLb1EEEEDaS12_S13_EUlS12_E_NS1_11comp_targetILNS1_3genE0ELNS1_11target_archE4294967295ELNS1_3gpuE0ELNS1_3repE0EEENS1_30default_config_static_selectorELNS0_4arch9wavefront6targetE1EEEvT1_: ; @_ZN7rocprim17ROCPRIM_400000_NS6detail17trampoline_kernelINS0_14default_configENS1_25partition_config_selectorILNS1_17partition_subalgoE8EmNS0_10empty_typeEbEEZZNS1_14partition_implILS5_8ELb0ES3_jPKmPS6_PKS6_NS0_5tupleIJPmS6_EEENSE_IJSB_SB_EEENS0_18inequality_wrapperIN6hipcub16HIPCUB_304000_NS8EqualityEEEPlJS6_EEE10hipError_tPvRmT3_T4_T5_T6_T7_T9_mT8_P12ihipStream_tbDpT10_ENKUlT_T0_E_clISt17integral_constantIbLb0EES16_IbLb1EEEEDaS12_S13_EUlS12_E_NS1_11comp_targetILNS1_3genE0ELNS1_11target_archE4294967295ELNS1_3gpuE0ELNS1_3repE0EEENS1_30default_config_static_selectorELNS0_4arch9wavefront6targetE1EEEvT1_
; %bb.0:
	.section	.rodata,"a",@progbits
	.p2align	6, 0x0
	.amdhsa_kernel _ZN7rocprim17ROCPRIM_400000_NS6detail17trampoline_kernelINS0_14default_configENS1_25partition_config_selectorILNS1_17partition_subalgoE8EmNS0_10empty_typeEbEEZZNS1_14partition_implILS5_8ELb0ES3_jPKmPS6_PKS6_NS0_5tupleIJPmS6_EEENSE_IJSB_SB_EEENS0_18inequality_wrapperIN6hipcub16HIPCUB_304000_NS8EqualityEEEPlJS6_EEE10hipError_tPvRmT3_T4_T5_T6_T7_T9_mT8_P12ihipStream_tbDpT10_ENKUlT_T0_E_clISt17integral_constantIbLb0EES16_IbLb1EEEEDaS12_S13_EUlS12_E_NS1_11comp_targetILNS1_3genE0ELNS1_11target_archE4294967295ELNS1_3gpuE0ELNS1_3repE0EEENS1_30default_config_static_selectorELNS0_4arch9wavefront6targetE1EEEvT1_
		.amdhsa_group_segment_fixed_size 0
		.amdhsa_private_segment_fixed_size 0
		.amdhsa_kernarg_size 128
		.amdhsa_user_sgpr_count 2
		.amdhsa_user_sgpr_dispatch_ptr 0
		.amdhsa_user_sgpr_queue_ptr 0
		.amdhsa_user_sgpr_kernarg_segment_ptr 1
		.amdhsa_user_sgpr_dispatch_id 0
		.amdhsa_user_sgpr_kernarg_preload_length 0
		.amdhsa_user_sgpr_kernarg_preload_offset 0
		.amdhsa_user_sgpr_private_segment_size 0
		.amdhsa_uses_dynamic_stack 0
		.amdhsa_enable_private_segment 0
		.amdhsa_system_sgpr_workgroup_id_x 1
		.amdhsa_system_sgpr_workgroup_id_y 0
		.amdhsa_system_sgpr_workgroup_id_z 0
		.amdhsa_system_sgpr_workgroup_info 0
		.amdhsa_system_vgpr_workitem_id 0
		.amdhsa_next_free_vgpr 1
		.amdhsa_next_free_sgpr 0
		.amdhsa_accum_offset 4
		.amdhsa_reserve_vcc 0
		.amdhsa_float_round_mode_32 0
		.amdhsa_float_round_mode_16_64 0
		.amdhsa_float_denorm_mode_32 3
		.amdhsa_float_denorm_mode_16_64 3
		.amdhsa_dx10_clamp 1
		.amdhsa_ieee_mode 1
		.amdhsa_fp16_overflow 0
		.amdhsa_tg_split 0
		.amdhsa_exception_fp_ieee_invalid_op 0
		.amdhsa_exception_fp_denorm_src 0
		.amdhsa_exception_fp_ieee_div_zero 0
		.amdhsa_exception_fp_ieee_overflow 0
		.amdhsa_exception_fp_ieee_underflow 0
		.amdhsa_exception_fp_ieee_inexact 0
		.amdhsa_exception_int_div_zero 0
	.end_amdhsa_kernel
	.section	.text._ZN7rocprim17ROCPRIM_400000_NS6detail17trampoline_kernelINS0_14default_configENS1_25partition_config_selectorILNS1_17partition_subalgoE8EmNS0_10empty_typeEbEEZZNS1_14partition_implILS5_8ELb0ES3_jPKmPS6_PKS6_NS0_5tupleIJPmS6_EEENSE_IJSB_SB_EEENS0_18inequality_wrapperIN6hipcub16HIPCUB_304000_NS8EqualityEEEPlJS6_EEE10hipError_tPvRmT3_T4_T5_T6_T7_T9_mT8_P12ihipStream_tbDpT10_ENKUlT_T0_E_clISt17integral_constantIbLb0EES16_IbLb1EEEEDaS12_S13_EUlS12_E_NS1_11comp_targetILNS1_3genE0ELNS1_11target_archE4294967295ELNS1_3gpuE0ELNS1_3repE0EEENS1_30default_config_static_selectorELNS0_4arch9wavefront6targetE1EEEvT1_,"axG",@progbits,_ZN7rocprim17ROCPRIM_400000_NS6detail17trampoline_kernelINS0_14default_configENS1_25partition_config_selectorILNS1_17partition_subalgoE8EmNS0_10empty_typeEbEEZZNS1_14partition_implILS5_8ELb0ES3_jPKmPS6_PKS6_NS0_5tupleIJPmS6_EEENSE_IJSB_SB_EEENS0_18inequality_wrapperIN6hipcub16HIPCUB_304000_NS8EqualityEEEPlJS6_EEE10hipError_tPvRmT3_T4_T5_T6_T7_T9_mT8_P12ihipStream_tbDpT10_ENKUlT_T0_E_clISt17integral_constantIbLb0EES16_IbLb1EEEEDaS12_S13_EUlS12_E_NS1_11comp_targetILNS1_3genE0ELNS1_11target_archE4294967295ELNS1_3gpuE0ELNS1_3repE0EEENS1_30default_config_static_selectorELNS0_4arch9wavefront6targetE1EEEvT1_,comdat
.Lfunc_end710:
	.size	_ZN7rocprim17ROCPRIM_400000_NS6detail17trampoline_kernelINS0_14default_configENS1_25partition_config_selectorILNS1_17partition_subalgoE8EmNS0_10empty_typeEbEEZZNS1_14partition_implILS5_8ELb0ES3_jPKmPS6_PKS6_NS0_5tupleIJPmS6_EEENSE_IJSB_SB_EEENS0_18inequality_wrapperIN6hipcub16HIPCUB_304000_NS8EqualityEEEPlJS6_EEE10hipError_tPvRmT3_T4_T5_T6_T7_T9_mT8_P12ihipStream_tbDpT10_ENKUlT_T0_E_clISt17integral_constantIbLb0EES16_IbLb1EEEEDaS12_S13_EUlS12_E_NS1_11comp_targetILNS1_3genE0ELNS1_11target_archE4294967295ELNS1_3gpuE0ELNS1_3repE0EEENS1_30default_config_static_selectorELNS0_4arch9wavefront6targetE1EEEvT1_, .Lfunc_end710-_ZN7rocprim17ROCPRIM_400000_NS6detail17trampoline_kernelINS0_14default_configENS1_25partition_config_selectorILNS1_17partition_subalgoE8EmNS0_10empty_typeEbEEZZNS1_14partition_implILS5_8ELb0ES3_jPKmPS6_PKS6_NS0_5tupleIJPmS6_EEENSE_IJSB_SB_EEENS0_18inequality_wrapperIN6hipcub16HIPCUB_304000_NS8EqualityEEEPlJS6_EEE10hipError_tPvRmT3_T4_T5_T6_T7_T9_mT8_P12ihipStream_tbDpT10_ENKUlT_T0_E_clISt17integral_constantIbLb0EES16_IbLb1EEEEDaS12_S13_EUlS12_E_NS1_11comp_targetILNS1_3genE0ELNS1_11target_archE4294967295ELNS1_3gpuE0ELNS1_3repE0EEENS1_30default_config_static_selectorELNS0_4arch9wavefront6targetE1EEEvT1_
                                        ; -- End function
	.section	.AMDGPU.csdata,"",@progbits
; Kernel info:
; codeLenInByte = 0
; NumSgprs: 6
; NumVgprs: 0
; NumAgprs: 0
; TotalNumVgprs: 0
; ScratchSize: 0
; MemoryBound: 0
; FloatMode: 240
; IeeeMode: 1
; LDSByteSize: 0 bytes/workgroup (compile time only)
; SGPRBlocks: 0
; VGPRBlocks: 0
; NumSGPRsForWavesPerEU: 6
; NumVGPRsForWavesPerEU: 1
; AccumOffset: 4
; Occupancy: 8
; WaveLimiterHint : 0
; COMPUTE_PGM_RSRC2:SCRATCH_EN: 0
; COMPUTE_PGM_RSRC2:USER_SGPR: 2
; COMPUTE_PGM_RSRC2:TRAP_HANDLER: 0
; COMPUTE_PGM_RSRC2:TGID_X_EN: 1
; COMPUTE_PGM_RSRC2:TGID_Y_EN: 0
; COMPUTE_PGM_RSRC2:TGID_Z_EN: 0
; COMPUTE_PGM_RSRC2:TIDIG_COMP_CNT: 0
; COMPUTE_PGM_RSRC3_GFX90A:ACCUM_OFFSET: 0
; COMPUTE_PGM_RSRC3_GFX90A:TG_SPLIT: 0
	.section	.text._ZN7rocprim17ROCPRIM_400000_NS6detail17trampoline_kernelINS0_14default_configENS1_25partition_config_selectorILNS1_17partition_subalgoE8EmNS0_10empty_typeEbEEZZNS1_14partition_implILS5_8ELb0ES3_jPKmPS6_PKS6_NS0_5tupleIJPmS6_EEENSE_IJSB_SB_EEENS0_18inequality_wrapperIN6hipcub16HIPCUB_304000_NS8EqualityEEEPlJS6_EEE10hipError_tPvRmT3_T4_T5_T6_T7_T9_mT8_P12ihipStream_tbDpT10_ENKUlT_T0_E_clISt17integral_constantIbLb0EES16_IbLb1EEEEDaS12_S13_EUlS12_E_NS1_11comp_targetILNS1_3genE5ELNS1_11target_archE942ELNS1_3gpuE9ELNS1_3repE0EEENS1_30default_config_static_selectorELNS0_4arch9wavefront6targetE1EEEvT1_,"axG",@progbits,_ZN7rocprim17ROCPRIM_400000_NS6detail17trampoline_kernelINS0_14default_configENS1_25partition_config_selectorILNS1_17partition_subalgoE8EmNS0_10empty_typeEbEEZZNS1_14partition_implILS5_8ELb0ES3_jPKmPS6_PKS6_NS0_5tupleIJPmS6_EEENSE_IJSB_SB_EEENS0_18inequality_wrapperIN6hipcub16HIPCUB_304000_NS8EqualityEEEPlJS6_EEE10hipError_tPvRmT3_T4_T5_T6_T7_T9_mT8_P12ihipStream_tbDpT10_ENKUlT_T0_E_clISt17integral_constantIbLb0EES16_IbLb1EEEEDaS12_S13_EUlS12_E_NS1_11comp_targetILNS1_3genE5ELNS1_11target_archE942ELNS1_3gpuE9ELNS1_3repE0EEENS1_30default_config_static_selectorELNS0_4arch9wavefront6targetE1EEEvT1_,comdat
	.protected	_ZN7rocprim17ROCPRIM_400000_NS6detail17trampoline_kernelINS0_14default_configENS1_25partition_config_selectorILNS1_17partition_subalgoE8EmNS0_10empty_typeEbEEZZNS1_14partition_implILS5_8ELb0ES3_jPKmPS6_PKS6_NS0_5tupleIJPmS6_EEENSE_IJSB_SB_EEENS0_18inequality_wrapperIN6hipcub16HIPCUB_304000_NS8EqualityEEEPlJS6_EEE10hipError_tPvRmT3_T4_T5_T6_T7_T9_mT8_P12ihipStream_tbDpT10_ENKUlT_T0_E_clISt17integral_constantIbLb0EES16_IbLb1EEEEDaS12_S13_EUlS12_E_NS1_11comp_targetILNS1_3genE5ELNS1_11target_archE942ELNS1_3gpuE9ELNS1_3repE0EEENS1_30default_config_static_selectorELNS0_4arch9wavefront6targetE1EEEvT1_ ; -- Begin function _ZN7rocprim17ROCPRIM_400000_NS6detail17trampoline_kernelINS0_14default_configENS1_25partition_config_selectorILNS1_17partition_subalgoE8EmNS0_10empty_typeEbEEZZNS1_14partition_implILS5_8ELb0ES3_jPKmPS6_PKS6_NS0_5tupleIJPmS6_EEENSE_IJSB_SB_EEENS0_18inequality_wrapperIN6hipcub16HIPCUB_304000_NS8EqualityEEEPlJS6_EEE10hipError_tPvRmT3_T4_T5_T6_T7_T9_mT8_P12ihipStream_tbDpT10_ENKUlT_T0_E_clISt17integral_constantIbLb0EES16_IbLb1EEEEDaS12_S13_EUlS12_E_NS1_11comp_targetILNS1_3genE5ELNS1_11target_archE942ELNS1_3gpuE9ELNS1_3repE0EEENS1_30default_config_static_selectorELNS0_4arch9wavefront6targetE1EEEvT1_
	.globl	_ZN7rocprim17ROCPRIM_400000_NS6detail17trampoline_kernelINS0_14default_configENS1_25partition_config_selectorILNS1_17partition_subalgoE8EmNS0_10empty_typeEbEEZZNS1_14partition_implILS5_8ELb0ES3_jPKmPS6_PKS6_NS0_5tupleIJPmS6_EEENSE_IJSB_SB_EEENS0_18inequality_wrapperIN6hipcub16HIPCUB_304000_NS8EqualityEEEPlJS6_EEE10hipError_tPvRmT3_T4_T5_T6_T7_T9_mT8_P12ihipStream_tbDpT10_ENKUlT_T0_E_clISt17integral_constantIbLb0EES16_IbLb1EEEEDaS12_S13_EUlS12_E_NS1_11comp_targetILNS1_3genE5ELNS1_11target_archE942ELNS1_3gpuE9ELNS1_3repE0EEENS1_30default_config_static_selectorELNS0_4arch9wavefront6targetE1EEEvT1_
	.p2align	8
	.type	_ZN7rocprim17ROCPRIM_400000_NS6detail17trampoline_kernelINS0_14default_configENS1_25partition_config_selectorILNS1_17partition_subalgoE8EmNS0_10empty_typeEbEEZZNS1_14partition_implILS5_8ELb0ES3_jPKmPS6_PKS6_NS0_5tupleIJPmS6_EEENSE_IJSB_SB_EEENS0_18inequality_wrapperIN6hipcub16HIPCUB_304000_NS8EqualityEEEPlJS6_EEE10hipError_tPvRmT3_T4_T5_T6_T7_T9_mT8_P12ihipStream_tbDpT10_ENKUlT_T0_E_clISt17integral_constantIbLb0EES16_IbLb1EEEEDaS12_S13_EUlS12_E_NS1_11comp_targetILNS1_3genE5ELNS1_11target_archE942ELNS1_3gpuE9ELNS1_3repE0EEENS1_30default_config_static_selectorELNS0_4arch9wavefront6targetE1EEEvT1_,@function
_ZN7rocprim17ROCPRIM_400000_NS6detail17trampoline_kernelINS0_14default_configENS1_25partition_config_selectorILNS1_17partition_subalgoE8EmNS0_10empty_typeEbEEZZNS1_14partition_implILS5_8ELb0ES3_jPKmPS6_PKS6_NS0_5tupleIJPmS6_EEENSE_IJSB_SB_EEENS0_18inequality_wrapperIN6hipcub16HIPCUB_304000_NS8EqualityEEEPlJS6_EEE10hipError_tPvRmT3_T4_T5_T6_T7_T9_mT8_P12ihipStream_tbDpT10_ENKUlT_T0_E_clISt17integral_constantIbLb0EES16_IbLb1EEEEDaS12_S13_EUlS12_E_NS1_11comp_targetILNS1_3genE5ELNS1_11target_archE942ELNS1_3gpuE9ELNS1_3repE0EEENS1_30default_config_static_selectorELNS0_4arch9wavefront6targetE1EEEvT1_: ; @_ZN7rocprim17ROCPRIM_400000_NS6detail17trampoline_kernelINS0_14default_configENS1_25partition_config_selectorILNS1_17partition_subalgoE8EmNS0_10empty_typeEbEEZZNS1_14partition_implILS5_8ELb0ES3_jPKmPS6_PKS6_NS0_5tupleIJPmS6_EEENSE_IJSB_SB_EEENS0_18inequality_wrapperIN6hipcub16HIPCUB_304000_NS8EqualityEEEPlJS6_EEE10hipError_tPvRmT3_T4_T5_T6_T7_T9_mT8_P12ihipStream_tbDpT10_ENKUlT_T0_E_clISt17integral_constantIbLb0EES16_IbLb1EEEEDaS12_S13_EUlS12_E_NS1_11comp_targetILNS1_3genE5ELNS1_11target_archE942ELNS1_3gpuE9ELNS1_3repE0EEENS1_30default_config_static_selectorELNS0_4arch9wavefront6targetE1EEEvT1_
; %bb.0:
	s_load_dwordx2 s[24:25], s[0:1], 0x28
	s_load_dwordx4 s[20:23], s[0:1], 0x40
	s_load_dwordx2 s[8:9], s[0:1], 0x50
	s_load_dwordx2 s[30:31], s[0:1], 0x60
	v_cmp_ne_u32_e64 s[2:3], 0, v0
	v_cmp_eq_u32_e64 s[18:19], 0, v0
	s_and_saveexec_b64 s[4:5], s[18:19]
	s_cbranch_execz .LBB711_4
; %bb.1:
	s_mov_b64 s[10:11], exec
	v_mbcnt_lo_u32_b32 v1, s10, 0
	v_mbcnt_hi_u32_b32 v1, s11, v1
	v_cmp_eq_u32_e32 vcc, 0, v1
                                        ; implicit-def: $vgpr2
	s_and_saveexec_b64 s[6:7], vcc
	s_cbranch_execz .LBB711_3
; %bb.2:
	s_load_dwordx2 s[12:13], s[0:1], 0x70
	s_bcnt1_i32_b64 s10, s[10:11]
	v_mov_b32_e32 v2, 0
	v_mov_b32_e32 v3, s10
	s_waitcnt lgkmcnt(0)
	global_atomic_add v2, v2, v3, s[12:13] sc0
.LBB711_3:
	s_or_b64 exec, exec, s[6:7]
	s_waitcnt vmcnt(0)
	v_readfirstlane_b32 s6, v2
	v_mov_b32_e32 v2, 0
	s_nop 0
	v_add_u32_e32 v1, s6, v1
	ds_write_b32 v2, v1
.LBB711_4:
	s_or_b64 exec, exec, s[4:5]
	v_mov_b32_e32 v3, 0
	s_load_dwordx4 s[4:7], s[0:1], 0x8
	s_load_dword s10, s[0:1], 0x68
	s_waitcnt lgkmcnt(0)
	s_barrier
	ds_read_b32 v1, v3
	s_waitcnt lgkmcnt(0)
	s_barrier
	global_load_dwordx2 v[4:5], v3, s[22:23]
	s_lshl_b64 s[12:13], s[6:7], 3
	v_mov_b32_e32 v7, s9
	s_mul_i32 s9, s10, 0xe00
	s_add_u32 s4, s4, s12
	s_addc_u32 s5, s5, s13
	s_add_i32 s12, s9, s6
	s_add_i32 s10, s10, -1
	s_sub_i32 s36, s8, s12
	v_mov_b32_e32 v6, s8
	s_add_u32 s8, s6, s9
	s_addc_u32 s9, s7, 0
	v_readfirstlane_b32 s33, v1
	s_cmp_eq_u32 s33, s10
	s_movk_i32 s11, 0xe00
	v_cmp_ge_u64_e32 vcc, s[8:9], v[6:7]
	s_cselect_b64 s[26:27], -1, 0
	v_mul_lo_u32 v2, v1, s11
	s_and_b64 s[14:15], vcc, s[26:27]
	v_lshlrev_b64 v[6:7], 3, v[2:3]
	s_xor_b64 s[28:29], s[14:15], -1
	s_mov_b64 s[0:1], -1
	v_lshl_add_u64 v[18:19], s[4:5], 0, v[6:7]
	s_and_b64 vcc, exec, s[28:29]
	s_waitcnt vmcnt(0)
	v_readfirstlane_b32 s22, v4
	v_readfirstlane_b32 s23, v5
	s_cbranch_vccz .LBB711_6
; %bb.5:
	v_lshlrev_b32_e32 v2, 3, v0
	v_lshl_add_u64 v[4:5], v[18:19], 0, v[2:3]
	v_add_co_u32_e32 v8, vcc, 0x1000, v4
	v_readfirstlane_b32 s0, v18
	s_nop 0
	v_addc_co_u32_e32 v9, vcc, 0, v5, vcc
	v_add_co_u32_e32 v10, vcc, 0x2000, v4
	v_readfirstlane_b32 s1, v19
	s_nop 0
	v_addc_co_u32_e32 v11, vcc, 0, v5, vcc
	v_add_co_u32_e32 v12, vcc, 0x3000, v4
	s_nop 1
	v_addc_co_u32_e32 v13, vcc, 0, v5, vcc
	v_add_co_u32_e32 v14, vcc, 0x4000, v4
	global_load_dwordx2 v[6:7], v2, s[0:1]
	s_nop 0
	v_addc_co_u32_e32 v15, vcc, 0, v5, vcc
	global_load_dwordx2 v[16:17], v[8:9], off
	global_load_dwordx2 v[20:21], v[10:11], off
	;; [unrolled: 1-line block ×4, first 2 shown]
	v_add_co_u32_e32 v8, vcc, 0x5000, v4
	s_mov_b64 s[0:1], 0
	s_nop 0
	v_addc_co_u32_e32 v9, vcc, 0, v5, vcc
	v_add_co_u32_e32 v4, vcc, 0x6000, v4
	global_load_dwordx2 v[8:9], v[8:9], off
	s_nop 0
	v_addc_co_u32_e32 v5, vcc, 0, v5, vcc
	global_load_dwordx2 v[4:5], v[4:5], off
	s_waitcnt vmcnt(5)
	ds_write2st64_b64 v2, v[6:7], v[16:17] offset1:8
	s_waitcnt vmcnt(3)
	ds_write2st64_b64 v2, v[20:21], v[22:23] offset0:16 offset1:24
	s_waitcnt vmcnt(1)
	ds_write2st64_b64 v2, v[24:25], v[8:9] offset0:32 offset1:40
	s_waitcnt vmcnt(0)
	ds_write_b64 v2, v[4:5] offset:24576
	s_waitcnt lgkmcnt(0)
	s_barrier
.LBB711_6:
	s_andn2_b64 vcc, exec, s[0:1]
	s_addk_i32 s36, 0xe00
	s_cbranch_vccnz .LBB711_22
; %bb.7:
	v_cmp_gt_u32_e32 vcc, s36, v0
                                        ; implicit-def: $vgpr2_vgpr3_vgpr4_vgpr5_vgpr6_vgpr7_vgpr8_vgpr9_vgpr10_vgpr11_vgpr12_vgpr13_vgpr14_vgpr15_vgpr16_vgpr17
	s_and_saveexec_b64 s[0:1], vcc
	s_cbranch_execz .LBB711_9
; %bb.8:
	v_lshlrev_b32_e32 v1, 3, v0
	v_readfirstlane_b32 s4, v18
	v_readfirstlane_b32 s5, v19
	s_nop 4
	global_load_dwordx2 v[2:3], v1, s[4:5]
.LBB711_9:
	s_or_b64 exec, exec, s[0:1]
	v_or_b32_e32 v1, 0x200, v0
	v_cmp_gt_u32_e32 vcc, s36, v1
	s_and_saveexec_b64 s[0:1], vcc
	s_cbranch_execz .LBB711_11
; %bb.10:
	v_lshlrev_b32_e32 v1, 3, v1
	v_readfirstlane_b32 s4, v18
	v_readfirstlane_b32 s5, v19
	s_nop 4
	global_load_dwordx2 v[4:5], v1, s[4:5]
.LBB711_11:
	s_or_b64 exec, exec, s[0:1]
	v_or_b32_e32 v1, 0x400, v0
	v_cmp_gt_u32_e32 vcc, s36, v1
	;; [unrolled: 12-line block ×6, first 2 shown]
	s_and_saveexec_b64 s[0:1], vcc
	s_cbranch_execz .LBB711_21
; %bb.20:
	v_lshlrev_b32_e32 v1, 3, v1
	v_readfirstlane_b32 s4, v18
	v_readfirstlane_b32 s5, v19
	s_nop 4
	global_load_dwordx2 v[14:15], v1, s[4:5]
.LBB711_21:
	s_or_b64 exec, exec, s[0:1]
	v_lshlrev_b32_e32 v1, 3, v0
	s_waitcnt vmcnt(0)
	ds_write2st64_b64 v1, v[2:3], v[4:5] offset1:8
	ds_write2st64_b64 v1, v[6:7], v[8:9] offset0:16 offset1:24
	ds_write2st64_b64 v1, v[10:11], v[12:13] offset0:32 offset1:40
	ds_write_b64 v1, v[14:15] offset:24576
	s_waitcnt lgkmcnt(0)
	s_barrier
.LBB711_22:
	v_mul_u32_u24_e32 v20, 7, v0
	v_lshlrev_b32_e32 v1, 3, v20
	ds_read2_b64 v[10:13], v1 offset1:1
	ds_read2_b64 v[6:9], v1 offset0:2 offset1:3
	ds_read2_b64 v[2:5], v1 offset0:4 offset1:5
	ds_read_b64 v[14:15], v1 offset:48
	s_cmp_lg_u32 s33, 0
	s_cselect_b64 s[16:17], -1, 0
	s_cmp_lg_u64 s[6:7], 0
	s_cselect_b64 s[0:1], -1, 0
	s_or_b64 s[0:1], s[0:1], s[16:17]
	v_mad_u32_u24 v22, v0, 7, 1
	v_mad_u32_u24 v21, v0, 7, 2
	v_mad_u32_u24 v25, v0, 7, 3
	v_mad_u32_u24 v23, v0, 7, 4
	v_mad_u32_u24 v26, v0, 7, 5
	v_mad_u32_u24 v24, v0, 7, 6
	s_mov_b64 s[34:35], 0
	s_and_b64 vcc, exec, s[0:1]
	s_waitcnt lgkmcnt(0)
	s_barrier
	s_cbranch_vccz .LBB711_27
; %bb.23:
	global_load_dwordx2 v[16:17], v[18:19], off offset:-8
	v_lshlrev_b32_e32 v30, 3, v0
	s_and_b64 vcc, exec, s[28:29]
	ds_write_b64 v30, v[14:15]
	s_cbranch_vccz .LBB711_29
; %bb.24:
	s_waitcnt vmcnt(0)
	v_mov_b64_e32 v[18:19], v[16:17]
	s_waitcnt lgkmcnt(0)
	s_barrier
	s_and_saveexec_b64 s[0:1], s[2:3]
	s_cbranch_execz .LBB711_26
; %bb.25:
	v_add_u32_e32 v18, -8, v30
	ds_read_b64 v[18:19], v18
.LBB711_26:
	s_or_b64 exec, exec, s[0:1]
	v_cmp_ne_u64_e32 vcc, v[4:5], v[14:15]
	s_waitcnt lgkmcnt(0)
	v_cmp_ne_u64_e64 s[0:1], v[18:19], v[10:11]
	v_cndmask_b32_e64 v29, 0, 1, vcc
	v_cmp_ne_u64_e32 vcc, v[2:3], v[4:5]
	s_nop 1
	v_cndmask_b32_e64 v27, 0, 1, vcc
	v_cmp_ne_u64_e32 vcc, v[8:9], v[2:3]
	s_nop 1
	;; [unrolled: 3-line block ×3, first 2 shown]
	v_cndmask_b32_e64 v31, 0, 1, vcc
	v_cmp_ne_u64_e32 vcc, v[12:13], v[6:7]
	v_lshlrev_b16_e32 v18, 8, v31
	s_nop 0
	v_cndmask_b32_e64 v32, 0, 1, vcc
	v_cmp_ne_u64_e32 vcc, v[10:11], v[12:13]
	v_or_b32_sdwa v18, v32, v18 dst_sel:WORD_1 dst_unused:UNUSED_PAD src0_sel:DWORD src1_sel:DWORD
	s_nop 0
	v_cndmask_b32_e64 v33, 0, 1, vcc
	v_lshlrev_b16_e32 v19, 8, v33
	v_or_b32_e32 v18, v19, v18
	s_branch .LBB711_33
.LBB711_27:
                                        ; implicit-def: $sgpr0_sgpr1
                                        ; implicit-def: $vgpr29
                                        ; implicit-def: $vgpr27
                                        ; implicit-def: $vgpr28
                                        ; implicit-def: $vgpr18
	s_branch .LBB711_34
.LBB711_28:
                                        ; implicit-def: $vgpr16_vgpr17
	s_and_saveexec_b64 s[2:3], s[34:35]
	s_cbranch_execnz .LBB711_42
	s_branch .LBB711_43
.LBB711_29:
                                        ; implicit-def: $sgpr0_sgpr1
                                        ; implicit-def: $vgpr29
                                        ; implicit-def: $vgpr27
                                        ; implicit-def: $vgpr28
                                        ; implicit-def: $vgpr18
	s_cbranch_execz .LBB711_33
; %bb.30:
	s_waitcnt lgkmcnt(0)
	s_barrier
	s_and_saveexec_b64 s[0:1], s[2:3]
	s_cbranch_execz .LBB711_32
; %bb.31:
	s_waitcnt vmcnt(0)
	v_add_u32_e32 v16, -8, v30
	ds_read_b64 v[16:17], v16
.LBB711_32:
	s_or_b64 exec, exec, s[0:1]
	v_cmp_gt_u32_e32 vcc, s36, v24
	v_cmp_ne_u64_e64 s[0:1], v[4:5], v[14:15]
	s_and_b64 s[0:1], vcc, s[0:1]
	v_cmp_gt_u32_e32 vcc, s36, v26
	v_cndmask_b32_e64 v29, 0, 1, s[0:1]
	v_cmp_ne_u64_e64 s[0:1], v[2:3], v[4:5]
	s_and_b64 s[0:1], vcc, s[0:1]
	v_cmp_gt_u32_e32 vcc, s36, v23
	v_cndmask_b32_e64 v27, 0, 1, s[0:1]
	;; [unrolled: 4-line block ×6, first 2 shown]
	s_waitcnt vmcnt(0) lgkmcnt(0)
	v_cmp_ne_u64_e64 s[0:1], v[16:17], v[10:11]
	v_lshlrev_b16_e32 v16, 8, v18
	v_or_b32_sdwa v16, v19, v16 dst_sel:WORD_1 dst_unused:UNUSED_PAD src0_sel:DWORD src1_sel:DWORD
	v_lshlrev_b16_e32 v17, 8, v30
	s_and_b64 s[0:1], vcc, s[0:1]
	v_or_b32_e32 v18, v17, v16
.LBB711_33:
	s_mov_b64 s[34:35], -1
	s_cbranch_execnz .LBB711_28
.LBB711_34:
	s_movk_i32 s0, 0xffd0
	v_mad_i32_i24 v19, v0, s0, v1
	s_and_b64 vcc, exec, s[28:29]
	v_cmp_ne_u64_e64 s[0:1], v[4:5], v[14:15]
	v_cmp_ne_u64_e64 s[4:5], v[2:3], v[4:5]
	;; [unrolled: 1-line block ×6, first 2 shown]
	ds_write_b64 v19, v[14:15]
	s_cbranch_vccz .LBB711_38
; %bb.35:
	v_cndmask_b32_e64 v27, 0, 1, s[4:5]
	s_waitcnt vmcnt(0)
	v_cndmask_b32_e64 v16, 0, 1, s[8:9]
	v_cndmask_b32_e64 v28, 0, 1, s[6:7]
	;; [unrolled: 1-line block ×4, first 2 shown]
	v_lshlrev_b16_e32 v17, 8, v27
	v_lshlrev_b16_e32 v16, 8, v16
	v_or_b32_e32 v17, v28, v17
	v_or_b32_sdwa v16, v18, v16 dst_sel:WORD_1 dst_unused:UNUSED_PAD src0_sel:DWORD src1_sel:DWORD
	v_lshlrev_b16_e32 v18, 8, v30
	v_and_b32_e32 v17, 0xffff, v17
	v_cndmask_b32_e64 v29, 0, 1, s[0:1]
	v_or_b32_e32 v18, 1, v18
	v_lshl_or_b32 v17, v29, 16, v17
	v_or_b32_sdwa v16, v18, v16 dst_sel:DWORD dst_unused:UNUSED_PAD src0_sel:WORD_0 src1_sel:DWORD
	s_waitcnt lgkmcnt(0)
	s_barrier
	s_waitcnt lgkmcnt(0)
                                        ; implicit-def: $sgpr0_sgpr1
                                        ; implicit-def: $vgpr18
	s_and_saveexec_b64 s[4:5], s[2:3]
	s_xor_b64 s[4:5], exec, s[4:5]
	s_cbranch_execz .LBB711_37
; %bb.36:
	v_add_u32_e32 v17, -8, v19
	ds_read_b64 v[30:31], v17
	s_mov_b32 s0, 0x3020104
	v_perm_b32 v18, v16, v16, s0
	s_or_b64 s[34:35], s[34:35], exec
                                        ; implicit-def: $vgpr16_vgpr17
	s_waitcnt lgkmcnt(0)
	v_cmp_ne_u64_e32 vcc, v[30:31], v[10:11]
	s_and_b64 s[0:1], vcc, exec
.LBB711_37:
	s_or_b64 exec, exec, s[4:5]
	s_branch .LBB711_41
.LBB711_38:
                                        ; implicit-def: $sgpr0_sgpr1
                                        ; implicit-def: $vgpr29
                                        ; implicit-def: $vgpr27
                                        ; implicit-def: $vgpr28
                                        ; implicit-def: $vgpr18
                                        ; implicit-def: $vgpr16_vgpr17
	s_cbranch_execz .LBB711_41
; %bb.39:
	v_cmp_gt_u32_e64 s[4:5], s36, v26
	v_cmp_ne_u64_e64 s[6:7], v[2:3], v[4:5]
	s_and_b64 s[4:5], s[4:5], s[6:7]
	v_cndmask_b32_e64 v27, 0, 1, s[4:5]
	v_cmp_gt_u32_e64 s[4:5], s36, v23
	v_cmp_ne_u64_e64 s[6:7], v[8:9], v[2:3]
	s_and_b64 s[4:5], s[4:5], s[6:7]
	v_cndmask_b32_e64 v28, 0, 1, s[4:5]
	v_cmp_gt_u32_e64 s[4:5], s36, v25
	v_cmp_ne_u64_e64 s[6:7], v[6:7], v[8:9]
	s_and_b64 s[4:5], s[4:5], s[6:7]
	s_waitcnt vmcnt(0)
	v_cndmask_b32_e64 v16, 0, 1, s[4:5]
	v_cmp_gt_u32_e64 s[4:5], s36, v21
	v_cmp_ne_u64_e64 s[6:7], v[12:13], v[6:7]
	s_and_b64 s[4:5], s[4:5], s[6:7]
	v_cndmask_b32_e64 v18, 0, 1, s[4:5]
	v_cmp_gt_u32_e64 s[4:5], s36, v22
	v_cmp_ne_u64_e64 s[6:7], v[10:11], v[12:13]
	s_and_b64 s[4:5], s[4:5], s[6:7]
	v_cmp_gt_u32_e32 vcc, s36, v24
	v_cmp_ne_u64_e64 s[0:1], v[4:5], v[14:15]
	v_cndmask_b32_e64 v30, 0, 1, s[4:5]
	v_lshlrev_b16_e32 v17, 8, v27
	v_lshlrev_b16_e32 v16, 8, v16
	v_or_b32_e32 v17, v28, v17
	s_and_b64 s[0:1], vcc, s[0:1]
	v_or_b32_sdwa v16, v18, v16 dst_sel:WORD_1 dst_unused:UNUSED_PAD src0_sel:DWORD src1_sel:DWORD
	v_lshlrev_b16_e32 v18, 8, v30
	v_and_b32_e32 v17, 0xffff, v17
	v_cndmask_b32_e64 v29, 0, 1, s[0:1]
	v_or_b32_e32 v18, 1, v18
	v_lshl_or_b32 v17, v29, 16, v17
	v_or_b32_sdwa v16, v18, v16 dst_sel:DWORD dst_unused:UNUSED_PAD src0_sel:WORD_0 src1_sel:DWORD
	s_waitcnt lgkmcnt(0)
	s_barrier
	s_waitcnt lgkmcnt(0)
                                        ; implicit-def: $sgpr0_sgpr1
                                        ; implicit-def: $vgpr18
	s_and_saveexec_b64 s[4:5], s[2:3]
	s_cbranch_execz .LBB711_127
; %bb.40:
	v_add_u32_e32 v17, -8, v19
	ds_read_b64 v[30:31], v17
	s_mov_b32 s0, 0x3020104
	v_cmp_gt_u32_e32 vcc, s36, v20
	v_perm_b32 v18, v16, v16, s0
	s_or_b64 s[34:35], s[34:35], exec
	s_waitcnt lgkmcnt(0)
	v_cmp_ne_u64_e64 s[0:1], v[30:31], v[10:11]
	s_and_b64 s[0:1], vcc, s[0:1]
	s_and_b64 s[0:1], s[0:1], exec
                                        ; implicit-def: $vgpr16_vgpr17
	s_or_b64 exec, exec, s[4:5]
.LBB711_41:
	s_and_saveexec_b64 s[2:3], s[34:35]
	s_cbranch_execz .LBB711_43
.LBB711_42:
	s_waitcnt vmcnt(0)
	v_lshlrev_b16_e32 v17, 8, v27
	v_and_b32_e32 v19, 0xff, v29
	v_or_b32_sdwa v17, v28, v17 dst_sel:DWORD dst_unused:UNUSED_PAD src0_sel:BYTE_0 src1_sel:DWORD
	v_lshlrev_b32_e32 v19, 16, v19
	v_cndmask_b32_e64 v16, 0, 1, s[0:1]
	s_movk_i32 s0, 0xff
	v_or_b32_sdwa v17, v17, v19 dst_sel:DWORD dst_unused:UNUSED_PAD src0_sel:WORD_0 src1_sel:DWORD
	v_lshrrev_b32_e32 v19, 24, v18
	v_lshlrev_b16_e32 v19, 8, v19
	v_and_b32_sdwa v27, v18, s0 dst_sel:DWORD dst_unused:UNUSED_PAD src0_sel:WORD_1 src1_sel:DWORD
	v_or_b32_sdwa v19, v27, v19 dst_sel:WORD_1 dst_unused:UNUSED_PAD src0_sel:DWORD src1_sel:DWORD
	v_mov_b32_e32 v27, 8
	v_lshrrev_b32_sdwa v18, v27, v18 dst_sel:BYTE_1 dst_unused:UNUSED_PAD src0_sel:DWORD src1_sel:DWORD
	s_nop 0
	v_or_b32_e32 v16, v16, v18
	v_or_b32_sdwa v16, v16, v19 dst_sel:DWORD dst_unused:UNUSED_PAD src0_sel:WORD_0 src1_sel:DWORD
.LBB711_43:
	s_or_b64 exec, exec, s[2:3]
	s_andn2_b64 vcc, exec, s[14:15]
	s_cbranch_vccnz .LBB711_45
; %bb.44:
	s_waitcnt vmcnt(0)
	v_and_b32_e32 v18, 0xffff0000, v16
	v_cmp_gt_u32_e32 vcc, s36, v20
	s_mov_b32 s0, 0x40c0100
	s_nop 0
	v_cndmask_b32_e32 v18, v18, v16, vcc
	v_and_b32_e32 v18, 0xffff00ff, v18
	v_cmp_gt_u32_e32 vcc, s36, v22
	s_nop 1
	v_cndmask_b32_e32 v18, v18, v16, vcc
	v_lshrrev_b32_e32 v19, 24, v18
	v_perm_b32 v18, v19, v18, s0
	v_cmp_gt_u32_e32 vcc, s36, v21
	v_and_b32_e32 v19, 0xffffff00, v17
	s_nop 0
	v_cndmask_b32_e32 v18, v18, v16, vcc
	v_and_b32_e32 v18, 0xffffff, v18
	v_cmp_gt_u32_e32 vcc, s36, v25
	s_nop 1
	v_cndmask_b32_e32 v18, v18, v16, vcc
	v_cmp_gt_u32_e32 vcc, s36, v23
	s_nop 1
	v_cndmask_b32_e32 v19, v19, v17, vcc
	v_and_b32_e32 v19, 0xffff00ff, v19
	v_cndmask_b32_e32 v18, v18, v16, vcc
	v_cmp_gt_u32_e32 vcc, s36, v26
	s_nop 1
	v_cndmask_b32_e32 v19, v19, v17, vcc
	v_lshrrev_b32_e32 v20, 24, v19
	v_cndmask_b32_e32 v18, v18, v16, vcc
	v_perm_b32 v19, v20, v19, s0
	v_cmp_gt_u32_e32 vcc, s36, v24
	s_mov_b32 s0, 0x3020104
	s_nop 0
	v_cndmask_b32_e32 v16, v18, v16, vcc
	v_cndmask_b32_e32 v17, v19, v17, vcc
	v_mov_b32_e32 v18, 8
	v_lshrrev_b32_sdwa v18, v18, v17 dst_sel:BYTE_1 dst_unused:UNUSED_PAD src0_sel:DWORD src1_sel:DWORD
	v_perm_b32 v16, v16, v16, s0
	v_or_b32_sdwa v18, v17, v18 dst_sel:DWORD dst_unused:UNUSED_PAD src0_sel:BYTE_0 src1_sel:DWORD
	v_and_b32_e32 v18, 0xffff, v18
	v_bfe_u32 v17, v17, 16, 8
	v_lshl_or_b32 v17, v17, 16, v18
.LBB711_45:
	s_waitcnt vmcnt(0)
	v_and_b32_e32 v29, 0xff, v16
	v_bfe_u32 v31, v16, 8, 8
	v_bfe_u32 v33, v16, 16, 8
	v_alignbit_b32 v18, v17, v16, 24
	v_and_b32_e32 v35, 0xff, v18
	v_and_b32_e32 v36, 0xff, v17
	v_add3_u32 v19, v31, v29, v33
	v_bfe_u32 v37, v17, 8, 8
	v_bfe_u32 v18, v17, 16, 8
	v_add3_u32 v19, v19, v35, v36
	v_add3_u32 v40, v19, v37, v18
	v_mbcnt_lo_u32_b32 v18, -1, 0
	v_mbcnt_hi_u32_b32 v38, -1, v18
	v_and_b32_e32 v18, 15, v38
	v_cmp_eq_u32_e64 s[14:15], 0, v18
	v_cmp_lt_u32_e64 s[12:13], 1, v18
	v_cmp_lt_u32_e64 s[10:11], 3, v18
	v_cmp_lt_u32_e64 s[8:9], 7, v18
	v_and_b32_e32 v18, 16, v38
	v_cmp_eq_u32_e64 s[6:7], 0, v18
	v_or_b32_e32 v18, 63, v0
	v_cmp_lt_u32_e64 s[2:3], 31, v38
	v_lshrrev_b32_e32 v39, 6, v0
	v_cmp_eq_u32_e64 s[4:5], v18, v0
	s_and_b64 vcc, exec, s[16:17]
	s_waitcnt lgkmcnt(0)
	s_barrier
	s_cbranch_vccz .LBB711_72
; %bb.46:
	v_mov_b32_dpp v18, v40 row_shr:1 row_mask:0xf bank_mask:0xf
	v_cndmask_b32_e64 v18, v18, 0, s[14:15]
	v_add_u32_e32 v18, v18, v40
	s_nop 1
	v_mov_b32_dpp v19, v18 row_shr:2 row_mask:0xf bank_mask:0xf
	v_cndmask_b32_e64 v19, 0, v19, s[12:13]
	v_add_u32_e32 v18, v18, v19
	s_nop 1
	v_mov_b32_dpp v19, v18 row_shr:4 row_mask:0xf bank_mask:0xf
	v_cndmask_b32_e64 v19, 0, v19, s[10:11]
	v_add_u32_e32 v18, v18, v19
	s_nop 1
	v_mov_b32_dpp v19, v18 row_shr:8 row_mask:0xf bank_mask:0xf
	v_cndmask_b32_e64 v19, 0, v19, s[8:9]
	v_add_u32_e32 v18, v18, v19
	s_nop 1
	v_mov_b32_dpp v19, v18 row_bcast:15 row_mask:0xf bank_mask:0xf
	v_cndmask_b32_e64 v19, v19, 0, s[6:7]
	v_add_u32_e32 v18, v18, v19
	s_nop 1
	v_mov_b32_dpp v19, v18 row_bcast:31 row_mask:0xf bank_mask:0xf
	v_cndmask_b32_e64 v19, 0, v19, s[2:3]
	v_add_u32_e32 v18, v18, v19
	s_and_saveexec_b64 s[0:1], s[4:5]
	s_cbranch_execz .LBB711_48
; %bb.47:
	v_lshlrev_b32_e32 v19, 2, v39
	ds_write_b32 v19, v18
.LBB711_48:
	s_or_b64 exec, exec, s[0:1]
	v_cmp_gt_u32_e32 vcc, 8, v0
	s_waitcnt lgkmcnt(0)
	s_barrier
	s_and_saveexec_b64 s[0:1], vcc
	s_cbranch_execz .LBB711_50
; %bb.49:
	v_lshlrev_b32_e32 v19, 2, v0
	ds_read_b32 v20, v19
	v_and_b32_e32 v21, 7, v38
	v_cmp_ne_u32_e32 vcc, 0, v21
	s_waitcnt lgkmcnt(0)
	v_mov_b32_dpp v22, v20 row_shr:1 row_mask:0xf bank_mask:0xf
	v_cndmask_b32_e32 v22, 0, v22, vcc
	v_add_u32_e32 v20, v22, v20
	v_cmp_lt_u32_e32 vcc, 1, v21
	s_nop 0
	v_mov_b32_dpp v22, v20 row_shr:2 row_mask:0xf bank_mask:0xf
	v_cndmask_b32_e32 v22, 0, v22, vcc
	v_add_u32_e32 v20, v20, v22
	v_cmp_lt_u32_e32 vcc, 3, v21
	s_nop 0
	v_mov_b32_dpp v22, v20 row_shr:4 row_mask:0xf bank_mask:0xf
	v_cndmask_b32_e32 v21, 0, v22, vcc
	v_add_u32_e32 v20, v20, v21
	ds_write_b32 v19, v20
.LBB711_50:
	s_or_b64 exec, exec, s[0:1]
	v_cmp_gt_u32_e32 vcc, 64, v0
	v_cmp_lt_u32_e64 s[0:1], 63, v0
	s_waitcnt lgkmcnt(0)
	s_barrier
	s_waitcnt lgkmcnt(0)
                                        ; implicit-def: $vgpr28
	s_and_saveexec_b64 s[16:17], s[0:1]
	s_cbranch_execz .LBB711_52
; %bb.51:
	v_lshl_add_u32 v19, v39, 2, -4
	ds_read_b32 v28, v19
	s_waitcnt lgkmcnt(0)
	v_add_u32_e32 v18, v28, v18
.LBB711_52:
	s_or_b64 exec, exec, s[16:17]
	v_add_u32_e32 v19, -1, v38
	v_and_b32_e32 v20, 64, v38
	v_cmp_lt_i32_e64 s[0:1], v19, v20
	v_cmp_eq_u32_e64 s[16:17], 0, v38
	s_nop 0
	v_cndmask_b32_e64 v19, v19, v38, s[0:1]
	v_lshlrev_b32_e32 v19, 2, v19
	ds_bpermute_b32 v30, v19, v18
	s_and_saveexec_b64 s[0:1], vcc
	s_cbranch_execz .LBB711_71
; %bb.53:
	v_mov_b32_e32 v25, 0
	ds_read_b32 v18, v25 offset:28
	s_and_saveexec_b64 s[34:35], s[16:17]
	s_cbranch_execz .LBB711_55
; %bb.54:
	s_add_i32 s36, s33, 64
	s_mov_b32 s37, 0
	s_lshl_b64 s[36:37], s[36:37], 3
	s_add_u32 s36, s30, s36
	v_mov_b32_e32 v19, 1
	s_addc_u32 s37, s31, s37
	s_waitcnt lgkmcnt(0)
	global_store_dwordx2 v25, v[18:19], s[36:37] sc1
.LBB711_55:
	s_or_b64 exec, exec, s[34:35]
	v_xad_u32 v20, v38, -1, s33
	v_add_u32_e32 v24, 64, v20
	v_lshl_add_u64 v[26:27], v[24:25], 3, s[30:31]
	global_load_dwordx2 v[22:23], v[26:27], off sc1
	s_waitcnt vmcnt(0)
	v_cmp_eq_u16_sdwa s[36:37], v23, v25 src0_sel:BYTE_0 src1_sel:DWORD
	s_and_saveexec_b64 s[34:35], s[36:37]
	s_cbranch_execz .LBB711_59
; %bb.56:
	s_mov_b64 s[36:37], 0
	v_mov_b32_e32 v19, 0
.LBB711_57:                             ; =>This Inner Loop Header: Depth=1
	global_load_dwordx2 v[22:23], v[26:27], off sc1
	s_waitcnt vmcnt(0)
	v_cmp_ne_u16_sdwa s[38:39], v23, v19 src0_sel:BYTE_0 src1_sel:DWORD
	s_or_b64 s[36:37], s[38:39], s[36:37]
	s_andn2_b64 exec, exec, s[36:37]
	s_cbranch_execnz .LBB711_57
; %bb.58:
	s_or_b64 exec, exec, s[36:37]
.LBB711_59:
	s_or_b64 exec, exec, s[34:35]
	v_and_b32_e32 v34, 63, v38
	v_mov_b32_e32 v32, 2
	v_cmp_ne_u32_e32 vcc, 63, v34
	v_cmp_eq_u16_sdwa s[34:35], v23, v32 src0_sel:BYTE_0 src1_sel:DWORD
	v_lshlrev_b64 v[24:25], v38, -1
	v_addc_co_u32_e32 v26, vcc, 0, v38, vcc
	v_and_b32_e32 v19, s35, v25
	v_lshlrev_b32_e32 v41, 2, v26
	v_or_b32_e32 v19, 0x80000000, v19
	ds_bpermute_b32 v26, v41, v22
	v_and_b32_e32 v21, s34, v24
	v_ffbl_b32_e32 v19, v19
	v_add_u32_e32 v19, 32, v19
	v_ffbl_b32_e32 v21, v21
	v_min_u32_e32 v19, v21, v19
	v_cmp_lt_u32_e32 vcc, v34, v19
	v_add_u32_e32 v43, 2, v34
	v_add_u32_e32 v45, 4, v34
	s_waitcnt lgkmcnt(0)
	v_cndmask_b32_e32 v21, 0, v26, vcc
	v_cmp_gt_u32_e32 vcc, 62, v34
	v_add_u32_e32 v21, v21, v22
	v_add_u32_e32 v47, 8, v34
	v_cndmask_b32_e64 v22, 0, 1, vcc
	v_lshlrev_b32_e32 v22, 1, v22
	v_add_lshl_u32 v42, v22, v38, 2
	ds_bpermute_b32 v22, v42, v21
	v_cmp_le_u32_e32 vcc, v43, v19
	v_add_u32_e32 v49, 16, v34
	v_add_u32_e32 v51, 32, v34
	s_waitcnt lgkmcnt(0)
	v_cndmask_b32_e32 v22, 0, v22, vcc
	v_cmp_gt_u32_e32 vcc, 60, v34
	v_add_u32_e32 v21, v21, v22
	s_nop 0
	v_cndmask_b32_e64 v22, 0, 1, vcc
	v_lshlrev_b32_e32 v22, 2, v22
	v_add_lshl_u32 v44, v22, v38, 2
	ds_bpermute_b32 v22, v44, v21
	v_cmp_le_u32_e32 vcc, v45, v19
	s_waitcnt lgkmcnt(0)
	s_nop 0
	v_cndmask_b32_e32 v22, 0, v22, vcc
	v_cmp_gt_u32_e32 vcc, 56, v34
	v_add_u32_e32 v21, v21, v22
	s_nop 0
	v_cndmask_b32_e64 v22, 0, 1, vcc
	v_lshlrev_b32_e32 v22, 3, v22
	v_add_lshl_u32 v46, v22, v38, 2
	ds_bpermute_b32 v22, v46, v21
	v_cmp_le_u32_e32 vcc, v47, v19
	s_waitcnt lgkmcnt(0)
	s_nop 0
	;; [unrolled: 11-line block ×4, first 2 shown]
	v_cndmask_b32_e32 v19, 0, v22, vcc
	v_add_u32_e32 v22, v21, v19
	v_mov_b32_e32 v21, 0
	s_branch .LBB711_61
.LBB711_60:                             ;   in Loop: Header=BB711_61 Depth=1
	s_or_b64 exec, exec, s[34:35]
	v_cmp_eq_u16_sdwa s[34:35], v23, v32 src0_sel:BYTE_0 src1_sel:DWORD
	ds_bpermute_b32 v52, v41, v22
	v_subrev_u32_e32 v20, 64, v20
	v_and_b32_e32 v26, s35, v25
	v_or_b32_e32 v26, 0x80000000, v26
	v_and_b32_e32 v27, s34, v24
	v_ffbl_b32_e32 v26, v26
	v_add_u32_e32 v26, 32, v26
	v_ffbl_b32_e32 v27, v27
	v_min_u32_e32 v26, v27, v26
	v_cmp_lt_u32_e32 vcc, v34, v26
	s_waitcnt lgkmcnt(0)
	s_nop 0
	v_cndmask_b32_e32 v27, 0, v52, vcc
	v_add_u32_e32 v22, v27, v22
	ds_bpermute_b32 v27, v42, v22
	v_cmp_le_u32_e32 vcc, v43, v26
	s_waitcnt lgkmcnt(0)
	s_nop 0
	v_cndmask_b32_e32 v27, 0, v27, vcc
	v_add_u32_e32 v22, v22, v27
	ds_bpermute_b32 v27, v44, v22
	v_cmp_le_u32_e32 vcc, v45, v26
	;; [unrolled: 6-line block ×5, first 2 shown]
	s_waitcnt lgkmcnt(0)
	s_nop 0
	v_cndmask_b32_e32 v26, 0, v27, vcc
	v_add3_u32 v22, v26, v19, v22
.LBB711_61:                             ; =>This Loop Header: Depth=1
                                        ;     Child Loop BB711_64 Depth 2
	v_cmp_ne_u16_sdwa s[34:35], v23, v32 src0_sel:BYTE_0 src1_sel:DWORD
	s_nop 1
	v_cndmask_b32_e64 v19, 0, 1, s[34:35]
	;;#ASMSTART
	;;#ASMEND
	s_nop 0
	v_cmp_ne_u32_e32 vcc, 0, v19
	s_cmp_lg_u64 vcc, exec
	v_mov_b32_e32 v19, v22
	s_cbranch_scc1 .LBB711_66
; %bb.62:                               ;   in Loop: Header=BB711_61 Depth=1
	v_lshl_add_u64 v[26:27], v[20:21], 3, s[30:31]
	global_load_dwordx2 v[22:23], v[26:27], off sc1
	s_waitcnt vmcnt(0)
	v_cmp_eq_u16_sdwa s[36:37], v23, v21 src0_sel:BYTE_0 src1_sel:DWORD
	s_and_saveexec_b64 s[34:35], s[36:37]
	s_cbranch_execz .LBB711_60
; %bb.63:                               ;   in Loop: Header=BB711_61 Depth=1
	s_mov_b64 s[36:37], 0
.LBB711_64:                             ;   Parent Loop BB711_61 Depth=1
                                        ; =>  This Inner Loop Header: Depth=2
	global_load_dwordx2 v[22:23], v[26:27], off sc1
	s_waitcnt vmcnt(0)
	v_cmp_ne_u16_sdwa s[38:39], v23, v21 src0_sel:BYTE_0 src1_sel:DWORD
	s_or_b64 s[36:37], s[38:39], s[36:37]
	s_andn2_b64 exec, exec, s[36:37]
	s_cbranch_execnz .LBB711_64
; %bb.65:                               ;   in Loop: Header=BB711_61 Depth=1
	s_or_b64 exec, exec, s[36:37]
	s_branch .LBB711_60
.LBB711_66:                             ;   in Loop: Header=BB711_61 Depth=1
                                        ; implicit-def: $vgpr22
                                        ; implicit-def: $vgpr23
	s_cbranch_execz .LBB711_61
; %bb.67:
	s_and_saveexec_b64 s[34:35], s[16:17]
	s_cbranch_execz .LBB711_69
; %bb.68:
	s_add_i32 s36, s33, 64
	s_mov_b32 s37, 0
	s_lshl_b64 s[36:37], s[36:37], 3
	s_add_u32 s36, s30, s36
	v_add_u32_e32 v20, v19, v18
	v_mov_b32_e32 v21, 2
	s_addc_u32 s37, s31, s37
	v_mov_b32_e32 v22, 0
	global_store_dwordx2 v22, v[20:21], s[36:37] sc1
	ds_write_b64 v22, v[18:19] offset:28672
.LBB711_69:
	s_or_b64 exec, exec, s[34:35]
	s_and_b64 exec, exec, s[18:19]
	s_cbranch_execz .LBB711_71
; %bb.70:
	v_mov_b32_e32 v18, 0
	ds_write_b32 v18, v19 offset:28
.LBB711_71:
	s_or_b64 exec, exec, s[0:1]
	v_mov_b32_e32 v18, 0
	s_waitcnt lgkmcnt(0)
	s_barrier
	ds_read_b32 v19, v18 offset:28
	v_cndmask_b32_e64 v20, v30, v28, s[16:17]
	v_cndmask_b32_e64 v20, v20, 0, s[18:19]
	s_waitcnt lgkmcnt(0)
	s_barrier
	v_add_u32_e32 v34, v19, v20
	v_add_u32_e32 v32, v34, v29
	;; [unrolled: 1-line block ×3, first 2 shown]
	ds_read_b64 v[18:19], v18 offset:28672
	v_add_u32_e32 v28, v30, v33
	v_add_u32_e32 v26, v28, v35
	;; [unrolled: 1-line block ×4, first 2 shown]
	v_lshrrev_b64 v[20:21], 24, v[16:17]
	s_branch .LBB711_82
.LBB711_72:
                                        ; implicit-def: $vgpr19
                                        ; implicit-def: $vgpr22
                                        ; implicit-def: $vgpr24
                                        ; implicit-def: $vgpr26
                                        ; implicit-def: $vgpr28
                                        ; implicit-def: $vgpr30
                                        ; implicit-def: $vgpr32
                                        ; implicit-def: $vgpr34
	v_lshrrev_b64 v[20:21], 24, v[16:17]
	s_cbranch_execz .LBB711_82
; %bb.73:
	s_waitcnt lgkmcnt(0)
	v_mov_b32_dpp v18, v40 row_shr:1 row_mask:0xf bank_mask:0xf
	v_cndmask_b32_e64 v18, v18, 0, s[14:15]
	v_add_u32_e32 v18, v18, v40
	s_nop 1
	v_mov_b32_dpp v19, v18 row_shr:2 row_mask:0xf bank_mask:0xf
	v_cndmask_b32_e64 v19, 0, v19, s[12:13]
	v_add_u32_e32 v18, v18, v19
	s_nop 1
	;; [unrolled: 4-line block ×4, first 2 shown]
	v_mov_b32_dpp v19, v18 row_bcast:15 row_mask:0xf bank_mask:0xf
	v_cndmask_b32_e64 v19, v19, 0, s[6:7]
	v_add_u32_e32 v18, v18, v19
	s_nop 1
	v_mov_b32_dpp v19, v18 row_bcast:31 row_mask:0xf bank_mask:0xf
	v_cndmask_b32_e64 v19, 0, v19, s[2:3]
	v_add_u32_e32 v18, v18, v19
	s_and_saveexec_b64 s[0:1], s[4:5]
	s_cbranch_execz .LBB711_75
; %bb.74:
	v_lshlrev_b32_e32 v19, 2, v39
	ds_write_b32 v19, v18
.LBB711_75:
	s_or_b64 exec, exec, s[0:1]
	v_cmp_gt_u32_e32 vcc, 8, v0
	s_waitcnt lgkmcnt(0)
	s_barrier
	s_and_saveexec_b64 s[0:1], vcc
	s_cbranch_execz .LBB711_77
; %bb.76:
	s_movk_i32 s2, 0xffcc
	v_mad_i32_i24 v1, v0, s2, v1
	ds_read_b32 v19, v1
	v_and_b32_e32 v21, 7, v38
	v_cmp_ne_u32_e32 vcc, 0, v21
	s_waitcnt lgkmcnt(0)
	v_mov_b32_dpp v22, v19 row_shr:1 row_mask:0xf bank_mask:0xf
	v_cndmask_b32_e32 v22, 0, v22, vcc
	v_add_u32_e32 v19, v22, v19
	v_cmp_lt_u32_e32 vcc, 1, v21
	s_nop 0
	v_mov_b32_dpp v22, v19 row_shr:2 row_mask:0xf bank_mask:0xf
	v_cndmask_b32_e32 v22, 0, v22, vcc
	v_add_u32_e32 v19, v19, v22
	v_cmp_lt_u32_e32 vcc, 3, v21
	s_nop 0
	v_mov_b32_dpp v22, v19 row_shr:4 row_mask:0xf bank_mask:0xf
	v_cndmask_b32_e32 v21, 0, v22, vcc
	v_add_u32_e32 v19, v19, v21
	ds_write_b32 v1, v19
.LBB711_77:
	s_or_b64 exec, exec, s[0:1]
	v_cmp_lt_u32_e32 vcc, 63, v0
	v_mov_b32_e32 v19, 0
	v_mov_b32_e32 v1, 0
	s_waitcnt lgkmcnt(0)
	s_barrier
	s_and_saveexec_b64 s[0:1], vcc
	s_cbranch_execz .LBB711_79
; %bb.78:
	v_lshl_add_u32 v1, v39, 2, -4
	ds_read_b32 v1, v1
.LBB711_79:
	s_or_b64 exec, exec, s[0:1]
	v_add_u32_e32 v21, -1, v38
	v_and_b32_e32 v22, 64, v38
	v_cmp_lt_i32_e32 vcc, v21, v22
	s_waitcnt lgkmcnt(0)
	v_add_u32_e32 v18, v1, v18
	v_cndmask_b32_e32 v21, v21, v38, vcc
	v_lshlrev_b32_e32 v21, 2, v21
	ds_bpermute_b32 v21, v21, v18
	ds_read_b32 v18, v19 offset:28
	s_and_saveexec_b64 s[0:1], s[18:19]
	s_cbranch_execz .LBB711_81
; %bb.80:
	v_mov_b32_e32 v22, 0
	v_mov_b32_e32 v19, 2
	s_waitcnt lgkmcnt(0)
	global_store_dwordx2 v22, v[18:19], s[30:31] offset:512 sc1
.LBB711_81:
	s_or_b64 exec, exec, s[0:1]
	v_cmp_eq_u32_e32 vcc, 0, v38
	v_mov_b32_e32 v19, 0
	s_waitcnt lgkmcnt(0)
	v_cndmask_b32_e32 v1, v21, v1, vcc
	v_cndmask_b32_e64 v34, v1, 0, s[18:19]
	v_add_u32_e32 v32, v34, v29
	v_add_u32_e32 v30, v32, v31
	;; [unrolled: 1-line block ×6, first 2 shown]
	s_barrier
.LBB711_82:
	s_movk_i32 s0, 0x201
	s_waitcnt lgkmcnt(0)
	v_cmp_gt_u32_e32 vcc, s0, v18
	v_lshrrev_b32_e32 v21, 8, v16
	v_lshrrev_b32_e32 v1, 8, v17
	s_mov_b64 s[0:1], -1
	s_cbranch_vccnz .LBB711_86
; %bb.83:
	s_and_b64 vcc, exec, s[0:1]
	s_cbranch_vccnz .LBB711_108
.LBB711_84:
	s_and_b64 s[0:1], s[18:19], s[26:27]
	s_and_saveexec_b64 s[2:3], s[0:1]
	s_cbranch_execnz .LBB711_126
.LBB711_85:
	s_endpgm
.LBB711_86:
	v_add_u32_e32 v23, v19, v18
	v_cmp_lt_u32_e32 vcc, v34, v23
	s_or_b64 s[2:3], s[28:29], vcc
	s_and_saveexec_b64 s[0:1], s[2:3]
	s_cbranch_execz .LBB711_89
; %bb.87:
	v_and_b32_e32 v25, 1, v16
	v_cmp_eq_u32_e32 vcc, 1, v25
	s_and_b64 exec, exec, vcc
	s_cbranch_execz .LBB711_89
; %bb.88:
	s_lshl_b64 s[2:3], s[22:23], 3
	s_add_u32 s2, s24, s2
	s_addc_u32 s3, s25, s3
	v_mov_b32_e32 v35, 0
	v_lshl_add_u64 v[36:37], v[34:35], 3, s[2:3]
	global_store_dwordx2 v[36:37], v[10:11], off
.LBB711_89:
	s_or_b64 exec, exec, s[0:1]
	v_cmp_lt_u32_e32 vcc, v32, v23
	s_or_b64 s[2:3], s[28:29], vcc
	s_and_saveexec_b64 s[0:1], s[2:3]
	s_cbranch_execz .LBB711_92
; %bb.90:
	v_and_b32_e32 v25, 1, v21
	v_cmp_eq_u32_e32 vcc, 1, v25
	s_and_b64 exec, exec, vcc
	s_cbranch_execz .LBB711_92
; %bb.91:
	s_lshl_b64 s[2:3], s[22:23], 3
	s_add_u32 s2, s24, s2
	s_addc_u32 s3, s25, s3
	v_mov_b32_e32 v33, 0
	v_lshl_add_u64 v[36:37], v[32:33], 3, s[2:3]
	global_store_dwordx2 v[36:37], v[12:13], off
.LBB711_92:
	s_or_b64 exec, exec, s[0:1]
	v_cmp_lt_u32_e32 vcc, v30, v23
	s_or_b64 s[2:3], s[28:29], vcc
	s_and_saveexec_b64 s[0:1], s[2:3]
	s_cbranch_execz .LBB711_95
; %bb.93:
	v_mov_b32_e32 v25, 1
	v_and_b32_sdwa v25, v25, v16 dst_sel:DWORD dst_unused:UNUSED_PAD src0_sel:DWORD src1_sel:WORD_1
	v_cmp_eq_u32_e32 vcc, 1, v25
	s_and_b64 exec, exec, vcc
	s_cbranch_execz .LBB711_95
; %bb.94:
	s_lshl_b64 s[2:3], s[22:23], 3
	s_add_u32 s2, s24, s2
	s_addc_u32 s3, s25, s3
	v_mov_b32_e32 v31, 0
	v_lshl_add_u64 v[36:37], v[30:31], 3, s[2:3]
	global_store_dwordx2 v[36:37], v[6:7], off
.LBB711_95:
	s_or_b64 exec, exec, s[0:1]
	v_cmp_lt_u32_e32 vcc, v28, v23
	s_or_b64 s[2:3], s[28:29], vcc
	s_and_saveexec_b64 s[0:1], s[2:3]
	s_cbranch_execz .LBB711_98
; %bb.96:
	v_and_b32_e32 v25, 1, v20
	v_cmp_eq_u32_e32 vcc, 1, v25
	s_and_b64 exec, exec, vcc
	s_cbranch_execz .LBB711_98
; %bb.97:
	s_lshl_b64 s[2:3], s[22:23], 3
	s_add_u32 s2, s24, s2
	s_addc_u32 s3, s25, s3
	v_mov_b32_e32 v29, 0
	v_lshl_add_u64 v[36:37], v[28:29], 3, s[2:3]
	global_store_dwordx2 v[36:37], v[8:9], off
.LBB711_98:
	s_or_b64 exec, exec, s[0:1]
	v_cmp_lt_u32_e32 vcc, v26, v23
	s_or_b64 s[2:3], s[28:29], vcc
	s_and_saveexec_b64 s[0:1], s[2:3]
	s_cbranch_execz .LBB711_101
; %bb.99:
	v_and_b32_e32 v25, 1, v17
	v_cmp_eq_u32_e32 vcc, 1, v25
	s_and_b64 exec, exec, vcc
	s_cbranch_execz .LBB711_101
; %bb.100:
	s_lshl_b64 s[2:3], s[22:23], 3
	s_add_u32 s2, s24, s2
	s_addc_u32 s3, s25, s3
	v_mov_b32_e32 v27, 0
	v_lshl_add_u64 v[36:37], v[26:27], 3, s[2:3]
	global_store_dwordx2 v[36:37], v[2:3], off
.LBB711_101:
	;; [unrolled: 18-line block ×3, first 2 shown]
	s_or_b64 exec, exec, s[0:1]
	v_cmp_lt_u32_e32 vcc, v22, v23
	s_or_b64 s[2:3], s[28:29], vcc
	s_and_saveexec_b64 s[0:1], s[2:3]
	s_cbranch_execz .LBB711_107
; %bb.105:
	v_mov_b32_e32 v23, 1
	v_and_b32_sdwa v23, v23, v17 dst_sel:DWORD dst_unused:UNUSED_PAD src0_sel:DWORD src1_sel:WORD_1
	v_cmp_eq_u32_e32 vcc, 1, v23
	s_and_b64 exec, exec, vcc
	s_cbranch_execz .LBB711_107
; %bb.106:
	s_lshl_b64 s[2:3], s[22:23], 3
	s_add_u32 s2, s24, s2
	s_addc_u32 s3, s25, s3
	v_mov_b32_e32 v23, 0
	v_lshl_add_u64 v[36:37], v[22:23], 3, s[2:3]
	global_store_dwordx2 v[36:37], v[14:15], off
.LBB711_107:
	s_or_b64 exec, exec, s[0:1]
	s_branch .LBB711_84
.LBB711_108:
	v_and_b32_e32 v23, 1, v16
	v_cmp_eq_u32_e32 vcc, 1, v23
	s_and_saveexec_b64 s[0:1], vcc
	s_cbranch_execz .LBB711_110
; %bb.109:
	v_sub_u32_e32 v23, v34, v19
	v_lshlrev_b32_e32 v23, 3, v23
	ds_write_b64 v23, v[10:11]
.LBB711_110:
	s_or_b64 exec, exec, s[0:1]
	v_and_b32_e32 v10, 1, v21
	v_cmp_eq_u32_e32 vcc, 1, v10
	s_and_saveexec_b64 s[0:1], vcc
	s_cbranch_execz .LBB711_112
; %bb.111:
	v_sub_u32_e32 v10, v32, v19
	v_lshlrev_b32_e32 v10, 3, v10
	ds_write_b64 v10, v[12:13]
.LBB711_112:
	s_or_b64 exec, exec, s[0:1]
	v_mov_b32_e32 v10, 1
	v_and_b32_sdwa v10, v10, v16 dst_sel:DWORD dst_unused:UNUSED_PAD src0_sel:DWORD src1_sel:WORD_1
	v_cmp_eq_u32_e32 vcc, 1, v10
	s_and_saveexec_b64 s[0:1], vcc
	s_cbranch_execz .LBB711_114
; %bb.113:
	v_sub_u32_e32 v10, v30, v19
	v_lshlrev_b32_e32 v10, 3, v10
	ds_write_b64 v10, v[6:7]
.LBB711_114:
	s_or_b64 exec, exec, s[0:1]
	v_and_b32_e32 v6, 1, v20
	v_cmp_eq_u32_e32 vcc, 1, v6
	s_and_saveexec_b64 s[0:1], vcc
	s_cbranch_execz .LBB711_116
; %bb.115:
	v_sub_u32_e32 v6, v28, v19
	v_lshlrev_b32_e32 v6, 3, v6
	ds_write_b64 v6, v[8:9]
.LBB711_116:
	s_or_b64 exec, exec, s[0:1]
	v_and_b32_e32 v6, 1, v17
	;; [unrolled: 10-line block ×3, first 2 shown]
	v_cmp_eq_u32_e32 vcc, 1, v1
	s_and_saveexec_b64 s[0:1], vcc
	s_cbranch_execz .LBB711_120
; %bb.119:
	v_sub_u32_e32 v1, v24, v19
	v_lshlrev_b32_e32 v1, 3, v1
	ds_write_b64 v1, v[4:5]
.LBB711_120:
	s_or_b64 exec, exec, s[0:1]
	v_mov_b32_e32 v1, 1
	v_and_b32_sdwa v1, v1, v17 dst_sel:DWORD dst_unused:UNUSED_PAD src0_sel:DWORD src1_sel:WORD_1
	v_cmp_eq_u32_e32 vcc, 1, v1
	s_and_saveexec_b64 s[0:1], vcc
	s_cbranch_execz .LBB711_122
; %bb.121:
	v_sub_u32_e32 v1, v22, v19
	v_lshlrev_b32_e32 v1, 3, v1
	ds_write_b64 v1, v[14:15]
.LBB711_122:
	s_or_b64 exec, exec, s[0:1]
	v_cmp_lt_u32_e32 vcc, v0, v18
	s_waitcnt lgkmcnt(0)
	s_barrier
	s_and_saveexec_b64 s[0:1], vcc
	s_cbranch_execz .LBB711_125
; %bb.123:
	v_mov_b32_e32 v5, 0
	v_mov_b32_e32 v4, v19
	s_lshl_b64 s[2:3], s[22:23], 3
	v_lshlrev_b64 v[6:7], 3, v[4:5]
	v_lshl_add_u64 v[6:7], s[2:3], 0, v[6:7]
	v_lshlrev_b32_e32 v2, 3, v0
	v_mov_b32_e32 v3, v5
	v_lshl_add_u64 v[4:5], s[24:25], 0, v[6:7]
	v_lshl_add_u64 v[4:5], v[4:5], 0, v[2:3]
	s_mov_b64 s[2:3], 0
	s_mov_b64 s[4:5], 0x1000
.LBB711_124:                            ; =>This Inner Loop Header: Depth=1
	ds_read_b64 v[6:7], v2
	v_add_u32_e32 v0, 0x200, v0
	v_cmp_ge_u32_e32 vcc, v0, v18
	v_add_u32_e32 v2, 0x1000, v2
	s_or_b64 s[2:3], vcc, s[2:3]
	s_waitcnt lgkmcnt(0)
	global_store_dwordx2 v[4:5], v[6:7], off
	v_lshl_add_u64 v[4:5], v[4:5], 0, s[4:5]
	s_andn2_b64 exec, exec, s[2:3]
	s_cbranch_execnz .LBB711_124
.LBB711_125:
	s_or_b64 exec, exec, s[0:1]
	s_and_b64 s[0:1], s[18:19], s[26:27]
	s_and_saveexec_b64 s[2:3], s[0:1]
	s_cbranch_execz .LBB711_85
.LBB711_126:
	v_mov_b32_e32 v1, 0
	v_mov_b32_e32 v0, v18
	v_lshl_add_u64 v[2:3], s[22:23], 0, v[0:1]
	v_mov_b32_e32 v0, v19
	v_lshl_add_u64 v[2:3], v[2:3], 0, v[0:1]
	global_store_dwordx2 v1, v[2:3], s[20:21]
	s_endpgm
.LBB711_127:
	s_or_b64 exec, exec, s[4:5]
	s_and_saveexec_b64 s[2:3], s[34:35]
	s_cbranch_execnz .LBB711_42
	s_branch .LBB711_43
	.section	.rodata,"a",@progbits
	.p2align	6, 0x0
	.amdhsa_kernel _ZN7rocprim17ROCPRIM_400000_NS6detail17trampoline_kernelINS0_14default_configENS1_25partition_config_selectorILNS1_17partition_subalgoE8EmNS0_10empty_typeEbEEZZNS1_14partition_implILS5_8ELb0ES3_jPKmPS6_PKS6_NS0_5tupleIJPmS6_EEENSE_IJSB_SB_EEENS0_18inequality_wrapperIN6hipcub16HIPCUB_304000_NS8EqualityEEEPlJS6_EEE10hipError_tPvRmT3_T4_T5_T6_T7_T9_mT8_P12ihipStream_tbDpT10_ENKUlT_T0_E_clISt17integral_constantIbLb0EES16_IbLb1EEEEDaS12_S13_EUlS12_E_NS1_11comp_targetILNS1_3genE5ELNS1_11target_archE942ELNS1_3gpuE9ELNS1_3repE0EEENS1_30default_config_static_selectorELNS0_4arch9wavefront6targetE1EEEvT1_
		.amdhsa_group_segment_fixed_size 28680
		.amdhsa_private_segment_fixed_size 0
		.amdhsa_kernarg_size 128
		.amdhsa_user_sgpr_count 2
		.amdhsa_user_sgpr_dispatch_ptr 0
		.amdhsa_user_sgpr_queue_ptr 0
		.amdhsa_user_sgpr_kernarg_segment_ptr 1
		.amdhsa_user_sgpr_dispatch_id 0
		.amdhsa_user_sgpr_kernarg_preload_length 0
		.amdhsa_user_sgpr_kernarg_preload_offset 0
		.amdhsa_user_sgpr_private_segment_size 0
		.amdhsa_uses_dynamic_stack 0
		.amdhsa_enable_private_segment 0
		.amdhsa_system_sgpr_workgroup_id_x 1
		.amdhsa_system_sgpr_workgroup_id_y 0
		.amdhsa_system_sgpr_workgroup_id_z 0
		.amdhsa_system_sgpr_workgroup_info 0
		.amdhsa_system_vgpr_workitem_id 0
		.amdhsa_next_free_vgpr 53
		.amdhsa_next_free_sgpr 40
		.amdhsa_accum_offset 56
		.amdhsa_reserve_vcc 1
		.amdhsa_float_round_mode_32 0
		.amdhsa_float_round_mode_16_64 0
		.amdhsa_float_denorm_mode_32 3
		.amdhsa_float_denorm_mode_16_64 3
		.amdhsa_dx10_clamp 1
		.amdhsa_ieee_mode 1
		.amdhsa_fp16_overflow 0
		.amdhsa_tg_split 0
		.amdhsa_exception_fp_ieee_invalid_op 0
		.amdhsa_exception_fp_denorm_src 0
		.amdhsa_exception_fp_ieee_div_zero 0
		.amdhsa_exception_fp_ieee_overflow 0
		.amdhsa_exception_fp_ieee_underflow 0
		.amdhsa_exception_fp_ieee_inexact 0
		.amdhsa_exception_int_div_zero 0
	.end_amdhsa_kernel
	.section	.text._ZN7rocprim17ROCPRIM_400000_NS6detail17trampoline_kernelINS0_14default_configENS1_25partition_config_selectorILNS1_17partition_subalgoE8EmNS0_10empty_typeEbEEZZNS1_14partition_implILS5_8ELb0ES3_jPKmPS6_PKS6_NS0_5tupleIJPmS6_EEENSE_IJSB_SB_EEENS0_18inequality_wrapperIN6hipcub16HIPCUB_304000_NS8EqualityEEEPlJS6_EEE10hipError_tPvRmT3_T4_T5_T6_T7_T9_mT8_P12ihipStream_tbDpT10_ENKUlT_T0_E_clISt17integral_constantIbLb0EES16_IbLb1EEEEDaS12_S13_EUlS12_E_NS1_11comp_targetILNS1_3genE5ELNS1_11target_archE942ELNS1_3gpuE9ELNS1_3repE0EEENS1_30default_config_static_selectorELNS0_4arch9wavefront6targetE1EEEvT1_,"axG",@progbits,_ZN7rocprim17ROCPRIM_400000_NS6detail17trampoline_kernelINS0_14default_configENS1_25partition_config_selectorILNS1_17partition_subalgoE8EmNS0_10empty_typeEbEEZZNS1_14partition_implILS5_8ELb0ES3_jPKmPS6_PKS6_NS0_5tupleIJPmS6_EEENSE_IJSB_SB_EEENS0_18inequality_wrapperIN6hipcub16HIPCUB_304000_NS8EqualityEEEPlJS6_EEE10hipError_tPvRmT3_T4_T5_T6_T7_T9_mT8_P12ihipStream_tbDpT10_ENKUlT_T0_E_clISt17integral_constantIbLb0EES16_IbLb1EEEEDaS12_S13_EUlS12_E_NS1_11comp_targetILNS1_3genE5ELNS1_11target_archE942ELNS1_3gpuE9ELNS1_3repE0EEENS1_30default_config_static_selectorELNS0_4arch9wavefront6targetE1EEEvT1_,comdat
.Lfunc_end711:
	.size	_ZN7rocprim17ROCPRIM_400000_NS6detail17trampoline_kernelINS0_14default_configENS1_25partition_config_selectorILNS1_17partition_subalgoE8EmNS0_10empty_typeEbEEZZNS1_14partition_implILS5_8ELb0ES3_jPKmPS6_PKS6_NS0_5tupleIJPmS6_EEENSE_IJSB_SB_EEENS0_18inequality_wrapperIN6hipcub16HIPCUB_304000_NS8EqualityEEEPlJS6_EEE10hipError_tPvRmT3_T4_T5_T6_T7_T9_mT8_P12ihipStream_tbDpT10_ENKUlT_T0_E_clISt17integral_constantIbLb0EES16_IbLb1EEEEDaS12_S13_EUlS12_E_NS1_11comp_targetILNS1_3genE5ELNS1_11target_archE942ELNS1_3gpuE9ELNS1_3repE0EEENS1_30default_config_static_selectorELNS0_4arch9wavefront6targetE1EEEvT1_, .Lfunc_end711-_ZN7rocprim17ROCPRIM_400000_NS6detail17trampoline_kernelINS0_14default_configENS1_25partition_config_selectorILNS1_17partition_subalgoE8EmNS0_10empty_typeEbEEZZNS1_14partition_implILS5_8ELb0ES3_jPKmPS6_PKS6_NS0_5tupleIJPmS6_EEENSE_IJSB_SB_EEENS0_18inequality_wrapperIN6hipcub16HIPCUB_304000_NS8EqualityEEEPlJS6_EEE10hipError_tPvRmT3_T4_T5_T6_T7_T9_mT8_P12ihipStream_tbDpT10_ENKUlT_T0_E_clISt17integral_constantIbLb0EES16_IbLb1EEEEDaS12_S13_EUlS12_E_NS1_11comp_targetILNS1_3genE5ELNS1_11target_archE942ELNS1_3gpuE9ELNS1_3repE0EEENS1_30default_config_static_selectorELNS0_4arch9wavefront6targetE1EEEvT1_
                                        ; -- End function
	.section	.AMDGPU.csdata,"",@progbits
; Kernel info:
; codeLenInByte = 5620
; NumSgprs: 46
; NumVgprs: 53
; NumAgprs: 0
; TotalNumVgprs: 53
; ScratchSize: 0
; MemoryBound: 0
; FloatMode: 240
; IeeeMode: 1
; LDSByteSize: 28680 bytes/workgroup (compile time only)
; SGPRBlocks: 5
; VGPRBlocks: 6
; NumSGPRsForWavesPerEU: 46
; NumVGPRsForWavesPerEU: 53
; AccumOffset: 56
; Occupancy: 4
; WaveLimiterHint : 1
; COMPUTE_PGM_RSRC2:SCRATCH_EN: 0
; COMPUTE_PGM_RSRC2:USER_SGPR: 2
; COMPUTE_PGM_RSRC2:TRAP_HANDLER: 0
; COMPUTE_PGM_RSRC2:TGID_X_EN: 1
; COMPUTE_PGM_RSRC2:TGID_Y_EN: 0
; COMPUTE_PGM_RSRC2:TGID_Z_EN: 0
; COMPUTE_PGM_RSRC2:TIDIG_COMP_CNT: 0
; COMPUTE_PGM_RSRC3_GFX90A:ACCUM_OFFSET: 13
; COMPUTE_PGM_RSRC3_GFX90A:TG_SPLIT: 0
	.section	.text._ZN7rocprim17ROCPRIM_400000_NS6detail17trampoline_kernelINS0_14default_configENS1_25partition_config_selectorILNS1_17partition_subalgoE8EmNS0_10empty_typeEbEEZZNS1_14partition_implILS5_8ELb0ES3_jPKmPS6_PKS6_NS0_5tupleIJPmS6_EEENSE_IJSB_SB_EEENS0_18inequality_wrapperIN6hipcub16HIPCUB_304000_NS8EqualityEEEPlJS6_EEE10hipError_tPvRmT3_T4_T5_T6_T7_T9_mT8_P12ihipStream_tbDpT10_ENKUlT_T0_E_clISt17integral_constantIbLb0EES16_IbLb1EEEEDaS12_S13_EUlS12_E_NS1_11comp_targetILNS1_3genE4ELNS1_11target_archE910ELNS1_3gpuE8ELNS1_3repE0EEENS1_30default_config_static_selectorELNS0_4arch9wavefront6targetE1EEEvT1_,"axG",@progbits,_ZN7rocprim17ROCPRIM_400000_NS6detail17trampoline_kernelINS0_14default_configENS1_25partition_config_selectorILNS1_17partition_subalgoE8EmNS0_10empty_typeEbEEZZNS1_14partition_implILS5_8ELb0ES3_jPKmPS6_PKS6_NS0_5tupleIJPmS6_EEENSE_IJSB_SB_EEENS0_18inequality_wrapperIN6hipcub16HIPCUB_304000_NS8EqualityEEEPlJS6_EEE10hipError_tPvRmT3_T4_T5_T6_T7_T9_mT8_P12ihipStream_tbDpT10_ENKUlT_T0_E_clISt17integral_constantIbLb0EES16_IbLb1EEEEDaS12_S13_EUlS12_E_NS1_11comp_targetILNS1_3genE4ELNS1_11target_archE910ELNS1_3gpuE8ELNS1_3repE0EEENS1_30default_config_static_selectorELNS0_4arch9wavefront6targetE1EEEvT1_,comdat
	.protected	_ZN7rocprim17ROCPRIM_400000_NS6detail17trampoline_kernelINS0_14default_configENS1_25partition_config_selectorILNS1_17partition_subalgoE8EmNS0_10empty_typeEbEEZZNS1_14partition_implILS5_8ELb0ES3_jPKmPS6_PKS6_NS0_5tupleIJPmS6_EEENSE_IJSB_SB_EEENS0_18inequality_wrapperIN6hipcub16HIPCUB_304000_NS8EqualityEEEPlJS6_EEE10hipError_tPvRmT3_T4_T5_T6_T7_T9_mT8_P12ihipStream_tbDpT10_ENKUlT_T0_E_clISt17integral_constantIbLb0EES16_IbLb1EEEEDaS12_S13_EUlS12_E_NS1_11comp_targetILNS1_3genE4ELNS1_11target_archE910ELNS1_3gpuE8ELNS1_3repE0EEENS1_30default_config_static_selectorELNS0_4arch9wavefront6targetE1EEEvT1_ ; -- Begin function _ZN7rocprim17ROCPRIM_400000_NS6detail17trampoline_kernelINS0_14default_configENS1_25partition_config_selectorILNS1_17partition_subalgoE8EmNS0_10empty_typeEbEEZZNS1_14partition_implILS5_8ELb0ES3_jPKmPS6_PKS6_NS0_5tupleIJPmS6_EEENSE_IJSB_SB_EEENS0_18inequality_wrapperIN6hipcub16HIPCUB_304000_NS8EqualityEEEPlJS6_EEE10hipError_tPvRmT3_T4_T5_T6_T7_T9_mT8_P12ihipStream_tbDpT10_ENKUlT_T0_E_clISt17integral_constantIbLb0EES16_IbLb1EEEEDaS12_S13_EUlS12_E_NS1_11comp_targetILNS1_3genE4ELNS1_11target_archE910ELNS1_3gpuE8ELNS1_3repE0EEENS1_30default_config_static_selectorELNS0_4arch9wavefront6targetE1EEEvT1_
	.globl	_ZN7rocprim17ROCPRIM_400000_NS6detail17trampoline_kernelINS0_14default_configENS1_25partition_config_selectorILNS1_17partition_subalgoE8EmNS0_10empty_typeEbEEZZNS1_14partition_implILS5_8ELb0ES3_jPKmPS6_PKS6_NS0_5tupleIJPmS6_EEENSE_IJSB_SB_EEENS0_18inequality_wrapperIN6hipcub16HIPCUB_304000_NS8EqualityEEEPlJS6_EEE10hipError_tPvRmT3_T4_T5_T6_T7_T9_mT8_P12ihipStream_tbDpT10_ENKUlT_T0_E_clISt17integral_constantIbLb0EES16_IbLb1EEEEDaS12_S13_EUlS12_E_NS1_11comp_targetILNS1_3genE4ELNS1_11target_archE910ELNS1_3gpuE8ELNS1_3repE0EEENS1_30default_config_static_selectorELNS0_4arch9wavefront6targetE1EEEvT1_
	.p2align	8
	.type	_ZN7rocprim17ROCPRIM_400000_NS6detail17trampoline_kernelINS0_14default_configENS1_25partition_config_selectorILNS1_17partition_subalgoE8EmNS0_10empty_typeEbEEZZNS1_14partition_implILS5_8ELb0ES3_jPKmPS6_PKS6_NS0_5tupleIJPmS6_EEENSE_IJSB_SB_EEENS0_18inequality_wrapperIN6hipcub16HIPCUB_304000_NS8EqualityEEEPlJS6_EEE10hipError_tPvRmT3_T4_T5_T6_T7_T9_mT8_P12ihipStream_tbDpT10_ENKUlT_T0_E_clISt17integral_constantIbLb0EES16_IbLb1EEEEDaS12_S13_EUlS12_E_NS1_11comp_targetILNS1_3genE4ELNS1_11target_archE910ELNS1_3gpuE8ELNS1_3repE0EEENS1_30default_config_static_selectorELNS0_4arch9wavefront6targetE1EEEvT1_,@function
_ZN7rocprim17ROCPRIM_400000_NS6detail17trampoline_kernelINS0_14default_configENS1_25partition_config_selectorILNS1_17partition_subalgoE8EmNS0_10empty_typeEbEEZZNS1_14partition_implILS5_8ELb0ES3_jPKmPS6_PKS6_NS0_5tupleIJPmS6_EEENSE_IJSB_SB_EEENS0_18inequality_wrapperIN6hipcub16HIPCUB_304000_NS8EqualityEEEPlJS6_EEE10hipError_tPvRmT3_T4_T5_T6_T7_T9_mT8_P12ihipStream_tbDpT10_ENKUlT_T0_E_clISt17integral_constantIbLb0EES16_IbLb1EEEEDaS12_S13_EUlS12_E_NS1_11comp_targetILNS1_3genE4ELNS1_11target_archE910ELNS1_3gpuE8ELNS1_3repE0EEENS1_30default_config_static_selectorELNS0_4arch9wavefront6targetE1EEEvT1_: ; @_ZN7rocprim17ROCPRIM_400000_NS6detail17trampoline_kernelINS0_14default_configENS1_25partition_config_selectorILNS1_17partition_subalgoE8EmNS0_10empty_typeEbEEZZNS1_14partition_implILS5_8ELb0ES3_jPKmPS6_PKS6_NS0_5tupleIJPmS6_EEENSE_IJSB_SB_EEENS0_18inequality_wrapperIN6hipcub16HIPCUB_304000_NS8EqualityEEEPlJS6_EEE10hipError_tPvRmT3_T4_T5_T6_T7_T9_mT8_P12ihipStream_tbDpT10_ENKUlT_T0_E_clISt17integral_constantIbLb0EES16_IbLb1EEEEDaS12_S13_EUlS12_E_NS1_11comp_targetILNS1_3genE4ELNS1_11target_archE910ELNS1_3gpuE8ELNS1_3repE0EEENS1_30default_config_static_selectorELNS0_4arch9wavefront6targetE1EEEvT1_
; %bb.0:
	.section	.rodata,"a",@progbits
	.p2align	6, 0x0
	.amdhsa_kernel _ZN7rocprim17ROCPRIM_400000_NS6detail17trampoline_kernelINS0_14default_configENS1_25partition_config_selectorILNS1_17partition_subalgoE8EmNS0_10empty_typeEbEEZZNS1_14partition_implILS5_8ELb0ES3_jPKmPS6_PKS6_NS0_5tupleIJPmS6_EEENSE_IJSB_SB_EEENS0_18inequality_wrapperIN6hipcub16HIPCUB_304000_NS8EqualityEEEPlJS6_EEE10hipError_tPvRmT3_T4_T5_T6_T7_T9_mT8_P12ihipStream_tbDpT10_ENKUlT_T0_E_clISt17integral_constantIbLb0EES16_IbLb1EEEEDaS12_S13_EUlS12_E_NS1_11comp_targetILNS1_3genE4ELNS1_11target_archE910ELNS1_3gpuE8ELNS1_3repE0EEENS1_30default_config_static_selectorELNS0_4arch9wavefront6targetE1EEEvT1_
		.amdhsa_group_segment_fixed_size 0
		.amdhsa_private_segment_fixed_size 0
		.amdhsa_kernarg_size 128
		.amdhsa_user_sgpr_count 2
		.amdhsa_user_sgpr_dispatch_ptr 0
		.amdhsa_user_sgpr_queue_ptr 0
		.amdhsa_user_sgpr_kernarg_segment_ptr 1
		.amdhsa_user_sgpr_dispatch_id 0
		.amdhsa_user_sgpr_kernarg_preload_length 0
		.amdhsa_user_sgpr_kernarg_preload_offset 0
		.amdhsa_user_sgpr_private_segment_size 0
		.amdhsa_uses_dynamic_stack 0
		.amdhsa_enable_private_segment 0
		.amdhsa_system_sgpr_workgroup_id_x 1
		.amdhsa_system_sgpr_workgroup_id_y 0
		.amdhsa_system_sgpr_workgroup_id_z 0
		.amdhsa_system_sgpr_workgroup_info 0
		.amdhsa_system_vgpr_workitem_id 0
		.amdhsa_next_free_vgpr 1
		.amdhsa_next_free_sgpr 0
		.amdhsa_accum_offset 4
		.amdhsa_reserve_vcc 0
		.amdhsa_float_round_mode_32 0
		.amdhsa_float_round_mode_16_64 0
		.amdhsa_float_denorm_mode_32 3
		.amdhsa_float_denorm_mode_16_64 3
		.amdhsa_dx10_clamp 1
		.amdhsa_ieee_mode 1
		.amdhsa_fp16_overflow 0
		.amdhsa_tg_split 0
		.amdhsa_exception_fp_ieee_invalid_op 0
		.amdhsa_exception_fp_denorm_src 0
		.amdhsa_exception_fp_ieee_div_zero 0
		.amdhsa_exception_fp_ieee_overflow 0
		.amdhsa_exception_fp_ieee_underflow 0
		.amdhsa_exception_fp_ieee_inexact 0
		.amdhsa_exception_int_div_zero 0
	.end_amdhsa_kernel
	.section	.text._ZN7rocprim17ROCPRIM_400000_NS6detail17trampoline_kernelINS0_14default_configENS1_25partition_config_selectorILNS1_17partition_subalgoE8EmNS0_10empty_typeEbEEZZNS1_14partition_implILS5_8ELb0ES3_jPKmPS6_PKS6_NS0_5tupleIJPmS6_EEENSE_IJSB_SB_EEENS0_18inequality_wrapperIN6hipcub16HIPCUB_304000_NS8EqualityEEEPlJS6_EEE10hipError_tPvRmT3_T4_T5_T6_T7_T9_mT8_P12ihipStream_tbDpT10_ENKUlT_T0_E_clISt17integral_constantIbLb0EES16_IbLb1EEEEDaS12_S13_EUlS12_E_NS1_11comp_targetILNS1_3genE4ELNS1_11target_archE910ELNS1_3gpuE8ELNS1_3repE0EEENS1_30default_config_static_selectorELNS0_4arch9wavefront6targetE1EEEvT1_,"axG",@progbits,_ZN7rocprim17ROCPRIM_400000_NS6detail17trampoline_kernelINS0_14default_configENS1_25partition_config_selectorILNS1_17partition_subalgoE8EmNS0_10empty_typeEbEEZZNS1_14partition_implILS5_8ELb0ES3_jPKmPS6_PKS6_NS0_5tupleIJPmS6_EEENSE_IJSB_SB_EEENS0_18inequality_wrapperIN6hipcub16HIPCUB_304000_NS8EqualityEEEPlJS6_EEE10hipError_tPvRmT3_T4_T5_T6_T7_T9_mT8_P12ihipStream_tbDpT10_ENKUlT_T0_E_clISt17integral_constantIbLb0EES16_IbLb1EEEEDaS12_S13_EUlS12_E_NS1_11comp_targetILNS1_3genE4ELNS1_11target_archE910ELNS1_3gpuE8ELNS1_3repE0EEENS1_30default_config_static_selectorELNS0_4arch9wavefront6targetE1EEEvT1_,comdat
.Lfunc_end712:
	.size	_ZN7rocprim17ROCPRIM_400000_NS6detail17trampoline_kernelINS0_14default_configENS1_25partition_config_selectorILNS1_17partition_subalgoE8EmNS0_10empty_typeEbEEZZNS1_14partition_implILS5_8ELb0ES3_jPKmPS6_PKS6_NS0_5tupleIJPmS6_EEENSE_IJSB_SB_EEENS0_18inequality_wrapperIN6hipcub16HIPCUB_304000_NS8EqualityEEEPlJS6_EEE10hipError_tPvRmT3_T4_T5_T6_T7_T9_mT8_P12ihipStream_tbDpT10_ENKUlT_T0_E_clISt17integral_constantIbLb0EES16_IbLb1EEEEDaS12_S13_EUlS12_E_NS1_11comp_targetILNS1_3genE4ELNS1_11target_archE910ELNS1_3gpuE8ELNS1_3repE0EEENS1_30default_config_static_selectorELNS0_4arch9wavefront6targetE1EEEvT1_, .Lfunc_end712-_ZN7rocprim17ROCPRIM_400000_NS6detail17trampoline_kernelINS0_14default_configENS1_25partition_config_selectorILNS1_17partition_subalgoE8EmNS0_10empty_typeEbEEZZNS1_14partition_implILS5_8ELb0ES3_jPKmPS6_PKS6_NS0_5tupleIJPmS6_EEENSE_IJSB_SB_EEENS0_18inequality_wrapperIN6hipcub16HIPCUB_304000_NS8EqualityEEEPlJS6_EEE10hipError_tPvRmT3_T4_T5_T6_T7_T9_mT8_P12ihipStream_tbDpT10_ENKUlT_T0_E_clISt17integral_constantIbLb0EES16_IbLb1EEEEDaS12_S13_EUlS12_E_NS1_11comp_targetILNS1_3genE4ELNS1_11target_archE910ELNS1_3gpuE8ELNS1_3repE0EEENS1_30default_config_static_selectorELNS0_4arch9wavefront6targetE1EEEvT1_
                                        ; -- End function
	.section	.AMDGPU.csdata,"",@progbits
; Kernel info:
; codeLenInByte = 0
; NumSgprs: 6
; NumVgprs: 0
; NumAgprs: 0
; TotalNumVgprs: 0
; ScratchSize: 0
; MemoryBound: 0
; FloatMode: 240
; IeeeMode: 1
; LDSByteSize: 0 bytes/workgroup (compile time only)
; SGPRBlocks: 0
; VGPRBlocks: 0
; NumSGPRsForWavesPerEU: 6
; NumVGPRsForWavesPerEU: 1
; AccumOffset: 4
; Occupancy: 8
; WaveLimiterHint : 0
; COMPUTE_PGM_RSRC2:SCRATCH_EN: 0
; COMPUTE_PGM_RSRC2:USER_SGPR: 2
; COMPUTE_PGM_RSRC2:TRAP_HANDLER: 0
; COMPUTE_PGM_RSRC2:TGID_X_EN: 1
; COMPUTE_PGM_RSRC2:TGID_Y_EN: 0
; COMPUTE_PGM_RSRC2:TGID_Z_EN: 0
; COMPUTE_PGM_RSRC2:TIDIG_COMP_CNT: 0
; COMPUTE_PGM_RSRC3_GFX90A:ACCUM_OFFSET: 0
; COMPUTE_PGM_RSRC3_GFX90A:TG_SPLIT: 0
	.section	.text._ZN7rocprim17ROCPRIM_400000_NS6detail17trampoline_kernelINS0_14default_configENS1_25partition_config_selectorILNS1_17partition_subalgoE8EmNS0_10empty_typeEbEEZZNS1_14partition_implILS5_8ELb0ES3_jPKmPS6_PKS6_NS0_5tupleIJPmS6_EEENSE_IJSB_SB_EEENS0_18inequality_wrapperIN6hipcub16HIPCUB_304000_NS8EqualityEEEPlJS6_EEE10hipError_tPvRmT3_T4_T5_T6_T7_T9_mT8_P12ihipStream_tbDpT10_ENKUlT_T0_E_clISt17integral_constantIbLb0EES16_IbLb1EEEEDaS12_S13_EUlS12_E_NS1_11comp_targetILNS1_3genE3ELNS1_11target_archE908ELNS1_3gpuE7ELNS1_3repE0EEENS1_30default_config_static_selectorELNS0_4arch9wavefront6targetE1EEEvT1_,"axG",@progbits,_ZN7rocprim17ROCPRIM_400000_NS6detail17trampoline_kernelINS0_14default_configENS1_25partition_config_selectorILNS1_17partition_subalgoE8EmNS0_10empty_typeEbEEZZNS1_14partition_implILS5_8ELb0ES3_jPKmPS6_PKS6_NS0_5tupleIJPmS6_EEENSE_IJSB_SB_EEENS0_18inequality_wrapperIN6hipcub16HIPCUB_304000_NS8EqualityEEEPlJS6_EEE10hipError_tPvRmT3_T4_T5_T6_T7_T9_mT8_P12ihipStream_tbDpT10_ENKUlT_T0_E_clISt17integral_constantIbLb0EES16_IbLb1EEEEDaS12_S13_EUlS12_E_NS1_11comp_targetILNS1_3genE3ELNS1_11target_archE908ELNS1_3gpuE7ELNS1_3repE0EEENS1_30default_config_static_selectorELNS0_4arch9wavefront6targetE1EEEvT1_,comdat
	.protected	_ZN7rocprim17ROCPRIM_400000_NS6detail17trampoline_kernelINS0_14default_configENS1_25partition_config_selectorILNS1_17partition_subalgoE8EmNS0_10empty_typeEbEEZZNS1_14partition_implILS5_8ELb0ES3_jPKmPS6_PKS6_NS0_5tupleIJPmS6_EEENSE_IJSB_SB_EEENS0_18inequality_wrapperIN6hipcub16HIPCUB_304000_NS8EqualityEEEPlJS6_EEE10hipError_tPvRmT3_T4_T5_T6_T7_T9_mT8_P12ihipStream_tbDpT10_ENKUlT_T0_E_clISt17integral_constantIbLb0EES16_IbLb1EEEEDaS12_S13_EUlS12_E_NS1_11comp_targetILNS1_3genE3ELNS1_11target_archE908ELNS1_3gpuE7ELNS1_3repE0EEENS1_30default_config_static_selectorELNS0_4arch9wavefront6targetE1EEEvT1_ ; -- Begin function _ZN7rocprim17ROCPRIM_400000_NS6detail17trampoline_kernelINS0_14default_configENS1_25partition_config_selectorILNS1_17partition_subalgoE8EmNS0_10empty_typeEbEEZZNS1_14partition_implILS5_8ELb0ES3_jPKmPS6_PKS6_NS0_5tupleIJPmS6_EEENSE_IJSB_SB_EEENS0_18inequality_wrapperIN6hipcub16HIPCUB_304000_NS8EqualityEEEPlJS6_EEE10hipError_tPvRmT3_T4_T5_T6_T7_T9_mT8_P12ihipStream_tbDpT10_ENKUlT_T0_E_clISt17integral_constantIbLb0EES16_IbLb1EEEEDaS12_S13_EUlS12_E_NS1_11comp_targetILNS1_3genE3ELNS1_11target_archE908ELNS1_3gpuE7ELNS1_3repE0EEENS1_30default_config_static_selectorELNS0_4arch9wavefront6targetE1EEEvT1_
	.globl	_ZN7rocprim17ROCPRIM_400000_NS6detail17trampoline_kernelINS0_14default_configENS1_25partition_config_selectorILNS1_17partition_subalgoE8EmNS0_10empty_typeEbEEZZNS1_14partition_implILS5_8ELb0ES3_jPKmPS6_PKS6_NS0_5tupleIJPmS6_EEENSE_IJSB_SB_EEENS0_18inequality_wrapperIN6hipcub16HIPCUB_304000_NS8EqualityEEEPlJS6_EEE10hipError_tPvRmT3_T4_T5_T6_T7_T9_mT8_P12ihipStream_tbDpT10_ENKUlT_T0_E_clISt17integral_constantIbLb0EES16_IbLb1EEEEDaS12_S13_EUlS12_E_NS1_11comp_targetILNS1_3genE3ELNS1_11target_archE908ELNS1_3gpuE7ELNS1_3repE0EEENS1_30default_config_static_selectorELNS0_4arch9wavefront6targetE1EEEvT1_
	.p2align	8
	.type	_ZN7rocprim17ROCPRIM_400000_NS6detail17trampoline_kernelINS0_14default_configENS1_25partition_config_selectorILNS1_17partition_subalgoE8EmNS0_10empty_typeEbEEZZNS1_14partition_implILS5_8ELb0ES3_jPKmPS6_PKS6_NS0_5tupleIJPmS6_EEENSE_IJSB_SB_EEENS0_18inequality_wrapperIN6hipcub16HIPCUB_304000_NS8EqualityEEEPlJS6_EEE10hipError_tPvRmT3_T4_T5_T6_T7_T9_mT8_P12ihipStream_tbDpT10_ENKUlT_T0_E_clISt17integral_constantIbLb0EES16_IbLb1EEEEDaS12_S13_EUlS12_E_NS1_11comp_targetILNS1_3genE3ELNS1_11target_archE908ELNS1_3gpuE7ELNS1_3repE0EEENS1_30default_config_static_selectorELNS0_4arch9wavefront6targetE1EEEvT1_,@function
_ZN7rocprim17ROCPRIM_400000_NS6detail17trampoline_kernelINS0_14default_configENS1_25partition_config_selectorILNS1_17partition_subalgoE8EmNS0_10empty_typeEbEEZZNS1_14partition_implILS5_8ELb0ES3_jPKmPS6_PKS6_NS0_5tupleIJPmS6_EEENSE_IJSB_SB_EEENS0_18inequality_wrapperIN6hipcub16HIPCUB_304000_NS8EqualityEEEPlJS6_EEE10hipError_tPvRmT3_T4_T5_T6_T7_T9_mT8_P12ihipStream_tbDpT10_ENKUlT_T0_E_clISt17integral_constantIbLb0EES16_IbLb1EEEEDaS12_S13_EUlS12_E_NS1_11comp_targetILNS1_3genE3ELNS1_11target_archE908ELNS1_3gpuE7ELNS1_3repE0EEENS1_30default_config_static_selectorELNS0_4arch9wavefront6targetE1EEEvT1_: ; @_ZN7rocprim17ROCPRIM_400000_NS6detail17trampoline_kernelINS0_14default_configENS1_25partition_config_selectorILNS1_17partition_subalgoE8EmNS0_10empty_typeEbEEZZNS1_14partition_implILS5_8ELb0ES3_jPKmPS6_PKS6_NS0_5tupleIJPmS6_EEENSE_IJSB_SB_EEENS0_18inequality_wrapperIN6hipcub16HIPCUB_304000_NS8EqualityEEEPlJS6_EEE10hipError_tPvRmT3_T4_T5_T6_T7_T9_mT8_P12ihipStream_tbDpT10_ENKUlT_T0_E_clISt17integral_constantIbLb0EES16_IbLb1EEEEDaS12_S13_EUlS12_E_NS1_11comp_targetILNS1_3genE3ELNS1_11target_archE908ELNS1_3gpuE7ELNS1_3repE0EEENS1_30default_config_static_selectorELNS0_4arch9wavefront6targetE1EEEvT1_
; %bb.0:
	.section	.rodata,"a",@progbits
	.p2align	6, 0x0
	.amdhsa_kernel _ZN7rocprim17ROCPRIM_400000_NS6detail17trampoline_kernelINS0_14default_configENS1_25partition_config_selectorILNS1_17partition_subalgoE8EmNS0_10empty_typeEbEEZZNS1_14partition_implILS5_8ELb0ES3_jPKmPS6_PKS6_NS0_5tupleIJPmS6_EEENSE_IJSB_SB_EEENS0_18inequality_wrapperIN6hipcub16HIPCUB_304000_NS8EqualityEEEPlJS6_EEE10hipError_tPvRmT3_T4_T5_T6_T7_T9_mT8_P12ihipStream_tbDpT10_ENKUlT_T0_E_clISt17integral_constantIbLb0EES16_IbLb1EEEEDaS12_S13_EUlS12_E_NS1_11comp_targetILNS1_3genE3ELNS1_11target_archE908ELNS1_3gpuE7ELNS1_3repE0EEENS1_30default_config_static_selectorELNS0_4arch9wavefront6targetE1EEEvT1_
		.amdhsa_group_segment_fixed_size 0
		.amdhsa_private_segment_fixed_size 0
		.amdhsa_kernarg_size 128
		.amdhsa_user_sgpr_count 2
		.amdhsa_user_sgpr_dispatch_ptr 0
		.amdhsa_user_sgpr_queue_ptr 0
		.amdhsa_user_sgpr_kernarg_segment_ptr 1
		.amdhsa_user_sgpr_dispatch_id 0
		.amdhsa_user_sgpr_kernarg_preload_length 0
		.amdhsa_user_sgpr_kernarg_preload_offset 0
		.amdhsa_user_sgpr_private_segment_size 0
		.amdhsa_uses_dynamic_stack 0
		.amdhsa_enable_private_segment 0
		.amdhsa_system_sgpr_workgroup_id_x 1
		.amdhsa_system_sgpr_workgroup_id_y 0
		.amdhsa_system_sgpr_workgroup_id_z 0
		.amdhsa_system_sgpr_workgroup_info 0
		.amdhsa_system_vgpr_workitem_id 0
		.amdhsa_next_free_vgpr 1
		.amdhsa_next_free_sgpr 0
		.amdhsa_accum_offset 4
		.amdhsa_reserve_vcc 0
		.amdhsa_float_round_mode_32 0
		.amdhsa_float_round_mode_16_64 0
		.amdhsa_float_denorm_mode_32 3
		.amdhsa_float_denorm_mode_16_64 3
		.amdhsa_dx10_clamp 1
		.amdhsa_ieee_mode 1
		.amdhsa_fp16_overflow 0
		.amdhsa_tg_split 0
		.amdhsa_exception_fp_ieee_invalid_op 0
		.amdhsa_exception_fp_denorm_src 0
		.amdhsa_exception_fp_ieee_div_zero 0
		.amdhsa_exception_fp_ieee_overflow 0
		.amdhsa_exception_fp_ieee_underflow 0
		.amdhsa_exception_fp_ieee_inexact 0
		.amdhsa_exception_int_div_zero 0
	.end_amdhsa_kernel
	.section	.text._ZN7rocprim17ROCPRIM_400000_NS6detail17trampoline_kernelINS0_14default_configENS1_25partition_config_selectorILNS1_17partition_subalgoE8EmNS0_10empty_typeEbEEZZNS1_14partition_implILS5_8ELb0ES3_jPKmPS6_PKS6_NS0_5tupleIJPmS6_EEENSE_IJSB_SB_EEENS0_18inequality_wrapperIN6hipcub16HIPCUB_304000_NS8EqualityEEEPlJS6_EEE10hipError_tPvRmT3_T4_T5_T6_T7_T9_mT8_P12ihipStream_tbDpT10_ENKUlT_T0_E_clISt17integral_constantIbLb0EES16_IbLb1EEEEDaS12_S13_EUlS12_E_NS1_11comp_targetILNS1_3genE3ELNS1_11target_archE908ELNS1_3gpuE7ELNS1_3repE0EEENS1_30default_config_static_selectorELNS0_4arch9wavefront6targetE1EEEvT1_,"axG",@progbits,_ZN7rocprim17ROCPRIM_400000_NS6detail17trampoline_kernelINS0_14default_configENS1_25partition_config_selectorILNS1_17partition_subalgoE8EmNS0_10empty_typeEbEEZZNS1_14partition_implILS5_8ELb0ES3_jPKmPS6_PKS6_NS0_5tupleIJPmS6_EEENSE_IJSB_SB_EEENS0_18inequality_wrapperIN6hipcub16HIPCUB_304000_NS8EqualityEEEPlJS6_EEE10hipError_tPvRmT3_T4_T5_T6_T7_T9_mT8_P12ihipStream_tbDpT10_ENKUlT_T0_E_clISt17integral_constantIbLb0EES16_IbLb1EEEEDaS12_S13_EUlS12_E_NS1_11comp_targetILNS1_3genE3ELNS1_11target_archE908ELNS1_3gpuE7ELNS1_3repE0EEENS1_30default_config_static_selectorELNS0_4arch9wavefront6targetE1EEEvT1_,comdat
.Lfunc_end713:
	.size	_ZN7rocprim17ROCPRIM_400000_NS6detail17trampoline_kernelINS0_14default_configENS1_25partition_config_selectorILNS1_17partition_subalgoE8EmNS0_10empty_typeEbEEZZNS1_14partition_implILS5_8ELb0ES3_jPKmPS6_PKS6_NS0_5tupleIJPmS6_EEENSE_IJSB_SB_EEENS0_18inequality_wrapperIN6hipcub16HIPCUB_304000_NS8EqualityEEEPlJS6_EEE10hipError_tPvRmT3_T4_T5_T6_T7_T9_mT8_P12ihipStream_tbDpT10_ENKUlT_T0_E_clISt17integral_constantIbLb0EES16_IbLb1EEEEDaS12_S13_EUlS12_E_NS1_11comp_targetILNS1_3genE3ELNS1_11target_archE908ELNS1_3gpuE7ELNS1_3repE0EEENS1_30default_config_static_selectorELNS0_4arch9wavefront6targetE1EEEvT1_, .Lfunc_end713-_ZN7rocprim17ROCPRIM_400000_NS6detail17trampoline_kernelINS0_14default_configENS1_25partition_config_selectorILNS1_17partition_subalgoE8EmNS0_10empty_typeEbEEZZNS1_14partition_implILS5_8ELb0ES3_jPKmPS6_PKS6_NS0_5tupleIJPmS6_EEENSE_IJSB_SB_EEENS0_18inequality_wrapperIN6hipcub16HIPCUB_304000_NS8EqualityEEEPlJS6_EEE10hipError_tPvRmT3_T4_T5_T6_T7_T9_mT8_P12ihipStream_tbDpT10_ENKUlT_T0_E_clISt17integral_constantIbLb0EES16_IbLb1EEEEDaS12_S13_EUlS12_E_NS1_11comp_targetILNS1_3genE3ELNS1_11target_archE908ELNS1_3gpuE7ELNS1_3repE0EEENS1_30default_config_static_selectorELNS0_4arch9wavefront6targetE1EEEvT1_
                                        ; -- End function
	.section	.AMDGPU.csdata,"",@progbits
; Kernel info:
; codeLenInByte = 0
; NumSgprs: 6
; NumVgprs: 0
; NumAgprs: 0
; TotalNumVgprs: 0
; ScratchSize: 0
; MemoryBound: 0
; FloatMode: 240
; IeeeMode: 1
; LDSByteSize: 0 bytes/workgroup (compile time only)
; SGPRBlocks: 0
; VGPRBlocks: 0
; NumSGPRsForWavesPerEU: 6
; NumVGPRsForWavesPerEU: 1
; AccumOffset: 4
; Occupancy: 8
; WaveLimiterHint : 0
; COMPUTE_PGM_RSRC2:SCRATCH_EN: 0
; COMPUTE_PGM_RSRC2:USER_SGPR: 2
; COMPUTE_PGM_RSRC2:TRAP_HANDLER: 0
; COMPUTE_PGM_RSRC2:TGID_X_EN: 1
; COMPUTE_PGM_RSRC2:TGID_Y_EN: 0
; COMPUTE_PGM_RSRC2:TGID_Z_EN: 0
; COMPUTE_PGM_RSRC2:TIDIG_COMP_CNT: 0
; COMPUTE_PGM_RSRC3_GFX90A:ACCUM_OFFSET: 0
; COMPUTE_PGM_RSRC3_GFX90A:TG_SPLIT: 0
	.section	.text._ZN7rocprim17ROCPRIM_400000_NS6detail17trampoline_kernelINS0_14default_configENS1_25partition_config_selectorILNS1_17partition_subalgoE8EmNS0_10empty_typeEbEEZZNS1_14partition_implILS5_8ELb0ES3_jPKmPS6_PKS6_NS0_5tupleIJPmS6_EEENSE_IJSB_SB_EEENS0_18inequality_wrapperIN6hipcub16HIPCUB_304000_NS8EqualityEEEPlJS6_EEE10hipError_tPvRmT3_T4_T5_T6_T7_T9_mT8_P12ihipStream_tbDpT10_ENKUlT_T0_E_clISt17integral_constantIbLb0EES16_IbLb1EEEEDaS12_S13_EUlS12_E_NS1_11comp_targetILNS1_3genE2ELNS1_11target_archE906ELNS1_3gpuE6ELNS1_3repE0EEENS1_30default_config_static_selectorELNS0_4arch9wavefront6targetE1EEEvT1_,"axG",@progbits,_ZN7rocprim17ROCPRIM_400000_NS6detail17trampoline_kernelINS0_14default_configENS1_25partition_config_selectorILNS1_17partition_subalgoE8EmNS0_10empty_typeEbEEZZNS1_14partition_implILS5_8ELb0ES3_jPKmPS6_PKS6_NS0_5tupleIJPmS6_EEENSE_IJSB_SB_EEENS0_18inequality_wrapperIN6hipcub16HIPCUB_304000_NS8EqualityEEEPlJS6_EEE10hipError_tPvRmT3_T4_T5_T6_T7_T9_mT8_P12ihipStream_tbDpT10_ENKUlT_T0_E_clISt17integral_constantIbLb0EES16_IbLb1EEEEDaS12_S13_EUlS12_E_NS1_11comp_targetILNS1_3genE2ELNS1_11target_archE906ELNS1_3gpuE6ELNS1_3repE0EEENS1_30default_config_static_selectorELNS0_4arch9wavefront6targetE1EEEvT1_,comdat
	.protected	_ZN7rocprim17ROCPRIM_400000_NS6detail17trampoline_kernelINS0_14default_configENS1_25partition_config_selectorILNS1_17partition_subalgoE8EmNS0_10empty_typeEbEEZZNS1_14partition_implILS5_8ELb0ES3_jPKmPS6_PKS6_NS0_5tupleIJPmS6_EEENSE_IJSB_SB_EEENS0_18inequality_wrapperIN6hipcub16HIPCUB_304000_NS8EqualityEEEPlJS6_EEE10hipError_tPvRmT3_T4_T5_T6_T7_T9_mT8_P12ihipStream_tbDpT10_ENKUlT_T0_E_clISt17integral_constantIbLb0EES16_IbLb1EEEEDaS12_S13_EUlS12_E_NS1_11comp_targetILNS1_3genE2ELNS1_11target_archE906ELNS1_3gpuE6ELNS1_3repE0EEENS1_30default_config_static_selectorELNS0_4arch9wavefront6targetE1EEEvT1_ ; -- Begin function _ZN7rocprim17ROCPRIM_400000_NS6detail17trampoline_kernelINS0_14default_configENS1_25partition_config_selectorILNS1_17partition_subalgoE8EmNS0_10empty_typeEbEEZZNS1_14partition_implILS5_8ELb0ES3_jPKmPS6_PKS6_NS0_5tupleIJPmS6_EEENSE_IJSB_SB_EEENS0_18inequality_wrapperIN6hipcub16HIPCUB_304000_NS8EqualityEEEPlJS6_EEE10hipError_tPvRmT3_T4_T5_T6_T7_T9_mT8_P12ihipStream_tbDpT10_ENKUlT_T0_E_clISt17integral_constantIbLb0EES16_IbLb1EEEEDaS12_S13_EUlS12_E_NS1_11comp_targetILNS1_3genE2ELNS1_11target_archE906ELNS1_3gpuE6ELNS1_3repE0EEENS1_30default_config_static_selectorELNS0_4arch9wavefront6targetE1EEEvT1_
	.globl	_ZN7rocprim17ROCPRIM_400000_NS6detail17trampoline_kernelINS0_14default_configENS1_25partition_config_selectorILNS1_17partition_subalgoE8EmNS0_10empty_typeEbEEZZNS1_14partition_implILS5_8ELb0ES3_jPKmPS6_PKS6_NS0_5tupleIJPmS6_EEENSE_IJSB_SB_EEENS0_18inequality_wrapperIN6hipcub16HIPCUB_304000_NS8EqualityEEEPlJS6_EEE10hipError_tPvRmT3_T4_T5_T6_T7_T9_mT8_P12ihipStream_tbDpT10_ENKUlT_T0_E_clISt17integral_constantIbLb0EES16_IbLb1EEEEDaS12_S13_EUlS12_E_NS1_11comp_targetILNS1_3genE2ELNS1_11target_archE906ELNS1_3gpuE6ELNS1_3repE0EEENS1_30default_config_static_selectorELNS0_4arch9wavefront6targetE1EEEvT1_
	.p2align	8
	.type	_ZN7rocprim17ROCPRIM_400000_NS6detail17trampoline_kernelINS0_14default_configENS1_25partition_config_selectorILNS1_17partition_subalgoE8EmNS0_10empty_typeEbEEZZNS1_14partition_implILS5_8ELb0ES3_jPKmPS6_PKS6_NS0_5tupleIJPmS6_EEENSE_IJSB_SB_EEENS0_18inequality_wrapperIN6hipcub16HIPCUB_304000_NS8EqualityEEEPlJS6_EEE10hipError_tPvRmT3_T4_T5_T6_T7_T9_mT8_P12ihipStream_tbDpT10_ENKUlT_T0_E_clISt17integral_constantIbLb0EES16_IbLb1EEEEDaS12_S13_EUlS12_E_NS1_11comp_targetILNS1_3genE2ELNS1_11target_archE906ELNS1_3gpuE6ELNS1_3repE0EEENS1_30default_config_static_selectorELNS0_4arch9wavefront6targetE1EEEvT1_,@function
_ZN7rocprim17ROCPRIM_400000_NS6detail17trampoline_kernelINS0_14default_configENS1_25partition_config_selectorILNS1_17partition_subalgoE8EmNS0_10empty_typeEbEEZZNS1_14partition_implILS5_8ELb0ES3_jPKmPS6_PKS6_NS0_5tupleIJPmS6_EEENSE_IJSB_SB_EEENS0_18inequality_wrapperIN6hipcub16HIPCUB_304000_NS8EqualityEEEPlJS6_EEE10hipError_tPvRmT3_T4_T5_T6_T7_T9_mT8_P12ihipStream_tbDpT10_ENKUlT_T0_E_clISt17integral_constantIbLb0EES16_IbLb1EEEEDaS12_S13_EUlS12_E_NS1_11comp_targetILNS1_3genE2ELNS1_11target_archE906ELNS1_3gpuE6ELNS1_3repE0EEENS1_30default_config_static_selectorELNS0_4arch9wavefront6targetE1EEEvT1_: ; @_ZN7rocprim17ROCPRIM_400000_NS6detail17trampoline_kernelINS0_14default_configENS1_25partition_config_selectorILNS1_17partition_subalgoE8EmNS0_10empty_typeEbEEZZNS1_14partition_implILS5_8ELb0ES3_jPKmPS6_PKS6_NS0_5tupleIJPmS6_EEENSE_IJSB_SB_EEENS0_18inequality_wrapperIN6hipcub16HIPCUB_304000_NS8EqualityEEEPlJS6_EEE10hipError_tPvRmT3_T4_T5_T6_T7_T9_mT8_P12ihipStream_tbDpT10_ENKUlT_T0_E_clISt17integral_constantIbLb0EES16_IbLb1EEEEDaS12_S13_EUlS12_E_NS1_11comp_targetILNS1_3genE2ELNS1_11target_archE906ELNS1_3gpuE6ELNS1_3repE0EEENS1_30default_config_static_selectorELNS0_4arch9wavefront6targetE1EEEvT1_
; %bb.0:
	.section	.rodata,"a",@progbits
	.p2align	6, 0x0
	.amdhsa_kernel _ZN7rocprim17ROCPRIM_400000_NS6detail17trampoline_kernelINS0_14default_configENS1_25partition_config_selectorILNS1_17partition_subalgoE8EmNS0_10empty_typeEbEEZZNS1_14partition_implILS5_8ELb0ES3_jPKmPS6_PKS6_NS0_5tupleIJPmS6_EEENSE_IJSB_SB_EEENS0_18inequality_wrapperIN6hipcub16HIPCUB_304000_NS8EqualityEEEPlJS6_EEE10hipError_tPvRmT3_T4_T5_T6_T7_T9_mT8_P12ihipStream_tbDpT10_ENKUlT_T0_E_clISt17integral_constantIbLb0EES16_IbLb1EEEEDaS12_S13_EUlS12_E_NS1_11comp_targetILNS1_3genE2ELNS1_11target_archE906ELNS1_3gpuE6ELNS1_3repE0EEENS1_30default_config_static_selectorELNS0_4arch9wavefront6targetE1EEEvT1_
		.amdhsa_group_segment_fixed_size 0
		.amdhsa_private_segment_fixed_size 0
		.amdhsa_kernarg_size 128
		.amdhsa_user_sgpr_count 2
		.amdhsa_user_sgpr_dispatch_ptr 0
		.amdhsa_user_sgpr_queue_ptr 0
		.amdhsa_user_sgpr_kernarg_segment_ptr 1
		.amdhsa_user_sgpr_dispatch_id 0
		.amdhsa_user_sgpr_kernarg_preload_length 0
		.amdhsa_user_sgpr_kernarg_preload_offset 0
		.amdhsa_user_sgpr_private_segment_size 0
		.amdhsa_uses_dynamic_stack 0
		.amdhsa_enable_private_segment 0
		.amdhsa_system_sgpr_workgroup_id_x 1
		.amdhsa_system_sgpr_workgroup_id_y 0
		.amdhsa_system_sgpr_workgroup_id_z 0
		.amdhsa_system_sgpr_workgroup_info 0
		.amdhsa_system_vgpr_workitem_id 0
		.amdhsa_next_free_vgpr 1
		.amdhsa_next_free_sgpr 0
		.amdhsa_accum_offset 4
		.amdhsa_reserve_vcc 0
		.amdhsa_float_round_mode_32 0
		.amdhsa_float_round_mode_16_64 0
		.amdhsa_float_denorm_mode_32 3
		.amdhsa_float_denorm_mode_16_64 3
		.amdhsa_dx10_clamp 1
		.amdhsa_ieee_mode 1
		.amdhsa_fp16_overflow 0
		.amdhsa_tg_split 0
		.amdhsa_exception_fp_ieee_invalid_op 0
		.amdhsa_exception_fp_denorm_src 0
		.amdhsa_exception_fp_ieee_div_zero 0
		.amdhsa_exception_fp_ieee_overflow 0
		.amdhsa_exception_fp_ieee_underflow 0
		.amdhsa_exception_fp_ieee_inexact 0
		.amdhsa_exception_int_div_zero 0
	.end_amdhsa_kernel
	.section	.text._ZN7rocprim17ROCPRIM_400000_NS6detail17trampoline_kernelINS0_14default_configENS1_25partition_config_selectorILNS1_17partition_subalgoE8EmNS0_10empty_typeEbEEZZNS1_14partition_implILS5_8ELb0ES3_jPKmPS6_PKS6_NS0_5tupleIJPmS6_EEENSE_IJSB_SB_EEENS0_18inequality_wrapperIN6hipcub16HIPCUB_304000_NS8EqualityEEEPlJS6_EEE10hipError_tPvRmT3_T4_T5_T6_T7_T9_mT8_P12ihipStream_tbDpT10_ENKUlT_T0_E_clISt17integral_constantIbLb0EES16_IbLb1EEEEDaS12_S13_EUlS12_E_NS1_11comp_targetILNS1_3genE2ELNS1_11target_archE906ELNS1_3gpuE6ELNS1_3repE0EEENS1_30default_config_static_selectorELNS0_4arch9wavefront6targetE1EEEvT1_,"axG",@progbits,_ZN7rocprim17ROCPRIM_400000_NS6detail17trampoline_kernelINS0_14default_configENS1_25partition_config_selectorILNS1_17partition_subalgoE8EmNS0_10empty_typeEbEEZZNS1_14partition_implILS5_8ELb0ES3_jPKmPS6_PKS6_NS0_5tupleIJPmS6_EEENSE_IJSB_SB_EEENS0_18inequality_wrapperIN6hipcub16HIPCUB_304000_NS8EqualityEEEPlJS6_EEE10hipError_tPvRmT3_T4_T5_T6_T7_T9_mT8_P12ihipStream_tbDpT10_ENKUlT_T0_E_clISt17integral_constantIbLb0EES16_IbLb1EEEEDaS12_S13_EUlS12_E_NS1_11comp_targetILNS1_3genE2ELNS1_11target_archE906ELNS1_3gpuE6ELNS1_3repE0EEENS1_30default_config_static_selectorELNS0_4arch9wavefront6targetE1EEEvT1_,comdat
.Lfunc_end714:
	.size	_ZN7rocprim17ROCPRIM_400000_NS6detail17trampoline_kernelINS0_14default_configENS1_25partition_config_selectorILNS1_17partition_subalgoE8EmNS0_10empty_typeEbEEZZNS1_14partition_implILS5_8ELb0ES3_jPKmPS6_PKS6_NS0_5tupleIJPmS6_EEENSE_IJSB_SB_EEENS0_18inequality_wrapperIN6hipcub16HIPCUB_304000_NS8EqualityEEEPlJS6_EEE10hipError_tPvRmT3_T4_T5_T6_T7_T9_mT8_P12ihipStream_tbDpT10_ENKUlT_T0_E_clISt17integral_constantIbLb0EES16_IbLb1EEEEDaS12_S13_EUlS12_E_NS1_11comp_targetILNS1_3genE2ELNS1_11target_archE906ELNS1_3gpuE6ELNS1_3repE0EEENS1_30default_config_static_selectorELNS0_4arch9wavefront6targetE1EEEvT1_, .Lfunc_end714-_ZN7rocprim17ROCPRIM_400000_NS6detail17trampoline_kernelINS0_14default_configENS1_25partition_config_selectorILNS1_17partition_subalgoE8EmNS0_10empty_typeEbEEZZNS1_14partition_implILS5_8ELb0ES3_jPKmPS6_PKS6_NS0_5tupleIJPmS6_EEENSE_IJSB_SB_EEENS0_18inequality_wrapperIN6hipcub16HIPCUB_304000_NS8EqualityEEEPlJS6_EEE10hipError_tPvRmT3_T4_T5_T6_T7_T9_mT8_P12ihipStream_tbDpT10_ENKUlT_T0_E_clISt17integral_constantIbLb0EES16_IbLb1EEEEDaS12_S13_EUlS12_E_NS1_11comp_targetILNS1_3genE2ELNS1_11target_archE906ELNS1_3gpuE6ELNS1_3repE0EEENS1_30default_config_static_selectorELNS0_4arch9wavefront6targetE1EEEvT1_
                                        ; -- End function
	.section	.AMDGPU.csdata,"",@progbits
; Kernel info:
; codeLenInByte = 0
; NumSgprs: 6
; NumVgprs: 0
; NumAgprs: 0
; TotalNumVgprs: 0
; ScratchSize: 0
; MemoryBound: 0
; FloatMode: 240
; IeeeMode: 1
; LDSByteSize: 0 bytes/workgroup (compile time only)
; SGPRBlocks: 0
; VGPRBlocks: 0
; NumSGPRsForWavesPerEU: 6
; NumVGPRsForWavesPerEU: 1
; AccumOffset: 4
; Occupancy: 8
; WaveLimiterHint : 0
; COMPUTE_PGM_RSRC2:SCRATCH_EN: 0
; COMPUTE_PGM_RSRC2:USER_SGPR: 2
; COMPUTE_PGM_RSRC2:TRAP_HANDLER: 0
; COMPUTE_PGM_RSRC2:TGID_X_EN: 1
; COMPUTE_PGM_RSRC2:TGID_Y_EN: 0
; COMPUTE_PGM_RSRC2:TGID_Z_EN: 0
; COMPUTE_PGM_RSRC2:TIDIG_COMP_CNT: 0
; COMPUTE_PGM_RSRC3_GFX90A:ACCUM_OFFSET: 0
; COMPUTE_PGM_RSRC3_GFX90A:TG_SPLIT: 0
	.section	.text._ZN7rocprim17ROCPRIM_400000_NS6detail17trampoline_kernelINS0_14default_configENS1_25partition_config_selectorILNS1_17partition_subalgoE8EmNS0_10empty_typeEbEEZZNS1_14partition_implILS5_8ELb0ES3_jPKmPS6_PKS6_NS0_5tupleIJPmS6_EEENSE_IJSB_SB_EEENS0_18inequality_wrapperIN6hipcub16HIPCUB_304000_NS8EqualityEEEPlJS6_EEE10hipError_tPvRmT3_T4_T5_T6_T7_T9_mT8_P12ihipStream_tbDpT10_ENKUlT_T0_E_clISt17integral_constantIbLb0EES16_IbLb1EEEEDaS12_S13_EUlS12_E_NS1_11comp_targetILNS1_3genE10ELNS1_11target_archE1200ELNS1_3gpuE4ELNS1_3repE0EEENS1_30default_config_static_selectorELNS0_4arch9wavefront6targetE1EEEvT1_,"axG",@progbits,_ZN7rocprim17ROCPRIM_400000_NS6detail17trampoline_kernelINS0_14default_configENS1_25partition_config_selectorILNS1_17partition_subalgoE8EmNS0_10empty_typeEbEEZZNS1_14partition_implILS5_8ELb0ES3_jPKmPS6_PKS6_NS0_5tupleIJPmS6_EEENSE_IJSB_SB_EEENS0_18inequality_wrapperIN6hipcub16HIPCUB_304000_NS8EqualityEEEPlJS6_EEE10hipError_tPvRmT3_T4_T5_T6_T7_T9_mT8_P12ihipStream_tbDpT10_ENKUlT_T0_E_clISt17integral_constantIbLb0EES16_IbLb1EEEEDaS12_S13_EUlS12_E_NS1_11comp_targetILNS1_3genE10ELNS1_11target_archE1200ELNS1_3gpuE4ELNS1_3repE0EEENS1_30default_config_static_selectorELNS0_4arch9wavefront6targetE1EEEvT1_,comdat
	.protected	_ZN7rocprim17ROCPRIM_400000_NS6detail17trampoline_kernelINS0_14default_configENS1_25partition_config_selectorILNS1_17partition_subalgoE8EmNS0_10empty_typeEbEEZZNS1_14partition_implILS5_8ELb0ES3_jPKmPS6_PKS6_NS0_5tupleIJPmS6_EEENSE_IJSB_SB_EEENS0_18inequality_wrapperIN6hipcub16HIPCUB_304000_NS8EqualityEEEPlJS6_EEE10hipError_tPvRmT3_T4_T5_T6_T7_T9_mT8_P12ihipStream_tbDpT10_ENKUlT_T0_E_clISt17integral_constantIbLb0EES16_IbLb1EEEEDaS12_S13_EUlS12_E_NS1_11comp_targetILNS1_3genE10ELNS1_11target_archE1200ELNS1_3gpuE4ELNS1_3repE0EEENS1_30default_config_static_selectorELNS0_4arch9wavefront6targetE1EEEvT1_ ; -- Begin function _ZN7rocprim17ROCPRIM_400000_NS6detail17trampoline_kernelINS0_14default_configENS1_25partition_config_selectorILNS1_17partition_subalgoE8EmNS0_10empty_typeEbEEZZNS1_14partition_implILS5_8ELb0ES3_jPKmPS6_PKS6_NS0_5tupleIJPmS6_EEENSE_IJSB_SB_EEENS0_18inequality_wrapperIN6hipcub16HIPCUB_304000_NS8EqualityEEEPlJS6_EEE10hipError_tPvRmT3_T4_T5_T6_T7_T9_mT8_P12ihipStream_tbDpT10_ENKUlT_T0_E_clISt17integral_constantIbLb0EES16_IbLb1EEEEDaS12_S13_EUlS12_E_NS1_11comp_targetILNS1_3genE10ELNS1_11target_archE1200ELNS1_3gpuE4ELNS1_3repE0EEENS1_30default_config_static_selectorELNS0_4arch9wavefront6targetE1EEEvT1_
	.globl	_ZN7rocprim17ROCPRIM_400000_NS6detail17trampoline_kernelINS0_14default_configENS1_25partition_config_selectorILNS1_17partition_subalgoE8EmNS0_10empty_typeEbEEZZNS1_14partition_implILS5_8ELb0ES3_jPKmPS6_PKS6_NS0_5tupleIJPmS6_EEENSE_IJSB_SB_EEENS0_18inequality_wrapperIN6hipcub16HIPCUB_304000_NS8EqualityEEEPlJS6_EEE10hipError_tPvRmT3_T4_T5_T6_T7_T9_mT8_P12ihipStream_tbDpT10_ENKUlT_T0_E_clISt17integral_constantIbLb0EES16_IbLb1EEEEDaS12_S13_EUlS12_E_NS1_11comp_targetILNS1_3genE10ELNS1_11target_archE1200ELNS1_3gpuE4ELNS1_3repE0EEENS1_30default_config_static_selectorELNS0_4arch9wavefront6targetE1EEEvT1_
	.p2align	8
	.type	_ZN7rocprim17ROCPRIM_400000_NS6detail17trampoline_kernelINS0_14default_configENS1_25partition_config_selectorILNS1_17partition_subalgoE8EmNS0_10empty_typeEbEEZZNS1_14partition_implILS5_8ELb0ES3_jPKmPS6_PKS6_NS0_5tupleIJPmS6_EEENSE_IJSB_SB_EEENS0_18inequality_wrapperIN6hipcub16HIPCUB_304000_NS8EqualityEEEPlJS6_EEE10hipError_tPvRmT3_T4_T5_T6_T7_T9_mT8_P12ihipStream_tbDpT10_ENKUlT_T0_E_clISt17integral_constantIbLb0EES16_IbLb1EEEEDaS12_S13_EUlS12_E_NS1_11comp_targetILNS1_3genE10ELNS1_11target_archE1200ELNS1_3gpuE4ELNS1_3repE0EEENS1_30default_config_static_selectorELNS0_4arch9wavefront6targetE1EEEvT1_,@function
_ZN7rocprim17ROCPRIM_400000_NS6detail17trampoline_kernelINS0_14default_configENS1_25partition_config_selectorILNS1_17partition_subalgoE8EmNS0_10empty_typeEbEEZZNS1_14partition_implILS5_8ELb0ES3_jPKmPS6_PKS6_NS0_5tupleIJPmS6_EEENSE_IJSB_SB_EEENS0_18inequality_wrapperIN6hipcub16HIPCUB_304000_NS8EqualityEEEPlJS6_EEE10hipError_tPvRmT3_T4_T5_T6_T7_T9_mT8_P12ihipStream_tbDpT10_ENKUlT_T0_E_clISt17integral_constantIbLb0EES16_IbLb1EEEEDaS12_S13_EUlS12_E_NS1_11comp_targetILNS1_3genE10ELNS1_11target_archE1200ELNS1_3gpuE4ELNS1_3repE0EEENS1_30default_config_static_selectorELNS0_4arch9wavefront6targetE1EEEvT1_: ; @_ZN7rocprim17ROCPRIM_400000_NS6detail17trampoline_kernelINS0_14default_configENS1_25partition_config_selectorILNS1_17partition_subalgoE8EmNS0_10empty_typeEbEEZZNS1_14partition_implILS5_8ELb0ES3_jPKmPS6_PKS6_NS0_5tupleIJPmS6_EEENSE_IJSB_SB_EEENS0_18inequality_wrapperIN6hipcub16HIPCUB_304000_NS8EqualityEEEPlJS6_EEE10hipError_tPvRmT3_T4_T5_T6_T7_T9_mT8_P12ihipStream_tbDpT10_ENKUlT_T0_E_clISt17integral_constantIbLb0EES16_IbLb1EEEEDaS12_S13_EUlS12_E_NS1_11comp_targetILNS1_3genE10ELNS1_11target_archE1200ELNS1_3gpuE4ELNS1_3repE0EEENS1_30default_config_static_selectorELNS0_4arch9wavefront6targetE1EEEvT1_
; %bb.0:
	.section	.rodata,"a",@progbits
	.p2align	6, 0x0
	.amdhsa_kernel _ZN7rocprim17ROCPRIM_400000_NS6detail17trampoline_kernelINS0_14default_configENS1_25partition_config_selectorILNS1_17partition_subalgoE8EmNS0_10empty_typeEbEEZZNS1_14partition_implILS5_8ELb0ES3_jPKmPS6_PKS6_NS0_5tupleIJPmS6_EEENSE_IJSB_SB_EEENS0_18inequality_wrapperIN6hipcub16HIPCUB_304000_NS8EqualityEEEPlJS6_EEE10hipError_tPvRmT3_T4_T5_T6_T7_T9_mT8_P12ihipStream_tbDpT10_ENKUlT_T0_E_clISt17integral_constantIbLb0EES16_IbLb1EEEEDaS12_S13_EUlS12_E_NS1_11comp_targetILNS1_3genE10ELNS1_11target_archE1200ELNS1_3gpuE4ELNS1_3repE0EEENS1_30default_config_static_selectorELNS0_4arch9wavefront6targetE1EEEvT1_
		.amdhsa_group_segment_fixed_size 0
		.amdhsa_private_segment_fixed_size 0
		.amdhsa_kernarg_size 128
		.amdhsa_user_sgpr_count 2
		.amdhsa_user_sgpr_dispatch_ptr 0
		.amdhsa_user_sgpr_queue_ptr 0
		.amdhsa_user_sgpr_kernarg_segment_ptr 1
		.amdhsa_user_sgpr_dispatch_id 0
		.amdhsa_user_sgpr_kernarg_preload_length 0
		.amdhsa_user_sgpr_kernarg_preload_offset 0
		.amdhsa_user_sgpr_private_segment_size 0
		.amdhsa_uses_dynamic_stack 0
		.amdhsa_enable_private_segment 0
		.amdhsa_system_sgpr_workgroup_id_x 1
		.amdhsa_system_sgpr_workgroup_id_y 0
		.amdhsa_system_sgpr_workgroup_id_z 0
		.amdhsa_system_sgpr_workgroup_info 0
		.amdhsa_system_vgpr_workitem_id 0
		.amdhsa_next_free_vgpr 1
		.amdhsa_next_free_sgpr 0
		.amdhsa_accum_offset 4
		.amdhsa_reserve_vcc 0
		.amdhsa_float_round_mode_32 0
		.amdhsa_float_round_mode_16_64 0
		.amdhsa_float_denorm_mode_32 3
		.amdhsa_float_denorm_mode_16_64 3
		.amdhsa_dx10_clamp 1
		.amdhsa_ieee_mode 1
		.amdhsa_fp16_overflow 0
		.amdhsa_tg_split 0
		.amdhsa_exception_fp_ieee_invalid_op 0
		.amdhsa_exception_fp_denorm_src 0
		.amdhsa_exception_fp_ieee_div_zero 0
		.amdhsa_exception_fp_ieee_overflow 0
		.amdhsa_exception_fp_ieee_underflow 0
		.amdhsa_exception_fp_ieee_inexact 0
		.amdhsa_exception_int_div_zero 0
	.end_amdhsa_kernel
	.section	.text._ZN7rocprim17ROCPRIM_400000_NS6detail17trampoline_kernelINS0_14default_configENS1_25partition_config_selectorILNS1_17partition_subalgoE8EmNS0_10empty_typeEbEEZZNS1_14partition_implILS5_8ELb0ES3_jPKmPS6_PKS6_NS0_5tupleIJPmS6_EEENSE_IJSB_SB_EEENS0_18inequality_wrapperIN6hipcub16HIPCUB_304000_NS8EqualityEEEPlJS6_EEE10hipError_tPvRmT3_T4_T5_T6_T7_T9_mT8_P12ihipStream_tbDpT10_ENKUlT_T0_E_clISt17integral_constantIbLb0EES16_IbLb1EEEEDaS12_S13_EUlS12_E_NS1_11comp_targetILNS1_3genE10ELNS1_11target_archE1200ELNS1_3gpuE4ELNS1_3repE0EEENS1_30default_config_static_selectorELNS0_4arch9wavefront6targetE1EEEvT1_,"axG",@progbits,_ZN7rocprim17ROCPRIM_400000_NS6detail17trampoline_kernelINS0_14default_configENS1_25partition_config_selectorILNS1_17partition_subalgoE8EmNS0_10empty_typeEbEEZZNS1_14partition_implILS5_8ELb0ES3_jPKmPS6_PKS6_NS0_5tupleIJPmS6_EEENSE_IJSB_SB_EEENS0_18inequality_wrapperIN6hipcub16HIPCUB_304000_NS8EqualityEEEPlJS6_EEE10hipError_tPvRmT3_T4_T5_T6_T7_T9_mT8_P12ihipStream_tbDpT10_ENKUlT_T0_E_clISt17integral_constantIbLb0EES16_IbLb1EEEEDaS12_S13_EUlS12_E_NS1_11comp_targetILNS1_3genE10ELNS1_11target_archE1200ELNS1_3gpuE4ELNS1_3repE0EEENS1_30default_config_static_selectorELNS0_4arch9wavefront6targetE1EEEvT1_,comdat
.Lfunc_end715:
	.size	_ZN7rocprim17ROCPRIM_400000_NS6detail17trampoline_kernelINS0_14default_configENS1_25partition_config_selectorILNS1_17partition_subalgoE8EmNS0_10empty_typeEbEEZZNS1_14partition_implILS5_8ELb0ES3_jPKmPS6_PKS6_NS0_5tupleIJPmS6_EEENSE_IJSB_SB_EEENS0_18inequality_wrapperIN6hipcub16HIPCUB_304000_NS8EqualityEEEPlJS6_EEE10hipError_tPvRmT3_T4_T5_T6_T7_T9_mT8_P12ihipStream_tbDpT10_ENKUlT_T0_E_clISt17integral_constantIbLb0EES16_IbLb1EEEEDaS12_S13_EUlS12_E_NS1_11comp_targetILNS1_3genE10ELNS1_11target_archE1200ELNS1_3gpuE4ELNS1_3repE0EEENS1_30default_config_static_selectorELNS0_4arch9wavefront6targetE1EEEvT1_, .Lfunc_end715-_ZN7rocprim17ROCPRIM_400000_NS6detail17trampoline_kernelINS0_14default_configENS1_25partition_config_selectorILNS1_17partition_subalgoE8EmNS0_10empty_typeEbEEZZNS1_14partition_implILS5_8ELb0ES3_jPKmPS6_PKS6_NS0_5tupleIJPmS6_EEENSE_IJSB_SB_EEENS0_18inequality_wrapperIN6hipcub16HIPCUB_304000_NS8EqualityEEEPlJS6_EEE10hipError_tPvRmT3_T4_T5_T6_T7_T9_mT8_P12ihipStream_tbDpT10_ENKUlT_T0_E_clISt17integral_constantIbLb0EES16_IbLb1EEEEDaS12_S13_EUlS12_E_NS1_11comp_targetILNS1_3genE10ELNS1_11target_archE1200ELNS1_3gpuE4ELNS1_3repE0EEENS1_30default_config_static_selectorELNS0_4arch9wavefront6targetE1EEEvT1_
                                        ; -- End function
	.section	.AMDGPU.csdata,"",@progbits
; Kernel info:
; codeLenInByte = 0
; NumSgprs: 6
; NumVgprs: 0
; NumAgprs: 0
; TotalNumVgprs: 0
; ScratchSize: 0
; MemoryBound: 0
; FloatMode: 240
; IeeeMode: 1
; LDSByteSize: 0 bytes/workgroup (compile time only)
; SGPRBlocks: 0
; VGPRBlocks: 0
; NumSGPRsForWavesPerEU: 6
; NumVGPRsForWavesPerEU: 1
; AccumOffset: 4
; Occupancy: 8
; WaveLimiterHint : 0
; COMPUTE_PGM_RSRC2:SCRATCH_EN: 0
; COMPUTE_PGM_RSRC2:USER_SGPR: 2
; COMPUTE_PGM_RSRC2:TRAP_HANDLER: 0
; COMPUTE_PGM_RSRC2:TGID_X_EN: 1
; COMPUTE_PGM_RSRC2:TGID_Y_EN: 0
; COMPUTE_PGM_RSRC2:TGID_Z_EN: 0
; COMPUTE_PGM_RSRC2:TIDIG_COMP_CNT: 0
; COMPUTE_PGM_RSRC3_GFX90A:ACCUM_OFFSET: 0
; COMPUTE_PGM_RSRC3_GFX90A:TG_SPLIT: 0
	.section	.text._ZN7rocprim17ROCPRIM_400000_NS6detail17trampoline_kernelINS0_14default_configENS1_25partition_config_selectorILNS1_17partition_subalgoE8EmNS0_10empty_typeEbEEZZNS1_14partition_implILS5_8ELb0ES3_jPKmPS6_PKS6_NS0_5tupleIJPmS6_EEENSE_IJSB_SB_EEENS0_18inequality_wrapperIN6hipcub16HIPCUB_304000_NS8EqualityEEEPlJS6_EEE10hipError_tPvRmT3_T4_T5_T6_T7_T9_mT8_P12ihipStream_tbDpT10_ENKUlT_T0_E_clISt17integral_constantIbLb0EES16_IbLb1EEEEDaS12_S13_EUlS12_E_NS1_11comp_targetILNS1_3genE9ELNS1_11target_archE1100ELNS1_3gpuE3ELNS1_3repE0EEENS1_30default_config_static_selectorELNS0_4arch9wavefront6targetE1EEEvT1_,"axG",@progbits,_ZN7rocprim17ROCPRIM_400000_NS6detail17trampoline_kernelINS0_14default_configENS1_25partition_config_selectorILNS1_17partition_subalgoE8EmNS0_10empty_typeEbEEZZNS1_14partition_implILS5_8ELb0ES3_jPKmPS6_PKS6_NS0_5tupleIJPmS6_EEENSE_IJSB_SB_EEENS0_18inequality_wrapperIN6hipcub16HIPCUB_304000_NS8EqualityEEEPlJS6_EEE10hipError_tPvRmT3_T4_T5_T6_T7_T9_mT8_P12ihipStream_tbDpT10_ENKUlT_T0_E_clISt17integral_constantIbLb0EES16_IbLb1EEEEDaS12_S13_EUlS12_E_NS1_11comp_targetILNS1_3genE9ELNS1_11target_archE1100ELNS1_3gpuE3ELNS1_3repE0EEENS1_30default_config_static_selectorELNS0_4arch9wavefront6targetE1EEEvT1_,comdat
	.protected	_ZN7rocprim17ROCPRIM_400000_NS6detail17trampoline_kernelINS0_14default_configENS1_25partition_config_selectorILNS1_17partition_subalgoE8EmNS0_10empty_typeEbEEZZNS1_14partition_implILS5_8ELb0ES3_jPKmPS6_PKS6_NS0_5tupleIJPmS6_EEENSE_IJSB_SB_EEENS0_18inequality_wrapperIN6hipcub16HIPCUB_304000_NS8EqualityEEEPlJS6_EEE10hipError_tPvRmT3_T4_T5_T6_T7_T9_mT8_P12ihipStream_tbDpT10_ENKUlT_T0_E_clISt17integral_constantIbLb0EES16_IbLb1EEEEDaS12_S13_EUlS12_E_NS1_11comp_targetILNS1_3genE9ELNS1_11target_archE1100ELNS1_3gpuE3ELNS1_3repE0EEENS1_30default_config_static_selectorELNS0_4arch9wavefront6targetE1EEEvT1_ ; -- Begin function _ZN7rocprim17ROCPRIM_400000_NS6detail17trampoline_kernelINS0_14default_configENS1_25partition_config_selectorILNS1_17partition_subalgoE8EmNS0_10empty_typeEbEEZZNS1_14partition_implILS5_8ELb0ES3_jPKmPS6_PKS6_NS0_5tupleIJPmS6_EEENSE_IJSB_SB_EEENS0_18inequality_wrapperIN6hipcub16HIPCUB_304000_NS8EqualityEEEPlJS6_EEE10hipError_tPvRmT3_T4_T5_T6_T7_T9_mT8_P12ihipStream_tbDpT10_ENKUlT_T0_E_clISt17integral_constantIbLb0EES16_IbLb1EEEEDaS12_S13_EUlS12_E_NS1_11comp_targetILNS1_3genE9ELNS1_11target_archE1100ELNS1_3gpuE3ELNS1_3repE0EEENS1_30default_config_static_selectorELNS0_4arch9wavefront6targetE1EEEvT1_
	.globl	_ZN7rocprim17ROCPRIM_400000_NS6detail17trampoline_kernelINS0_14default_configENS1_25partition_config_selectorILNS1_17partition_subalgoE8EmNS0_10empty_typeEbEEZZNS1_14partition_implILS5_8ELb0ES3_jPKmPS6_PKS6_NS0_5tupleIJPmS6_EEENSE_IJSB_SB_EEENS0_18inequality_wrapperIN6hipcub16HIPCUB_304000_NS8EqualityEEEPlJS6_EEE10hipError_tPvRmT3_T4_T5_T6_T7_T9_mT8_P12ihipStream_tbDpT10_ENKUlT_T0_E_clISt17integral_constantIbLb0EES16_IbLb1EEEEDaS12_S13_EUlS12_E_NS1_11comp_targetILNS1_3genE9ELNS1_11target_archE1100ELNS1_3gpuE3ELNS1_3repE0EEENS1_30default_config_static_selectorELNS0_4arch9wavefront6targetE1EEEvT1_
	.p2align	8
	.type	_ZN7rocprim17ROCPRIM_400000_NS6detail17trampoline_kernelINS0_14default_configENS1_25partition_config_selectorILNS1_17partition_subalgoE8EmNS0_10empty_typeEbEEZZNS1_14partition_implILS5_8ELb0ES3_jPKmPS6_PKS6_NS0_5tupleIJPmS6_EEENSE_IJSB_SB_EEENS0_18inequality_wrapperIN6hipcub16HIPCUB_304000_NS8EqualityEEEPlJS6_EEE10hipError_tPvRmT3_T4_T5_T6_T7_T9_mT8_P12ihipStream_tbDpT10_ENKUlT_T0_E_clISt17integral_constantIbLb0EES16_IbLb1EEEEDaS12_S13_EUlS12_E_NS1_11comp_targetILNS1_3genE9ELNS1_11target_archE1100ELNS1_3gpuE3ELNS1_3repE0EEENS1_30default_config_static_selectorELNS0_4arch9wavefront6targetE1EEEvT1_,@function
_ZN7rocprim17ROCPRIM_400000_NS6detail17trampoline_kernelINS0_14default_configENS1_25partition_config_selectorILNS1_17partition_subalgoE8EmNS0_10empty_typeEbEEZZNS1_14partition_implILS5_8ELb0ES3_jPKmPS6_PKS6_NS0_5tupleIJPmS6_EEENSE_IJSB_SB_EEENS0_18inequality_wrapperIN6hipcub16HIPCUB_304000_NS8EqualityEEEPlJS6_EEE10hipError_tPvRmT3_T4_T5_T6_T7_T9_mT8_P12ihipStream_tbDpT10_ENKUlT_T0_E_clISt17integral_constantIbLb0EES16_IbLb1EEEEDaS12_S13_EUlS12_E_NS1_11comp_targetILNS1_3genE9ELNS1_11target_archE1100ELNS1_3gpuE3ELNS1_3repE0EEENS1_30default_config_static_selectorELNS0_4arch9wavefront6targetE1EEEvT1_: ; @_ZN7rocprim17ROCPRIM_400000_NS6detail17trampoline_kernelINS0_14default_configENS1_25partition_config_selectorILNS1_17partition_subalgoE8EmNS0_10empty_typeEbEEZZNS1_14partition_implILS5_8ELb0ES3_jPKmPS6_PKS6_NS0_5tupleIJPmS6_EEENSE_IJSB_SB_EEENS0_18inequality_wrapperIN6hipcub16HIPCUB_304000_NS8EqualityEEEPlJS6_EEE10hipError_tPvRmT3_T4_T5_T6_T7_T9_mT8_P12ihipStream_tbDpT10_ENKUlT_T0_E_clISt17integral_constantIbLb0EES16_IbLb1EEEEDaS12_S13_EUlS12_E_NS1_11comp_targetILNS1_3genE9ELNS1_11target_archE1100ELNS1_3gpuE3ELNS1_3repE0EEENS1_30default_config_static_selectorELNS0_4arch9wavefront6targetE1EEEvT1_
; %bb.0:
	.section	.rodata,"a",@progbits
	.p2align	6, 0x0
	.amdhsa_kernel _ZN7rocprim17ROCPRIM_400000_NS6detail17trampoline_kernelINS0_14default_configENS1_25partition_config_selectorILNS1_17partition_subalgoE8EmNS0_10empty_typeEbEEZZNS1_14partition_implILS5_8ELb0ES3_jPKmPS6_PKS6_NS0_5tupleIJPmS6_EEENSE_IJSB_SB_EEENS0_18inequality_wrapperIN6hipcub16HIPCUB_304000_NS8EqualityEEEPlJS6_EEE10hipError_tPvRmT3_T4_T5_T6_T7_T9_mT8_P12ihipStream_tbDpT10_ENKUlT_T0_E_clISt17integral_constantIbLb0EES16_IbLb1EEEEDaS12_S13_EUlS12_E_NS1_11comp_targetILNS1_3genE9ELNS1_11target_archE1100ELNS1_3gpuE3ELNS1_3repE0EEENS1_30default_config_static_selectorELNS0_4arch9wavefront6targetE1EEEvT1_
		.amdhsa_group_segment_fixed_size 0
		.amdhsa_private_segment_fixed_size 0
		.amdhsa_kernarg_size 128
		.amdhsa_user_sgpr_count 2
		.amdhsa_user_sgpr_dispatch_ptr 0
		.amdhsa_user_sgpr_queue_ptr 0
		.amdhsa_user_sgpr_kernarg_segment_ptr 1
		.amdhsa_user_sgpr_dispatch_id 0
		.amdhsa_user_sgpr_kernarg_preload_length 0
		.amdhsa_user_sgpr_kernarg_preload_offset 0
		.amdhsa_user_sgpr_private_segment_size 0
		.amdhsa_uses_dynamic_stack 0
		.amdhsa_enable_private_segment 0
		.amdhsa_system_sgpr_workgroup_id_x 1
		.amdhsa_system_sgpr_workgroup_id_y 0
		.amdhsa_system_sgpr_workgroup_id_z 0
		.amdhsa_system_sgpr_workgroup_info 0
		.amdhsa_system_vgpr_workitem_id 0
		.amdhsa_next_free_vgpr 1
		.amdhsa_next_free_sgpr 0
		.amdhsa_accum_offset 4
		.amdhsa_reserve_vcc 0
		.amdhsa_float_round_mode_32 0
		.amdhsa_float_round_mode_16_64 0
		.amdhsa_float_denorm_mode_32 3
		.amdhsa_float_denorm_mode_16_64 3
		.amdhsa_dx10_clamp 1
		.amdhsa_ieee_mode 1
		.amdhsa_fp16_overflow 0
		.amdhsa_tg_split 0
		.amdhsa_exception_fp_ieee_invalid_op 0
		.amdhsa_exception_fp_denorm_src 0
		.amdhsa_exception_fp_ieee_div_zero 0
		.amdhsa_exception_fp_ieee_overflow 0
		.amdhsa_exception_fp_ieee_underflow 0
		.amdhsa_exception_fp_ieee_inexact 0
		.amdhsa_exception_int_div_zero 0
	.end_amdhsa_kernel
	.section	.text._ZN7rocprim17ROCPRIM_400000_NS6detail17trampoline_kernelINS0_14default_configENS1_25partition_config_selectorILNS1_17partition_subalgoE8EmNS0_10empty_typeEbEEZZNS1_14partition_implILS5_8ELb0ES3_jPKmPS6_PKS6_NS0_5tupleIJPmS6_EEENSE_IJSB_SB_EEENS0_18inequality_wrapperIN6hipcub16HIPCUB_304000_NS8EqualityEEEPlJS6_EEE10hipError_tPvRmT3_T4_T5_T6_T7_T9_mT8_P12ihipStream_tbDpT10_ENKUlT_T0_E_clISt17integral_constantIbLb0EES16_IbLb1EEEEDaS12_S13_EUlS12_E_NS1_11comp_targetILNS1_3genE9ELNS1_11target_archE1100ELNS1_3gpuE3ELNS1_3repE0EEENS1_30default_config_static_selectorELNS0_4arch9wavefront6targetE1EEEvT1_,"axG",@progbits,_ZN7rocprim17ROCPRIM_400000_NS6detail17trampoline_kernelINS0_14default_configENS1_25partition_config_selectorILNS1_17partition_subalgoE8EmNS0_10empty_typeEbEEZZNS1_14partition_implILS5_8ELb0ES3_jPKmPS6_PKS6_NS0_5tupleIJPmS6_EEENSE_IJSB_SB_EEENS0_18inequality_wrapperIN6hipcub16HIPCUB_304000_NS8EqualityEEEPlJS6_EEE10hipError_tPvRmT3_T4_T5_T6_T7_T9_mT8_P12ihipStream_tbDpT10_ENKUlT_T0_E_clISt17integral_constantIbLb0EES16_IbLb1EEEEDaS12_S13_EUlS12_E_NS1_11comp_targetILNS1_3genE9ELNS1_11target_archE1100ELNS1_3gpuE3ELNS1_3repE0EEENS1_30default_config_static_selectorELNS0_4arch9wavefront6targetE1EEEvT1_,comdat
.Lfunc_end716:
	.size	_ZN7rocprim17ROCPRIM_400000_NS6detail17trampoline_kernelINS0_14default_configENS1_25partition_config_selectorILNS1_17partition_subalgoE8EmNS0_10empty_typeEbEEZZNS1_14partition_implILS5_8ELb0ES3_jPKmPS6_PKS6_NS0_5tupleIJPmS6_EEENSE_IJSB_SB_EEENS0_18inequality_wrapperIN6hipcub16HIPCUB_304000_NS8EqualityEEEPlJS6_EEE10hipError_tPvRmT3_T4_T5_T6_T7_T9_mT8_P12ihipStream_tbDpT10_ENKUlT_T0_E_clISt17integral_constantIbLb0EES16_IbLb1EEEEDaS12_S13_EUlS12_E_NS1_11comp_targetILNS1_3genE9ELNS1_11target_archE1100ELNS1_3gpuE3ELNS1_3repE0EEENS1_30default_config_static_selectorELNS0_4arch9wavefront6targetE1EEEvT1_, .Lfunc_end716-_ZN7rocprim17ROCPRIM_400000_NS6detail17trampoline_kernelINS0_14default_configENS1_25partition_config_selectorILNS1_17partition_subalgoE8EmNS0_10empty_typeEbEEZZNS1_14partition_implILS5_8ELb0ES3_jPKmPS6_PKS6_NS0_5tupleIJPmS6_EEENSE_IJSB_SB_EEENS0_18inequality_wrapperIN6hipcub16HIPCUB_304000_NS8EqualityEEEPlJS6_EEE10hipError_tPvRmT3_T4_T5_T6_T7_T9_mT8_P12ihipStream_tbDpT10_ENKUlT_T0_E_clISt17integral_constantIbLb0EES16_IbLb1EEEEDaS12_S13_EUlS12_E_NS1_11comp_targetILNS1_3genE9ELNS1_11target_archE1100ELNS1_3gpuE3ELNS1_3repE0EEENS1_30default_config_static_selectorELNS0_4arch9wavefront6targetE1EEEvT1_
                                        ; -- End function
	.section	.AMDGPU.csdata,"",@progbits
; Kernel info:
; codeLenInByte = 0
; NumSgprs: 6
; NumVgprs: 0
; NumAgprs: 0
; TotalNumVgprs: 0
; ScratchSize: 0
; MemoryBound: 0
; FloatMode: 240
; IeeeMode: 1
; LDSByteSize: 0 bytes/workgroup (compile time only)
; SGPRBlocks: 0
; VGPRBlocks: 0
; NumSGPRsForWavesPerEU: 6
; NumVGPRsForWavesPerEU: 1
; AccumOffset: 4
; Occupancy: 8
; WaveLimiterHint : 0
; COMPUTE_PGM_RSRC2:SCRATCH_EN: 0
; COMPUTE_PGM_RSRC2:USER_SGPR: 2
; COMPUTE_PGM_RSRC2:TRAP_HANDLER: 0
; COMPUTE_PGM_RSRC2:TGID_X_EN: 1
; COMPUTE_PGM_RSRC2:TGID_Y_EN: 0
; COMPUTE_PGM_RSRC2:TGID_Z_EN: 0
; COMPUTE_PGM_RSRC2:TIDIG_COMP_CNT: 0
; COMPUTE_PGM_RSRC3_GFX90A:ACCUM_OFFSET: 0
; COMPUTE_PGM_RSRC3_GFX90A:TG_SPLIT: 0
	.section	.text._ZN7rocprim17ROCPRIM_400000_NS6detail17trampoline_kernelINS0_14default_configENS1_25partition_config_selectorILNS1_17partition_subalgoE8EmNS0_10empty_typeEbEEZZNS1_14partition_implILS5_8ELb0ES3_jPKmPS6_PKS6_NS0_5tupleIJPmS6_EEENSE_IJSB_SB_EEENS0_18inequality_wrapperIN6hipcub16HIPCUB_304000_NS8EqualityEEEPlJS6_EEE10hipError_tPvRmT3_T4_T5_T6_T7_T9_mT8_P12ihipStream_tbDpT10_ENKUlT_T0_E_clISt17integral_constantIbLb0EES16_IbLb1EEEEDaS12_S13_EUlS12_E_NS1_11comp_targetILNS1_3genE8ELNS1_11target_archE1030ELNS1_3gpuE2ELNS1_3repE0EEENS1_30default_config_static_selectorELNS0_4arch9wavefront6targetE1EEEvT1_,"axG",@progbits,_ZN7rocprim17ROCPRIM_400000_NS6detail17trampoline_kernelINS0_14default_configENS1_25partition_config_selectorILNS1_17partition_subalgoE8EmNS0_10empty_typeEbEEZZNS1_14partition_implILS5_8ELb0ES3_jPKmPS6_PKS6_NS0_5tupleIJPmS6_EEENSE_IJSB_SB_EEENS0_18inequality_wrapperIN6hipcub16HIPCUB_304000_NS8EqualityEEEPlJS6_EEE10hipError_tPvRmT3_T4_T5_T6_T7_T9_mT8_P12ihipStream_tbDpT10_ENKUlT_T0_E_clISt17integral_constantIbLb0EES16_IbLb1EEEEDaS12_S13_EUlS12_E_NS1_11comp_targetILNS1_3genE8ELNS1_11target_archE1030ELNS1_3gpuE2ELNS1_3repE0EEENS1_30default_config_static_selectorELNS0_4arch9wavefront6targetE1EEEvT1_,comdat
	.protected	_ZN7rocprim17ROCPRIM_400000_NS6detail17trampoline_kernelINS0_14default_configENS1_25partition_config_selectorILNS1_17partition_subalgoE8EmNS0_10empty_typeEbEEZZNS1_14partition_implILS5_8ELb0ES3_jPKmPS6_PKS6_NS0_5tupleIJPmS6_EEENSE_IJSB_SB_EEENS0_18inequality_wrapperIN6hipcub16HIPCUB_304000_NS8EqualityEEEPlJS6_EEE10hipError_tPvRmT3_T4_T5_T6_T7_T9_mT8_P12ihipStream_tbDpT10_ENKUlT_T0_E_clISt17integral_constantIbLb0EES16_IbLb1EEEEDaS12_S13_EUlS12_E_NS1_11comp_targetILNS1_3genE8ELNS1_11target_archE1030ELNS1_3gpuE2ELNS1_3repE0EEENS1_30default_config_static_selectorELNS0_4arch9wavefront6targetE1EEEvT1_ ; -- Begin function _ZN7rocprim17ROCPRIM_400000_NS6detail17trampoline_kernelINS0_14default_configENS1_25partition_config_selectorILNS1_17partition_subalgoE8EmNS0_10empty_typeEbEEZZNS1_14partition_implILS5_8ELb0ES3_jPKmPS6_PKS6_NS0_5tupleIJPmS6_EEENSE_IJSB_SB_EEENS0_18inequality_wrapperIN6hipcub16HIPCUB_304000_NS8EqualityEEEPlJS6_EEE10hipError_tPvRmT3_T4_T5_T6_T7_T9_mT8_P12ihipStream_tbDpT10_ENKUlT_T0_E_clISt17integral_constantIbLb0EES16_IbLb1EEEEDaS12_S13_EUlS12_E_NS1_11comp_targetILNS1_3genE8ELNS1_11target_archE1030ELNS1_3gpuE2ELNS1_3repE0EEENS1_30default_config_static_selectorELNS0_4arch9wavefront6targetE1EEEvT1_
	.globl	_ZN7rocprim17ROCPRIM_400000_NS6detail17trampoline_kernelINS0_14default_configENS1_25partition_config_selectorILNS1_17partition_subalgoE8EmNS0_10empty_typeEbEEZZNS1_14partition_implILS5_8ELb0ES3_jPKmPS6_PKS6_NS0_5tupleIJPmS6_EEENSE_IJSB_SB_EEENS0_18inequality_wrapperIN6hipcub16HIPCUB_304000_NS8EqualityEEEPlJS6_EEE10hipError_tPvRmT3_T4_T5_T6_T7_T9_mT8_P12ihipStream_tbDpT10_ENKUlT_T0_E_clISt17integral_constantIbLb0EES16_IbLb1EEEEDaS12_S13_EUlS12_E_NS1_11comp_targetILNS1_3genE8ELNS1_11target_archE1030ELNS1_3gpuE2ELNS1_3repE0EEENS1_30default_config_static_selectorELNS0_4arch9wavefront6targetE1EEEvT1_
	.p2align	8
	.type	_ZN7rocprim17ROCPRIM_400000_NS6detail17trampoline_kernelINS0_14default_configENS1_25partition_config_selectorILNS1_17partition_subalgoE8EmNS0_10empty_typeEbEEZZNS1_14partition_implILS5_8ELb0ES3_jPKmPS6_PKS6_NS0_5tupleIJPmS6_EEENSE_IJSB_SB_EEENS0_18inequality_wrapperIN6hipcub16HIPCUB_304000_NS8EqualityEEEPlJS6_EEE10hipError_tPvRmT3_T4_T5_T6_T7_T9_mT8_P12ihipStream_tbDpT10_ENKUlT_T0_E_clISt17integral_constantIbLb0EES16_IbLb1EEEEDaS12_S13_EUlS12_E_NS1_11comp_targetILNS1_3genE8ELNS1_11target_archE1030ELNS1_3gpuE2ELNS1_3repE0EEENS1_30default_config_static_selectorELNS0_4arch9wavefront6targetE1EEEvT1_,@function
_ZN7rocprim17ROCPRIM_400000_NS6detail17trampoline_kernelINS0_14default_configENS1_25partition_config_selectorILNS1_17partition_subalgoE8EmNS0_10empty_typeEbEEZZNS1_14partition_implILS5_8ELb0ES3_jPKmPS6_PKS6_NS0_5tupleIJPmS6_EEENSE_IJSB_SB_EEENS0_18inequality_wrapperIN6hipcub16HIPCUB_304000_NS8EqualityEEEPlJS6_EEE10hipError_tPvRmT3_T4_T5_T6_T7_T9_mT8_P12ihipStream_tbDpT10_ENKUlT_T0_E_clISt17integral_constantIbLb0EES16_IbLb1EEEEDaS12_S13_EUlS12_E_NS1_11comp_targetILNS1_3genE8ELNS1_11target_archE1030ELNS1_3gpuE2ELNS1_3repE0EEENS1_30default_config_static_selectorELNS0_4arch9wavefront6targetE1EEEvT1_: ; @_ZN7rocprim17ROCPRIM_400000_NS6detail17trampoline_kernelINS0_14default_configENS1_25partition_config_selectorILNS1_17partition_subalgoE8EmNS0_10empty_typeEbEEZZNS1_14partition_implILS5_8ELb0ES3_jPKmPS6_PKS6_NS0_5tupleIJPmS6_EEENSE_IJSB_SB_EEENS0_18inequality_wrapperIN6hipcub16HIPCUB_304000_NS8EqualityEEEPlJS6_EEE10hipError_tPvRmT3_T4_T5_T6_T7_T9_mT8_P12ihipStream_tbDpT10_ENKUlT_T0_E_clISt17integral_constantIbLb0EES16_IbLb1EEEEDaS12_S13_EUlS12_E_NS1_11comp_targetILNS1_3genE8ELNS1_11target_archE1030ELNS1_3gpuE2ELNS1_3repE0EEENS1_30default_config_static_selectorELNS0_4arch9wavefront6targetE1EEEvT1_
; %bb.0:
	.section	.rodata,"a",@progbits
	.p2align	6, 0x0
	.amdhsa_kernel _ZN7rocprim17ROCPRIM_400000_NS6detail17trampoline_kernelINS0_14default_configENS1_25partition_config_selectorILNS1_17partition_subalgoE8EmNS0_10empty_typeEbEEZZNS1_14partition_implILS5_8ELb0ES3_jPKmPS6_PKS6_NS0_5tupleIJPmS6_EEENSE_IJSB_SB_EEENS0_18inequality_wrapperIN6hipcub16HIPCUB_304000_NS8EqualityEEEPlJS6_EEE10hipError_tPvRmT3_T4_T5_T6_T7_T9_mT8_P12ihipStream_tbDpT10_ENKUlT_T0_E_clISt17integral_constantIbLb0EES16_IbLb1EEEEDaS12_S13_EUlS12_E_NS1_11comp_targetILNS1_3genE8ELNS1_11target_archE1030ELNS1_3gpuE2ELNS1_3repE0EEENS1_30default_config_static_selectorELNS0_4arch9wavefront6targetE1EEEvT1_
		.amdhsa_group_segment_fixed_size 0
		.amdhsa_private_segment_fixed_size 0
		.amdhsa_kernarg_size 128
		.amdhsa_user_sgpr_count 2
		.amdhsa_user_sgpr_dispatch_ptr 0
		.amdhsa_user_sgpr_queue_ptr 0
		.amdhsa_user_sgpr_kernarg_segment_ptr 1
		.amdhsa_user_sgpr_dispatch_id 0
		.amdhsa_user_sgpr_kernarg_preload_length 0
		.amdhsa_user_sgpr_kernarg_preload_offset 0
		.amdhsa_user_sgpr_private_segment_size 0
		.amdhsa_uses_dynamic_stack 0
		.amdhsa_enable_private_segment 0
		.amdhsa_system_sgpr_workgroup_id_x 1
		.amdhsa_system_sgpr_workgroup_id_y 0
		.amdhsa_system_sgpr_workgroup_id_z 0
		.amdhsa_system_sgpr_workgroup_info 0
		.amdhsa_system_vgpr_workitem_id 0
		.amdhsa_next_free_vgpr 1
		.amdhsa_next_free_sgpr 0
		.amdhsa_accum_offset 4
		.amdhsa_reserve_vcc 0
		.amdhsa_float_round_mode_32 0
		.amdhsa_float_round_mode_16_64 0
		.amdhsa_float_denorm_mode_32 3
		.amdhsa_float_denorm_mode_16_64 3
		.amdhsa_dx10_clamp 1
		.amdhsa_ieee_mode 1
		.amdhsa_fp16_overflow 0
		.amdhsa_tg_split 0
		.amdhsa_exception_fp_ieee_invalid_op 0
		.amdhsa_exception_fp_denorm_src 0
		.amdhsa_exception_fp_ieee_div_zero 0
		.amdhsa_exception_fp_ieee_overflow 0
		.amdhsa_exception_fp_ieee_underflow 0
		.amdhsa_exception_fp_ieee_inexact 0
		.amdhsa_exception_int_div_zero 0
	.end_amdhsa_kernel
	.section	.text._ZN7rocprim17ROCPRIM_400000_NS6detail17trampoline_kernelINS0_14default_configENS1_25partition_config_selectorILNS1_17partition_subalgoE8EmNS0_10empty_typeEbEEZZNS1_14partition_implILS5_8ELb0ES3_jPKmPS6_PKS6_NS0_5tupleIJPmS6_EEENSE_IJSB_SB_EEENS0_18inequality_wrapperIN6hipcub16HIPCUB_304000_NS8EqualityEEEPlJS6_EEE10hipError_tPvRmT3_T4_T5_T6_T7_T9_mT8_P12ihipStream_tbDpT10_ENKUlT_T0_E_clISt17integral_constantIbLb0EES16_IbLb1EEEEDaS12_S13_EUlS12_E_NS1_11comp_targetILNS1_3genE8ELNS1_11target_archE1030ELNS1_3gpuE2ELNS1_3repE0EEENS1_30default_config_static_selectorELNS0_4arch9wavefront6targetE1EEEvT1_,"axG",@progbits,_ZN7rocprim17ROCPRIM_400000_NS6detail17trampoline_kernelINS0_14default_configENS1_25partition_config_selectorILNS1_17partition_subalgoE8EmNS0_10empty_typeEbEEZZNS1_14partition_implILS5_8ELb0ES3_jPKmPS6_PKS6_NS0_5tupleIJPmS6_EEENSE_IJSB_SB_EEENS0_18inequality_wrapperIN6hipcub16HIPCUB_304000_NS8EqualityEEEPlJS6_EEE10hipError_tPvRmT3_T4_T5_T6_T7_T9_mT8_P12ihipStream_tbDpT10_ENKUlT_T0_E_clISt17integral_constantIbLb0EES16_IbLb1EEEEDaS12_S13_EUlS12_E_NS1_11comp_targetILNS1_3genE8ELNS1_11target_archE1030ELNS1_3gpuE2ELNS1_3repE0EEENS1_30default_config_static_selectorELNS0_4arch9wavefront6targetE1EEEvT1_,comdat
.Lfunc_end717:
	.size	_ZN7rocprim17ROCPRIM_400000_NS6detail17trampoline_kernelINS0_14default_configENS1_25partition_config_selectorILNS1_17partition_subalgoE8EmNS0_10empty_typeEbEEZZNS1_14partition_implILS5_8ELb0ES3_jPKmPS6_PKS6_NS0_5tupleIJPmS6_EEENSE_IJSB_SB_EEENS0_18inequality_wrapperIN6hipcub16HIPCUB_304000_NS8EqualityEEEPlJS6_EEE10hipError_tPvRmT3_T4_T5_T6_T7_T9_mT8_P12ihipStream_tbDpT10_ENKUlT_T0_E_clISt17integral_constantIbLb0EES16_IbLb1EEEEDaS12_S13_EUlS12_E_NS1_11comp_targetILNS1_3genE8ELNS1_11target_archE1030ELNS1_3gpuE2ELNS1_3repE0EEENS1_30default_config_static_selectorELNS0_4arch9wavefront6targetE1EEEvT1_, .Lfunc_end717-_ZN7rocprim17ROCPRIM_400000_NS6detail17trampoline_kernelINS0_14default_configENS1_25partition_config_selectorILNS1_17partition_subalgoE8EmNS0_10empty_typeEbEEZZNS1_14partition_implILS5_8ELb0ES3_jPKmPS6_PKS6_NS0_5tupleIJPmS6_EEENSE_IJSB_SB_EEENS0_18inequality_wrapperIN6hipcub16HIPCUB_304000_NS8EqualityEEEPlJS6_EEE10hipError_tPvRmT3_T4_T5_T6_T7_T9_mT8_P12ihipStream_tbDpT10_ENKUlT_T0_E_clISt17integral_constantIbLb0EES16_IbLb1EEEEDaS12_S13_EUlS12_E_NS1_11comp_targetILNS1_3genE8ELNS1_11target_archE1030ELNS1_3gpuE2ELNS1_3repE0EEENS1_30default_config_static_selectorELNS0_4arch9wavefront6targetE1EEEvT1_
                                        ; -- End function
	.section	.AMDGPU.csdata,"",@progbits
; Kernel info:
; codeLenInByte = 0
; NumSgprs: 6
; NumVgprs: 0
; NumAgprs: 0
; TotalNumVgprs: 0
; ScratchSize: 0
; MemoryBound: 0
; FloatMode: 240
; IeeeMode: 1
; LDSByteSize: 0 bytes/workgroup (compile time only)
; SGPRBlocks: 0
; VGPRBlocks: 0
; NumSGPRsForWavesPerEU: 6
; NumVGPRsForWavesPerEU: 1
; AccumOffset: 4
; Occupancy: 8
; WaveLimiterHint : 0
; COMPUTE_PGM_RSRC2:SCRATCH_EN: 0
; COMPUTE_PGM_RSRC2:USER_SGPR: 2
; COMPUTE_PGM_RSRC2:TRAP_HANDLER: 0
; COMPUTE_PGM_RSRC2:TGID_X_EN: 1
; COMPUTE_PGM_RSRC2:TGID_Y_EN: 0
; COMPUTE_PGM_RSRC2:TGID_Z_EN: 0
; COMPUTE_PGM_RSRC2:TIDIG_COMP_CNT: 0
; COMPUTE_PGM_RSRC3_GFX90A:ACCUM_OFFSET: 0
; COMPUTE_PGM_RSRC3_GFX90A:TG_SPLIT: 0
	.section	.text._ZN7rocprim17ROCPRIM_400000_NS6detail17trampoline_kernelINS0_14default_configENS1_33run_length_encode_config_selectorImjNS0_4plusIjEEEEZZNS1_33reduce_by_key_impl_wrapped_configILNS1_25lookback_scan_determinismE0ES3_S7_PKmNS0_17constant_iteratorIjlEEPmPlSF_S6_NS0_8equal_toImEEEE10hipError_tPvRmT2_T3_mT4_T5_T6_T7_T8_P12ihipStream_tbENKUlT_T0_E_clISt17integral_constantIbLb0EESZ_EEDaSU_SV_EUlSU_E_NS1_11comp_targetILNS1_3genE0ELNS1_11target_archE4294967295ELNS1_3gpuE0ELNS1_3repE0EEENS1_30default_config_static_selectorELNS0_4arch9wavefront6targetE1EEEvT1_,"axG",@progbits,_ZN7rocprim17ROCPRIM_400000_NS6detail17trampoline_kernelINS0_14default_configENS1_33run_length_encode_config_selectorImjNS0_4plusIjEEEEZZNS1_33reduce_by_key_impl_wrapped_configILNS1_25lookback_scan_determinismE0ES3_S7_PKmNS0_17constant_iteratorIjlEEPmPlSF_S6_NS0_8equal_toImEEEE10hipError_tPvRmT2_T3_mT4_T5_T6_T7_T8_P12ihipStream_tbENKUlT_T0_E_clISt17integral_constantIbLb0EESZ_EEDaSU_SV_EUlSU_E_NS1_11comp_targetILNS1_3genE0ELNS1_11target_archE4294967295ELNS1_3gpuE0ELNS1_3repE0EEENS1_30default_config_static_selectorELNS0_4arch9wavefront6targetE1EEEvT1_,comdat
	.protected	_ZN7rocprim17ROCPRIM_400000_NS6detail17trampoline_kernelINS0_14default_configENS1_33run_length_encode_config_selectorImjNS0_4plusIjEEEEZZNS1_33reduce_by_key_impl_wrapped_configILNS1_25lookback_scan_determinismE0ES3_S7_PKmNS0_17constant_iteratorIjlEEPmPlSF_S6_NS0_8equal_toImEEEE10hipError_tPvRmT2_T3_mT4_T5_T6_T7_T8_P12ihipStream_tbENKUlT_T0_E_clISt17integral_constantIbLb0EESZ_EEDaSU_SV_EUlSU_E_NS1_11comp_targetILNS1_3genE0ELNS1_11target_archE4294967295ELNS1_3gpuE0ELNS1_3repE0EEENS1_30default_config_static_selectorELNS0_4arch9wavefront6targetE1EEEvT1_ ; -- Begin function _ZN7rocprim17ROCPRIM_400000_NS6detail17trampoline_kernelINS0_14default_configENS1_33run_length_encode_config_selectorImjNS0_4plusIjEEEEZZNS1_33reduce_by_key_impl_wrapped_configILNS1_25lookback_scan_determinismE0ES3_S7_PKmNS0_17constant_iteratorIjlEEPmPlSF_S6_NS0_8equal_toImEEEE10hipError_tPvRmT2_T3_mT4_T5_T6_T7_T8_P12ihipStream_tbENKUlT_T0_E_clISt17integral_constantIbLb0EESZ_EEDaSU_SV_EUlSU_E_NS1_11comp_targetILNS1_3genE0ELNS1_11target_archE4294967295ELNS1_3gpuE0ELNS1_3repE0EEENS1_30default_config_static_selectorELNS0_4arch9wavefront6targetE1EEEvT1_
	.globl	_ZN7rocprim17ROCPRIM_400000_NS6detail17trampoline_kernelINS0_14default_configENS1_33run_length_encode_config_selectorImjNS0_4plusIjEEEEZZNS1_33reduce_by_key_impl_wrapped_configILNS1_25lookback_scan_determinismE0ES3_S7_PKmNS0_17constant_iteratorIjlEEPmPlSF_S6_NS0_8equal_toImEEEE10hipError_tPvRmT2_T3_mT4_T5_T6_T7_T8_P12ihipStream_tbENKUlT_T0_E_clISt17integral_constantIbLb0EESZ_EEDaSU_SV_EUlSU_E_NS1_11comp_targetILNS1_3genE0ELNS1_11target_archE4294967295ELNS1_3gpuE0ELNS1_3repE0EEENS1_30default_config_static_selectorELNS0_4arch9wavefront6targetE1EEEvT1_
	.p2align	8
	.type	_ZN7rocprim17ROCPRIM_400000_NS6detail17trampoline_kernelINS0_14default_configENS1_33run_length_encode_config_selectorImjNS0_4plusIjEEEEZZNS1_33reduce_by_key_impl_wrapped_configILNS1_25lookback_scan_determinismE0ES3_S7_PKmNS0_17constant_iteratorIjlEEPmPlSF_S6_NS0_8equal_toImEEEE10hipError_tPvRmT2_T3_mT4_T5_T6_T7_T8_P12ihipStream_tbENKUlT_T0_E_clISt17integral_constantIbLb0EESZ_EEDaSU_SV_EUlSU_E_NS1_11comp_targetILNS1_3genE0ELNS1_11target_archE4294967295ELNS1_3gpuE0ELNS1_3repE0EEENS1_30default_config_static_selectorELNS0_4arch9wavefront6targetE1EEEvT1_,@function
_ZN7rocprim17ROCPRIM_400000_NS6detail17trampoline_kernelINS0_14default_configENS1_33run_length_encode_config_selectorImjNS0_4plusIjEEEEZZNS1_33reduce_by_key_impl_wrapped_configILNS1_25lookback_scan_determinismE0ES3_S7_PKmNS0_17constant_iteratorIjlEEPmPlSF_S6_NS0_8equal_toImEEEE10hipError_tPvRmT2_T3_mT4_T5_T6_T7_T8_P12ihipStream_tbENKUlT_T0_E_clISt17integral_constantIbLb0EESZ_EEDaSU_SV_EUlSU_E_NS1_11comp_targetILNS1_3genE0ELNS1_11target_archE4294967295ELNS1_3gpuE0ELNS1_3repE0EEENS1_30default_config_static_selectorELNS0_4arch9wavefront6targetE1EEEvT1_: ; @_ZN7rocprim17ROCPRIM_400000_NS6detail17trampoline_kernelINS0_14default_configENS1_33run_length_encode_config_selectorImjNS0_4plusIjEEEEZZNS1_33reduce_by_key_impl_wrapped_configILNS1_25lookback_scan_determinismE0ES3_S7_PKmNS0_17constant_iteratorIjlEEPmPlSF_S6_NS0_8equal_toImEEEE10hipError_tPvRmT2_T3_mT4_T5_T6_T7_T8_P12ihipStream_tbENKUlT_T0_E_clISt17integral_constantIbLb0EESZ_EEDaSU_SV_EUlSU_E_NS1_11comp_targetILNS1_3genE0ELNS1_11target_archE4294967295ELNS1_3gpuE0ELNS1_3repE0EEENS1_30default_config_static_selectorELNS0_4arch9wavefront6targetE1EEEvT1_
; %bb.0:
	.section	.rodata,"a",@progbits
	.p2align	6, 0x0
	.amdhsa_kernel _ZN7rocprim17ROCPRIM_400000_NS6detail17trampoline_kernelINS0_14default_configENS1_33run_length_encode_config_selectorImjNS0_4plusIjEEEEZZNS1_33reduce_by_key_impl_wrapped_configILNS1_25lookback_scan_determinismE0ES3_S7_PKmNS0_17constant_iteratorIjlEEPmPlSF_S6_NS0_8equal_toImEEEE10hipError_tPvRmT2_T3_mT4_T5_T6_T7_T8_P12ihipStream_tbENKUlT_T0_E_clISt17integral_constantIbLb0EESZ_EEDaSU_SV_EUlSU_E_NS1_11comp_targetILNS1_3genE0ELNS1_11target_archE4294967295ELNS1_3gpuE0ELNS1_3repE0EEENS1_30default_config_static_selectorELNS0_4arch9wavefront6targetE1EEEvT1_
		.amdhsa_group_segment_fixed_size 0
		.amdhsa_private_segment_fixed_size 0
		.amdhsa_kernarg_size 128
		.amdhsa_user_sgpr_count 2
		.amdhsa_user_sgpr_dispatch_ptr 0
		.amdhsa_user_sgpr_queue_ptr 0
		.amdhsa_user_sgpr_kernarg_segment_ptr 1
		.amdhsa_user_sgpr_dispatch_id 0
		.amdhsa_user_sgpr_kernarg_preload_length 0
		.amdhsa_user_sgpr_kernarg_preload_offset 0
		.amdhsa_user_sgpr_private_segment_size 0
		.amdhsa_uses_dynamic_stack 0
		.amdhsa_enable_private_segment 0
		.amdhsa_system_sgpr_workgroup_id_x 1
		.amdhsa_system_sgpr_workgroup_id_y 0
		.amdhsa_system_sgpr_workgroup_id_z 0
		.amdhsa_system_sgpr_workgroup_info 0
		.amdhsa_system_vgpr_workitem_id 0
		.amdhsa_next_free_vgpr 1
		.amdhsa_next_free_sgpr 0
		.amdhsa_accum_offset 4
		.amdhsa_reserve_vcc 0
		.amdhsa_float_round_mode_32 0
		.amdhsa_float_round_mode_16_64 0
		.amdhsa_float_denorm_mode_32 3
		.amdhsa_float_denorm_mode_16_64 3
		.amdhsa_dx10_clamp 1
		.amdhsa_ieee_mode 1
		.amdhsa_fp16_overflow 0
		.amdhsa_tg_split 0
		.amdhsa_exception_fp_ieee_invalid_op 0
		.amdhsa_exception_fp_denorm_src 0
		.amdhsa_exception_fp_ieee_div_zero 0
		.amdhsa_exception_fp_ieee_overflow 0
		.amdhsa_exception_fp_ieee_underflow 0
		.amdhsa_exception_fp_ieee_inexact 0
		.amdhsa_exception_int_div_zero 0
	.end_amdhsa_kernel
	.section	.text._ZN7rocprim17ROCPRIM_400000_NS6detail17trampoline_kernelINS0_14default_configENS1_33run_length_encode_config_selectorImjNS0_4plusIjEEEEZZNS1_33reduce_by_key_impl_wrapped_configILNS1_25lookback_scan_determinismE0ES3_S7_PKmNS0_17constant_iteratorIjlEEPmPlSF_S6_NS0_8equal_toImEEEE10hipError_tPvRmT2_T3_mT4_T5_T6_T7_T8_P12ihipStream_tbENKUlT_T0_E_clISt17integral_constantIbLb0EESZ_EEDaSU_SV_EUlSU_E_NS1_11comp_targetILNS1_3genE0ELNS1_11target_archE4294967295ELNS1_3gpuE0ELNS1_3repE0EEENS1_30default_config_static_selectorELNS0_4arch9wavefront6targetE1EEEvT1_,"axG",@progbits,_ZN7rocprim17ROCPRIM_400000_NS6detail17trampoline_kernelINS0_14default_configENS1_33run_length_encode_config_selectorImjNS0_4plusIjEEEEZZNS1_33reduce_by_key_impl_wrapped_configILNS1_25lookback_scan_determinismE0ES3_S7_PKmNS0_17constant_iteratorIjlEEPmPlSF_S6_NS0_8equal_toImEEEE10hipError_tPvRmT2_T3_mT4_T5_T6_T7_T8_P12ihipStream_tbENKUlT_T0_E_clISt17integral_constantIbLb0EESZ_EEDaSU_SV_EUlSU_E_NS1_11comp_targetILNS1_3genE0ELNS1_11target_archE4294967295ELNS1_3gpuE0ELNS1_3repE0EEENS1_30default_config_static_selectorELNS0_4arch9wavefront6targetE1EEEvT1_,comdat
.Lfunc_end718:
	.size	_ZN7rocprim17ROCPRIM_400000_NS6detail17trampoline_kernelINS0_14default_configENS1_33run_length_encode_config_selectorImjNS0_4plusIjEEEEZZNS1_33reduce_by_key_impl_wrapped_configILNS1_25lookback_scan_determinismE0ES3_S7_PKmNS0_17constant_iteratorIjlEEPmPlSF_S6_NS0_8equal_toImEEEE10hipError_tPvRmT2_T3_mT4_T5_T6_T7_T8_P12ihipStream_tbENKUlT_T0_E_clISt17integral_constantIbLb0EESZ_EEDaSU_SV_EUlSU_E_NS1_11comp_targetILNS1_3genE0ELNS1_11target_archE4294967295ELNS1_3gpuE0ELNS1_3repE0EEENS1_30default_config_static_selectorELNS0_4arch9wavefront6targetE1EEEvT1_, .Lfunc_end718-_ZN7rocprim17ROCPRIM_400000_NS6detail17trampoline_kernelINS0_14default_configENS1_33run_length_encode_config_selectorImjNS0_4plusIjEEEEZZNS1_33reduce_by_key_impl_wrapped_configILNS1_25lookback_scan_determinismE0ES3_S7_PKmNS0_17constant_iteratorIjlEEPmPlSF_S6_NS0_8equal_toImEEEE10hipError_tPvRmT2_T3_mT4_T5_T6_T7_T8_P12ihipStream_tbENKUlT_T0_E_clISt17integral_constantIbLb0EESZ_EEDaSU_SV_EUlSU_E_NS1_11comp_targetILNS1_3genE0ELNS1_11target_archE4294967295ELNS1_3gpuE0ELNS1_3repE0EEENS1_30default_config_static_selectorELNS0_4arch9wavefront6targetE1EEEvT1_
                                        ; -- End function
	.section	.AMDGPU.csdata,"",@progbits
; Kernel info:
; codeLenInByte = 0
; NumSgprs: 6
; NumVgprs: 0
; NumAgprs: 0
; TotalNumVgprs: 0
; ScratchSize: 0
; MemoryBound: 0
; FloatMode: 240
; IeeeMode: 1
; LDSByteSize: 0 bytes/workgroup (compile time only)
; SGPRBlocks: 0
; VGPRBlocks: 0
; NumSGPRsForWavesPerEU: 6
; NumVGPRsForWavesPerEU: 1
; AccumOffset: 4
; Occupancy: 8
; WaveLimiterHint : 0
; COMPUTE_PGM_RSRC2:SCRATCH_EN: 0
; COMPUTE_PGM_RSRC2:USER_SGPR: 2
; COMPUTE_PGM_RSRC2:TRAP_HANDLER: 0
; COMPUTE_PGM_RSRC2:TGID_X_EN: 1
; COMPUTE_PGM_RSRC2:TGID_Y_EN: 0
; COMPUTE_PGM_RSRC2:TGID_Z_EN: 0
; COMPUTE_PGM_RSRC2:TIDIG_COMP_CNT: 0
; COMPUTE_PGM_RSRC3_GFX90A:ACCUM_OFFSET: 0
; COMPUTE_PGM_RSRC3_GFX90A:TG_SPLIT: 0
	.section	.text._ZN7rocprim17ROCPRIM_400000_NS6detail17trampoline_kernelINS0_14default_configENS1_33run_length_encode_config_selectorImjNS0_4plusIjEEEEZZNS1_33reduce_by_key_impl_wrapped_configILNS1_25lookback_scan_determinismE0ES3_S7_PKmNS0_17constant_iteratorIjlEEPmPlSF_S6_NS0_8equal_toImEEEE10hipError_tPvRmT2_T3_mT4_T5_T6_T7_T8_P12ihipStream_tbENKUlT_T0_E_clISt17integral_constantIbLb0EESZ_EEDaSU_SV_EUlSU_E_NS1_11comp_targetILNS1_3genE5ELNS1_11target_archE942ELNS1_3gpuE9ELNS1_3repE0EEENS1_30default_config_static_selectorELNS0_4arch9wavefront6targetE1EEEvT1_,"axG",@progbits,_ZN7rocprim17ROCPRIM_400000_NS6detail17trampoline_kernelINS0_14default_configENS1_33run_length_encode_config_selectorImjNS0_4plusIjEEEEZZNS1_33reduce_by_key_impl_wrapped_configILNS1_25lookback_scan_determinismE0ES3_S7_PKmNS0_17constant_iteratorIjlEEPmPlSF_S6_NS0_8equal_toImEEEE10hipError_tPvRmT2_T3_mT4_T5_T6_T7_T8_P12ihipStream_tbENKUlT_T0_E_clISt17integral_constantIbLb0EESZ_EEDaSU_SV_EUlSU_E_NS1_11comp_targetILNS1_3genE5ELNS1_11target_archE942ELNS1_3gpuE9ELNS1_3repE0EEENS1_30default_config_static_selectorELNS0_4arch9wavefront6targetE1EEEvT1_,comdat
	.protected	_ZN7rocprim17ROCPRIM_400000_NS6detail17trampoline_kernelINS0_14default_configENS1_33run_length_encode_config_selectorImjNS0_4plusIjEEEEZZNS1_33reduce_by_key_impl_wrapped_configILNS1_25lookback_scan_determinismE0ES3_S7_PKmNS0_17constant_iteratorIjlEEPmPlSF_S6_NS0_8equal_toImEEEE10hipError_tPvRmT2_T3_mT4_T5_T6_T7_T8_P12ihipStream_tbENKUlT_T0_E_clISt17integral_constantIbLb0EESZ_EEDaSU_SV_EUlSU_E_NS1_11comp_targetILNS1_3genE5ELNS1_11target_archE942ELNS1_3gpuE9ELNS1_3repE0EEENS1_30default_config_static_selectorELNS0_4arch9wavefront6targetE1EEEvT1_ ; -- Begin function _ZN7rocprim17ROCPRIM_400000_NS6detail17trampoline_kernelINS0_14default_configENS1_33run_length_encode_config_selectorImjNS0_4plusIjEEEEZZNS1_33reduce_by_key_impl_wrapped_configILNS1_25lookback_scan_determinismE0ES3_S7_PKmNS0_17constant_iteratorIjlEEPmPlSF_S6_NS0_8equal_toImEEEE10hipError_tPvRmT2_T3_mT4_T5_T6_T7_T8_P12ihipStream_tbENKUlT_T0_E_clISt17integral_constantIbLb0EESZ_EEDaSU_SV_EUlSU_E_NS1_11comp_targetILNS1_3genE5ELNS1_11target_archE942ELNS1_3gpuE9ELNS1_3repE0EEENS1_30default_config_static_selectorELNS0_4arch9wavefront6targetE1EEEvT1_
	.globl	_ZN7rocprim17ROCPRIM_400000_NS6detail17trampoline_kernelINS0_14default_configENS1_33run_length_encode_config_selectorImjNS0_4plusIjEEEEZZNS1_33reduce_by_key_impl_wrapped_configILNS1_25lookback_scan_determinismE0ES3_S7_PKmNS0_17constant_iteratorIjlEEPmPlSF_S6_NS0_8equal_toImEEEE10hipError_tPvRmT2_T3_mT4_T5_T6_T7_T8_P12ihipStream_tbENKUlT_T0_E_clISt17integral_constantIbLb0EESZ_EEDaSU_SV_EUlSU_E_NS1_11comp_targetILNS1_3genE5ELNS1_11target_archE942ELNS1_3gpuE9ELNS1_3repE0EEENS1_30default_config_static_selectorELNS0_4arch9wavefront6targetE1EEEvT1_
	.p2align	8
	.type	_ZN7rocprim17ROCPRIM_400000_NS6detail17trampoline_kernelINS0_14default_configENS1_33run_length_encode_config_selectorImjNS0_4plusIjEEEEZZNS1_33reduce_by_key_impl_wrapped_configILNS1_25lookback_scan_determinismE0ES3_S7_PKmNS0_17constant_iteratorIjlEEPmPlSF_S6_NS0_8equal_toImEEEE10hipError_tPvRmT2_T3_mT4_T5_T6_T7_T8_P12ihipStream_tbENKUlT_T0_E_clISt17integral_constantIbLb0EESZ_EEDaSU_SV_EUlSU_E_NS1_11comp_targetILNS1_3genE5ELNS1_11target_archE942ELNS1_3gpuE9ELNS1_3repE0EEENS1_30default_config_static_selectorELNS0_4arch9wavefront6targetE1EEEvT1_,@function
_ZN7rocprim17ROCPRIM_400000_NS6detail17trampoline_kernelINS0_14default_configENS1_33run_length_encode_config_selectorImjNS0_4plusIjEEEEZZNS1_33reduce_by_key_impl_wrapped_configILNS1_25lookback_scan_determinismE0ES3_S7_PKmNS0_17constant_iteratorIjlEEPmPlSF_S6_NS0_8equal_toImEEEE10hipError_tPvRmT2_T3_mT4_T5_T6_T7_T8_P12ihipStream_tbENKUlT_T0_E_clISt17integral_constantIbLb0EESZ_EEDaSU_SV_EUlSU_E_NS1_11comp_targetILNS1_3genE5ELNS1_11target_archE942ELNS1_3gpuE9ELNS1_3repE0EEENS1_30default_config_static_selectorELNS0_4arch9wavefront6targetE1EEEvT1_: ; @_ZN7rocprim17ROCPRIM_400000_NS6detail17trampoline_kernelINS0_14default_configENS1_33run_length_encode_config_selectorImjNS0_4plusIjEEEEZZNS1_33reduce_by_key_impl_wrapped_configILNS1_25lookback_scan_determinismE0ES3_S7_PKmNS0_17constant_iteratorIjlEEPmPlSF_S6_NS0_8equal_toImEEEE10hipError_tPvRmT2_T3_mT4_T5_T6_T7_T8_P12ihipStream_tbENKUlT_T0_E_clISt17integral_constantIbLb0EESZ_EEDaSU_SV_EUlSU_E_NS1_11comp_targetILNS1_3genE5ELNS1_11target_archE942ELNS1_3gpuE9ELNS1_3repE0EEENS1_30default_config_static_selectorELNS0_4arch9wavefront6targetE1EEEvT1_
; %bb.0:
	s_load_dwordx8 s[36:43], s[0:1], 0x40
	s_load_dwordx4 s[4:7], s[0:1], 0x0
	s_load_dword s3, s[0:1], 0x10
	s_load_dwordx4 s[44:47], s[0:1], 0x60
	s_waitcnt lgkmcnt(0)
	s_mul_i32 s8, s40, s39
	s_mul_hi_u32 s9, s40, s38
	s_add_i32 s8, s9, s8
	s_mul_i32 s9, s41, s38
	s_add_i32 s8, s8, s9
	s_lshl_b64 s[6:7], s[6:7], 3
	s_add_u32 s6, s4, s6
	s_addc_u32 s7, s5, s7
	s_mul_i32 s4, s2, 0x1e00
	s_mov_b32 s5, 0
	s_lshl_b64 s[4:5], s[4:5], 3
	s_mul_i32 s9, s40, s38
	s_add_u32 s40, s6, s4
	s_addc_u32 s41, s7, s5
	s_add_u32 s34, s9, s2
	s_addc_u32 s35, s8, 0
	s_add_u32 s6, s42, -1
	s_addc_u32 s7, s43, -1
	s_cmp_eq_u64 s[34:35], s[6:7]
	s_cselect_b64 s[48:49], -1, 0
	s_cmp_lg_u64 s[34:35], s[6:7]
	s_mov_b64 s[8:9], -1
	s_cselect_b64 s[4:5], -1, 0
	s_mul_i32 s33, s6, 0xffffe200
	s_and_b64 vcc, exec, s[48:49]
	s_cbranch_vccnz .LBB719_2
; %bb.1:
	v_lshlrev_b32_e32 v2, 3, v0
	v_mov_b32_e32 v3, 0
	v_lshl_add_u64 v[4:5], s[40:41], 0, v[2:3]
	v_add_co_u32_e32 v8, vcc, 0x1000, v4
	global_load_dwordx2 v[6:7], v2, s[40:41]
	s_nop 0
	v_addc_co_u32_e32 v9, vcc, 0, v5, vcc
	v_add_co_u32_e32 v10, vcc, 0x2000, v4
	s_movk_i32 s6, 0x70
	s_nop 0
	v_addc_co_u32_e32 v11, vcc, 0, v5, vcc
	v_add_co_u32_e32 v12, vcc, 0x3000, v4
	v_mad_u32_u24 v1, v0, s6, v2
	s_nop 0
	v_addc_co_u32_e32 v13, vcc, 0, v5, vcc
	v_add_co_u32_e32 v14, vcc, 0x4000, v4
	s_nop 1
	v_addc_co_u32_e32 v15, vcc, 0, v5, vcc
	global_load_dwordx2 v[16:17], v[8:9], off
	global_load_dwordx2 v[18:19], v[10:11], off
	global_load_dwordx2 v[20:21], v[12:13], off
	global_load_dwordx2 v[22:23], v[14:15], off
	v_add_co_u32_e32 v8, vcc, 0x5000, v4
	s_mov_b64 s[6:7], -1
	s_nop 0
	v_addc_co_u32_e32 v9, vcc, 0, v5, vcc
	v_add_co_u32_e32 v10, vcc, 0x6000, v4
	s_nop 1
	v_addc_co_u32_e32 v11, vcc, 0, v5, vcc
	v_add_co_u32_e32 v12, vcc, 0x7000, v4
	;; [unrolled: 3-line block ×3, first 2 shown]
	s_nop 1
	v_addc_co_u32_e32 v15, vcc, 0, v5, vcc
	global_load_dwordx2 v[24:25], v[8:9], off
	global_load_dwordx2 v[26:27], v[10:11], off
	;; [unrolled: 1-line block ×4, first 2 shown]
	v_add_co_u32_e32 v8, vcc, 0x9000, v4
	s_nop 1
	v_addc_co_u32_e32 v9, vcc, 0, v5, vcc
	v_add_co_u32_e32 v10, vcc, 0xa000, v4
	s_nop 1
	v_addc_co_u32_e32 v11, vcc, 0, v5, vcc
	;; [unrolled: 3-line block ×4, first 2 shown]
	global_load_dwordx2 v[32:33], v[8:9], off
	global_load_dwordx2 v[34:35], v[10:11], off
	;; [unrolled: 1-line block ×4, first 2 shown]
	v_add_co_u32_e32 v8, vcc, 0xd000, v4
	s_nop 1
	v_addc_co_u32_e32 v9, vcc, 0, v5, vcc
	v_add_co_u32_e32 v4, vcc, 0xe000, v4
	global_load_dwordx2 v[8:9], v[8:9], off
	s_nop 0
	v_addc_co_u32_e32 v5, vcc, 0, v5, vcc
	global_load_dwordx2 v[4:5], v[4:5], off
	s_waitcnt vmcnt(13)
	ds_write2st64_b64 v2, v[6:7], v[16:17] offset1:8
	s_waitcnt vmcnt(11)
	ds_write2st64_b64 v2, v[18:19], v[20:21] offset0:16 offset1:24
	s_waitcnt vmcnt(9)
	ds_write2st64_b64 v2, v[22:23], v[24:25] offset0:32 offset1:40
	;; [unrolled: 2-line block ×6, first 2 shown]
	s_waitcnt vmcnt(0)
	ds_write_b64 v2, v[4:5] offset:57344
	s_waitcnt lgkmcnt(0)
	s_barrier
	ds_read2_b64 v[26:29], v1 offset1:1
	ds_read2_b64 v[22:25], v1 offset0:2 offset1:3
	ds_read2_b64 v[18:21], v1 offset0:4 offset1:5
	;; [unrolled: 1-line block ×6, first 2 shown]
	ds_read_b64 v[46:47], v1 offset:112
	s_waitcnt lgkmcnt(7)
	v_mov_b32_e32 v30, v26
	v_mov_b32_e32 v31, v27
	s_waitcnt lgkmcnt(6)
	v_mov_b32_e32 v32, v22
	v_mov_b32_e32 v33, v23
	;; [unrolled: 3-line block ×7, first 2 shown]
	s_add_i32 s33, s33, s44
	s_cbranch_execz .LBB719_3
	s_branch .LBB719_34
.LBB719_2:
	s_mov_b64 s[6:7], 0
                                        ; implicit-def: $vgpr46_vgpr47
                                        ; implicit-def: $vgpr6_vgpr7
                                        ; implicit-def: $vgpr2_vgpr3
                                        ; implicit-def: $vgpr10_vgpr11
                                        ; implicit-def: $vgpr14_vgpr15
                                        ; implicit-def: $vgpr18_vgpr19
                                        ; implicit-def: $vgpr22_vgpr23
                                        ; implicit-def: $vgpr26_vgpr27
                                        ; implicit-def: $vgpr38_vgpr39_vgpr40_vgpr41
                                        ; implicit-def: $vgpr34_vgpr35_vgpr36_vgpr37
                                        ; implicit-def: $vgpr30_vgpr31_vgpr32_vgpr33
                                        ; implicit-def: $vgpr42_vgpr43_vgpr44_vgpr45
	s_add_i32 s33, s33, s44
	s_andn2_b64 vcc, exec, s[8:9]
	s_cbranch_vccnz .LBB719_34
.LBB719_3:
	v_cmp_gt_u32_e32 vcc, s33, v0
                                        ; implicit-def: $vgpr2_vgpr3
	s_and_saveexec_b64 s[6:7], vcc
	s_cbranch_execz .LBB719_5
; %bb.4:
	v_lshlrev_b32_e32 v1, 3, v0
	global_load_dwordx2 v[2:3], v1, s[40:41]
.LBB719_5:
	s_or_b64 exec, exec, s[6:7]
	v_or_b32_e32 v1, 0x200, v0
	v_cmp_gt_u32_e32 vcc, s33, v1
                                        ; implicit-def: $vgpr4_vgpr5
	s_and_saveexec_b64 s[6:7], vcc
	s_cbranch_execz .LBB719_7
; %bb.6:
	v_lshlrev_b32_e32 v1, 3, v1
	global_load_dwordx2 v[4:5], v1, s[40:41]
.LBB719_7:
	s_or_b64 exec, exec, s[6:7]
	v_or_b32_e32 v1, 0x400, v0
	v_cmp_gt_u32_e32 vcc, s33, v1
                                        ; implicit-def: $vgpr6_vgpr7
	s_and_saveexec_b64 s[6:7], vcc
	s_cbranch_execz .LBB719_9
; %bb.8:
	v_lshlrev_b32_e32 v1, 3, v1
	global_load_dwordx2 v[6:7], v1, s[40:41]
.LBB719_9:
	s_or_b64 exec, exec, s[6:7]
	v_or_b32_e32 v1, 0x600, v0
	v_cmp_gt_u32_e32 vcc, s33, v1
                                        ; implicit-def: $vgpr8_vgpr9
	s_and_saveexec_b64 s[6:7], vcc
	s_cbranch_execz .LBB719_11
; %bb.10:
	v_lshlrev_b32_e32 v1, 3, v1
	global_load_dwordx2 v[8:9], v1, s[40:41]
.LBB719_11:
	s_or_b64 exec, exec, s[6:7]
	v_or_b32_e32 v1, 0x800, v0
	v_cmp_gt_u32_e32 vcc, s33, v1
                                        ; implicit-def: $vgpr10_vgpr11
	s_and_saveexec_b64 s[6:7], vcc
	s_cbranch_execz .LBB719_13
; %bb.12:
	v_lshlrev_b32_e32 v1, 3, v1
	global_load_dwordx2 v[10:11], v1, s[40:41]
.LBB719_13:
	s_or_b64 exec, exec, s[6:7]
	v_or_b32_e32 v1, 0xa00, v0
	v_cmp_gt_u32_e32 vcc, s33, v1
                                        ; implicit-def: $vgpr12_vgpr13
	s_and_saveexec_b64 s[6:7], vcc
	s_cbranch_execz .LBB719_15
; %bb.14:
	v_lshlrev_b32_e32 v1, 3, v1
	global_load_dwordx2 v[12:13], v1, s[40:41]
.LBB719_15:
	s_or_b64 exec, exec, s[6:7]
	v_or_b32_e32 v1, 0xc00, v0
	v_cmp_gt_u32_e32 vcc, s33, v1
                                        ; implicit-def: $vgpr14_vgpr15
	s_and_saveexec_b64 s[6:7], vcc
	s_cbranch_execz .LBB719_17
; %bb.16:
	v_lshlrev_b32_e32 v1, 3, v1
	global_load_dwordx2 v[14:15], v1, s[40:41]
.LBB719_17:
	s_or_b64 exec, exec, s[6:7]
	v_or_b32_e32 v1, 0xe00, v0
	v_cmp_gt_u32_e32 vcc, s33, v1
                                        ; implicit-def: $vgpr16_vgpr17
	s_and_saveexec_b64 s[6:7], vcc
	s_cbranch_execz .LBB719_19
; %bb.18:
	v_lshlrev_b32_e32 v1, 3, v1
	global_load_dwordx2 v[16:17], v1, s[40:41]
.LBB719_19:
	s_or_b64 exec, exec, s[6:7]
	v_or_b32_e32 v1, 0x1000, v0
	v_cmp_gt_u32_e32 vcc, s33, v1
                                        ; implicit-def: $vgpr18_vgpr19
	s_and_saveexec_b64 s[6:7], vcc
	s_cbranch_execz .LBB719_21
; %bb.20:
	v_lshlrev_b32_e32 v1, 3, v1
	global_load_dwordx2 v[18:19], v1, s[40:41]
.LBB719_21:
	s_or_b64 exec, exec, s[6:7]
	v_or_b32_e32 v1, 0x1200, v0
	v_cmp_gt_u32_e32 vcc, s33, v1
                                        ; implicit-def: $vgpr20_vgpr21
	s_and_saveexec_b64 s[6:7], vcc
	s_cbranch_execz .LBB719_23
; %bb.22:
	v_lshlrev_b32_e32 v1, 3, v1
	global_load_dwordx2 v[20:21], v1, s[40:41]
.LBB719_23:
	s_or_b64 exec, exec, s[6:7]
	v_or_b32_e32 v1, 0x1400, v0
	v_cmp_gt_u32_e32 vcc, s33, v1
                                        ; implicit-def: $vgpr22_vgpr23
	s_and_saveexec_b64 s[6:7], vcc
	s_cbranch_execz .LBB719_25
; %bb.24:
	v_lshlrev_b32_e32 v1, 3, v1
	global_load_dwordx2 v[22:23], v1, s[40:41]
.LBB719_25:
	s_or_b64 exec, exec, s[6:7]
	v_or_b32_e32 v1, 0x1600, v0
	v_cmp_gt_u32_e32 vcc, s33, v1
                                        ; implicit-def: $vgpr24_vgpr25
	s_and_saveexec_b64 s[6:7], vcc
	s_cbranch_execz .LBB719_27
; %bb.26:
	v_lshlrev_b32_e32 v1, 3, v1
	global_load_dwordx2 v[24:25], v1, s[40:41]
.LBB719_27:
	s_or_b64 exec, exec, s[6:7]
	v_or_b32_e32 v1, 0x1800, v0
	v_cmp_gt_u32_e32 vcc, s33, v1
                                        ; implicit-def: $vgpr26_vgpr27
	s_and_saveexec_b64 s[6:7], vcc
	s_cbranch_execz .LBB719_29
; %bb.28:
	v_lshlrev_b32_e32 v1, 3, v1
	global_load_dwordx2 v[26:27], v1, s[40:41]
.LBB719_29:
	s_or_b64 exec, exec, s[6:7]
	v_or_b32_e32 v1, 0x1a00, v0
	v_cmp_gt_u32_e32 vcc, s33, v1
                                        ; implicit-def: $vgpr28_vgpr29
	s_and_saveexec_b64 s[6:7], vcc
	s_cbranch_execz .LBB719_31
; %bb.30:
	v_lshlrev_b32_e32 v1, 3, v1
	global_load_dwordx2 v[28:29], v1, s[40:41]
.LBB719_31:
	s_or_b64 exec, exec, s[6:7]
	v_or_b32_e32 v1, 0x1c00, v0
	v_cmp_gt_u32_e32 vcc, s33, v1
                                        ; implicit-def: $vgpr30_vgpr31
	s_and_saveexec_b64 s[6:7], vcc
	s_cbranch_execz .LBB719_33
; %bb.32:
	v_lshlrev_b32_e32 v1, 3, v1
	global_load_dwordx2 v[30:31], v1, s[40:41]
.LBB719_33:
	s_or_b64 exec, exec, s[6:7]
	v_lshlrev_b32_e32 v1, 3, v0
	s_movk_i32 s6, 0x70
	s_waitcnt vmcnt(0)
	ds_write2st64_b64 v1, v[2:3], v[4:5] offset1:8
	ds_write2st64_b64 v1, v[6:7], v[8:9] offset0:16 offset1:24
	ds_write2st64_b64 v1, v[10:11], v[12:13] offset0:32 offset1:40
	;; [unrolled: 1-line block ×6, first 2 shown]
	ds_write_b64 v1, v[30:31] offset:57344
	v_mad_u32_u24 v1, v0, s6, v1
	s_waitcnt lgkmcnt(0)
	s_barrier
	ds_read2_b64 v[26:29], v1 offset1:1
	ds_read2_b64 v[22:25], v1 offset0:2 offset1:3
	ds_read2_b64 v[18:21], v1 offset0:4 offset1:5
	ds_read2_b64 v[14:17], v1 offset0:6 offset1:7
	ds_read2_b64 v[10:13], v1 offset0:8 offset1:9
	ds_read2_b64 v[2:5], v1 offset0:10 offset1:11
	ds_read2_b64 v[6:9], v1 offset0:12 offset1:13
	ds_read_b64 v[46:47], v1 offset:112
	v_mad_u32_u24 v30, v0, 15, 14
	v_cmp_gt_u32_e64 s[6:7], s33, v30
	s_waitcnt lgkmcnt(7)
	v_mov_b32_e32 v30, v26
	v_mov_b32_e32 v31, v27
	s_waitcnt lgkmcnt(6)
	v_mov_b32_e32 v32, v22
	v_mov_b32_e32 v33, v23
	;; [unrolled: 3-line block ×7, first 2 shown]
.LBB719_34:
	v_mov_b32_e32 v68, s3
                                        ; implicit-def: $vgpr69
	s_and_saveexec_b64 s[8:9], s[6:7]
; %bb.35:
	v_mov_b32_e32 v69, s3
; %bb.36:
	s_or_b64 exec, exec, s[8:9]
	s_load_dwordx2 s[52:53], s[0:1], 0x70
	s_cmp_eq_u64 s[34:35], 0
	s_cselect_b64 s[50:51], -1, 0
	s_cmp_lg_u64 s[34:35], 0
	s_mov_b64 s[42:43], 0
	s_cselect_b64 s[54:55], -1, 0
	s_and_b64 vcc, exec, s[4:5]
	s_waitcnt lgkmcnt(0)
	s_barrier
	s_cbranch_vccz .LBB719_42
; %bb.37:
	s_and_b64 vcc, exec, s[54:55]
	s_cbranch_vccz .LBB719_43
; %bb.38:
	s_add_u32 s4, s40, -8
	s_addc_u32 s5, s41, -1
	s_load_dwordx2 s[42:43], s[4:5], 0x0
	v_lshlrev_b32_e32 v1, 3, v0
	v_cmp_ne_u64_e32 vcc, v[8:9], v[46:47]
	v_cmp_ne_u64_e64 s[28:29], v[6:7], v[8:9]
	v_cmp_ne_u64_e64 s[4:5], v[4:5], v[6:7]
	;; [unrolled: 1-line block ×13, first 2 shown]
	v_cmp_ne_u32_e64 s[30:31], 0, v0
	s_waitcnt lgkmcnt(0)
	v_mov_b64_e32 v[44:45], s[42:43]
	ds_write_b64 v1, v[46:47]
	s_waitcnt lgkmcnt(0)
	s_barrier
	s_and_saveexec_b64 s[42:43], s[30:31]
	s_cbranch_execz .LBB719_40
; %bb.39:
	v_add_u32_e32 v1, -8, v1
	ds_read_b64 v[44:45], v1
.LBB719_40:
	s_or_b64 exec, exec, s[42:43]
	v_cndmask_b32_e64 v1, 0, 1, vcc
	v_cndmask_b32_e64 v72, 0, 1, s[28:29]
	v_cndmask_b32_e64 v73, 0, 1, s[4:5]
	;; [unrolled: 1-line block ×13, first 2 shown]
	s_waitcnt lgkmcnt(0)
	v_cmp_ne_u64_e64 s[4:5], v[44:45], v[26:27]
	s_mov_b64 s[42:43], -1
.LBB719_41:
                                        ; implicit-def: $sgpr3
	s_branch .LBB719_55
.LBB719_42:
                                        ; implicit-def: $sgpr4_sgpr5
                                        ; implicit-def: $vgpr1
                                        ; implicit-def: $vgpr72
                                        ; implicit-def: $vgpr73
                                        ; implicit-def: $vgpr74
                                        ; implicit-def: $vgpr75
                                        ; implicit-def: $vgpr76
                                        ; implicit-def: $vgpr77
                                        ; implicit-def: $vgpr78
                                        ; implicit-def: $vgpr79
                                        ; implicit-def: $vgpr80
                                        ; implicit-def: $vgpr81
                                        ; implicit-def: $vgpr82
                                        ; implicit-def: $vgpr83
                                        ; implicit-def: $vgpr84
                                        ; implicit-def: $sgpr3
	s_cbranch_execnz .LBB719_47
	s_branch .LBB719_55
.LBB719_43:
                                        ; implicit-def: $sgpr4_sgpr5
                                        ; implicit-def: $vgpr1
                                        ; implicit-def: $vgpr72
                                        ; implicit-def: $vgpr73
                                        ; implicit-def: $vgpr74
                                        ; implicit-def: $vgpr75
                                        ; implicit-def: $vgpr76
                                        ; implicit-def: $vgpr77
                                        ; implicit-def: $vgpr78
                                        ; implicit-def: $vgpr79
                                        ; implicit-def: $vgpr80
                                        ; implicit-def: $vgpr81
                                        ; implicit-def: $vgpr82
                                        ; implicit-def: $vgpr83
                                        ; implicit-def: $vgpr84
	s_cbranch_execz .LBB719_41
; %bb.44:
	v_cmp_ne_u64_e32 vcc, v[28:29], v[30:31]
	v_lshlrev_b32_e32 v44, 3, v0
	ds_write_b64 v44, v[46:47]
	v_cndmask_b32_e64 v84, 0, 1, vcc
	v_cmp_ne_u64_e32 vcc, v[28:29], v[32:33]
	s_waitcnt lgkmcnt(0)
	s_barrier
	v_cndmask_b32_e64 v83, 0, 1, vcc
	v_cmp_ne_u64_e32 vcc, v[32:33], v[24:25]
	s_waitcnt lgkmcnt(0)
                                        ; implicit-def: $sgpr4_sgpr5
	s_nop 0
	v_cndmask_b32_e64 v82, 0, 1, vcc
	v_cmp_ne_u64_e32 vcc, v[34:35], v[24:25]
	s_nop 1
	v_cndmask_b32_e64 v81, 0, 1, vcc
	v_cmp_ne_u64_e32 vcc, v[20:21], v[34:35]
	;; [unrolled: 3-line block ×11, first 2 shown]
	s_nop 1
	v_cndmask_b32_e64 v1, 0, 1, vcc
	v_cmp_ne_u32_e32 vcc, 0, v0
	s_and_saveexec_b64 s[6:7], vcc
	s_xor_b64 s[6:7], exec, s[6:7]
	s_cbranch_execz .LBB719_46
; %bb.45:
	v_add_u32_e32 v30, -8, v44
	ds_read_b64 v[30:31], v30
	s_or_b64 s[42:43], s[42:43], exec
	s_waitcnt lgkmcnt(0)
	v_cmp_ne_u64_e32 vcc, v[30:31], v[26:27]
	s_and_b64 s[4:5], vcc, exec
.LBB719_46:
	s_or_b64 exec, exec, s[6:7]
	s_mov_b32 s3, 1
	s_branch .LBB719_55
.LBB719_47:
	s_mul_hi_u32 s4, s34, 0xffffe200
	s_mul_i32 s3, s35, 0xffffe200
	s_sub_i32 s4, s4, s34
	s_add_i32 s4, s4, s3
	s_mul_i32 s3, s34, 0xffffe200
	s_add_u32 s44, s3, s44
	s_addc_u32 s45, s4, s45
	s_and_b64 vcc, exec, s[54:55]
	v_cmp_ne_u64_e64 s[30:31], v[8:9], v[46:47]
	v_cmp_ne_u64_e64 s[28:29], v[6:7], v[8:9]
	;; [unrolled: 1-line block ×14, first 2 shown]
	v_mad_u32_u24 v30, v0, 15, 14
	v_mad_u32_u24 v58, v0, 15, 13
	;; [unrolled: 1-line block ×14, first 2 shown]
	v_cmp_ne_u32_e64 s[8:9], 0, v0
	s_cbranch_vccz .LBB719_52
; %bb.48:
	v_mov_b32_e32 v31, 0
	s_add_u32 s40, s40, -8
	v_cmp_gt_u64_e32 vcc, s[44:45], v[30:31]
	v_mov_b32_e32 v59, v31
	s_addc_u32 s41, s41, -1
	s_and_b64 s[30:31], vcc, s[30:31]
	v_cmp_gt_u64_e32 vcc, s[44:45], v[58:59]
	v_mov_b32_e32 v57, v31
	s_and_b64 s[28:29], vcc, s[28:29]
	v_cmp_gt_u64_e32 vcc, s[44:45], v[56:57]
	v_mov_b32_e32 v55, v31
	;; [unrolled: 3-line block ×8, first 2 shown]
	s_load_dwordx2 s[40:41], s[40:41], 0x0
	s_and_b64 s[14:15], vcc, s[14:15]
	v_cmp_gt_u64_e32 vcc, s[44:45], v[40:41]
	v_mov_b32_e32 v39, v31
	s_and_b64 s[12:13], vcc, s[12:13]
	v_cmp_gt_u64_e32 vcc, s[44:45], v[38:39]
	v_mov_b32_e32 v37, v31
	;; [unrolled: 3-line block ×4, first 2 shown]
	s_and_b64 s[4:5], vcc, s[4:5]
	v_cmp_gt_u64_e32 vcc, s[44:45], v[32:33]
	v_lshlrev_b32_e32 v1, 3, v0
	v_mul_u32_u24_e32 v60, 15, v0
	s_and_b64 s[34:35], vcc, s[34:35]
	s_waitcnt lgkmcnt(0)
	v_mov_b64_e32 v[62:63], s[40:41]
	ds_write_b64 v1, v[46:47]
	s_waitcnt lgkmcnt(0)
	s_barrier
	s_and_saveexec_b64 s[40:41], s[8:9]
	s_cbranch_execz .LBB719_50
; %bb.49:
	v_add_u32_e32 v1, -8, v1
	ds_read_b64 v[62:63], v1
.LBB719_50:
	s_or_b64 exec, exec, s[40:41]
	v_mov_b32_e32 v61, v31
	v_cndmask_b32_e64 v83, 0, 1, s[4:5]
	v_cmp_gt_u64_e32 vcc, s[44:45], v[60:61]
	s_waitcnt lgkmcnt(0)
	v_cmp_ne_u64_e64 s[4:5], v[62:63], v[26:27]
	v_cndmask_b32_e64 v1, 0, 1, s[30:31]
	v_cndmask_b32_e64 v72, 0, 1, s[28:29]
	;; [unrolled: 1-line block ×13, first 2 shown]
	s_and_b64 s[4:5], vcc, s[4:5]
	s_mov_b64 s[42:43], -1
.LBB719_51:
                                        ; implicit-def: $sgpr3
	v_mov_b32_e32 v85, s3
	s_and_saveexec_b64 s[6:7], s[42:43]
	s_cbranch_execnz .LBB719_56
	s_branch .LBB719_57
.LBB719_52:
                                        ; implicit-def: $sgpr4_sgpr5
                                        ; implicit-def: $vgpr1
                                        ; implicit-def: $vgpr72
                                        ; implicit-def: $vgpr73
                                        ; implicit-def: $vgpr74
                                        ; implicit-def: $vgpr75
                                        ; implicit-def: $vgpr76
                                        ; implicit-def: $vgpr77
                                        ; implicit-def: $vgpr78
                                        ; implicit-def: $vgpr79
                                        ; implicit-def: $vgpr80
                                        ; implicit-def: $vgpr81
                                        ; implicit-def: $vgpr82
                                        ; implicit-def: $vgpr83
                                        ; implicit-def: $vgpr84
	s_cbranch_execz .LBB719_51
; %bb.53:
	v_mov_b32_e32 v31, 0
	v_cmp_gt_u64_e32 vcc, s[44:45], v[30:31]
	v_cmp_ne_u64_e64 s[4:5], v[8:9], v[46:47]
	s_and_b64 s[4:5], vcc, s[4:5]
	v_mov_b32_e32 v59, v31
	v_cndmask_b32_e64 v1, 0, 1, s[4:5]
	v_cmp_gt_u64_e32 vcc, s[44:45], v[58:59]
	v_cmp_ne_u64_e64 s[4:5], v[6:7], v[8:9]
	s_and_b64 s[4:5], vcc, s[4:5]
	v_mov_b32_e32 v57, v31
	v_cndmask_b32_e64 v72, 0, 1, s[4:5]
	;; [unrolled: 5-line block ×13, first 2 shown]
	v_cmp_gt_u64_e32 vcc, s[44:45], v[32:33]
	v_cmp_ne_u64_e64 s[4:5], v[26:27], v[28:29]
	s_and_b64 s[4:5], vcc, s[4:5]
	v_lshlrev_b32_e32 v60, 3, v0
	s_mov_b32 s3, 1
	v_cndmask_b32_e64 v84, 0, 1, s[4:5]
	v_cmp_ne_u32_e32 vcc, 0, v0
	ds_write_b64 v60, v[46:47]
	s_waitcnt lgkmcnt(0)
	s_barrier
	s_waitcnt lgkmcnt(0)
                                        ; implicit-def: $sgpr4_sgpr5
	s_and_saveexec_b64 s[6:7], vcc
	s_cbranch_execz .LBB719_136
; %bb.54:
	v_add_u32_e32 v30, -8, v60
	ds_read_b64 v[32:33], v30
	v_mul_u32_u24_e32 v30, 15, v0
	v_cmp_gt_u64_e32 vcc, s[44:45], v[30:31]
	s_or_b64 s[42:43], s[42:43], exec
	s_waitcnt lgkmcnt(0)
	v_cmp_ne_u64_e64 s[4:5], v[32:33], v[26:27]
	s_and_b64 s[4:5], vcc, s[4:5]
	s_and_b64 s[4:5], s[4:5], exec
	s_or_b64 exec, exec, s[6:7]
.LBB719_55:
	v_mov_b32_e32 v85, s3
	s_and_saveexec_b64 s[6:7], s[42:43]
.LBB719_56:
	v_cndmask_b32_e64 v85, 0, 1, s[4:5]
.LBB719_57:
	s_or_b64 exec, exec, s[6:7]
	s_load_dwordx4 s[40:43], s[0:1], 0x20
	s_load_dwordx2 s[34:35], s[0:1], 0x30
	s_cmp_eq_u64 s[38:39], 0
	v_add3_u32 v30, v84, v85, v83
	s_cselect_b64 s[38:39], -1, 0
	s_cmp_lg_u32 s2, 0
	v_cmp_eq_u32_e64 s[24:25], 0, v84
	v_cmp_eq_u32_e64 s[22:23], 0, v83
	;; [unrolled: 1-line block ×3, first 2 shown]
	v_add3_u32 v87, v30, v82, v81
	v_cmp_eq_u32_e64 s[18:19], 0, v81
	v_cmp_eq_u32_e64 s[16:17], 0, v80
	;; [unrolled: 1-line block ×10, first 2 shown]
	v_cmp_eq_u32_e32 vcc, 0, v1
	v_mbcnt_lo_u32_b32 v86, -1, 0
	v_lshrrev_b32_e32 v70, 6, v0
	v_or_b32_e32 v71, 63, v0
	s_cbranch_scc0 .LBB719_84
; %bb.58:
	v_cndmask_b32_e64 v30, 0, v68, s[24:25]
	v_add_u32_e32 v30, v30, v68
	v_cndmask_b32_e64 v30, 0, v30, s[22:23]
	v_add_u32_e32 v30, v30, v68
	;; [unrolled: 2-line block ×11, first 2 shown]
	v_cndmask_b32_e64 v30, 0, v30, s[28:29]
	v_add3_u32 v31, v87, v80, v79
	v_add_u32_e32 v30, v30, v68
	v_add3_u32 v31, v31, v78, v77
	v_cndmask_b32_e64 v30, 0, v30, s[0:1]
	v_add3_u32 v31, v31, v76, v75
	v_add_u32_e32 v30, v30, v68
	v_add3_u32 v31, v31, v74, v73
	v_cndmask_b32_e32 v30, 0, v30, vcc
	v_add3_u32 v31, v31, v72, v1
	v_add_u32_e32 v30, v30, v69
	v_mbcnt_hi_u32_b32 v39, -1, v86
	v_and_b32_e32 v32, 15, v39
	v_mov_b32_dpp v34, v30 row_shr:1 row_mask:0xf bank_mask:0xf
	v_cmp_eq_u32_e32 vcc, 0, v31
	v_mov_b32_dpp v33, v31 row_shr:1 row_mask:0xf bank_mask:0xf
	v_cmp_lt_u32_e64 s[26:27], 1, v32
	v_cndmask_b32_e32 v34, 0, v34, vcc
	v_cmp_eq_u32_e32 vcc, 0, v32
	s_nop 1
	v_cndmask_b32_e64 v33, v33, 0, vcc
	v_add_u32_e32 v31, v33, v31
	v_cndmask_b32_e64 v33, v34, 0, vcc
	v_add_u32_e32 v30, v33, v30
	v_cmp_eq_u32_e32 vcc, 0, v31
	v_mov_b32_dpp v33, v31 row_shr:2 row_mask:0xf bank_mask:0xf
	v_mov_b32_dpp v34, v30 row_shr:2 row_mask:0xf bank_mask:0xf
	v_cndmask_b32_e64 v33, 0, v33, s[26:27]
	s_and_b64 vcc, s[26:27], vcc
	v_cndmask_b32_e32 v34, 0, v34, vcc
	v_add_u32_e32 v31, v31, v33
	v_add_u32_e32 v30, v34, v30
	v_cmp_eq_u32_e32 vcc, 0, v31
	v_mov_b32_dpp v33, v31 row_shr:4 row_mask:0xf bank_mask:0xf
	v_cmp_lt_u32_e64 s[26:27], 3, v32
	v_mov_b32_dpp v34, v30 row_shr:4 row_mask:0xf bank_mask:0xf
	s_and_b64 vcc, s[26:27], vcc
	v_cndmask_b32_e64 v33, 0, v33, s[26:27]
	v_cndmask_b32_e32 v34, 0, v34, vcc
	v_add_u32_e32 v31, v33, v31
	v_add_u32_e32 v30, v30, v34
	v_cmp_eq_u32_e32 vcc, 0, v31
	v_cmp_lt_u32_e64 s[26:27], 7, v32
	v_mov_b32_dpp v33, v31 row_shr:8 row_mask:0xf bank_mask:0xf
	v_mov_b32_dpp v34, v30 row_shr:8 row_mask:0xf bank_mask:0xf
	s_and_b64 vcc, s[26:27], vcc
	v_cndmask_b32_e64 v32, 0, v33, s[26:27]
	v_cndmask_b32_e32 v33, 0, v34, vcc
	v_add_u32_e32 v30, v33, v30
	v_add_u32_e32 v31, v32, v31
	v_bfe_i32 v34, v39, 4, 1
	v_mov_b32_dpp v33, v30 row_bcast:15 row_mask:0xf bank_mask:0xf
	v_mov_b32_dpp v32, v31 row_bcast:15 row_mask:0xf bank_mask:0xf
	v_cmp_eq_u32_e32 vcc, 0, v31
	v_and_b32_e32 v32, v34, v32
	v_add_u32_e32 v31, v32, v31
	v_cndmask_b32_e32 v33, 0, v33, vcc
	v_and_b32_e32 v32, v34, v33
	v_add_u32_e32 v32, v32, v30
	v_mov_b32_dpp v30, v31 row_bcast:31 row_mask:0xf bank_mask:0xf
	v_cmp_eq_u32_e32 vcc, 0, v31
	v_cmp_lt_u32_e64 s[26:27], 31, v39
	v_mov_b32_dpp v33, v32 row_bcast:31 row_mask:0xf bank_mask:0xf
	s_and_b64 vcc, s[26:27], vcc
	v_cndmask_b32_e64 v30, 0, v30, s[26:27]
	v_add_u32_e32 v30, v30, v31
	v_cndmask_b32_e32 v31, 0, v33, vcc
	v_add_u32_e32 v31, v31, v32
	v_cmp_eq_u32_e32 vcc, v71, v0
	v_lshlrev_b32_e32 v32, 3, v70
	s_and_saveexec_b64 s[26:27], vcc
	s_cbranch_execz .LBB719_60
; %bb.59:
	ds_write_b64 v32, v[30:31] offset:8208
.LBB719_60:
	s_or_b64 exec, exec, s[26:27]
	v_cmp_gt_u32_e32 vcc, 8, v0
	s_waitcnt lgkmcnt(0)
	s_barrier
	s_and_saveexec_b64 s[30:31], vcc
	s_cbranch_execz .LBB719_62
; %bb.61:
	v_lshlrev_b32_e32 v33, 3, v0
	ds_read_b64 v[34:35], v33 offset:8208
	v_and_b32_e32 v36, 7, v39
	v_cmp_lt_u32_e64 s[26:27], 1, v36
	s_waitcnt lgkmcnt(0)
	v_mov_b32_dpp v38, v35 row_shr:1 row_mask:0xf bank_mask:0xf
	v_cmp_eq_u32_e32 vcc, 0, v34
	v_mov_b32_dpp v37, v34 row_shr:1 row_mask:0xf bank_mask:0xf
	s_nop 0
	v_cndmask_b32_e32 v38, 0, v38, vcc
	v_cmp_eq_u32_e32 vcc, 0, v36
	s_nop 1
	v_cndmask_b32_e64 v37, v37, 0, vcc
	v_add_u32_e32 v34, v37, v34
	v_cndmask_b32_e64 v37, v38, 0, vcc
	v_add_u32_e32 v35, v37, v35
	v_cmp_eq_u32_e32 vcc, 0, v34
	v_mov_b32_dpp v37, v34 row_shr:2 row_mask:0xf bank_mask:0xf
	v_mov_b32_dpp v38, v35 row_shr:2 row_mask:0xf bank_mask:0xf
	v_cndmask_b32_e64 v37, 0, v37, s[26:27]
	s_and_b64 vcc, s[26:27], vcc
	v_cndmask_b32_e32 v38, 0, v38, vcc
	v_add_u32_e32 v34, v37, v34
	v_add_u32_e32 v35, v38, v35
	v_cmp_eq_u32_e32 vcc, 0, v34
	v_mov_b32_dpp v37, v34 row_shr:4 row_mask:0xf bank_mask:0xf
	v_cmp_lt_u32_e64 s[26:27], 3, v36
	v_mov_b32_dpp v38, v35 row_shr:4 row_mask:0xf bank_mask:0xf
	s_and_b64 vcc, s[26:27], vcc
	v_cndmask_b32_e64 v36, 0, v37, s[26:27]
	v_add_u32_e32 v34, v36, v34
	v_cndmask_b32_e32 v36, 0, v38, vcc
	v_add_u32_e32 v35, v36, v35
	ds_write_b64 v33, v[34:35] offset:8208
.LBB719_62:
	s_or_b64 exec, exec, s[30:31]
	v_cmp_gt_u32_e32 vcc, 64, v0
	v_cmp_lt_u32_e64 s[26:27], 63, v0
	v_mov_b32_e32 v36, 0
	v_mov_b32_e32 v37, 0
	s_waitcnt lgkmcnt(0)
	s_barrier
	s_and_saveexec_b64 s[30:31], s[26:27]
	s_cbranch_execz .LBB719_64
; %bb.63:
	ds_read_b64 v[36:37], v32 offset:8200
	v_cmp_eq_u32_e64 s[26:27], 0, v30
	s_waitcnt lgkmcnt(0)
	v_add_u32_e32 v32, v36, v30
	v_cndmask_b32_e64 v30, 0, v37, s[26:27]
	v_add_u32_e32 v31, v30, v31
	v_mov_b32_e32 v30, v32
.LBB719_64:
	s_or_b64 exec, exec, s[30:31]
	v_add_u32_e32 v32, -1, v39
	v_and_b32_e32 v33, 64, v39
	v_cmp_lt_i32_e64 s[26:27], v32, v33
	s_nop 1
	v_cndmask_b32_e64 v32, v32, v39, s[26:27]
	v_lshlrev_b32_e32 v32, 2, v32
	ds_bpermute_b32 v44, v32, v30
	ds_bpermute_b32 v45, v32, v31
	v_cmp_eq_u32_e64 s[26:27], 0, v39
	s_and_saveexec_b64 s[44:45], vcc
	s_cbranch_execz .LBB719_83
; %bb.65:
	v_mov_b32_e32 v35, 0
	ds_read_b64 v[30:31], v35 offset:8264
	s_waitcnt lgkmcnt(0)
	v_readfirstlane_b32 s3, v30
	v_readfirstlane_b32 s56, v31
	s_and_saveexec_b64 s[30:31], s[26:27]
	s_cbranch_execz .LBB719_67
; %bb.66:
	s_add_i32 s54, s2, 64
	s_mov_b32 s55, 0
	s_lshl_b64 s[58:59], s[54:55], 4
	s_add_u32 s58, s36, s58
	s_addc_u32 s59, s37, s59
	s_and_b32 s61, s56, 0xff000000
	s_mov_b32 s60, s55
	s_and_b32 s63, s56, 0xff0000
	s_mov_b32 s62, s55
	s_or_b64 s[60:61], s[62:63], s[60:61]
	s_and_b32 s63, s56, 0xff00
	s_or_b64 s[60:61], s[60:61], s[62:63]
	s_and_b32 s63, s56, 0xff
	s_or_b64 s[54:55], s[60:61], s[62:63]
	v_mov_b32_e32 v32, s3
	v_mov_b32_e32 v33, s55
	;; [unrolled: 1-line block ×3, first 2 shown]
	v_mov_b64_e32 v[30:31], s[58:59]
	;;#ASMSTART
	global_store_dwordx4 v[30:31], v[32:35] off sc1	
s_waitcnt vmcnt(0)
	;;#ASMEND
.LBB719_67:
	s_or_b64 exec, exec, s[30:31]
	v_xad_u32 v38, v39, -1, s2
	v_add_u32_e32 v34, 64, v38
	v_lshl_add_u64 v[40:41], v[34:35], 4, s[36:37]
	;;#ASMSTART
	global_load_dwordx4 v[30:33], v[40:41] off sc1	
s_waitcnt vmcnt(0)
	;;#ASMEND
	s_nop 0
	v_and_b32_e32 v33, 0xff, v31
	v_and_b32_e32 v34, 0xff00, v31
	v_or3_b32 v30, v30, 0, 0
	v_and_b32_e32 v42, 0xff000000, v31
	v_or3_b32 v33, 0, v33, v34
	v_and_b32_e32 v31, 0xff0000, v31
	v_or3_b32 v31, v33, v31, v42
	v_or3_b32 v30, v30, 0, 0
	v_cmp_eq_u16_sdwa s[54:55], v32, v35 src0_sel:BYTE_0 src1_sel:DWORD
	s_and_saveexec_b64 s[30:31], s[54:55]
	s_cbranch_execz .LBB719_71
; %bb.68:
	s_mov_b64 s[54:55], 0
	v_mov_b32_e32 v34, 0
.LBB719_69:                             ; =>This Inner Loop Header: Depth=1
	;;#ASMSTART
	global_load_dwordx4 v[30:33], v[40:41] off sc1	
s_waitcnt vmcnt(0)
	;;#ASMEND
	s_nop 0
	v_cmp_ne_u16_sdwa s[58:59], v32, v34 src0_sel:BYTE_0 src1_sel:DWORD
	s_or_b64 s[54:55], s[58:59], s[54:55]
	s_andn2_b64 exec, exec, s[54:55]
	s_cbranch_execnz .LBB719_69
; %bb.70:
	s_or_b64 exec, exec, s[54:55]
.LBB719_71:
	s_or_b64 exec, exec, s[30:31]
	v_mov_b32_e32 v48, 2
	v_cmp_eq_u16_sdwa s[30:31], v32, v48 src0_sel:BYTE_0 src1_sel:DWORD
	v_lshlrev_b64 v[40:41], v39, -1
	v_and_b32_e32 v49, 63, v39
	v_and_b32_e32 v33, s31, v41
	v_or_b32_e32 v33, 0x80000000, v33
	v_cmp_ne_u32_e32 vcc, 63, v49
	v_and_b32_e32 v34, s30, v40
	v_ffbl_b32_e32 v33, v33
	v_addc_co_u32_e32 v35, vcc, 0, v39, vcc
	v_add_u32_e32 v33, 32, v33
	v_ffbl_b32_e32 v34, v34
	v_lshlrev_b32_e32 v50, 2, v35
	v_min_u32_e32 v33, v34, v33
	ds_bpermute_b32 v34, v50, v31
	v_cmp_eq_u32_e32 vcc, 0, v30
	v_cmp_lt_u32_e64 s[30:31], v49, v33
	ds_bpermute_b32 v35, v50, v30
	s_and_b64 vcc, s[30:31], vcc
	s_waitcnt lgkmcnt(1)
	v_cndmask_b32_e32 v34, 0, v34, vcc
	v_cmp_gt_u32_e32 vcc, 62, v49
	v_add_u32_e32 v31, v34, v31
	s_waitcnt lgkmcnt(0)
	v_cndmask_b32_e64 v35, 0, v35, s[30:31]
	v_cndmask_b32_e64 v34, 0, 1, vcc
	v_lshlrev_b32_e32 v34, 1, v34
	v_add_lshl_u32 v51, v34, v39, 2
	ds_bpermute_b32 v34, v51, v31
	v_add_u32_e32 v30, v35, v30
	ds_bpermute_b32 v35, v51, v30
	v_add_u32_e32 v52, 2, v49
	v_cmp_eq_u32_e32 vcc, 0, v30
	v_add_u32_e32 v54, 4, v49
	v_add_u32_e32 v56, 8, v49
	s_waitcnt lgkmcnt(1)
	v_cndmask_b32_e32 v34, 0, v34, vcc
	v_cmp_gt_u32_e32 vcc, v52, v33
	v_add_u32_e32 v58, 16, v49
	v_add_u32_e32 v60, 32, v49
	v_cndmask_b32_e64 v34, v34, 0, vcc
	v_add_u32_e32 v31, v34, v31
	s_waitcnt lgkmcnt(0)
	v_cndmask_b32_e64 v34, v35, 0, vcc
	v_cmp_gt_u32_e32 vcc, 60, v49
	v_add_u32_e32 v30, v30, v34
	s_nop 0
	v_cndmask_b32_e64 v35, 0, 1, vcc
	v_lshlrev_b32_e32 v35, 2, v35
	v_add_lshl_u32 v53, v35, v39, 2
	ds_bpermute_b32 v35, v53, v31
	ds_bpermute_b32 v34, v53, v30
	v_cmp_eq_u32_e32 vcc, 0, v30
	s_waitcnt lgkmcnt(1)
	s_nop 0
	v_cndmask_b32_e32 v35, 0, v35, vcc
	v_cmp_gt_u32_e32 vcc, v54, v33
	s_nop 1
	v_cndmask_b32_e64 v35, v35, 0, vcc
	s_waitcnt lgkmcnt(0)
	v_cndmask_b32_e64 v34, v34, 0, vcc
	v_cmp_gt_u32_e32 vcc, 56, v49
	v_add_u32_e32 v31, v31, v35
	v_add_u32_e32 v30, v30, v34
	v_cndmask_b32_e64 v35, 0, 1, vcc
	v_lshlrev_b32_e32 v35, 3, v35
	v_add_lshl_u32 v55, v35, v39, 2
	ds_bpermute_b32 v35, v55, v31
	ds_bpermute_b32 v34, v55, v30
	v_cmp_eq_u32_e32 vcc, 0, v30
	s_waitcnt lgkmcnt(1)
	s_nop 0
	v_cndmask_b32_e32 v35, 0, v35, vcc
	v_cmp_gt_u32_e32 vcc, v56, v33
	s_nop 1
	v_cndmask_b32_e64 v35, v35, 0, vcc
	s_waitcnt lgkmcnt(0)
	v_cndmask_b32_e64 v34, v34, 0, vcc
	v_cmp_gt_u32_e32 vcc, 48, v49
	v_add_u32_e32 v31, v31, v35
	v_add_u32_e32 v30, v30, v34
	;; [unrolled: 17-line block ×3, first 2 shown]
	v_cndmask_b32_e64 v35, 0, 1, vcc
	v_lshlrev_b32_e32 v35, 5, v35
	v_add_lshl_u32 v59, v35, v39, 2
	ds_bpermute_b32 v35, v59, v31
	ds_bpermute_b32 v34, v59, v30
	v_cmp_eq_u32_e32 vcc, 0, v30
	v_mov_b32_e32 v39, 0
	s_waitcnt lgkmcnt(1)
	v_cndmask_b32_e32 v35, 0, v35, vcc
	v_cmp_gt_u32_e32 vcc, v60, v33
	s_nop 1
	v_cndmask_b32_e64 v33, v35, 0, vcc
	v_add_u32_e32 v31, v33, v31
	s_waitcnt lgkmcnt(0)
	v_cndmask_b32_e64 v33, v34, 0, vcc
	v_add_u32_e32 v30, v33, v30
	s_branch .LBB719_73
.LBB719_72:                             ;   in Loop: Header=BB719_73 Depth=1
	s_or_b64 exec, exec, s[30:31]
	v_cmp_eq_u16_sdwa s[30:31], v32, v48 src0_sel:BYTE_0 src1_sel:DWORD
	v_cmp_eq_u32_e32 vcc, 0, v30
	ds_bpermute_b32 v43, v50, v30
	v_and_b32_e32 v33, s31, v41
	v_or_b32_e32 v33, 0x80000000, v33
	v_and_b32_e32 v42, s30, v40
	v_ffbl_b32_e32 v33, v33
	v_add_u32_e32 v33, 32, v33
	v_ffbl_b32_e32 v42, v42
	v_min_u32_e32 v33, v42, v33
	ds_bpermute_b32 v42, v50, v31
	v_cmp_lt_u32_e64 s[30:31], v49, v33
	s_and_b64 vcc, s[30:31], vcc
	v_subrev_u32_e32 v38, 64, v38
	s_waitcnt lgkmcnt(1)
	v_cndmask_b32_e64 v43, 0, v43, s[30:31]
	s_waitcnt lgkmcnt(0)
	v_cndmask_b32_e32 v42, 0, v42, vcc
	v_add_u32_e32 v31, v42, v31
	ds_bpermute_b32 v42, v51, v31
	v_add_u32_e32 v30, v43, v30
	v_cmp_eq_u32_e32 vcc, 0, v30
	ds_bpermute_b32 v43, v51, v30
	s_waitcnt lgkmcnt(1)
	v_cndmask_b32_e32 v42, 0, v42, vcc
	v_cmp_gt_u32_e32 vcc, v52, v33
	s_nop 1
	v_cndmask_b32_e64 v42, v42, 0, vcc
	v_add_u32_e32 v31, v42, v31
	ds_bpermute_b32 v42, v53, v31
	s_waitcnt lgkmcnt(1)
	v_cndmask_b32_e64 v43, v43, 0, vcc
	v_add_u32_e32 v30, v30, v43
	v_cmp_eq_u32_e32 vcc, 0, v30
	ds_bpermute_b32 v43, v53, v30
	s_waitcnt lgkmcnt(1)
	v_cndmask_b32_e32 v42, 0, v42, vcc
	v_cmp_gt_u32_e32 vcc, v54, v33
	s_nop 1
	v_cndmask_b32_e64 v42, v42, 0, vcc
	v_add_u32_e32 v31, v31, v42
	ds_bpermute_b32 v42, v55, v31
	s_waitcnt lgkmcnt(1)
	v_cndmask_b32_e64 v43, v43, 0, vcc
	v_add_u32_e32 v30, v30, v43
	ds_bpermute_b32 v43, v55, v30
	v_cmp_eq_u32_e32 vcc, 0, v30
	s_waitcnt lgkmcnt(1)
	s_nop 0
	v_cndmask_b32_e32 v42, 0, v42, vcc
	v_cmp_gt_u32_e32 vcc, v56, v33
	s_nop 1
	v_cndmask_b32_e64 v42, v42, 0, vcc
	v_add_u32_e32 v31, v31, v42
	ds_bpermute_b32 v42, v57, v31
	s_waitcnt lgkmcnt(1)
	v_cndmask_b32_e64 v43, v43, 0, vcc
	v_add_u32_e32 v30, v30, v43
	ds_bpermute_b32 v43, v57, v30
	v_cmp_eq_u32_e32 vcc, 0, v30
	s_waitcnt lgkmcnt(1)
	s_nop 0
	;; [unrolled: 13-line block ×3, first 2 shown]
	v_cndmask_b32_e32 v42, 0, v42, vcc
	v_cmp_gt_u32_e32 vcc, v60, v33
	s_nop 1
	v_cndmask_b32_e64 v33, v42, 0, vcc
	v_add_u32_e32 v31, v33, v31
	s_waitcnt lgkmcnt(0)
	v_cndmask_b32_e64 v33, v43, 0, vcc
	v_cmp_eq_u32_e32 vcc, 0, v34
	v_add3_u32 v30, v30, v34, v33
	s_nop 0
	v_cndmask_b32_e32 v31, 0, v31, vcc
	v_add_u32_e32 v31, v31, v35
.LBB719_73:                             ; =>This Loop Header: Depth=1
                                        ;     Child Loop BB719_76 Depth 2
	v_cmp_ne_u16_sdwa s[30:31], v32, v48 src0_sel:BYTE_0 src1_sel:DWORD
	v_mov_b32_e32 v35, v31
	v_mov_b32_e32 v34, v30
	v_cndmask_b32_e64 v31, 0, 1, s[30:31]
	;;#ASMSTART
	;;#ASMEND
	s_nop 0
	v_cmp_ne_u32_e32 vcc, 0, v31
	s_cmp_lg_u64 vcc, exec
	s_cbranch_scc1 .LBB719_78
; %bb.74:                               ;   in Loop: Header=BB719_73 Depth=1
	v_lshl_add_u64 v[42:43], v[38:39], 4, s[36:37]
	;;#ASMSTART
	global_load_dwordx4 v[30:33], v[42:43] off sc1	
s_waitcnt vmcnt(0)
	;;#ASMEND
	s_nop 0
	v_and_b32_e32 v33, 0xff, v31
	v_and_b32_e32 v61, 0xff00, v31
	v_or3_b32 v30, v30, 0, 0
	v_and_b32_e32 v62, 0xff000000, v31
	v_or3_b32 v33, 0, v33, v61
	;; [unrolled: 2-line block ×3, first 2 shown]
	v_or3_b32 v30, v30, 0, 0
	v_cmp_eq_u16_sdwa s[54:55], v32, v39 src0_sel:BYTE_0 src1_sel:DWORD
	s_and_saveexec_b64 s[30:31], s[54:55]
	s_cbranch_execz .LBB719_72
; %bb.75:                               ;   in Loop: Header=BB719_73 Depth=1
	s_mov_b64 s[54:55], 0
.LBB719_76:                             ;   Parent Loop BB719_73 Depth=1
                                        ; =>  This Inner Loop Header: Depth=2
	;;#ASMSTART
	global_load_dwordx4 v[30:33], v[42:43] off sc1	
s_waitcnt vmcnt(0)
	;;#ASMEND
	s_nop 0
	v_cmp_ne_u16_sdwa s[58:59], v32, v39 src0_sel:BYTE_0 src1_sel:DWORD
	s_or_b64 s[54:55], s[58:59], s[54:55]
	s_andn2_b64 exec, exec, s[54:55]
	s_cbranch_execnz .LBB719_76
; %bb.77:                               ;   in Loop: Header=BB719_73 Depth=1
	s_or_b64 exec, exec, s[54:55]
	s_branch .LBB719_72
.LBB719_78:                             ;   in Loop: Header=BB719_73 Depth=1
                                        ; implicit-def: $vgpr31
                                        ; implicit-def: $vgpr30
                                        ; implicit-def: $vgpr32
	s_cbranch_execz .LBB719_73
; %bb.79:
	s_and_saveexec_b64 s[30:31], s[26:27]
	s_cbranch_execz .LBB719_81
; %bb.80:
	s_cmp_eq_u32 s3, 0
	s_cselect_b64 vcc, -1, 0
	s_mov_b32 s55, 0
	v_cndmask_b32_e32 v30, 0, v35, vcc
	s_add_i32 s54, s2, 64
	v_add_u32_e32 v30, s56, v30
	s_lshl_b64 s[54:55], s[54:55], 4
	s_add_u32 s54, s36, s54
	v_and_b32_e32 v31, 0xff000000, v30
	v_and_b32_e32 v32, 0xff0000, v30
	s_addc_u32 s55, s37, s55
	v_or_b32_e32 v31, v32, v31
	v_and_b32_e32 v32, 0xff00, v30
	v_and_b32_e32 v30, 0xff, v30
	v_add_u32_e32 v38, s3, v34
	v_mov_b32_e32 v41, 0
	v_or3_b32 v39, v31, v32, v30
	v_mov_b32_e32 v40, 2
	v_mov_b64_e32 v[30:31], s[54:55]
	;;#ASMSTART
	global_store_dwordx4 v[30:31], v[38:41] off sc1	
s_waitcnt vmcnt(0)
	;;#ASMEND
	v_mov_b32_e32 v32, s3
	v_mov_b32_e32 v33, s56
	ds_write_b128 v41, v[32:35] offset:8192
.LBB719_81:
	s_or_b64 exec, exec, s[30:31]
	v_cmp_eq_u32_e32 vcc, 0, v0
	s_and_b64 exec, exec, vcc
	s_cbranch_execz .LBB719_83
; %bb.82:
	v_mov_b32_e32 v30, 0
	ds_write_b64 v30, v[34:35] offset:8264
.LBB719_83:
	s_or_b64 exec, exec, s[44:45]
	v_mov_b32_e32 v32, 0
	s_waitcnt lgkmcnt(0)
	s_barrier
	ds_read_b64 v[30:31], v32 offset:8264
	v_cndmask_b32_e64 v34, v44, v36, s[26:27]
	v_cmp_eq_u32_e32 vcc, 0, v34
	v_cndmask_b32_e64 v33, v45, v37, s[26:27]
	s_waitcnt lgkmcnt(0)
	v_cndmask_b32_e32 v35, 0, v31, vcc
	v_add_u32_e32 v33, v35, v33
	v_cmp_eq_u32_e32 vcc, 0, v0
	s_barrier
	s_nop 0
	v_cndmask_b32_e32 v67, v33, v31, vcc
	v_cndmask_b32_e64 v31, v34, 0, vcc
	v_cmp_eq_u32_e32 vcc, 0, v85
	v_add_u32_e32 v66, v30, v31
	v_add_u32_e32 v64, v66, v85
	v_cndmask_b32_e32 v30, 0, v67, vcc
	v_add_u32_e32 v65, v30, v68
	v_cndmask_b32_e64 v30, 0, v65, s[24:25]
	v_add_u32_e32 v63, v30, v68
	v_cndmask_b32_e64 v30, 0, v63, s[22:23]
	;; [unrolled: 2-line block ×8, first 2 shown]
	v_add_u32_e32 v49, v30, v68
	v_add_u32_e32 v62, v64, v84
	v_cndmask_b32_e64 v30, 0, v49, s[8:9]
	v_add_u32_e32 v60, v62, v83
	v_add_u32_e32 v45, v30, v68
	v_add_u32_e32 v58, v60, v82
	v_cndmask_b32_e64 v30, 0, v45, s[6:7]
	v_add_u32_e32 v56, v58, v81
	;; [unrolled: 4-line block ×3, first 2 shown]
	v_add_u32_e32 v41, v30, v68
	ds_read_b128 v[30:33], v32 offset:8192
	v_add_u32_e32 v50, v52, v78
	v_add_u32_e32 v48, v50, v77
	;; [unrolled: 1-line block ×4, first 2 shown]
	v_cndmask_b32_e64 v34, 0, v41, s[28:29]
	v_add_u32_e32 v40, v42, v74
	v_add_u32_e32 v37, v34, v68
	s_waitcnt lgkmcnt(0)
	v_cmp_eq_u32_e32 vcc, 0, v30
	v_add_u32_e32 v36, v40, v73
	v_cndmask_b32_e64 v34, 0, v37, s[0:1]
	v_cndmask_b32_e32 v33, 0, v33, vcc
	v_add_u32_e32 v38, v36, v72
	v_add_u32_e32 v39, v34, v68
	;; [unrolled: 1-line block ×3, first 2 shown]
	s_branch .LBB719_96
.LBB719_84:
                                        ; implicit-def: $vgpr30
                                        ; implicit-def: $vgpr34
                                        ; implicit-def: $vgpr38_vgpr39
                                        ; implicit-def: $vgpr36_vgpr37
                                        ; implicit-def: $vgpr40_vgpr41
                                        ; implicit-def: $vgpr42_vgpr43
                                        ; implicit-def: $vgpr66_vgpr67
                                        ; implicit-def: $vgpr64_vgpr65
                                        ; implicit-def: $vgpr62_vgpr63
                                        ; implicit-def: $vgpr60_vgpr61
                                        ; implicit-def: $vgpr58_vgpr59
                                        ; implicit-def: $vgpr56_vgpr57
                                        ; implicit-def: $vgpr54_vgpr55
                                        ; implicit-def: $vgpr52_vgpr53
                                        ; implicit-def: $vgpr50_vgpr51
                                        ; implicit-def: $vgpr48_vgpr49
                                        ; implicit-def: $vgpr44_vgpr45
	s_cbranch_execz .LBB719_96
; %bb.85:
	s_and_b64 s[0:1], s[38:39], exec
	s_cselect_b32 s1, 0, s53
	s_cselect_b32 s0, 0, s52
	s_cmp_eq_u64 s[0:1], 0
	v_mov_b32_e32 v34, v68
	s_cbranch_scc1 .LBB719_87
; %bb.86:
	v_mov_b32_e32 v30, 0
	global_load_dword v34, v30, s[0:1]
.LBB719_87:
	v_cmp_eq_u32_e64 s[0:1], 0, v84
	v_cmp_eq_u32_e64 s[2:3], 0, v83
	v_cmp_eq_u32_e64 s[4:5], 0, v82
	v_cndmask_b32_e64 v30, 0, v68, s[0:1]
	v_add_u32_e32 v30, v30, v68
	v_cndmask_b32_e64 v30, 0, v30, s[2:3]
	v_add_u32_e32 v30, v30, v68
	v_cndmask_b32_e64 v30, 0, v30, s[4:5]
	v_add_u32_e32 v30, v30, v68
	v_cmp_eq_u32_e64 s[6:7], 0, v81
	v_cmp_eq_u32_e64 s[8:9], 0, v80
	v_cmp_eq_u32_e64 s[10:11], 0, v79
	v_cndmask_b32_e64 v30, 0, v30, s[6:7]
	v_add_u32_e32 v30, v30, v68
	v_cndmask_b32_e64 v30, 0, v30, s[8:9]
	v_add_u32_e32 v30, v30, v68
	v_cndmask_b32_e64 v30, 0, v30, s[10:11]
	v_add_u32_e32 v30, v30, v68
	;; [unrolled: 9-line block ×3, first 2 shown]
	v_cmp_eq_u32_e64 s[18:19], 0, v75
	v_cmp_eq_u32_e64 s[20:21], 0, v74
	;; [unrolled: 1-line block ×3, first 2 shown]
	v_cndmask_b32_e64 v30, 0, v30, s[18:19]
	v_add_u32_e32 v30, v30, v68
	v_cndmask_b32_e64 v30, 0, v30, s[20:21]
	v_add_u32_e32 v30, v30, v68
	v_cndmask_b32_e64 v30, 0, v30, s[22:23]
	v_add3_u32 v31, v87, v80, v79
	v_add_u32_e32 v30, v30, v68
	v_cmp_eq_u32_e32 vcc, 0, v72
	v_add3_u32 v31, v31, v78, v77
	v_add3_u32 v31, v31, v76, v75
	v_cndmask_b32_e32 v30, 0, v30, vcc
	v_add_u32_e32 v30, v30, v68
	v_cmp_eq_u32_e64 s[24:25], 0, v1
	v_add3_u32 v31, v31, v74, v73
	v_add3_u32 v31, v31, v72, v1
	v_cndmask_b32_e64 v30, 0, v30, s[24:25]
	v_add_u32_e32 v30, v30, v69
	v_mbcnt_hi_u32_b32 v35, -1, v86
	v_and_b32_e32 v32, 15, v35
	v_mov_b32_dpp v36, v30 row_shr:1 row_mask:0xf bank_mask:0xf
	v_cmp_eq_u32_e64 s[24:25], 0, v31
	v_mov_b32_dpp v33, v31 row_shr:1 row_mask:0xf bank_mask:0xf
	v_cmp_lt_u32_e64 s[26:27], 1, v32
	v_cndmask_b32_e64 v36, 0, v36, s[24:25]
	v_cmp_eq_u32_e64 s[24:25], 0, v32
	s_nop 1
	v_cndmask_b32_e64 v33, v33, 0, s[24:25]
	v_add_u32_e32 v31, v33, v31
	v_cndmask_b32_e64 v33, v36, 0, s[24:25]
	v_add_u32_e32 v30, v33, v30
	v_cmp_eq_u32_e64 s[24:25], 0, v31
	v_mov_b32_dpp v33, v31 row_shr:2 row_mask:0xf bank_mask:0xf
	v_mov_b32_dpp v36, v30 row_shr:2 row_mask:0xf bank_mask:0xf
	v_cndmask_b32_e64 v33, 0, v33, s[26:27]
	s_and_b64 s[24:25], s[26:27], s[24:25]
	v_cndmask_b32_e64 v36, 0, v36, s[24:25]
	v_add_u32_e32 v31, v31, v33
	v_add_u32_e32 v30, v36, v30
	v_cmp_eq_u32_e64 s[24:25], 0, v31
	v_mov_b32_dpp v33, v31 row_shr:4 row_mask:0xf bank_mask:0xf
	v_cmp_lt_u32_e64 s[26:27], 3, v32
	v_mov_b32_dpp v36, v30 row_shr:4 row_mask:0xf bank_mask:0xf
	s_and_b64 s[24:25], s[26:27], s[24:25]
	v_cndmask_b32_e64 v33, 0, v33, s[26:27]
	v_cndmask_b32_e64 v36, 0, v36, s[24:25]
	v_add_u32_e32 v31, v33, v31
	v_add_u32_e32 v30, v30, v36
	v_cmp_eq_u32_e64 s[24:25], 0, v31
	v_cmp_lt_u32_e64 s[26:27], 7, v32
	v_mov_b32_dpp v33, v31 row_shr:8 row_mask:0xf bank_mask:0xf
	v_mov_b32_dpp v36, v30 row_shr:8 row_mask:0xf bank_mask:0xf
	s_and_b64 s[24:25], s[26:27], s[24:25]
	v_cndmask_b32_e64 v32, 0, v33, s[26:27]
	v_cndmask_b32_e64 v33, 0, v36, s[24:25]
	v_add_u32_e32 v30, v33, v30
	v_add_u32_e32 v31, v32, v31
	v_bfe_i32 v36, v35, 4, 1
	v_mov_b32_dpp v33, v30 row_bcast:15 row_mask:0xf bank_mask:0xf
	v_mov_b32_dpp v32, v31 row_bcast:15 row_mask:0xf bank_mask:0xf
	v_cmp_eq_u32_e64 s[24:25], 0, v31
	v_and_b32_e32 v32, v36, v32
	v_add_u32_e32 v31, v32, v31
	v_cndmask_b32_e64 v33, 0, v33, s[24:25]
	v_and_b32_e32 v32, v36, v33
	v_add_u32_e32 v32, v32, v30
	v_mov_b32_dpp v30, v31 row_bcast:31 row_mask:0xf bank_mask:0xf
	v_cmp_eq_u32_e64 s[24:25], 0, v31
	v_cmp_lt_u32_e64 s[26:27], 31, v35
	v_mov_b32_dpp v33, v32 row_bcast:31 row_mask:0xf bank_mask:0xf
	s_and_b64 s[24:25], s[26:27], s[24:25]
	v_cndmask_b32_e64 v30, 0, v30, s[26:27]
	v_add_u32_e32 v30, v30, v31
	v_cndmask_b32_e64 v31, 0, v33, s[24:25]
	v_add_u32_e32 v31, v31, v32
	v_cmp_eq_u32_e64 s[24:25], v71, v0
	v_lshlrev_b32_e32 v33, 3, v70
	s_and_saveexec_b64 s[26:27], s[24:25]
	s_cbranch_execz .LBB719_89
; %bb.88:
	ds_write_b64 v33, v[30:31] offset:8208
.LBB719_89:
	s_or_b64 exec, exec, s[26:27]
	v_cmp_gt_u32_e64 s[24:25], 8, v0
	s_waitcnt lgkmcnt(0)
	s_barrier
	s_and_saveexec_b64 s[28:29], s[24:25]
	s_cbranch_execz .LBB719_91
; %bb.90:
	v_lshlrev_b32_e32 v32, 3, v0
	ds_read_b64 v[36:37], v32 offset:8208
	v_and_b32_e32 v38, 7, v35
	v_cmp_lt_u32_e64 s[26:27], 1, v38
	s_waitcnt lgkmcnt(0)
	v_mov_b32_dpp v40, v37 row_shr:1 row_mask:0xf bank_mask:0xf
	v_cmp_eq_u32_e64 s[24:25], 0, v36
	v_mov_b32_dpp v39, v36 row_shr:1 row_mask:0xf bank_mask:0xf
	s_nop 0
	v_cndmask_b32_e64 v40, 0, v40, s[24:25]
	v_cmp_eq_u32_e64 s[24:25], 0, v38
	s_nop 1
	v_cndmask_b32_e64 v39, v39, 0, s[24:25]
	v_add_u32_e32 v36, v39, v36
	v_cndmask_b32_e64 v39, v40, 0, s[24:25]
	v_add_u32_e32 v37, v39, v37
	v_cmp_eq_u32_e64 s[24:25], 0, v36
	v_mov_b32_dpp v39, v36 row_shr:2 row_mask:0xf bank_mask:0xf
	v_mov_b32_dpp v40, v37 row_shr:2 row_mask:0xf bank_mask:0xf
	v_cndmask_b32_e64 v39, 0, v39, s[26:27]
	s_and_b64 s[24:25], s[26:27], s[24:25]
	v_cndmask_b32_e64 v40, 0, v40, s[24:25]
	v_add_u32_e32 v36, v39, v36
	v_add_u32_e32 v37, v40, v37
	v_cmp_eq_u32_e64 s[24:25], 0, v36
	v_mov_b32_dpp v39, v36 row_shr:4 row_mask:0xf bank_mask:0xf
	v_cmp_lt_u32_e64 s[26:27], 3, v38
	v_mov_b32_dpp v40, v37 row_shr:4 row_mask:0xf bank_mask:0xf
	s_and_b64 s[24:25], s[26:27], s[24:25]
	v_cndmask_b32_e64 v38, 0, v39, s[26:27]
	v_add_u32_e32 v36, v38, v36
	v_cndmask_b32_e64 v38, 0, v40, s[24:25]
	v_add_u32_e32 v37, v38, v37
	ds_write_b64 v32, v[36:37] offset:8208
.LBB719_91:
	s_or_b64 exec, exec, s[28:29]
	v_cmp_lt_u32_e64 s[24:25], 63, v0
	v_mov_b32_e32 v37, 0
	v_mov_b32_e32 v32, 0
	s_waitcnt vmcnt(0)
	v_mov_b32_e32 v36, v34
	s_waitcnt lgkmcnt(0)
	s_barrier
	s_and_saveexec_b64 s[26:27], s[24:25]
	s_cbranch_execz .LBB719_93
; %bb.92:
	ds_read_b64 v[32:33], v33 offset:8200
	s_waitcnt lgkmcnt(0)
	v_cmp_eq_u32_e64 s[24:25], 0, v32
	s_nop 1
	v_cndmask_b32_e64 v36, 0, v34, s[24:25]
	v_add_u32_e32 v36, v36, v33
.LBB719_93:
	s_or_b64 exec, exec, s[26:27]
	v_cmp_eq_u32_e64 s[24:25], 0, v30
	v_add_u32_e32 v33, v32, v30
	v_and_b32_e32 v38, 64, v35
	v_cndmask_b32_e64 v30, 0, v36, s[24:25]
	v_add_u32_e32 v30, v30, v31
	v_add_u32_e32 v31, -1, v35
	v_cmp_lt_i32_e64 s[24:25], v31, v38
	v_cmp_eq_u32_e64 s[26:27], 0, v85
	s_nop 0
	v_cndmask_b32_e64 v31, v31, v35, s[24:25]
	v_lshlrev_b32_e32 v31, 2, v31
	ds_bpermute_b32 v33, v31, v33
	ds_bpermute_b32 v30, v31, v30
	v_cmp_eq_u32_e64 s[24:25], 0, v35
	s_waitcnt lgkmcnt(1)
	s_nop 0
	v_cndmask_b32_e64 v31, v33, v32, s[24:25]
	s_waitcnt lgkmcnt(0)
	v_cndmask_b32_e64 v30, v30, v36, s[24:25]
	v_cmp_eq_u32_e64 s[24:25], 0, v0
	s_nop 1
	v_cndmask_b32_e64 v67, v30, v34, s[24:25]
	v_cndmask_b32_e64 v30, 0, v67, s[26:27]
	v_add_u32_e32 v65, v30, v68
	v_cndmask_b32_e64 v30, 0, v65, s[0:1]
	v_add_u32_e32 v63, v30, v68
	;; [unrolled: 2-line block ×8, first 2 shown]
	v_cndmask_b32_e64 v66, v31, 0, s[24:25]
	v_cndmask_b32_e64 v30, 0, v51, s[14:15]
	v_add_u32_e32 v64, v66, v85
	v_add_u32_e32 v49, v30, v68
	v_add_u32_e32 v62, v64, v84
	v_cndmask_b32_e64 v30, 0, v49, s[16:17]
	v_add_u32_e32 v60, v62, v83
	v_add_u32_e32 v45, v30, v68
	v_add_u32_e32 v58, v60, v82
	;; [unrolled: 4-line block ×3, first 2 shown]
	v_cndmask_b32_e64 v30, 0, v43, s[20:21]
	v_add_u32_e32 v52, v54, v79
	v_add_u32_e32 v41, v30, v68
	ds_read_b64 v[30:31], v37 offset:8264
	v_add_u32_e32 v50, v52, v78
	v_add_u32_e32 v48, v50, v77
	;; [unrolled: 1-line block ×3, first 2 shown]
	v_cndmask_b32_e64 v32, 0, v41, s[22:23]
	v_add_u32_e32 v42, v44, v75
	v_add_u32_e32 v37, v32, v68
	;; [unrolled: 1-line block ×3, first 2 shown]
	v_cndmask_b32_e32 v32, 0, v37, vcc
	s_waitcnt lgkmcnt(0)
	v_cmp_eq_u32_e32 vcc, 0, v30
	v_add_u32_e32 v36, v40, v73
	v_add_u32_e32 v39, v32, v68
	v_cndmask_b32_e32 v32, 0, v34, vcc
	v_add_u32_e32 v38, v36, v72
	v_add_u32_e32 v34, v32, v31
	s_and_saveexec_b64 s[0:1], s[24:25]
	s_cbranch_execz .LBB719_95
; %bb.94:
	s_add_u32 s2, s36, 0x400
	v_and_b32_e32 v31, 0xff000000, v34
	v_and_b32_e32 v32, 0xff0000, v34
	s_addc_u32 s3, s37, 0
	v_or_b32_e32 v31, v32, v31
	v_and_b32_e32 v32, 0xff00, v34
	v_and_b32_e32 v35, 0xff, v34
	v_mov_b32_e32 v33, 0
	v_or3_b32 v31, v31, v32, v35
	v_mov_b32_e32 v32, 2
	v_mov_b64_e32 v[68:69], s[2:3]
	;;#ASMSTART
	global_store_dwordx4 v[68:69], v[30:33] off sc1	
s_waitcnt vmcnt(0)
	;;#ASMEND
.LBB719_95:
	s_or_b64 exec, exec, s[0:1]
	v_mov_b32_e32 v32, 0
.LBB719_96:
	s_and_b64 s[0:1], s[38:39], exec
	s_cselect_b32 s1, 0, s47
	s_cselect_b32 s0, 0, s46
	s_cmp_eq_u64 s[0:1], 0
	v_mov_b64_e32 v[68:69], 0
	s_waitcnt lgkmcnt(0)
	s_barrier
	s_cbranch_scc1 .LBB719_98
; %bb.97:
	v_mov_b32_e32 v31, 0
	global_load_dwordx2 v[68:69], v31, s[0:1]
.LBB719_98:
	v_cmp_eq_u32_e32 vcc, 0, v85
	s_movk_i32 s30, 0x200
	v_mov_b32_e32 v33, 0
	v_cndmask_b32_e64 v31, 1, 2, vcc
	v_cmp_eq_u32_e32 vcc, 0, v84
	v_cmp_ne_u32_e64 s[28:29], 0, v85
	v_cmp_ne_u32_e64 s[26:27], 0, v84
	v_cndmask_b32_e64 v35, 1, 2, vcc
	v_cmp_eq_u32_e32 vcc, 0, v83
	v_and_b32_e32 v31, v35, v31
	v_cmp_ne_u32_e64 s[24:25], 0, v83
	v_cndmask_b32_e64 v35, 1, 2, vcc
	v_cmp_eq_u32_e32 vcc, 0, v82
	v_and_b32_e32 v31, v31, v35
	;; [unrolled: 4-line block ×13, first 2 shown]
	v_cmp_ne_u32_e64 s[0:1], 0, v1
	v_cndmask_b32_e64 v35, 1, 2, vcc
	v_and_b32_e32 v31, v31, v35
	v_cmp_gt_u32_e32 vcc, s30, v30
	s_mov_b64 s[36:37], -1
	v_cmp_gt_i16_e64 s[30:31], 2, v31
	s_cbranch_vccz .LBB719_105
; %bb.99:
	s_and_saveexec_b64 s[36:37], s[30:31]
	s_cbranch_execz .LBB719_104
; %bb.100:
	s_waitcnt vmcnt(0)
	v_lshlrev_b64 v[70:71], 3, v[68:69]
	v_lshl_add_u64 v[70:71], s[40:41], 0, v[70:71]
	v_lshlrev_b64 v[86:87], 3, v[32:33]
	v_lshl_add_u64 v[70:71], v[70:71], 0, v[86:87]
	v_cmp_ne_u16_e32 vcc, 1, v31
	s_mov_b64 s[38:39], 0
	s_and_saveexec_b64 s[30:31], vcc
	s_xor_b64 s[30:31], exec, s[30:31]
	s_cbranch_execnz .LBB719_137
; %bb.101:
	s_andn2_saveexec_b64 s[30:31], s[30:31]
	s_cbranch_execnz .LBB719_153
.LBB719_102:
	s_or_b64 exec, exec, s[30:31]
	s_and_b64 exec, exec, s[38:39]
	s_cbranch_execz .LBB719_104
.LBB719_103:
	v_sub_u32_e32 v86, v38, v32
	v_mov_b32_e32 v87, 0
	v_lshl_add_u64 v[70:71], v[86:87], 3, v[70:71]
	global_store_dwordx2 v[70:71], v[46:47], off
.LBB719_104:
	s_or_b64 exec, exec, s[36:37]
	s_mov_b64 s[36:37], 0
.LBB719_105:
	s_and_b64 vcc, exec, s[36:37]
	s_cbranch_vccz .LBB719_115
; %bb.106:
	v_cmp_gt_i16_e32 vcc, 2, v31
	s_and_saveexec_b64 s[30:31], vcc
	s_cbranch_execz .LBB719_111
; %bb.107:
	v_cmp_ne_u16_e32 vcc, 1, v31
	s_mov_b64 s[38:39], 0
	s_and_saveexec_b64 s[36:37], vcc
	s_xor_b64 s[36:37], exec, s[36:37]
	s_cbranch_execnz .LBB719_154
; %bb.108:
	s_andn2_saveexec_b64 s[0:1], s[36:37]
	s_cbranch_execnz .LBB719_170
.LBB719_109:
	s_or_b64 exec, exec, s[0:1]
	s_and_b64 exec, exec, s[38:39]
	s_cbranch_execz .LBB719_111
.LBB719_110:
	v_sub_u32_e32 v2, v38, v32
	v_lshlrev_b32_e32 v2, 3, v2
	ds_write_b64 v2, v[46:47]
.LBB719_111:
	s_or_b64 exec, exec, s[30:31]
	v_cmp_lt_u32_e32 vcc, v0, v30
	s_waitcnt lgkmcnt(0)
	s_barrier
	s_and_saveexec_b64 s[0:1], vcc
	s_cbranch_execz .LBB719_114
; %bb.112:
	s_waitcnt vmcnt(0)
	v_lshlrev_b64 v[4:5], 3, v[68:69]
	v_lshlrev_b64 v[6:7], 3, v[32:33]
	v_lshl_add_u64 v[4:5], v[4:5], 0, v[6:7]
	v_lshlrev_b32_e32 v2, 3, v0
	v_mov_b32_e32 v3, 0
	v_lshl_add_u64 v[4:5], s[40:41], 0, v[4:5]
	v_lshl_add_u64 v[4:5], v[4:5], 0, v[2:3]
	s_mov_b64 s[2:3], 0
	s_mov_b64 s[4:5], 0x1000
	v_mov_b32_e32 v3, v0
.LBB719_113:                            ; =>This Inner Loop Header: Depth=1
	ds_read_b64 v[6:7], v2
	v_add_u32_e32 v3, 0x200, v3
	v_cmp_ge_u32_e32 vcc, v3, v30
	v_add_u32_e32 v2, 0x1000, v2
	s_or_b64 s[2:3], vcc, s[2:3]
	s_waitcnt lgkmcnt(0)
	global_store_dwordx2 v[4:5], v[6:7], off
	v_lshl_add_u64 v[4:5], v[4:5], 0, s[4:5]
	s_andn2_b64 exec, exec, s[2:3]
	s_cbranch_execnz .LBB719_113
.LBB719_114:
	s_or_b64 exec, exec, s[0:1]
.LBB719_115:
	s_cmpk_lg_i32 s33, 0x1e00
	s_cselect_b64 s[0:1], -1, 0
	v_cndmask_b32_e64 v10, 0, 1, s[50:51]
	s_and_b64 s[0:1], s[48:49], s[0:1]
	v_cmp_eq_u32_e32 vcc, 0, v0
	v_sub_u32_e32 v2, v30, v10
	v_cndmask_b32_e64 v3, 0, 1, s[0:1]
	s_and_b64 s[0:1], vcc, s[50:51]
	v_add_u32_e32 v12, v2, v3
	v_cndmask_b32_e64 v2, v85, 0, s[0:1]
	s_mul_hi_u32 s0, s33, 0x88888889
	s_lshr_b32 s0, s0, 3
	v_mad_i32_i24 v3, v0, -15, s33
	v_cmp_eq_u32_e32 vcc, s0, v0
	v_cmp_ne_u32_e64 s[0:1], 0, v3
	s_and_b64 vcc, s[48:49], vcc
	s_mov_b32 s2, 0
	v_cndmask_b32_e64 v4, 1, v2, s[0:1]
	v_cmp_ne_u32_e64 s[0:1], 1, v3
	v_cndmask_b32_e32 v27, v2, v4, vcc
	s_movk_i32 s30, 0x200
	v_cndmask_b32_e64 v5, 1, v84, s[0:1]
	v_cmp_ne_u32_e64 s[0:1], 2, v3
	v_cndmask_b32_e32 v26, v84, v5, vcc
	s_waitcnt vmcnt(0)
	v_lshlrev_b64 v[4:5], 3, v[68:69]
	v_cndmask_b32_e64 v6, 1, v83, s[0:1]
	v_cmp_ne_u32_e64 s[0:1], 3, v3
	v_cndmask_b32_e32 v25, v83, v6, vcc
	s_mov_b64 s[36:37], -1
	v_cndmask_b32_e64 v7, 1, v82, s[0:1]
	v_cmp_ne_u32_e64 s[0:1], 4, v3
	v_cndmask_b32_e32 v24, v82, v7, vcc
	v_lshlrev_b64 v[6:7], 3, v[32:33]
	v_cndmask_b32_e64 v8, 1, v81, s[0:1]
	v_cmp_ne_u32_e64 s[0:1], 5, v3
	v_cndmask_b32_e32 v23, v81, v8, vcc
	v_cmp_ne_u32_e64 s[28:29], 0, v27
	v_cndmask_b32_e64 v9, 1, v80, s[0:1]
	v_cmp_ne_u32_e64 s[0:1], 6, v3
	v_cndmask_b32_e32 v22, v80, v9, vcc
	v_cmp_ne_u32_e64 s[26:27], 0, v26
	v_cndmask_b32_e64 v11, 1, v79, s[0:1]
	v_cmp_ne_u32_e64 s[0:1], 7, v3
	v_cndmask_b32_e32 v21, v79, v11, vcc
	v_mov_b32_e32 v11, s2
	v_cndmask_b32_e64 v13, 1, v78, s[0:1]
	v_cmp_ne_u32_e64 s[0:1], 8, v3
	v_cndmask_b32_e32 v13, v78, v13, vcc
	v_lshl_add_u64 v[8:9], v[10:11], 0, -1
	v_cndmask_b32_e64 v14, 1, v77, s[0:1]
	v_cmp_ne_u32_e64 s[0:1], 9, v3
	v_cndmask_b32_e32 v14, v77, v14, vcc
	v_cmp_ne_u32_e64 s[14:15], 0, v13
	v_cndmask_b32_e64 v15, 1, v76, s[0:1]
	v_cmp_ne_u32_e64 s[0:1], 10, v3
	v_cndmask_b32_e32 v15, v76, v15, vcc
	v_cmp_ne_u32_e64 s[24:25], 0, v25
	;; [unrolled: 4-line block ×6, first 2 shown]
	v_cndmask_b32_e64 v3, 1, v1, s[0:1]
	v_cndmask_b32_e32 v20, v1, v3, vcc
	v_cmp_eq_u32_e32 vcc, 0, v27
	v_add_u32_e32 v1, v32, v10
	v_lshl_add_u64 v[2:3], s[42:43], 0, v[4:5]
	v_cndmask_b32_e64 v10, 1, 2, vcc
	v_cmp_eq_u32_e32 vcc, 0, v26
	v_lshl_add_u64 v[2:3], v[2:3], 0, v[6:7]
	v_cmp_ne_u32_e64 s[12:13], 0, v14
	v_cndmask_b32_e64 v11, 1, 2, vcc
	v_cmp_eq_u32_e32 vcc, 0, v25
	v_and_b32_e32 v10, v11, v10
	v_cmp_ne_u32_e64 s[10:11], 0, v15
	v_cndmask_b32_e64 v11, 1, 2, vcc
	v_cmp_eq_u32_e32 vcc, 0, v24
	v_and_b32_e32 v10, v10, v11
	;; [unrolled: 4-line block ×7, first 2 shown]
	s_nop 0
	v_cndmask_b32_e64 v11, 1, 2, vcc
	v_cmp_eq_u32_e32 vcc, 0, v15
	v_and_b32_e32 v10, v10, v11
	s_barrier
	v_cndmask_b32_e64 v11, 1, 2, vcc
	v_cmp_eq_u32_e32 vcc, 0, v16
	v_and_b32_e32 v10, v10, v11
	s_nop 0
	v_cndmask_b32_e64 v11, 1, 2, vcc
	v_cmp_eq_u32_e32 vcc, 0, v17
	v_and_b32_e32 v10, v10, v11
	s_nop 0
	v_cndmask_b32_e64 v11, 1, 2, vcc
	v_cmp_eq_u32_e32 vcc, 0, v18
	v_and_b32_e32 v10, v10, v11
	s_nop 0
	v_cndmask_b32_e64 v11, 1, 2, vcc
	v_cmp_eq_u32_e32 vcc, 0, v19
	v_and_b32_e32 v10, v10, v11
	s_nop 0
	v_cndmask_b32_e64 v11, 1, 2, vcc
	v_cmp_eq_u32_e32 vcc, 0, v20
	v_and_b32_e32 v10, v10, v11
	s_nop 0
	v_cndmask_b32_e64 v11, 1, 2, vcc
	v_and_b32_e32 v13, v10, v11
	v_cmp_gt_u32_e32 vcc, s30, v12
	v_cmp_gt_i16_e64 s[30:31], 2, v13
	s_cbranch_vccz .LBB719_122
; %bb.116:
	s_and_saveexec_b64 s[36:37], s[30:31]
	s_cbranch_execz .LBB719_121
; %bb.117:
	v_lshlrev_b64 v[10:11], 3, v[8:9]
	v_lshl_add_u64 v[10:11], v[2:3], 0, v[10:11]
	v_cmp_ne_u16_e32 vcc, 1, v13
	s_mov_b64 s[38:39], 0
	s_and_saveexec_b64 s[30:31], vcc
	s_xor_b64 s[30:31], exec, s[30:31]
	s_cbranch_execnz .LBB719_171
; %bb.118:
	s_andn2_saveexec_b64 s[30:31], s[30:31]
	s_cbranch_execnz .LBB719_187
.LBB719_119:
	s_or_b64 exec, exec, s[30:31]
	s_and_b64 exec, exec, s[38:39]
	s_cbranch_execz .LBB719_121
.LBB719_120:
	v_mov_b32_e32 v15, 0
	v_sub_u32_e32 v16, v38, v1
	v_mov_b32_e32 v17, v15
	v_mov_b32_e32 v14, v39
	v_lshl_add_u64 v[10:11], v[16:17], 3, v[10:11]
	global_store_dwordx2 v[10:11], v[14:15], off
.LBB719_121:
	s_or_b64 exec, exec, s[36:37]
	s_mov_b64 s[36:37], 0
.LBB719_122:
	s_and_b64 vcc, exec, s[36:37]
	s_cbranch_vccz .LBB719_132
; %bb.123:
	v_cmp_gt_i16_e32 vcc, 2, v13
	s_and_saveexec_b64 s[30:31], vcc
	s_cbranch_execz .LBB719_128
; %bb.124:
	v_cmp_ne_u16_e32 vcc, 1, v13
	s_mov_b64 s[38:39], 0
	s_and_saveexec_b64 s[36:37], vcc
	s_xor_b64 s[36:37], exec, s[36:37]
	s_cbranch_execnz .LBB719_188
; %bb.125:
	s_andn2_saveexec_b64 s[0:1], s[36:37]
	s_cbranch_execnz .LBB719_204
.LBB719_126:
	s_or_b64 exec, exec, s[0:1]
	s_and_b64 exec, exec, s[38:39]
	s_cbranch_execz .LBB719_128
.LBB719_127:
	v_sub_u32_e32 v1, v38, v1
	v_lshlrev_b32_e32 v1, 2, v1
	ds_write_b32 v1, v39
.LBB719_128:
	s_or_b64 exec, exec, s[30:31]
	v_cmp_lt_u32_e32 vcc, v0, v12
	s_waitcnt lgkmcnt(0)
	s_barrier
	s_and_saveexec_b64 s[0:1], vcc
	s_cbranch_execz .LBB719_131
; %bb.129:
	v_lshlrev_b64 v[8:9], 3, v[8:9]
	v_lshl_add_u64 v[4:5], v[4:5], 0, v[8:9]
	v_lshl_add_u64 v[6:7], v[4:5], 0, v[6:7]
	v_lshlrev_b32_e32 v4, 3, v0
	v_mov_b32_e32 v5, 0
	v_lshl_add_u64 v[6:7], s[42:43], 0, v[6:7]
	v_lshlrev_b32_e32 v1, 2, v0
	v_lshl_add_u64 v[6:7], v[6:7], 0, v[4:5]
	s_mov_b64 s[2:3], 0
	s_mov_b64 s[4:5], 0x1000
	v_mov_b32_e32 v8, v0
.LBB719_130:                            ; =>This Inner Loop Header: Depth=1
	ds_read_b32 v4, v1
	v_add_u32_e32 v8, 0x200, v8
	v_cmp_ge_u32_e32 vcc, v8, v12
	v_add_u32_e32 v1, 0x800, v1
	s_or_b64 s[2:3], vcc, s[2:3]
	s_waitcnt lgkmcnt(0)
	global_store_dwordx2 v[6:7], v[4:5], off
	v_lshl_add_u64 v[6:7], v[6:7], 0, s[4:5]
	s_andn2_b64 exec, exec, s[2:3]
	s_cbranch_execnz .LBB719_130
.LBB719_131:
	s_or_b64 exec, exec, s[0:1]
.LBB719_132:
	s_movk_i32 s0, 0x1ff
	v_cmp_eq_u32_e32 vcc, s0, v0
	s_and_b64 s[0:1], vcc, s[48:49]
	s_and_saveexec_b64 s[2:3], s[0:1]
	s_cbranch_execz .LBB719_135
; %bb.133:
	v_mov_b32_e32 v31, 0
	v_lshl_add_u64 v[0:1], v[30:31], 0, v[32:33]
	v_lshl_add_u64 v[0:1], v[0:1], 0, v[68:69]
	s_cmpk_lg_i32 s33, 0x1e00
	global_store_dwordx2 v31, v[0:1], s[34:35]
	s_cbranch_scc1 .LBB719_135
; %bb.134:
	v_lshlrev_b64 v[0:1], 3, v[30:31]
	v_mov_b32_e32 v35, v31
	v_lshl_add_u64 v[0:1], v[2:3], 0, v[0:1]
	global_store_dwordx2 v[0:1], v[34:35], off offset:-8
.LBB719_135:
	s_endpgm
.LBB719_136:
	s_or_b64 exec, exec, s[6:7]
	v_mov_b32_e32 v85, s3
	s_and_saveexec_b64 s[6:7], s[42:43]
	s_cbranch_execnz .LBB719_56
	s_branch .LBB719_57
.LBB719_137:
	s_and_saveexec_b64 s[38:39], s[28:29]
	s_cbranch_execnz .LBB719_205
; %bb.138:
	s_or_b64 exec, exec, s[38:39]
	s_and_saveexec_b64 s[38:39], s[26:27]
	s_cbranch_execnz .LBB719_206
.LBB719_139:
	s_or_b64 exec, exec, s[38:39]
	s_and_saveexec_b64 s[38:39], s[24:25]
	s_cbranch_execnz .LBB719_207
.LBB719_140:
	s_or_b64 exec, exec, s[38:39]
	s_and_saveexec_b64 s[38:39], s[22:23]
	s_cbranch_execnz .LBB719_208
.LBB719_141:
	s_or_b64 exec, exec, s[38:39]
	s_and_saveexec_b64 s[38:39], s[20:21]
	s_cbranch_execnz .LBB719_209
.LBB719_142:
	s_or_b64 exec, exec, s[38:39]
	s_and_saveexec_b64 s[38:39], s[18:19]
	s_cbranch_execnz .LBB719_210
.LBB719_143:
	s_or_b64 exec, exec, s[38:39]
	s_and_saveexec_b64 s[38:39], s[16:17]
	s_cbranch_execnz .LBB719_211
.LBB719_144:
	s_or_b64 exec, exec, s[38:39]
	s_and_saveexec_b64 s[38:39], s[14:15]
	s_cbranch_execnz .LBB719_212
.LBB719_145:
	s_or_b64 exec, exec, s[38:39]
	s_and_saveexec_b64 s[38:39], s[12:13]
	s_cbranch_execnz .LBB719_213
.LBB719_146:
	s_or_b64 exec, exec, s[38:39]
	s_and_saveexec_b64 s[38:39], s[10:11]
	s_cbranch_execnz .LBB719_214
.LBB719_147:
	s_or_b64 exec, exec, s[38:39]
	s_and_saveexec_b64 s[38:39], s[8:9]
	s_cbranch_execnz .LBB719_215
.LBB719_148:
	s_or_b64 exec, exec, s[38:39]
	s_and_saveexec_b64 s[38:39], s[6:7]
	s_cbranch_execnz .LBB719_216
.LBB719_149:
	s_or_b64 exec, exec, s[38:39]
	s_and_saveexec_b64 s[38:39], s[4:5]
	s_cbranch_execnz .LBB719_217
.LBB719_150:
	s_or_b64 exec, exec, s[38:39]
	s_and_saveexec_b64 s[38:39], s[2:3]
	s_cbranch_execz .LBB719_152
.LBB719_151:
	v_sub_u32_e32 v86, v36, v32
	v_mov_b32_e32 v87, 0
	v_lshl_add_u64 v[86:87], v[86:87], 3, v[70:71]
	global_store_dwordx2 v[86:87], v[8:9], off
.LBB719_152:
	s_or_b64 exec, exec, s[38:39]
	s_and_b64 s[38:39], s[0:1], exec
	s_andn2_saveexec_b64 s[30:31], s[30:31]
	s_cbranch_execz .LBB719_102
.LBB719_153:
	v_sub_u32_e32 v86, v66, v32
	v_mov_b32_e32 v87, 0
	v_lshl_add_u64 v[88:89], v[86:87], 3, v[70:71]
	v_sub_u32_e32 v86, v64, v32
	global_store_dwordx2 v[88:89], v[26:27], off
	v_lshl_add_u64 v[88:89], v[86:87], 3, v[70:71]
	v_sub_u32_e32 v86, v62, v32
	global_store_dwordx2 v[88:89], v[28:29], off
	;; [unrolled: 3-line block ×12, first 2 shown]
	v_lshl_add_u64 v[88:89], v[86:87], 3, v[70:71]
	v_sub_u32_e32 v86, v36, v32
	v_lshl_add_u64 v[86:87], v[86:87], 3, v[70:71]
	s_or_b64 s[38:39], s[38:39], exec
	global_store_dwordx2 v[88:89], v[6:7], off
	global_store_dwordx2 v[86:87], v[8:9], off
	s_or_b64 exec, exec, s[30:31]
	s_and_b64 exec, exec, s[38:39]
	s_cbranch_execnz .LBB719_103
	s_branch .LBB719_104
.LBB719_154:
	s_and_saveexec_b64 s[38:39], s[28:29]
	s_cbranch_execnz .LBB719_218
; %bb.155:
	s_or_b64 exec, exec, s[38:39]
	s_and_saveexec_b64 s[28:29], s[26:27]
	s_cbranch_execnz .LBB719_219
.LBB719_156:
	s_or_b64 exec, exec, s[28:29]
	s_and_saveexec_b64 s[26:27], s[24:25]
	s_cbranch_execnz .LBB719_220
.LBB719_157:
	s_or_b64 exec, exec, s[26:27]
	s_and_saveexec_b64 s[24:25], s[22:23]
	s_cbranch_execnz .LBB719_221
.LBB719_158:
	s_or_b64 exec, exec, s[24:25]
	s_and_saveexec_b64 s[22:23], s[20:21]
	s_cbranch_execnz .LBB719_222
.LBB719_159:
	s_or_b64 exec, exec, s[22:23]
	s_and_saveexec_b64 s[20:21], s[18:19]
	s_cbranch_execnz .LBB719_223
.LBB719_160:
	s_or_b64 exec, exec, s[20:21]
	s_and_saveexec_b64 s[18:19], s[16:17]
	s_cbranch_execnz .LBB719_224
.LBB719_161:
	s_or_b64 exec, exec, s[18:19]
	s_and_saveexec_b64 s[16:17], s[14:15]
	s_cbranch_execnz .LBB719_225
.LBB719_162:
	s_or_b64 exec, exec, s[16:17]
	s_and_saveexec_b64 s[14:15], s[12:13]
	s_cbranch_execnz .LBB719_226
.LBB719_163:
	s_or_b64 exec, exec, s[14:15]
	s_and_saveexec_b64 s[12:13], s[10:11]
	s_cbranch_execnz .LBB719_227
.LBB719_164:
	s_or_b64 exec, exec, s[12:13]
	s_and_saveexec_b64 s[10:11], s[8:9]
	s_cbranch_execnz .LBB719_228
.LBB719_165:
	s_or_b64 exec, exec, s[10:11]
	s_and_saveexec_b64 s[8:9], s[6:7]
	s_cbranch_execnz .LBB719_229
.LBB719_166:
	s_or_b64 exec, exec, s[8:9]
	s_and_saveexec_b64 s[6:7], s[4:5]
	s_cbranch_execnz .LBB719_230
.LBB719_167:
	s_or_b64 exec, exec, s[6:7]
	s_and_saveexec_b64 s[4:5], s[2:3]
	s_cbranch_execz .LBB719_169
.LBB719_168:
	v_sub_u32_e32 v2, v36, v32
	v_lshlrev_b32_e32 v2, 3, v2
	ds_write_b64 v2, v[8:9]
.LBB719_169:
	s_or_b64 exec, exec, s[4:5]
	s_and_b64 s[38:39], s[0:1], exec
                                        ; implicit-def: $vgpr8_vgpr9
                                        ; implicit-def: $vgpr4_vgpr5
                                        ; implicit-def: $vgpr12_vgpr13
                                        ; implicit-def: $vgpr16_vgpr17
                                        ; implicit-def: $vgpr20_vgpr21
                                        ; implicit-def: $vgpr24_vgpr25
                                        ; implicit-def: $vgpr28_vgpr29
	s_andn2_saveexec_b64 s[0:1], s[36:37]
	s_cbranch_execz .LBB719_109
.LBB719_170:
	v_sub_u32_e32 v31, v66, v32
	v_lshlrev_b32_e32 v31, 3, v31
	ds_write_b64 v31, v[26:27]
	v_sub_u32_e32 v26, v64, v32
	v_lshlrev_b32_e32 v26, 3, v26
	ds_write_b64 v26, v[28:29]
	;; [unrolled: 3-line block ×13, first 2 shown]
	v_sub_u32_e32 v2, v36, v32
	v_lshlrev_b32_e32 v2, 3, v2
	s_or_b64 s[38:39], s[38:39], exec
	ds_write_b64 v2, v[8:9]
	s_or_b64 exec, exec, s[0:1]
	s_and_b64 exec, exec, s[38:39]
	s_cbranch_execnz .LBB719_110
	s_branch .LBB719_111
.LBB719_171:
	s_and_saveexec_b64 s[38:39], s[28:29]
	s_cbranch_execnz .LBB719_231
; %bb.172:
	s_or_b64 exec, exec, s[38:39]
	s_and_saveexec_b64 s[38:39], s[26:27]
	s_cbranch_execnz .LBB719_232
.LBB719_173:
	s_or_b64 exec, exec, s[38:39]
	s_and_saveexec_b64 s[38:39], s[24:25]
	s_cbranch_execnz .LBB719_233
.LBB719_174:
	s_or_b64 exec, exec, s[38:39]
	s_and_saveexec_b64 s[38:39], s[22:23]
	s_cbranch_execnz .LBB719_234
.LBB719_175:
	s_or_b64 exec, exec, s[38:39]
	s_and_saveexec_b64 s[38:39], s[20:21]
	s_cbranch_execnz .LBB719_235
.LBB719_176:
	s_or_b64 exec, exec, s[38:39]
	s_and_saveexec_b64 s[38:39], s[18:19]
	s_cbranch_execnz .LBB719_236
.LBB719_177:
	s_or_b64 exec, exec, s[38:39]
	s_and_saveexec_b64 s[38:39], s[16:17]
	s_cbranch_execnz .LBB719_237
.LBB719_178:
	s_or_b64 exec, exec, s[38:39]
	s_and_saveexec_b64 s[38:39], s[14:15]
	s_cbranch_execnz .LBB719_238
.LBB719_179:
	s_or_b64 exec, exec, s[38:39]
	s_and_saveexec_b64 s[38:39], s[12:13]
	s_cbranch_execnz .LBB719_239
.LBB719_180:
	s_or_b64 exec, exec, s[38:39]
	s_and_saveexec_b64 s[38:39], s[10:11]
	s_cbranch_execnz .LBB719_240
.LBB719_181:
	s_or_b64 exec, exec, s[38:39]
	s_and_saveexec_b64 s[38:39], s[8:9]
	s_cbranch_execnz .LBB719_241
.LBB719_182:
	s_or_b64 exec, exec, s[38:39]
	s_and_saveexec_b64 s[38:39], s[6:7]
	s_cbranch_execnz .LBB719_242
.LBB719_183:
	s_or_b64 exec, exec, s[38:39]
	s_and_saveexec_b64 s[38:39], s[4:5]
	s_cbranch_execnz .LBB719_243
.LBB719_184:
	s_or_b64 exec, exec, s[38:39]
	s_and_saveexec_b64 s[38:39], s[2:3]
	s_cbranch_execz .LBB719_186
.LBB719_185:
	v_sub_u32_e32 v14, v36, v1
	v_mov_b32_e32 v15, 0
	v_lshl_add_u64 v[16:17], v[14:15], 3, v[10:11]
	v_mov_b32_e32 v14, v37
	global_store_dwordx2 v[16:17], v[14:15], off
.LBB719_186:
	s_or_b64 exec, exec, s[38:39]
	s_and_b64 s[38:39], s[0:1], exec
	s_andn2_saveexec_b64 s[30:31], s[30:31]
	s_cbranch_execz .LBB719_119
.LBB719_187:
	v_mov_b32_e32 v15, 0
	v_sub_u32_e32 v16, v66, v1
	v_mov_b32_e32 v17, v15
	v_mov_b32_e32 v14, v67
	v_lshl_add_u64 v[16:17], v[16:17], 3, v[10:11]
	global_store_dwordx2 v[16:17], v[14:15], off
	v_sub_u32_e32 v16, v64, v1
	v_mov_b32_e32 v17, v15
	v_mov_b32_e32 v14, v65
	v_lshl_add_u64 v[16:17], v[16:17], 3, v[10:11]
	global_store_dwordx2 v[16:17], v[14:15], off
	;; [unrolled: 5-line block ×13, first 2 shown]
	v_sub_u32_e32 v16, v36, v1
	v_mov_b32_e32 v17, v15
	v_mov_b32_e32 v14, v37
	v_lshl_add_u64 v[16:17], v[16:17], 3, v[10:11]
	s_or_b64 s[38:39], s[38:39], exec
	global_store_dwordx2 v[16:17], v[14:15], off
	s_or_b64 exec, exec, s[30:31]
	s_and_b64 exec, exec, s[38:39]
	s_cbranch_execnz .LBB719_120
	s_branch .LBB719_121
.LBB719_188:
	s_and_saveexec_b64 s[38:39], s[28:29]
	s_cbranch_execnz .LBB719_244
; %bb.189:
	s_or_b64 exec, exec, s[38:39]
	s_and_saveexec_b64 s[28:29], s[26:27]
	s_cbranch_execnz .LBB719_245
.LBB719_190:
	s_or_b64 exec, exec, s[28:29]
	s_and_saveexec_b64 s[26:27], s[24:25]
	s_cbranch_execnz .LBB719_246
.LBB719_191:
	s_or_b64 exec, exec, s[26:27]
	s_and_saveexec_b64 s[24:25], s[22:23]
	s_cbranch_execnz .LBB719_247
.LBB719_192:
	s_or_b64 exec, exec, s[24:25]
	s_and_saveexec_b64 s[22:23], s[20:21]
	s_cbranch_execnz .LBB719_248
.LBB719_193:
	s_or_b64 exec, exec, s[22:23]
	s_and_saveexec_b64 s[20:21], s[18:19]
	s_cbranch_execnz .LBB719_249
.LBB719_194:
	s_or_b64 exec, exec, s[20:21]
	s_and_saveexec_b64 s[18:19], s[16:17]
	s_cbranch_execnz .LBB719_250
.LBB719_195:
	s_or_b64 exec, exec, s[18:19]
	s_and_saveexec_b64 s[16:17], s[14:15]
	s_cbranch_execnz .LBB719_251
.LBB719_196:
	s_or_b64 exec, exec, s[16:17]
	s_and_saveexec_b64 s[14:15], s[12:13]
	s_cbranch_execnz .LBB719_252
.LBB719_197:
	s_or_b64 exec, exec, s[14:15]
	s_and_saveexec_b64 s[12:13], s[10:11]
	s_cbranch_execnz .LBB719_253
.LBB719_198:
	s_or_b64 exec, exec, s[12:13]
	s_and_saveexec_b64 s[10:11], s[8:9]
	s_cbranch_execnz .LBB719_254
.LBB719_199:
	s_or_b64 exec, exec, s[10:11]
	s_and_saveexec_b64 s[8:9], s[6:7]
	s_cbranch_execnz .LBB719_255
.LBB719_200:
	s_or_b64 exec, exec, s[8:9]
	s_and_saveexec_b64 s[6:7], s[4:5]
	s_cbranch_execnz .LBB719_256
.LBB719_201:
	s_or_b64 exec, exec, s[6:7]
	s_and_saveexec_b64 s[4:5], s[2:3]
	s_cbranch_execz .LBB719_203
.LBB719_202:
	v_sub_u32_e32 v10, v36, v1
	v_lshlrev_b32_e32 v10, 2, v10
	ds_write_b32 v10, v37
.LBB719_203:
	s_or_b64 exec, exec, s[4:5]
	s_and_b64 s[38:39], s[0:1], exec
                                        ; implicit-def: $vgpr36_vgpr37
                                        ; implicit-def: $vgpr40_vgpr41
                                        ; implicit-def: $vgpr42_vgpr43
                                        ; implicit-def: $vgpr66_vgpr67
                                        ; implicit-def: $vgpr64_vgpr65
                                        ; implicit-def: $vgpr62_vgpr63
                                        ; implicit-def: $vgpr60_vgpr61
                                        ; implicit-def: $vgpr58_vgpr59
                                        ; implicit-def: $vgpr56_vgpr57
                                        ; implicit-def: $vgpr54_vgpr55
                                        ; implicit-def: $vgpr52_vgpr53
                                        ; implicit-def: $vgpr50_vgpr51
                                        ; implicit-def: $vgpr48_vgpr49
                                        ; implicit-def: $vgpr44_vgpr45
	s_andn2_saveexec_b64 s[0:1], s[36:37]
	s_cbranch_execz .LBB719_126
.LBB719_204:
	v_sub_u32_e32 v10, v66, v1
	v_lshlrev_b32_e32 v10, 2, v10
	ds_write_b32 v10, v67
	v_sub_u32_e32 v10, v64, v1
	v_lshlrev_b32_e32 v10, 2, v10
	ds_write_b32 v10, v65
	;; [unrolled: 3-line block ×13, first 2 shown]
	v_sub_u32_e32 v10, v36, v1
	v_lshlrev_b32_e32 v10, 2, v10
	s_or_b64 s[38:39], s[38:39], exec
	ds_write_b32 v10, v37
	s_or_b64 exec, exec, s[0:1]
	s_and_b64 exec, exec, s[38:39]
	s_cbranch_execnz .LBB719_127
	s_branch .LBB719_128
.LBB719_205:
	v_sub_u32_e32 v86, v66, v32
	v_mov_b32_e32 v87, 0
	v_lshl_add_u64 v[86:87], v[86:87], 3, v[70:71]
	global_store_dwordx2 v[86:87], v[26:27], off
	s_or_b64 exec, exec, s[38:39]
	s_and_saveexec_b64 s[38:39], s[26:27]
	s_cbranch_execz .LBB719_139
.LBB719_206:
	v_sub_u32_e32 v86, v64, v32
	v_mov_b32_e32 v87, 0
	v_lshl_add_u64 v[86:87], v[86:87], 3, v[70:71]
	global_store_dwordx2 v[86:87], v[28:29], off
	s_or_b64 exec, exec, s[38:39]
	s_and_saveexec_b64 s[38:39], s[24:25]
	s_cbranch_execz .LBB719_140
.LBB719_207:
	v_sub_u32_e32 v86, v62, v32
	v_mov_b32_e32 v87, 0
	v_lshl_add_u64 v[86:87], v[86:87], 3, v[70:71]
	global_store_dwordx2 v[86:87], v[22:23], off
	s_or_b64 exec, exec, s[38:39]
	s_and_saveexec_b64 s[38:39], s[22:23]
	s_cbranch_execz .LBB719_141
.LBB719_208:
	v_sub_u32_e32 v86, v60, v32
	v_mov_b32_e32 v87, 0
	v_lshl_add_u64 v[86:87], v[86:87], 3, v[70:71]
	global_store_dwordx2 v[86:87], v[24:25], off
	s_or_b64 exec, exec, s[38:39]
	s_and_saveexec_b64 s[38:39], s[20:21]
	s_cbranch_execz .LBB719_142
.LBB719_209:
	v_sub_u32_e32 v86, v58, v32
	v_mov_b32_e32 v87, 0
	v_lshl_add_u64 v[86:87], v[86:87], 3, v[70:71]
	global_store_dwordx2 v[86:87], v[18:19], off
	s_or_b64 exec, exec, s[38:39]
	s_and_saveexec_b64 s[38:39], s[18:19]
	s_cbranch_execz .LBB719_143
.LBB719_210:
	v_sub_u32_e32 v86, v56, v32
	v_mov_b32_e32 v87, 0
	v_lshl_add_u64 v[86:87], v[86:87], 3, v[70:71]
	global_store_dwordx2 v[86:87], v[20:21], off
	s_or_b64 exec, exec, s[38:39]
	s_and_saveexec_b64 s[38:39], s[16:17]
	s_cbranch_execz .LBB719_144
.LBB719_211:
	v_sub_u32_e32 v86, v54, v32
	v_mov_b32_e32 v87, 0
	v_lshl_add_u64 v[86:87], v[86:87], 3, v[70:71]
	global_store_dwordx2 v[86:87], v[14:15], off
	s_or_b64 exec, exec, s[38:39]
	s_and_saveexec_b64 s[38:39], s[14:15]
	s_cbranch_execz .LBB719_145
.LBB719_212:
	v_sub_u32_e32 v86, v52, v32
	v_mov_b32_e32 v87, 0
	v_lshl_add_u64 v[86:87], v[86:87], 3, v[70:71]
	global_store_dwordx2 v[86:87], v[16:17], off
	s_or_b64 exec, exec, s[38:39]
	s_and_saveexec_b64 s[38:39], s[12:13]
	s_cbranch_execz .LBB719_146
.LBB719_213:
	v_sub_u32_e32 v86, v50, v32
	v_mov_b32_e32 v87, 0
	v_lshl_add_u64 v[86:87], v[86:87], 3, v[70:71]
	global_store_dwordx2 v[86:87], v[10:11], off
	s_or_b64 exec, exec, s[38:39]
	s_and_saveexec_b64 s[38:39], s[10:11]
	s_cbranch_execz .LBB719_147
.LBB719_214:
	v_sub_u32_e32 v86, v48, v32
	v_mov_b32_e32 v87, 0
	v_lshl_add_u64 v[86:87], v[86:87], 3, v[70:71]
	global_store_dwordx2 v[86:87], v[12:13], off
	s_or_b64 exec, exec, s[38:39]
	s_and_saveexec_b64 s[38:39], s[8:9]
	s_cbranch_execz .LBB719_148
.LBB719_215:
	v_sub_u32_e32 v86, v44, v32
	v_mov_b32_e32 v87, 0
	v_lshl_add_u64 v[86:87], v[86:87], 3, v[70:71]
	global_store_dwordx2 v[86:87], v[2:3], off
	s_or_b64 exec, exec, s[38:39]
	s_and_saveexec_b64 s[38:39], s[6:7]
	s_cbranch_execz .LBB719_149
.LBB719_216:
	v_sub_u32_e32 v86, v42, v32
	v_mov_b32_e32 v87, 0
	v_lshl_add_u64 v[86:87], v[86:87], 3, v[70:71]
	global_store_dwordx2 v[86:87], v[4:5], off
	s_or_b64 exec, exec, s[38:39]
	s_and_saveexec_b64 s[38:39], s[4:5]
	s_cbranch_execz .LBB719_150
.LBB719_217:
	v_sub_u32_e32 v86, v40, v32
	v_mov_b32_e32 v87, 0
	v_lshl_add_u64 v[86:87], v[86:87], 3, v[70:71]
	global_store_dwordx2 v[86:87], v[6:7], off
	s_or_b64 exec, exec, s[38:39]
	s_and_saveexec_b64 s[38:39], s[2:3]
	s_cbranch_execnz .LBB719_151
	s_branch .LBB719_152
.LBB719_218:
	v_sub_u32_e32 v31, v66, v32
	v_lshlrev_b32_e32 v31, 3, v31
	ds_write_b64 v31, v[26:27]
	s_or_b64 exec, exec, s[38:39]
	s_and_saveexec_b64 s[28:29], s[26:27]
	s_cbranch_execz .LBB719_156
.LBB719_219:
	v_sub_u32_e32 v26, v64, v32
	v_lshlrev_b32_e32 v26, 3, v26
	ds_write_b64 v26, v[28:29]
	s_or_b64 exec, exec, s[28:29]
	s_and_saveexec_b64 s[26:27], s[24:25]
	s_cbranch_execz .LBB719_157
.LBB719_220:
	v_sub_u32_e32 v26, v62, v32
	v_lshlrev_b32_e32 v26, 3, v26
	ds_write_b64 v26, v[22:23]
	s_or_b64 exec, exec, s[26:27]
	s_and_saveexec_b64 s[24:25], s[22:23]
	s_cbranch_execz .LBB719_158
.LBB719_221:
	v_sub_u32_e32 v22, v60, v32
	v_lshlrev_b32_e32 v22, 3, v22
	ds_write_b64 v22, v[24:25]
	s_or_b64 exec, exec, s[24:25]
	s_and_saveexec_b64 s[22:23], s[20:21]
	s_cbranch_execz .LBB719_159
.LBB719_222:
	v_sub_u32_e32 v22, v58, v32
	v_lshlrev_b32_e32 v22, 3, v22
	ds_write_b64 v22, v[18:19]
	s_or_b64 exec, exec, s[22:23]
	s_and_saveexec_b64 s[20:21], s[18:19]
	s_cbranch_execz .LBB719_160
.LBB719_223:
	v_sub_u32_e32 v18, v56, v32
	v_lshlrev_b32_e32 v18, 3, v18
	ds_write_b64 v18, v[20:21]
	s_or_b64 exec, exec, s[20:21]
	s_and_saveexec_b64 s[18:19], s[16:17]
	s_cbranch_execz .LBB719_161
.LBB719_224:
	v_sub_u32_e32 v18, v54, v32
	v_lshlrev_b32_e32 v18, 3, v18
	ds_write_b64 v18, v[14:15]
	s_or_b64 exec, exec, s[18:19]
	s_and_saveexec_b64 s[16:17], s[14:15]
	s_cbranch_execz .LBB719_162
.LBB719_225:
	v_sub_u32_e32 v14, v52, v32
	v_lshlrev_b32_e32 v14, 3, v14
	ds_write_b64 v14, v[16:17]
	s_or_b64 exec, exec, s[16:17]
	s_and_saveexec_b64 s[14:15], s[12:13]
	s_cbranch_execz .LBB719_163
.LBB719_226:
	v_sub_u32_e32 v14, v50, v32
	v_lshlrev_b32_e32 v14, 3, v14
	ds_write_b64 v14, v[10:11]
	s_or_b64 exec, exec, s[14:15]
	s_and_saveexec_b64 s[12:13], s[10:11]
	s_cbranch_execz .LBB719_164
.LBB719_227:
	v_sub_u32_e32 v10, v48, v32
	v_lshlrev_b32_e32 v10, 3, v10
	ds_write_b64 v10, v[12:13]
	s_or_b64 exec, exec, s[12:13]
	s_and_saveexec_b64 s[10:11], s[8:9]
	s_cbranch_execz .LBB719_165
.LBB719_228:
	v_sub_u32_e32 v10, v44, v32
	v_lshlrev_b32_e32 v10, 3, v10
	ds_write_b64 v10, v[2:3]
	s_or_b64 exec, exec, s[10:11]
	s_and_saveexec_b64 s[8:9], s[6:7]
	s_cbranch_execz .LBB719_166
.LBB719_229:
	v_sub_u32_e32 v2, v42, v32
	v_lshlrev_b32_e32 v2, 3, v2
	ds_write_b64 v2, v[4:5]
	s_or_b64 exec, exec, s[8:9]
	s_and_saveexec_b64 s[6:7], s[4:5]
	s_cbranch_execz .LBB719_167
.LBB719_230:
	v_sub_u32_e32 v2, v40, v32
	v_lshlrev_b32_e32 v2, 3, v2
	ds_write_b64 v2, v[6:7]
	s_or_b64 exec, exec, s[6:7]
	s_and_saveexec_b64 s[4:5], s[2:3]
	s_cbranch_execnz .LBB719_168
	s_branch .LBB719_169
.LBB719_231:
	v_sub_u32_e32 v14, v66, v1
	v_mov_b32_e32 v15, 0
	v_lshl_add_u64 v[16:17], v[14:15], 3, v[10:11]
	v_mov_b32_e32 v14, v67
	global_store_dwordx2 v[16:17], v[14:15], off
	s_or_b64 exec, exec, s[38:39]
	s_and_saveexec_b64 s[38:39], s[26:27]
	s_cbranch_execz .LBB719_173
.LBB719_232:
	v_sub_u32_e32 v14, v64, v1
	v_mov_b32_e32 v15, 0
	v_lshl_add_u64 v[16:17], v[14:15], 3, v[10:11]
	v_mov_b32_e32 v14, v65
	global_store_dwordx2 v[16:17], v[14:15], off
	s_or_b64 exec, exec, s[38:39]
	s_and_saveexec_b64 s[38:39], s[24:25]
	s_cbranch_execz .LBB719_174
.LBB719_233:
	v_sub_u32_e32 v14, v62, v1
	v_mov_b32_e32 v15, 0
	v_lshl_add_u64 v[16:17], v[14:15], 3, v[10:11]
	v_mov_b32_e32 v14, v63
	global_store_dwordx2 v[16:17], v[14:15], off
	s_or_b64 exec, exec, s[38:39]
	s_and_saveexec_b64 s[38:39], s[22:23]
	s_cbranch_execz .LBB719_175
.LBB719_234:
	v_sub_u32_e32 v14, v60, v1
	v_mov_b32_e32 v15, 0
	v_lshl_add_u64 v[16:17], v[14:15], 3, v[10:11]
	v_mov_b32_e32 v14, v61
	global_store_dwordx2 v[16:17], v[14:15], off
	s_or_b64 exec, exec, s[38:39]
	s_and_saveexec_b64 s[38:39], s[20:21]
	s_cbranch_execz .LBB719_176
.LBB719_235:
	v_sub_u32_e32 v14, v58, v1
	v_mov_b32_e32 v15, 0
	v_lshl_add_u64 v[16:17], v[14:15], 3, v[10:11]
	v_mov_b32_e32 v14, v59
	global_store_dwordx2 v[16:17], v[14:15], off
	s_or_b64 exec, exec, s[38:39]
	s_and_saveexec_b64 s[38:39], s[18:19]
	s_cbranch_execz .LBB719_177
.LBB719_236:
	v_sub_u32_e32 v14, v56, v1
	v_mov_b32_e32 v15, 0
	v_lshl_add_u64 v[16:17], v[14:15], 3, v[10:11]
	v_mov_b32_e32 v14, v57
	global_store_dwordx2 v[16:17], v[14:15], off
	s_or_b64 exec, exec, s[38:39]
	s_and_saveexec_b64 s[38:39], s[16:17]
	s_cbranch_execz .LBB719_178
.LBB719_237:
	v_sub_u32_e32 v14, v54, v1
	v_mov_b32_e32 v15, 0
	v_lshl_add_u64 v[16:17], v[14:15], 3, v[10:11]
	v_mov_b32_e32 v14, v55
	global_store_dwordx2 v[16:17], v[14:15], off
	s_or_b64 exec, exec, s[38:39]
	s_and_saveexec_b64 s[38:39], s[14:15]
	s_cbranch_execz .LBB719_179
.LBB719_238:
	v_sub_u32_e32 v14, v52, v1
	v_mov_b32_e32 v15, 0
	v_lshl_add_u64 v[16:17], v[14:15], 3, v[10:11]
	v_mov_b32_e32 v14, v53
	global_store_dwordx2 v[16:17], v[14:15], off
	s_or_b64 exec, exec, s[38:39]
	s_and_saveexec_b64 s[38:39], s[12:13]
	s_cbranch_execz .LBB719_180
.LBB719_239:
	v_sub_u32_e32 v14, v50, v1
	v_mov_b32_e32 v15, 0
	v_lshl_add_u64 v[16:17], v[14:15], 3, v[10:11]
	v_mov_b32_e32 v14, v51
	global_store_dwordx2 v[16:17], v[14:15], off
	s_or_b64 exec, exec, s[38:39]
	s_and_saveexec_b64 s[38:39], s[10:11]
	s_cbranch_execz .LBB719_181
.LBB719_240:
	v_sub_u32_e32 v14, v48, v1
	v_mov_b32_e32 v15, 0
	v_lshl_add_u64 v[16:17], v[14:15], 3, v[10:11]
	v_mov_b32_e32 v14, v49
	global_store_dwordx2 v[16:17], v[14:15], off
	s_or_b64 exec, exec, s[38:39]
	s_and_saveexec_b64 s[38:39], s[8:9]
	s_cbranch_execz .LBB719_182
.LBB719_241:
	v_sub_u32_e32 v14, v44, v1
	v_mov_b32_e32 v15, 0
	v_lshl_add_u64 v[16:17], v[14:15], 3, v[10:11]
	v_mov_b32_e32 v14, v45
	global_store_dwordx2 v[16:17], v[14:15], off
	s_or_b64 exec, exec, s[38:39]
	s_and_saveexec_b64 s[38:39], s[6:7]
	s_cbranch_execz .LBB719_183
.LBB719_242:
	v_sub_u32_e32 v14, v42, v1
	v_mov_b32_e32 v15, 0
	v_lshl_add_u64 v[16:17], v[14:15], 3, v[10:11]
	v_mov_b32_e32 v14, v43
	global_store_dwordx2 v[16:17], v[14:15], off
	s_or_b64 exec, exec, s[38:39]
	s_and_saveexec_b64 s[38:39], s[4:5]
	s_cbranch_execz .LBB719_184
.LBB719_243:
	v_sub_u32_e32 v14, v40, v1
	v_mov_b32_e32 v15, 0
	v_lshl_add_u64 v[16:17], v[14:15], 3, v[10:11]
	v_mov_b32_e32 v14, v41
	global_store_dwordx2 v[16:17], v[14:15], off
	s_or_b64 exec, exec, s[38:39]
	s_and_saveexec_b64 s[38:39], s[2:3]
	s_cbranch_execnz .LBB719_185
	s_branch .LBB719_186
.LBB719_244:
	v_sub_u32_e32 v10, v66, v1
	v_lshlrev_b32_e32 v10, 2, v10
	ds_write_b32 v10, v67
	s_or_b64 exec, exec, s[38:39]
	s_and_saveexec_b64 s[28:29], s[26:27]
	s_cbranch_execz .LBB719_190
.LBB719_245:
	v_sub_u32_e32 v10, v64, v1
	v_lshlrev_b32_e32 v10, 2, v10
	ds_write_b32 v10, v65
	s_or_b64 exec, exec, s[28:29]
	s_and_saveexec_b64 s[26:27], s[24:25]
	s_cbranch_execz .LBB719_191
.LBB719_246:
	v_sub_u32_e32 v10, v62, v1
	v_lshlrev_b32_e32 v10, 2, v10
	ds_write_b32 v10, v63
	s_or_b64 exec, exec, s[26:27]
	s_and_saveexec_b64 s[24:25], s[22:23]
	s_cbranch_execz .LBB719_192
.LBB719_247:
	v_sub_u32_e32 v10, v60, v1
	v_lshlrev_b32_e32 v10, 2, v10
	ds_write_b32 v10, v61
	s_or_b64 exec, exec, s[24:25]
	s_and_saveexec_b64 s[22:23], s[20:21]
	s_cbranch_execz .LBB719_193
.LBB719_248:
	v_sub_u32_e32 v10, v58, v1
	v_lshlrev_b32_e32 v10, 2, v10
	ds_write_b32 v10, v59
	s_or_b64 exec, exec, s[22:23]
	s_and_saveexec_b64 s[20:21], s[18:19]
	s_cbranch_execz .LBB719_194
.LBB719_249:
	v_sub_u32_e32 v10, v56, v1
	v_lshlrev_b32_e32 v10, 2, v10
	ds_write_b32 v10, v57
	s_or_b64 exec, exec, s[20:21]
	s_and_saveexec_b64 s[18:19], s[16:17]
	s_cbranch_execz .LBB719_195
.LBB719_250:
	v_sub_u32_e32 v10, v54, v1
	v_lshlrev_b32_e32 v10, 2, v10
	ds_write_b32 v10, v55
	s_or_b64 exec, exec, s[18:19]
	s_and_saveexec_b64 s[16:17], s[14:15]
	s_cbranch_execz .LBB719_196
.LBB719_251:
	v_sub_u32_e32 v10, v52, v1
	v_lshlrev_b32_e32 v10, 2, v10
	ds_write_b32 v10, v53
	s_or_b64 exec, exec, s[16:17]
	s_and_saveexec_b64 s[14:15], s[12:13]
	s_cbranch_execz .LBB719_197
.LBB719_252:
	v_sub_u32_e32 v10, v50, v1
	v_lshlrev_b32_e32 v10, 2, v10
	ds_write_b32 v10, v51
	s_or_b64 exec, exec, s[14:15]
	s_and_saveexec_b64 s[12:13], s[10:11]
	s_cbranch_execz .LBB719_198
.LBB719_253:
	v_sub_u32_e32 v10, v48, v1
	v_lshlrev_b32_e32 v10, 2, v10
	ds_write_b32 v10, v49
	s_or_b64 exec, exec, s[12:13]
	s_and_saveexec_b64 s[10:11], s[8:9]
	s_cbranch_execz .LBB719_199
.LBB719_254:
	v_sub_u32_e32 v10, v44, v1
	v_lshlrev_b32_e32 v10, 2, v10
	ds_write_b32 v10, v45
	s_or_b64 exec, exec, s[10:11]
	s_and_saveexec_b64 s[8:9], s[6:7]
	s_cbranch_execz .LBB719_200
.LBB719_255:
	v_sub_u32_e32 v10, v42, v1
	v_lshlrev_b32_e32 v10, 2, v10
	ds_write_b32 v10, v43
	s_or_b64 exec, exec, s[8:9]
	s_and_saveexec_b64 s[6:7], s[4:5]
	s_cbranch_execz .LBB719_201
.LBB719_256:
	v_sub_u32_e32 v10, v40, v1
	v_lshlrev_b32_e32 v10, 2, v10
	ds_write_b32 v10, v41
	s_or_b64 exec, exec, s[6:7]
	s_and_saveexec_b64 s[4:5], s[2:3]
	s_cbranch_execnz .LBB719_202
	s_branch .LBB719_203
	.section	.rodata,"a",@progbits
	.p2align	6, 0x0
	.amdhsa_kernel _ZN7rocprim17ROCPRIM_400000_NS6detail17trampoline_kernelINS0_14default_configENS1_33run_length_encode_config_selectorImjNS0_4plusIjEEEEZZNS1_33reduce_by_key_impl_wrapped_configILNS1_25lookback_scan_determinismE0ES3_S7_PKmNS0_17constant_iteratorIjlEEPmPlSF_S6_NS0_8equal_toImEEEE10hipError_tPvRmT2_T3_mT4_T5_T6_T7_T8_P12ihipStream_tbENKUlT_T0_E_clISt17integral_constantIbLb0EESZ_EEDaSU_SV_EUlSU_E_NS1_11comp_targetILNS1_3genE5ELNS1_11target_archE942ELNS1_3gpuE9ELNS1_3repE0EEENS1_30default_config_static_selectorELNS0_4arch9wavefront6targetE1EEEvT1_
		.amdhsa_group_segment_fixed_size 61440
		.amdhsa_private_segment_fixed_size 0
		.amdhsa_kernarg_size 128
		.amdhsa_user_sgpr_count 2
		.amdhsa_user_sgpr_dispatch_ptr 0
		.amdhsa_user_sgpr_queue_ptr 0
		.amdhsa_user_sgpr_kernarg_segment_ptr 1
		.amdhsa_user_sgpr_dispatch_id 0
		.amdhsa_user_sgpr_kernarg_preload_length 0
		.amdhsa_user_sgpr_kernarg_preload_offset 0
		.amdhsa_user_sgpr_private_segment_size 0
		.amdhsa_uses_dynamic_stack 0
		.amdhsa_enable_private_segment 0
		.amdhsa_system_sgpr_workgroup_id_x 1
		.amdhsa_system_sgpr_workgroup_id_y 0
		.amdhsa_system_sgpr_workgroup_id_z 0
		.amdhsa_system_sgpr_workgroup_info 0
		.amdhsa_system_vgpr_workitem_id 0
		.amdhsa_next_free_vgpr 90
		.amdhsa_next_free_sgpr 64
		.amdhsa_accum_offset 92
		.amdhsa_reserve_vcc 1
		.amdhsa_float_round_mode_32 0
		.amdhsa_float_round_mode_16_64 0
		.amdhsa_float_denorm_mode_32 3
		.amdhsa_float_denorm_mode_16_64 3
		.amdhsa_dx10_clamp 1
		.amdhsa_ieee_mode 1
		.amdhsa_fp16_overflow 0
		.amdhsa_tg_split 0
		.amdhsa_exception_fp_ieee_invalid_op 0
		.amdhsa_exception_fp_denorm_src 0
		.amdhsa_exception_fp_ieee_div_zero 0
		.amdhsa_exception_fp_ieee_overflow 0
		.amdhsa_exception_fp_ieee_underflow 0
		.amdhsa_exception_fp_ieee_inexact 0
		.amdhsa_exception_int_div_zero 0
	.end_amdhsa_kernel
	.section	.text._ZN7rocprim17ROCPRIM_400000_NS6detail17trampoline_kernelINS0_14default_configENS1_33run_length_encode_config_selectorImjNS0_4plusIjEEEEZZNS1_33reduce_by_key_impl_wrapped_configILNS1_25lookback_scan_determinismE0ES3_S7_PKmNS0_17constant_iteratorIjlEEPmPlSF_S6_NS0_8equal_toImEEEE10hipError_tPvRmT2_T3_mT4_T5_T6_T7_T8_P12ihipStream_tbENKUlT_T0_E_clISt17integral_constantIbLb0EESZ_EEDaSU_SV_EUlSU_E_NS1_11comp_targetILNS1_3genE5ELNS1_11target_archE942ELNS1_3gpuE9ELNS1_3repE0EEENS1_30default_config_static_selectorELNS0_4arch9wavefront6targetE1EEEvT1_,"axG",@progbits,_ZN7rocprim17ROCPRIM_400000_NS6detail17trampoline_kernelINS0_14default_configENS1_33run_length_encode_config_selectorImjNS0_4plusIjEEEEZZNS1_33reduce_by_key_impl_wrapped_configILNS1_25lookback_scan_determinismE0ES3_S7_PKmNS0_17constant_iteratorIjlEEPmPlSF_S6_NS0_8equal_toImEEEE10hipError_tPvRmT2_T3_mT4_T5_T6_T7_T8_P12ihipStream_tbENKUlT_T0_E_clISt17integral_constantIbLb0EESZ_EEDaSU_SV_EUlSU_E_NS1_11comp_targetILNS1_3genE5ELNS1_11target_archE942ELNS1_3gpuE9ELNS1_3repE0EEENS1_30default_config_static_selectorELNS0_4arch9wavefront6targetE1EEEvT1_,comdat
.Lfunc_end719:
	.size	_ZN7rocprim17ROCPRIM_400000_NS6detail17trampoline_kernelINS0_14default_configENS1_33run_length_encode_config_selectorImjNS0_4plusIjEEEEZZNS1_33reduce_by_key_impl_wrapped_configILNS1_25lookback_scan_determinismE0ES3_S7_PKmNS0_17constant_iteratorIjlEEPmPlSF_S6_NS0_8equal_toImEEEE10hipError_tPvRmT2_T3_mT4_T5_T6_T7_T8_P12ihipStream_tbENKUlT_T0_E_clISt17integral_constantIbLb0EESZ_EEDaSU_SV_EUlSU_E_NS1_11comp_targetILNS1_3genE5ELNS1_11target_archE942ELNS1_3gpuE9ELNS1_3repE0EEENS1_30default_config_static_selectorELNS0_4arch9wavefront6targetE1EEEvT1_, .Lfunc_end719-_ZN7rocprim17ROCPRIM_400000_NS6detail17trampoline_kernelINS0_14default_configENS1_33run_length_encode_config_selectorImjNS0_4plusIjEEEEZZNS1_33reduce_by_key_impl_wrapped_configILNS1_25lookback_scan_determinismE0ES3_S7_PKmNS0_17constant_iteratorIjlEEPmPlSF_S6_NS0_8equal_toImEEEE10hipError_tPvRmT2_T3_mT4_T5_T6_T7_T8_P12ihipStream_tbENKUlT_T0_E_clISt17integral_constantIbLb0EESZ_EEDaSU_SV_EUlSU_E_NS1_11comp_targetILNS1_3genE5ELNS1_11target_archE942ELNS1_3gpuE9ELNS1_3repE0EEENS1_30default_config_static_selectorELNS0_4arch9wavefront6targetE1EEEvT1_
                                        ; -- End function
	.section	.AMDGPU.csdata,"",@progbits
; Kernel info:
; codeLenInByte = 14024
; NumSgprs: 70
; NumVgprs: 90
; NumAgprs: 0
; TotalNumVgprs: 90
; ScratchSize: 0
; MemoryBound: 0
; FloatMode: 240
; IeeeMode: 1
; LDSByteSize: 61440 bytes/workgroup (compile time only)
; SGPRBlocks: 8
; VGPRBlocks: 11
; NumSGPRsForWavesPerEU: 70
; NumVGPRsForWavesPerEU: 90
; AccumOffset: 92
; Occupancy: 2
; WaveLimiterHint : 1
; COMPUTE_PGM_RSRC2:SCRATCH_EN: 0
; COMPUTE_PGM_RSRC2:USER_SGPR: 2
; COMPUTE_PGM_RSRC2:TRAP_HANDLER: 0
; COMPUTE_PGM_RSRC2:TGID_X_EN: 1
; COMPUTE_PGM_RSRC2:TGID_Y_EN: 0
; COMPUTE_PGM_RSRC2:TGID_Z_EN: 0
; COMPUTE_PGM_RSRC2:TIDIG_COMP_CNT: 0
; COMPUTE_PGM_RSRC3_GFX90A:ACCUM_OFFSET: 22
; COMPUTE_PGM_RSRC3_GFX90A:TG_SPLIT: 0
	.section	.text._ZN7rocprim17ROCPRIM_400000_NS6detail17trampoline_kernelINS0_14default_configENS1_33run_length_encode_config_selectorImjNS0_4plusIjEEEEZZNS1_33reduce_by_key_impl_wrapped_configILNS1_25lookback_scan_determinismE0ES3_S7_PKmNS0_17constant_iteratorIjlEEPmPlSF_S6_NS0_8equal_toImEEEE10hipError_tPvRmT2_T3_mT4_T5_T6_T7_T8_P12ihipStream_tbENKUlT_T0_E_clISt17integral_constantIbLb0EESZ_EEDaSU_SV_EUlSU_E_NS1_11comp_targetILNS1_3genE4ELNS1_11target_archE910ELNS1_3gpuE8ELNS1_3repE0EEENS1_30default_config_static_selectorELNS0_4arch9wavefront6targetE1EEEvT1_,"axG",@progbits,_ZN7rocprim17ROCPRIM_400000_NS6detail17trampoline_kernelINS0_14default_configENS1_33run_length_encode_config_selectorImjNS0_4plusIjEEEEZZNS1_33reduce_by_key_impl_wrapped_configILNS1_25lookback_scan_determinismE0ES3_S7_PKmNS0_17constant_iteratorIjlEEPmPlSF_S6_NS0_8equal_toImEEEE10hipError_tPvRmT2_T3_mT4_T5_T6_T7_T8_P12ihipStream_tbENKUlT_T0_E_clISt17integral_constantIbLb0EESZ_EEDaSU_SV_EUlSU_E_NS1_11comp_targetILNS1_3genE4ELNS1_11target_archE910ELNS1_3gpuE8ELNS1_3repE0EEENS1_30default_config_static_selectorELNS0_4arch9wavefront6targetE1EEEvT1_,comdat
	.protected	_ZN7rocprim17ROCPRIM_400000_NS6detail17trampoline_kernelINS0_14default_configENS1_33run_length_encode_config_selectorImjNS0_4plusIjEEEEZZNS1_33reduce_by_key_impl_wrapped_configILNS1_25lookback_scan_determinismE0ES3_S7_PKmNS0_17constant_iteratorIjlEEPmPlSF_S6_NS0_8equal_toImEEEE10hipError_tPvRmT2_T3_mT4_T5_T6_T7_T8_P12ihipStream_tbENKUlT_T0_E_clISt17integral_constantIbLb0EESZ_EEDaSU_SV_EUlSU_E_NS1_11comp_targetILNS1_3genE4ELNS1_11target_archE910ELNS1_3gpuE8ELNS1_3repE0EEENS1_30default_config_static_selectorELNS0_4arch9wavefront6targetE1EEEvT1_ ; -- Begin function _ZN7rocprim17ROCPRIM_400000_NS6detail17trampoline_kernelINS0_14default_configENS1_33run_length_encode_config_selectorImjNS0_4plusIjEEEEZZNS1_33reduce_by_key_impl_wrapped_configILNS1_25lookback_scan_determinismE0ES3_S7_PKmNS0_17constant_iteratorIjlEEPmPlSF_S6_NS0_8equal_toImEEEE10hipError_tPvRmT2_T3_mT4_T5_T6_T7_T8_P12ihipStream_tbENKUlT_T0_E_clISt17integral_constantIbLb0EESZ_EEDaSU_SV_EUlSU_E_NS1_11comp_targetILNS1_3genE4ELNS1_11target_archE910ELNS1_3gpuE8ELNS1_3repE0EEENS1_30default_config_static_selectorELNS0_4arch9wavefront6targetE1EEEvT1_
	.globl	_ZN7rocprim17ROCPRIM_400000_NS6detail17trampoline_kernelINS0_14default_configENS1_33run_length_encode_config_selectorImjNS0_4plusIjEEEEZZNS1_33reduce_by_key_impl_wrapped_configILNS1_25lookback_scan_determinismE0ES3_S7_PKmNS0_17constant_iteratorIjlEEPmPlSF_S6_NS0_8equal_toImEEEE10hipError_tPvRmT2_T3_mT4_T5_T6_T7_T8_P12ihipStream_tbENKUlT_T0_E_clISt17integral_constantIbLb0EESZ_EEDaSU_SV_EUlSU_E_NS1_11comp_targetILNS1_3genE4ELNS1_11target_archE910ELNS1_3gpuE8ELNS1_3repE0EEENS1_30default_config_static_selectorELNS0_4arch9wavefront6targetE1EEEvT1_
	.p2align	8
	.type	_ZN7rocprim17ROCPRIM_400000_NS6detail17trampoline_kernelINS0_14default_configENS1_33run_length_encode_config_selectorImjNS0_4plusIjEEEEZZNS1_33reduce_by_key_impl_wrapped_configILNS1_25lookback_scan_determinismE0ES3_S7_PKmNS0_17constant_iteratorIjlEEPmPlSF_S6_NS0_8equal_toImEEEE10hipError_tPvRmT2_T3_mT4_T5_T6_T7_T8_P12ihipStream_tbENKUlT_T0_E_clISt17integral_constantIbLb0EESZ_EEDaSU_SV_EUlSU_E_NS1_11comp_targetILNS1_3genE4ELNS1_11target_archE910ELNS1_3gpuE8ELNS1_3repE0EEENS1_30default_config_static_selectorELNS0_4arch9wavefront6targetE1EEEvT1_,@function
_ZN7rocprim17ROCPRIM_400000_NS6detail17trampoline_kernelINS0_14default_configENS1_33run_length_encode_config_selectorImjNS0_4plusIjEEEEZZNS1_33reduce_by_key_impl_wrapped_configILNS1_25lookback_scan_determinismE0ES3_S7_PKmNS0_17constant_iteratorIjlEEPmPlSF_S6_NS0_8equal_toImEEEE10hipError_tPvRmT2_T3_mT4_T5_T6_T7_T8_P12ihipStream_tbENKUlT_T0_E_clISt17integral_constantIbLb0EESZ_EEDaSU_SV_EUlSU_E_NS1_11comp_targetILNS1_3genE4ELNS1_11target_archE910ELNS1_3gpuE8ELNS1_3repE0EEENS1_30default_config_static_selectorELNS0_4arch9wavefront6targetE1EEEvT1_: ; @_ZN7rocprim17ROCPRIM_400000_NS6detail17trampoline_kernelINS0_14default_configENS1_33run_length_encode_config_selectorImjNS0_4plusIjEEEEZZNS1_33reduce_by_key_impl_wrapped_configILNS1_25lookback_scan_determinismE0ES3_S7_PKmNS0_17constant_iteratorIjlEEPmPlSF_S6_NS0_8equal_toImEEEE10hipError_tPvRmT2_T3_mT4_T5_T6_T7_T8_P12ihipStream_tbENKUlT_T0_E_clISt17integral_constantIbLb0EESZ_EEDaSU_SV_EUlSU_E_NS1_11comp_targetILNS1_3genE4ELNS1_11target_archE910ELNS1_3gpuE8ELNS1_3repE0EEENS1_30default_config_static_selectorELNS0_4arch9wavefront6targetE1EEEvT1_
; %bb.0:
	.section	.rodata,"a",@progbits
	.p2align	6, 0x0
	.amdhsa_kernel _ZN7rocprim17ROCPRIM_400000_NS6detail17trampoline_kernelINS0_14default_configENS1_33run_length_encode_config_selectorImjNS0_4plusIjEEEEZZNS1_33reduce_by_key_impl_wrapped_configILNS1_25lookback_scan_determinismE0ES3_S7_PKmNS0_17constant_iteratorIjlEEPmPlSF_S6_NS0_8equal_toImEEEE10hipError_tPvRmT2_T3_mT4_T5_T6_T7_T8_P12ihipStream_tbENKUlT_T0_E_clISt17integral_constantIbLb0EESZ_EEDaSU_SV_EUlSU_E_NS1_11comp_targetILNS1_3genE4ELNS1_11target_archE910ELNS1_3gpuE8ELNS1_3repE0EEENS1_30default_config_static_selectorELNS0_4arch9wavefront6targetE1EEEvT1_
		.amdhsa_group_segment_fixed_size 0
		.amdhsa_private_segment_fixed_size 0
		.amdhsa_kernarg_size 128
		.amdhsa_user_sgpr_count 2
		.amdhsa_user_sgpr_dispatch_ptr 0
		.amdhsa_user_sgpr_queue_ptr 0
		.amdhsa_user_sgpr_kernarg_segment_ptr 1
		.amdhsa_user_sgpr_dispatch_id 0
		.amdhsa_user_sgpr_kernarg_preload_length 0
		.amdhsa_user_sgpr_kernarg_preload_offset 0
		.amdhsa_user_sgpr_private_segment_size 0
		.amdhsa_uses_dynamic_stack 0
		.amdhsa_enable_private_segment 0
		.amdhsa_system_sgpr_workgroup_id_x 1
		.amdhsa_system_sgpr_workgroup_id_y 0
		.amdhsa_system_sgpr_workgroup_id_z 0
		.amdhsa_system_sgpr_workgroup_info 0
		.amdhsa_system_vgpr_workitem_id 0
		.amdhsa_next_free_vgpr 1
		.amdhsa_next_free_sgpr 0
		.amdhsa_accum_offset 4
		.amdhsa_reserve_vcc 0
		.amdhsa_float_round_mode_32 0
		.amdhsa_float_round_mode_16_64 0
		.amdhsa_float_denorm_mode_32 3
		.amdhsa_float_denorm_mode_16_64 3
		.amdhsa_dx10_clamp 1
		.amdhsa_ieee_mode 1
		.amdhsa_fp16_overflow 0
		.amdhsa_tg_split 0
		.amdhsa_exception_fp_ieee_invalid_op 0
		.amdhsa_exception_fp_denorm_src 0
		.amdhsa_exception_fp_ieee_div_zero 0
		.amdhsa_exception_fp_ieee_overflow 0
		.amdhsa_exception_fp_ieee_underflow 0
		.amdhsa_exception_fp_ieee_inexact 0
		.amdhsa_exception_int_div_zero 0
	.end_amdhsa_kernel
	.section	.text._ZN7rocprim17ROCPRIM_400000_NS6detail17trampoline_kernelINS0_14default_configENS1_33run_length_encode_config_selectorImjNS0_4plusIjEEEEZZNS1_33reduce_by_key_impl_wrapped_configILNS1_25lookback_scan_determinismE0ES3_S7_PKmNS0_17constant_iteratorIjlEEPmPlSF_S6_NS0_8equal_toImEEEE10hipError_tPvRmT2_T3_mT4_T5_T6_T7_T8_P12ihipStream_tbENKUlT_T0_E_clISt17integral_constantIbLb0EESZ_EEDaSU_SV_EUlSU_E_NS1_11comp_targetILNS1_3genE4ELNS1_11target_archE910ELNS1_3gpuE8ELNS1_3repE0EEENS1_30default_config_static_selectorELNS0_4arch9wavefront6targetE1EEEvT1_,"axG",@progbits,_ZN7rocprim17ROCPRIM_400000_NS6detail17trampoline_kernelINS0_14default_configENS1_33run_length_encode_config_selectorImjNS0_4plusIjEEEEZZNS1_33reduce_by_key_impl_wrapped_configILNS1_25lookback_scan_determinismE0ES3_S7_PKmNS0_17constant_iteratorIjlEEPmPlSF_S6_NS0_8equal_toImEEEE10hipError_tPvRmT2_T3_mT4_T5_T6_T7_T8_P12ihipStream_tbENKUlT_T0_E_clISt17integral_constantIbLb0EESZ_EEDaSU_SV_EUlSU_E_NS1_11comp_targetILNS1_3genE4ELNS1_11target_archE910ELNS1_3gpuE8ELNS1_3repE0EEENS1_30default_config_static_selectorELNS0_4arch9wavefront6targetE1EEEvT1_,comdat
.Lfunc_end720:
	.size	_ZN7rocprim17ROCPRIM_400000_NS6detail17trampoline_kernelINS0_14default_configENS1_33run_length_encode_config_selectorImjNS0_4plusIjEEEEZZNS1_33reduce_by_key_impl_wrapped_configILNS1_25lookback_scan_determinismE0ES3_S7_PKmNS0_17constant_iteratorIjlEEPmPlSF_S6_NS0_8equal_toImEEEE10hipError_tPvRmT2_T3_mT4_T5_T6_T7_T8_P12ihipStream_tbENKUlT_T0_E_clISt17integral_constantIbLb0EESZ_EEDaSU_SV_EUlSU_E_NS1_11comp_targetILNS1_3genE4ELNS1_11target_archE910ELNS1_3gpuE8ELNS1_3repE0EEENS1_30default_config_static_selectorELNS0_4arch9wavefront6targetE1EEEvT1_, .Lfunc_end720-_ZN7rocprim17ROCPRIM_400000_NS6detail17trampoline_kernelINS0_14default_configENS1_33run_length_encode_config_selectorImjNS0_4plusIjEEEEZZNS1_33reduce_by_key_impl_wrapped_configILNS1_25lookback_scan_determinismE0ES3_S7_PKmNS0_17constant_iteratorIjlEEPmPlSF_S6_NS0_8equal_toImEEEE10hipError_tPvRmT2_T3_mT4_T5_T6_T7_T8_P12ihipStream_tbENKUlT_T0_E_clISt17integral_constantIbLb0EESZ_EEDaSU_SV_EUlSU_E_NS1_11comp_targetILNS1_3genE4ELNS1_11target_archE910ELNS1_3gpuE8ELNS1_3repE0EEENS1_30default_config_static_selectorELNS0_4arch9wavefront6targetE1EEEvT1_
                                        ; -- End function
	.section	.AMDGPU.csdata,"",@progbits
; Kernel info:
; codeLenInByte = 0
; NumSgprs: 6
; NumVgprs: 0
; NumAgprs: 0
; TotalNumVgprs: 0
; ScratchSize: 0
; MemoryBound: 0
; FloatMode: 240
; IeeeMode: 1
; LDSByteSize: 0 bytes/workgroup (compile time only)
; SGPRBlocks: 0
; VGPRBlocks: 0
; NumSGPRsForWavesPerEU: 6
; NumVGPRsForWavesPerEU: 1
; AccumOffset: 4
; Occupancy: 8
; WaveLimiterHint : 0
; COMPUTE_PGM_RSRC2:SCRATCH_EN: 0
; COMPUTE_PGM_RSRC2:USER_SGPR: 2
; COMPUTE_PGM_RSRC2:TRAP_HANDLER: 0
; COMPUTE_PGM_RSRC2:TGID_X_EN: 1
; COMPUTE_PGM_RSRC2:TGID_Y_EN: 0
; COMPUTE_PGM_RSRC2:TGID_Z_EN: 0
; COMPUTE_PGM_RSRC2:TIDIG_COMP_CNT: 0
; COMPUTE_PGM_RSRC3_GFX90A:ACCUM_OFFSET: 0
; COMPUTE_PGM_RSRC3_GFX90A:TG_SPLIT: 0
	.section	.text._ZN7rocprim17ROCPRIM_400000_NS6detail17trampoline_kernelINS0_14default_configENS1_33run_length_encode_config_selectorImjNS0_4plusIjEEEEZZNS1_33reduce_by_key_impl_wrapped_configILNS1_25lookback_scan_determinismE0ES3_S7_PKmNS0_17constant_iteratorIjlEEPmPlSF_S6_NS0_8equal_toImEEEE10hipError_tPvRmT2_T3_mT4_T5_T6_T7_T8_P12ihipStream_tbENKUlT_T0_E_clISt17integral_constantIbLb0EESZ_EEDaSU_SV_EUlSU_E_NS1_11comp_targetILNS1_3genE3ELNS1_11target_archE908ELNS1_3gpuE7ELNS1_3repE0EEENS1_30default_config_static_selectorELNS0_4arch9wavefront6targetE1EEEvT1_,"axG",@progbits,_ZN7rocprim17ROCPRIM_400000_NS6detail17trampoline_kernelINS0_14default_configENS1_33run_length_encode_config_selectorImjNS0_4plusIjEEEEZZNS1_33reduce_by_key_impl_wrapped_configILNS1_25lookback_scan_determinismE0ES3_S7_PKmNS0_17constant_iteratorIjlEEPmPlSF_S6_NS0_8equal_toImEEEE10hipError_tPvRmT2_T3_mT4_T5_T6_T7_T8_P12ihipStream_tbENKUlT_T0_E_clISt17integral_constantIbLb0EESZ_EEDaSU_SV_EUlSU_E_NS1_11comp_targetILNS1_3genE3ELNS1_11target_archE908ELNS1_3gpuE7ELNS1_3repE0EEENS1_30default_config_static_selectorELNS0_4arch9wavefront6targetE1EEEvT1_,comdat
	.protected	_ZN7rocprim17ROCPRIM_400000_NS6detail17trampoline_kernelINS0_14default_configENS1_33run_length_encode_config_selectorImjNS0_4plusIjEEEEZZNS1_33reduce_by_key_impl_wrapped_configILNS1_25lookback_scan_determinismE0ES3_S7_PKmNS0_17constant_iteratorIjlEEPmPlSF_S6_NS0_8equal_toImEEEE10hipError_tPvRmT2_T3_mT4_T5_T6_T7_T8_P12ihipStream_tbENKUlT_T0_E_clISt17integral_constantIbLb0EESZ_EEDaSU_SV_EUlSU_E_NS1_11comp_targetILNS1_3genE3ELNS1_11target_archE908ELNS1_3gpuE7ELNS1_3repE0EEENS1_30default_config_static_selectorELNS0_4arch9wavefront6targetE1EEEvT1_ ; -- Begin function _ZN7rocprim17ROCPRIM_400000_NS6detail17trampoline_kernelINS0_14default_configENS1_33run_length_encode_config_selectorImjNS0_4plusIjEEEEZZNS1_33reduce_by_key_impl_wrapped_configILNS1_25lookback_scan_determinismE0ES3_S7_PKmNS0_17constant_iteratorIjlEEPmPlSF_S6_NS0_8equal_toImEEEE10hipError_tPvRmT2_T3_mT4_T5_T6_T7_T8_P12ihipStream_tbENKUlT_T0_E_clISt17integral_constantIbLb0EESZ_EEDaSU_SV_EUlSU_E_NS1_11comp_targetILNS1_3genE3ELNS1_11target_archE908ELNS1_3gpuE7ELNS1_3repE0EEENS1_30default_config_static_selectorELNS0_4arch9wavefront6targetE1EEEvT1_
	.globl	_ZN7rocprim17ROCPRIM_400000_NS6detail17trampoline_kernelINS0_14default_configENS1_33run_length_encode_config_selectorImjNS0_4plusIjEEEEZZNS1_33reduce_by_key_impl_wrapped_configILNS1_25lookback_scan_determinismE0ES3_S7_PKmNS0_17constant_iteratorIjlEEPmPlSF_S6_NS0_8equal_toImEEEE10hipError_tPvRmT2_T3_mT4_T5_T6_T7_T8_P12ihipStream_tbENKUlT_T0_E_clISt17integral_constantIbLb0EESZ_EEDaSU_SV_EUlSU_E_NS1_11comp_targetILNS1_3genE3ELNS1_11target_archE908ELNS1_3gpuE7ELNS1_3repE0EEENS1_30default_config_static_selectorELNS0_4arch9wavefront6targetE1EEEvT1_
	.p2align	8
	.type	_ZN7rocprim17ROCPRIM_400000_NS6detail17trampoline_kernelINS0_14default_configENS1_33run_length_encode_config_selectorImjNS0_4plusIjEEEEZZNS1_33reduce_by_key_impl_wrapped_configILNS1_25lookback_scan_determinismE0ES3_S7_PKmNS0_17constant_iteratorIjlEEPmPlSF_S6_NS0_8equal_toImEEEE10hipError_tPvRmT2_T3_mT4_T5_T6_T7_T8_P12ihipStream_tbENKUlT_T0_E_clISt17integral_constantIbLb0EESZ_EEDaSU_SV_EUlSU_E_NS1_11comp_targetILNS1_3genE3ELNS1_11target_archE908ELNS1_3gpuE7ELNS1_3repE0EEENS1_30default_config_static_selectorELNS0_4arch9wavefront6targetE1EEEvT1_,@function
_ZN7rocprim17ROCPRIM_400000_NS6detail17trampoline_kernelINS0_14default_configENS1_33run_length_encode_config_selectorImjNS0_4plusIjEEEEZZNS1_33reduce_by_key_impl_wrapped_configILNS1_25lookback_scan_determinismE0ES3_S7_PKmNS0_17constant_iteratorIjlEEPmPlSF_S6_NS0_8equal_toImEEEE10hipError_tPvRmT2_T3_mT4_T5_T6_T7_T8_P12ihipStream_tbENKUlT_T0_E_clISt17integral_constantIbLb0EESZ_EEDaSU_SV_EUlSU_E_NS1_11comp_targetILNS1_3genE3ELNS1_11target_archE908ELNS1_3gpuE7ELNS1_3repE0EEENS1_30default_config_static_selectorELNS0_4arch9wavefront6targetE1EEEvT1_: ; @_ZN7rocprim17ROCPRIM_400000_NS6detail17trampoline_kernelINS0_14default_configENS1_33run_length_encode_config_selectorImjNS0_4plusIjEEEEZZNS1_33reduce_by_key_impl_wrapped_configILNS1_25lookback_scan_determinismE0ES3_S7_PKmNS0_17constant_iteratorIjlEEPmPlSF_S6_NS0_8equal_toImEEEE10hipError_tPvRmT2_T3_mT4_T5_T6_T7_T8_P12ihipStream_tbENKUlT_T0_E_clISt17integral_constantIbLb0EESZ_EEDaSU_SV_EUlSU_E_NS1_11comp_targetILNS1_3genE3ELNS1_11target_archE908ELNS1_3gpuE7ELNS1_3repE0EEENS1_30default_config_static_selectorELNS0_4arch9wavefront6targetE1EEEvT1_
; %bb.0:
	.section	.rodata,"a",@progbits
	.p2align	6, 0x0
	.amdhsa_kernel _ZN7rocprim17ROCPRIM_400000_NS6detail17trampoline_kernelINS0_14default_configENS1_33run_length_encode_config_selectorImjNS0_4plusIjEEEEZZNS1_33reduce_by_key_impl_wrapped_configILNS1_25lookback_scan_determinismE0ES3_S7_PKmNS0_17constant_iteratorIjlEEPmPlSF_S6_NS0_8equal_toImEEEE10hipError_tPvRmT2_T3_mT4_T5_T6_T7_T8_P12ihipStream_tbENKUlT_T0_E_clISt17integral_constantIbLb0EESZ_EEDaSU_SV_EUlSU_E_NS1_11comp_targetILNS1_3genE3ELNS1_11target_archE908ELNS1_3gpuE7ELNS1_3repE0EEENS1_30default_config_static_selectorELNS0_4arch9wavefront6targetE1EEEvT1_
		.amdhsa_group_segment_fixed_size 0
		.amdhsa_private_segment_fixed_size 0
		.amdhsa_kernarg_size 128
		.amdhsa_user_sgpr_count 2
		.amdhsa_user_sgpr_dispatch_ptr 0
		.amdhsa_user_sgpr_queue_ptr 0
		.amdhsa_user_sgpr_kernarg_segment_ptr 1
		.amdhsa_user_sgpr_dispatch_id 0
		.amdhsa_user_sgpr_kernarg_preload_length 0
		.amdhsa_user_sgpr_kernarg_preload_offset 0
		.amdhsa_user_sgpr_private_segment_size 0
		.amdhsa_uses_dynamic_stack 0
		.amdhsa_enable_private_segment 0
		.amdhsa_system_sgpr_workgroup_id_x 1
		.amdhsa_system_sgpr_workgroup_id_y 0
		.amdhsa_system_sgpr_workgroup_id_z 0
		.amdhsa_system_sgpr_workgroup_info 0
		.amdhsa_system_vgpr_workitem_id 0
		.amdhsa_next_free_vgpr 1
		.amdhsa_next_free_sgpr 0
		.amdhsa_accum_offset 4
		.amdhsa_reserve_vcc 0
		.amdhsa_float_round_mode_32 0
		.amdhsa_float_round_mode_16_64 0
		.amdhsa_float_denorm_mode_32 3
		.amdhsa_float_denorm_mode_16_64 3
		.amdhsa_dx10_clamp 1
		.amdhsa_ieee_mode 1
		.amdhsa_fp16_overflow 0
		.amdhsa_tg_split 0
		.amdhsa_exception_fp_ieee_invalid_op 0
		.amdhsa_exception_fp_denorm_src 0
		.amdhsa_exception_fp_ieee_div_zero 0
		.amdhsa_exception_fp_ieee_overflow 0
		.amdhsa_exception_fp_ieee_underflow 0
		.amdhsa_exception_fp_ieee_inexact 0
		.amdhsa_exception_int_div_zero 0
	.end_amdhsa_kernel
	.section	.text._ZN7rocprim17ROCPRIM_400000_NS6detail17trampoline_kernelINS0_14default_configENS1_33run_length_encode_config_selectorImjNS0_4plusIjEEEEZZNS1_33reduce_by_key_impl_wrapped_configILNS1_25lookback_scan_determinismE0ES3_S7_PKmNS0_17constant_iteratorIjlEEPmPlSF_S6_NS0_8equal_toImEEEE10hipError_tPvRmT2_T3_mT4_T5_T6_T7_T8_P12ihipStream_tbENKUlT_T0_E_clISt17integral_constantIbLb0EESZ_EEDaSU_SV_EUlSU_E_NS1_11comp_targetILNS1_3genE3ELNS1_11target_archE908ELNS1_3gpuE7ELNS1_3repE0EEENS1_30default_config_static_selectorELNS0_4arch9wavefront6targetE1EEEvT1_,"axG",@progbits,_ZN7rocprim17ROCPRIM_400000_NS6detail17trampoline_kernelINS0_14default_configENS1_33run_length_encode_config_selectorImjNS0_4plusIjEEEEZZNS1_33reduce_by_key_impl_wrapped_configILNS1_25lookback_scan_determinismE0ES3_S7_PKmNS0_17constant_iteratorIjlEEPmPlSF_S6_NS0_8equal_toImEEEE10hipError_tPvRmT2_T3_mT4_T5_T6_T7_T8_P12ihipStream_tbENKUlT_T0_E_clISt17integral_constantIbLb0EESZ_EEDaSU_SV_EUlSU_E_NS1_11comp_targetILNS1_3genE3ELNS1_11target_archE908ELNS1_3gpuE7ELNS1_3repE0EEENS1_30default_config_static_selectorELNS0_4arch9wavefront6targetE1EEEvT1_,comdat
.Lfunc_end721:
	.size	_ZN7rocprim17ROCPRIM_400000_NS6detail17trampoline_kernelINS0_14default_configENS1_33run_length_encode_config_selectorImjNS0_4plusIjEEEEZZNS1_33reduce_by_key_impl_wrapped_configILNS1_25lookback_scan_determinismE0ES3_S7_PKmNS0_17constant_iteratorIjlEEPmPlSF_S6_NS0_8equal_toImEEEE10hipError_tPvRmT2_T3_mT4_T5_T6_T7_T8_P12ihipStream_tbENKUlT_T0_E_clISt17integral_constantIbLb0EESZ_EEDaSU_SV_EUlSU_E_NS1_11comp_targetILNS1_3genE3ELNS1_11target_archE908ELNS1_3gpuE7ELNS1_3repE0EEENS1_30default_config_static_selectorELNS0_4arch9wavefront6targetE1EEEvT1_, .Lfunc_end721-_ZN7rocprim17ROCPRIM_400000_NS6detail17trampoline_kernelINS0_14default_configENS1_33run_length_encode_config_selectorImjNS0_4plusIjEEEEZZNS1_33reduce_by_key_impl_wrapped_configILNS1_25lookback_scan_determinismE0ES3_S7_PKmNS0_17constant_iteratorIjlEEPmPlSF_S6_NS0_8equal_toImEEEE10hipError_tPvRmT2_T3_mT4_T5_T6_T7_T8_P12ihipStream_tbENKUlT_T0_E_clISt17integral_constantIbLb0EESZ_EEDaSU_SV_EUlSU_E_NS1_11comp_targetILNS1_3genE3ELNS1_11target_archE908ELNS1_3gpuE7ELNS1_3repE0EEENS1_30default_config_static_selectorELNS0_4arch9wavefront6targetE1EEEvT1_
                                        ; -- End function
	.section	.AMDGPU.csdata,"",@progbits
; Kernel info:
; codeLenInByte = 0
; NumSgprs: 6
; NumVgprs: 0
; NumAgprs: 0
; TotalNumVgprs: 0
; ScratchSize: 0
; MemoryBound: 0
; FloatMode: 240
; IeeeMode: 1
; LDSByteSize: 0 bytes/workgroup (compile time only)
; SGPRBlocks: 0
; VGPRBlocks: 0
; NumSGPRsForWavesPerEU: 6
; NumVGPRsForWavesPerEU: 1
; AccumOffset: 4
; Occupancy: 8
; WaveLimiterHint : 0
; COMPUTE_PGM_RSRC2:SCRATCH_EN: 0
; COMPUTE_PGM_RSRC2:USER_SGPR: 2
; COMPUTE_PGM_RSRC2:TRAP_HANDLER: 0
; COMPUTE_PGM_RSRC2:TGID_X_EN: 1
; COMPUTE_PGM_RSRC2:TGID_Y_EN: 0
; COMPUTE_PGM_RSRC2:TGID_Z_EN: 0
; COMPUTE_PGM_RSRC2:TIDIG_COMP_CNT: 0
; COMPUTE_PGM_RSRC3_GFX90A:ACCUM_OFFSET: 0
; COMPUTE_PGM_RSRC3_GFX90A:TG_SPLIT: 0
	.section	.text._ZN7rocprim17ROCPRIM_400000_NS6detail17trampoline_kernelINS0_14default_configENS1_33run_length_encode_config_selectorImjNS0_4plusIjEEEEZZNS1_33reduce_by_key_impl_wrapped_configILNS1_25lookback_scan_determinismE0ES3_S7_PKmNS0_17constant_iteratorIjlEEPmPlSF_S6_NS0_8equal_toImEEEE10hipError_tPvRmT2_T3_mT4_T5_T6_T7_T8_P12ihipStream_tbENKUlT_T0_E_clISt17integral_constantIbLb0EESZ_EEDaSU_SV_EUlSU_E_NS1_11comp_targetILNS1_3genE2ELNS1_11target_archE906ELNS1_3gpuE6ELNS1_3repE0EEENS1_30default_config_static_selectorELNS0_4arch9wavefront6targetE1EEEvT1_,"axG",@progbits,_ZN7rocprim17ROCPRIM_400000_NS6detail17trampoline_kernelINS0_14default_configENS1_33run_length_encode_config_selectorImjNS0_4plusIjEEEEZZNS1_33reduce_by_key_impl_wrapped_configILNS1_25lookback_scan_determinismE0ES3_S7_PKmNS0_17constant_iteratorIjlEEPmPlSF_S6_NS0_8equal_toImEEEE10hipError_tPvRmT2_T3_mT4_T5_T6_T7_T8_P12ihipStream_tbENKUlT_T0_E_clISt17integral_constantIbLb0EESZ_EEDaSU_SV_EUlSU_E_NS1_11comp_targetILNS1_3genE2ELNS1_11target_archE906ELNS1_3gpuE6ELNS1_3repE0EEENS1_30default_config_static_selectorELNS0_4arch9wavefront6targetE1EEEvT1_,comdat
	.protected	_ZN7rocprim17ROCPRIM_400000_NS6detail17trampoline_kernelINS0_14default_configENS1_33run_length_encode_config_selectorImjNS0_4plusIjEEEEZZNS1_33reduce_by_key_impl_wrapped_configILNS1_25lookback_scan_determinismE0ES3_S7_PKmNS0_17constant_iteratorIjlEEPmPlSF_S6_NS0_8equal_toImEEEE10hipError_tPvRmT2_T3_mT4_T5_T6_T7_T8_P12ihipStream_tbENKUlT_T0_E_clISt17integral_constantIbLb0EESZ_EEDaSU_SV_EUlSU_E_NS1_11comp_targetILNS1_3genE2ELNS1_11target_archE906ELNS1_3gpuE6ELNS1_3repE0EEENS1_30default_config_static_selectorELNS0_4arch9wavefront6targetE1EEEvT1_ ; -- Begin function _ZN7rocprim17ROCPRIM_400000_NS6detail17trampoline_kernelINS0_14default_configENS1_33run_length_encode_config_selectorImjNS0_4plusIjEEEEZZNS1_33reduce_by_key_impl_wrapped_configILNS1_25lookback_scan_determinismE0ES3_S7_PKmNS0_17constant_iteratorIjlEEPmPlSF_S6_NS0_8equal_toImEEEE10hipError_tPvRmT2_T3_mT4_T5_T6_T7_T8_P12ihipStream_tbENKUlT_T0_E_clISt17integral_constantIbLb0EESZ_EEDaSU_SV_EUlSU_E_NS1_11comp_targetILNS1_3genE2ELNS1_11target_archE906ELNS1_3gpuE6ELNS1_3repE0EEENS1_30default_config_static_selectorELNS0_4arch9wavefront6targetE1EEEvT1_
	.globl	_ZN7rocprim17ROCPRIM_400000_NS6detail17trampoline_kernelINS0_14default_configENS1_33run_length_encode_config_selectorImjNS0_4plusIjEEEEZZNS1_33reduce_by_key_impl_wrapped_configILNS1_25lookback_scan_determinismE0ES3_S7_PKmNS0_17constant_iteratorIjlEEPmPlSF_S6_NS0_8equal_toImEEEE10hipError_tPvRmT2_T3_mT4_T5_T6_T7_T8_P12ihipStream_tbENKUlT_T0_E_clISt17integral_constantIbLb0EESZ_EEDaSU_SV_EUlSU_E_NS1_11comp_targetILNS1_3genE2ELNS1_11target_archE906ELNS1_3gpuE6ELNS1_3repE0EEENS1_30default_config_static_selectorELNS0_4arch9wavefront6targetE1EEEvT1_
	.p2align	8
	.type	_ZN7rocprim17ROCPRIM_400000_NS6detail17trampoline_kernelINS0_14default_configENS1_33run_length_encode_config_selectorImjNS0_4plusIjEEEEZZNS1_33reduce_by_key_impl_wrapped_configILNS1_25lookback_scan_determinismE0ES3_S7_PKmNS0_17constant_iteratorIjlEEPmPlSF_S6_NS0_8equal_toImEEEE10hipError_tPvRmT2_T3_mT4_T5_T6_T7_T8_P12ihipStream_tbENKUlT_T0_E_clISt17integral_constantIbLb0EESZ_EEDaSU_SV_EUlSU_E_NS1_11comp_targetILNS1_3genE2ELNS1_11target_archE906ELNS1_3gpuE6ELNS1_3repE0EEENS1_30default_config_static_selectorELNS0_4arch9wavefront6targetE1EEEvT1_,@function
_ZN7rocprim17ROCPRIM_400000_NS6detail17trampoline_kernelINS0_14default_configENS1_33run_length_encode_config_selectorImjNS0_4plusIjEEEEZZNS1_33reduce_by_key_impl_wrapped_configILNS1_25lookback_scan_determinismE0ES3_S7_PKmNS0_17constant_iteratorIjlEEPmPlSF_S6_NS0_8equal_toImEEEE10hipError_tPvRmT2_T3_mT4_T5_T6_T7_T8_P12ihipStream_tbENKUlT_T0_E_clISt17integral_constantIbLb0EESZ_EEDaSU_SV_EUlSU_E_NS1_11comp_targetILNS1_3genE2ELNS1_11target_archE906ELNS1_3gpuE6ELNS1_3repE0EEENS1_30default_config_static_selectorELNS0_4arch9wavefront6targetE1EEEvT1_: ; @_ZN7rocprim17ROCPRIM_400000_NS6detail17trampoline_kernelINS0_14default_configENS1_33run_length_encode_config_selectorImjNS0_4plusIjEEEEZZNS1_33reduce_by_key_impl_wrapped_configILNS1_25lookback_scan_determinismE0ES3_S7_PKmNS0_17constant_iteratorIjlEEPmPlSF_S6_NS0_8equal_toImEEEE10hipError_tPvRmT2_T3_mT4_T5_T6_T7_T8_P12ihipStream_tbENKUlT_T0_E_clISt17integral_constantIbLb0EESZ_EEDaSU_SV_EUlSU_E_NS1_11comp_targetILNS1_3genE2ELNS1_11target_archE906ELNS1_3gpuE6ELNS1_3repE0EEENS1_30default_config_static_selectorELNS0_4arch9wavefront6targetE1EEEvT1_
; %bb.0:
	.section	.rodata,"a",@progbits
	.p2align	6, 0x0
	.amdhsa_kernel _ZN7rocprim17ROCPRIM_400000_NS6detail17trampoline_kernelINS0_14default_configENS1_33run_length_encode_config_selectorImjNS0_4plusIjEEEEZZNS1_33reduce_by_key_impl_wrapped_configILNS1_25lookback_scan_determinismE0ES3_S7_PKmNS0_17constant_iteratorIjlEEPmPlSF_S6_NS0_8equal_toImEEEE10hipError_tPvRmT2_T3_mT4_T5_T6_T7_T8_P12ihipStream_tbENKUlT_T0_E_clISt17integral_constantIbLb0EESZ_EEDaSU_SV_EUlSU_E_NS1_11comp_targetILNS1_3genE2ELNS1_11target_archE906ELNS1_3gpuE6ELNS1_3repE0EEENS1_30default_config_static_selectorELNS0_4arch9wavefront6targetE1EEEvT1_
		.amdhsa_group_segment_fixed_size 0
		.amdhsa_private_segment_fixed_size 0
		.amdhsa_kernarg_size 128
		.amdhsa_user_sgpr_count 2
		.amdhsa_user_sgpr_dispatch_ptr 0
		.amdhsa_user_sgpr_queue_ptr 0
		.amdhsa_user_sgpr_kernarg_segment_ptr 1
		.amdhsa_user_sgpr_dispatch_id 0
		.amdhsa_user_sgpr_kernarg_preload_length 0
		.amdhsa_user_sgpr_kernarg_preload_offset 0
		.amdhsa_user_sgpr_private_segment_size 0
		.amdhsa_uses_dynamic_stack 0
		.amdhsa_enable_private_segment 0
		.amdhsa_system_sgpr_workgroup_id_x 1
		.amdhsa_system_sgpr_workgroup_id_y 0
		.amdhsa_system_sgpr_workgroup_id_z 0
		.amdhsa_system_sgpr_workgroup_info 0
		.amdhsa_system_vgpr_workitem_id 0
		.amdhsa_next_free_vgpr 1
		.amdhsa_next_free_sgpr 0
		.amdhsa_accum_offset 4
		.amdhsa_reserve_vcc 0
		.amdhsa_float_round_mode_32 0
		.amdhsa_float_round_mode_16_64 0
		.amdhsa_float_denorm_mode_32 3
		.amdhsa_float_denorm_mode_16_64 3
		.amdhsa_dx10_clamp 1
		.amdhsa_ieee_mode 1
		.amdhsa_fp16_overflow 0
		.amdhsa_tg_split 0
		.amdhsa_exception_fp_ieee_invalid_op 0
		.amdhsa_exception_fp_denorm_src 0
		.amdhsa_exception_fp_ieee_div_zero 0
		.amdhsa_exception_fp_ieee_overflow 0
		.amdhsa_exception_fp_ieee_underflow 0
		.amdhsa_exception_fp_ieee_inexact 0
		.amdhsa_exception_int_div_zero 0
	.end_amdhsa_kernel
	.section	.text._ZN7rocprim17ROCPRIM_400000_NS6detail17trampoline_kernelINS0_14default_configENS1_33run_length_encode_config_selectorImjNS0_4plusIjEEEEZZNS1_33reduce_by_key_impl_wrapped_configILNS1_25lookback_scan_determinismE0ES3_S7_PKmNS0_17constant_iteratorIjlEEPmPlSF_S6_NS0_8equal_toImEEEE10hipError_tPvRmT2_T3_mT4_T5_T6_T7_T8_P12ihipStream_tbENKUlT_T0_E_clISt17integral_constantIbLb0EESZ_EEDaSU_SV_EUlSU_E_NS1_11comp_targetILNS1_3genE2ELNS1_11target_archE906ELNS1_3gpuE6ELNS1_3repE0EEENS1_30default_config_static_selectorELNS0_4arch9wavefront6targetE1EEEvT1_,"axG",@progbits,_ZN7rocprim17ROCPRIM_400000_NS6detail17trampoline_kernelINS0_14default_configENS1_33run_length_encode_config_selectorImjNS0_4plusIjEEEEZZNS1_33reduce_by_key_impl_wrapped_configILNS1_25lookback_scan_determinismE0ES3_S7_PKmNS0_17constant_iteratorIjlEEPmPlSF_S6_NS0_8equal_toImEEEE10hipError_tPvRmT2_T3_mT4_T5_T6_T7_T8_P12ihipStream_tbENKUlT_T0_E_clISt17integral_constantIbLb0EESZ_EEDaSU_SV_EUlSU_E_NS1_11comp_targetILNS1_3genE2ELNS1_11target_archE906ELNS1_3gpuE6ELNS1_3repE0EEENS1_30default_config_static_selectorELNS0_4arch9wavefront6targetE1EEEvT1_,comdat
.Lfunc_end722:
	.size	_ZN7rocprim17ROCPRIM_400000_NS6detail17trampoline_kernelINS0_14default_configENS1_33run_length_encode_config_selectorImjNS0_4plusIjEEEEZZNS1_33reduce_by_key_impl_wrapped_configILNS1_25lookback_scan_determinismE0ES3_S7_PKmNS0_17constant_iteratorIjlEEPmPlSF_S6_NS0_8equal_toImEEEE10hipError_tPvRmT2_T3_mT4_T5_T6_T7_T8_P12ihipStream_tbENKUlT_T0_E_clISt17integral_constantIbLb0EESZ_EEDaSU_SV_EUlSU_E_NS1_11comp_targetILNS1_3genE2ELNS1_11target_archE906ELNS1_3gpuE6ELNS1_3repE0EEENS1_30default_config_static_selectorELNS0_4arch9wavefront6targetE1EEEvT1_, .Lfunc_end722-_ZN7rocprim17ROCPRIM_400000_NS6detail17trampoline_kernelINS0_14default_configENS1_33run_length_encode_config_selectorImjNS0_4plusIjEEEEZZNS1_33reduce_by_key_impl_wrapped_configILNS1_25lookback_scan_determinismE0ES3_S7_PKmNS0_17constant_iteratorIjlEEPmPlSF_S6_NS0_8equal_toImEEEE10hipError_tPvRmT2_T3_mT4_T5_T6_T7_T8_P12ihipStream_tbENKUlT_T0_E_clISt17integral_constantIbLb0EESZ_EEDaSU_SV_EUlSU_E_NS1_11comp_targetILNS1_3genE2ELNS1_11target_archE906ELNS1_3gpuE6ELNS1_3repE0EEENS1_30default_config_static_selectorELNS0_4arch9wavefront6targetE1EEEvT1_
                                        ; -- End function
	.section	.AMDGPU.csdata,"",@progbits
; Kernel info:
; codeLenInByte = 0
; NumSgprs: 6
; NumVgprs: 0
; NumAgprs: 0
; TotalNumVgprs: 0
; ScratchSize: 0
; MemoryBound: 0
; FloatMode: 240
; IeeeMode: 1
; LDSByteSize: 0 bytes/workgroup (compile time only)
; SGPRBlocks: 0
; VGPRBlocks: 0
; NumSGPRsForWavesPerEU: 6
; NumVGPRsForWavesPerEU: 1
; AccumOffset: 4
; Occupancy: 8
; WaveLimiterHint : 0
; COMPUTE_PGM_RSRC2:SCRATCH_EN: 0
; COMPUTE_PGM_RSRC2:USER_SGPR: 2
; COMPUTE_PGM_RSRC2:TRAP_HANDLER: 0
; COMPUTE_PGM_RSRC2:TGID_X_EN: 1
; COMPUTE_PGM_RSRC2:TGID_Y_EN: 0
; COMPUTE_PGM_RSRC2:TGID_Z_EN: 0
; COMPUTE_PGM_RSRC2:TIDIG_COMP_CNT: 0
; COMPUTE_PGM_RSRC3_GFX90A:ACCUM_OFFSET: 0
; COMPUTE_PGM_RSRC3_GFX90A:TG_SPLIT: 0
	.section	.text._ZN7rocprim17ROCPRIM_400000_NS6detail17trampoline_kernelINS0_14default_configENS1_33run_length_encode_config_selectorImjNS0_4plusIjEEEEZZNS1_33reduce_by_key_impl_wrapped_configILNS1_25lookback_scan_determinismE0ES3_S7_PKmNS0_17constant_iteratorIjlEEPmPlSF_S6_NS0_8equal_toImEEEE10hipError_tPvRmT2_T3_mT4_T5_T6_T7_T8_P12ihipStream_tbENKUlT_T0_E_clISt17integral_constantIbLb0EESZ_EEDaSU_SV_EUlSU_E_NS1_11comp_targetILNS1_3genE10ELNS1_11target_archE1201ELNS1_3gpuE5ELNS1_3repE0EEENS1_30default_config_static_selectorELNS0_4arch9wavefront6targetE1EEEvT1_,"axG",@progbits,_ZN7rocprim17ROCPRIM_400000_NS6detail17trampoline_kernelINS0_14default_configENS1_33run_length_encode_config_selectorImjNS0_4plusIjEEEEZZNS1_33reduce_by_key_impl_wrapped_configILNS1_25lookback_scan_determinismE0ES3_S7_PKmNS0_17constant_iteratorIjlEEPmPlSF_S6_NS0_8equal_toImEEEE10hipError_tPvRmT2_T3_mT4_T5_T6_T7_T8_P12ihipStream_tbENKUlT_T0_E_clISt17integral_constantIbLb0EESZ_EEDaSU_SV_EUlSU_E_NS1_11comp_targetILNS1_3genE10ELNS1_11target_archE1201ELNS1_3gpuE5ELNS1_3repE0EEENS1_30default_config_static_selectorELNS0_4arch9wavefront6targetE1EEEvT1_,comdat
	.protected	_ZN7rocprim17ROCPRIM_400000_NS6detail17trampoline_kernelINS0_14default_configENS1_33run_length_encode_config_selectorImjNS0_4plusIjEEEEZZNS1_33reduce_by_key_impl_wrapped_configILNS1_25lookback_scan_determinismE0ES3_S7_PKmNS0_17constant_iteratorIjlEEPmPlSF_S6_NS0_8equal_toImEEEE10hipError_tPvRmT2_T3_mT4_T5_T6_T7_T8_P12ihipStream_tbENKUlT_T0_E_clISt17integral_constantIbLb0EESZ_EEDaSU_SV_EUlSU_E_NS1_11comp_targetILNS1_3genE10ELNS1_11target_archE1201ELNS1_3gpuE5ELNS1_3repE0EEENS1_30default_config_static_selectorELNS0_4arch9wavefront6targetE1EEEvT1_ ; -- Begin function _ZN7rocprim17ROCPRIM_400000_NS6detail17trampoline_kernelINS0_14default_configENS1_33run_length_encode_config_selectorImjNS0_4plusIjEEEEZZNS1_33reduce_by_key_impl_wrapped_configILNS1_25lookback_scan_determinismE0ES3_S7_PKmNS0_17constant_iteratorIjlEEPmPlSF_S6_NS0_8equal_toImEEEE10hipError_tPvRmT2_T3_mT4_T5_T6_T7_T8_P12ihipStream_tbENKUlT_T0_E_clISt17integral_constantIbLb0EESZ_EEDaSU_SV_EUlSU_E_NS1_11comp_targetILNS1_3genE10ELNS1_11target_archE1201ELNS1_3gpuE5ELNS1_3repE0EEENS1_30default_config_static_selectorELNS0_4arch9wavefront6targetE1EEEvT1_
	.globl	_ZN7rocprim17ROCPRIM_400000_NS6detail17trampoline_kernelINS0_14default_configENS1_33run_length_encode_config_selectorImjNS0_4plusIjEEEEZZNS1_33reduce_by_key_impl_wrapped_configILNS1_25lookback_scan_determinismE0ES3_S7_PKmNS0_17constant_iteratorIjlEEPmPlSF_S6_NS0_8equal_toImEEEE10hipError_tPvRmT2_T3_mT4_T5_T6_T7_T8_P12ihipStream_tbENKUlT_T0_E_clISt17integral_constantIbLb0EESZ_EEDaSU_SV_EUlSU_E_NS1_11comp_targetILNS1_3genE10ELNS1_11target_archE1201ELNS1_3gpuE5ELNS1_3repE0EEENS1_30default_config_static_selectorELNS0_4arch9wavefront6targetE1EEEvT1_
	.p2align	8
	.type	_ZN7rocprim17ROCPRIM_400000_NS6detail17trampoline_kernelINS0_14default_configENS1_33run_length_encode_config_selectorImjNS0_4plusIjEEEEZZNS1_33reduce_by_key_impl_wrapped_configILNS1_25lookback_scan_determinismE0ES3_S7_PKmNS0_17constant_iteratorIjlEEPmPlSF_S6_NS0_8equal_toImEEEE10hipError_tPvRmT2_T3_mT4_T5_T6_T7_T8_P12ihipStream_tbENKUlT_T0_E_clISt17integral_constantIbLb0EESZ_EEDaSU_SV_EUlSU_E_NS1_11comp_targetILNS1_3genE10ELNS1_11target_archE1201ELNS1_3gpuE5ELNS1_3repE0EEENS1_30default_config_static_selectorELNS0_4arch9wavefront6targetE1EEEvT1_,@function
_ZN7rocprim17ROCPRIM_400000_NS6detail17trampoline_kernelINS0_14default_configENS1_33run_length_encode_config_selectorImjNS0_4plusIjEEEEZZNS1_33reduce_by_key_impl_wrapped_configILNS1_25lookback_scan_determinismE0ES3_S7_PKmNS0_17constant_iteratorIjlEEPmPlSF_S6_NS0_8equal_toImEEEE10hipError_tPvRmT2_T3_mT4_T5_T6_T7_T8_P12ihipStream_tbENKUlT_T0_E_clISt17integral_constantIbLb0EESZ_EEDaSU_SV_EUlSU_E_NS1_11comp_targetILNS1_3genE10ELNS1_11target_archE1201ELNS1_3gpuE5ELNS1_3repE0EEENS1_30default_config_static_selectorELNS0_4arch9wavefront6targetE1EEEvT1_: ; @_ZN7rocprim17ROCPRIM_400000_NS6detail17trampoline_kernelINS0_14default_configENS1_33run_length_encode_config_selectorImjNS0_4plusIjEEEEZZNS1_33reduce_by_key_impl_wrapped_configILNS1_25lookback_scan_determinismE0ES3_S7_PKmNS0_17constant_iteratorIjlEEPmPlSF_S6_NS0_8equal_toImEEEE10hipError_tPvRmT2_T3_mT4_T5_T6_T7_T8_P12ihipStream_tbENKUlT_T0_E_clISt17integral_constantIbLb0EESZ_EEDaSU_SV_EUlSU_E_NS1_11comp_targetILNS1_3genE10ELNS1_11target_archE1201ELNS1_3gpuE5ELNS1_3repE0EEENS1_30default_config_static_selectorELNS0_4arch9wavefront6targetE1EEEvT1_
; %bb.0:
	.section	.rodata,"a",@progbits
	.p2align	6, 0x0
	.amdhsa_kernel _ZN7rocprim17ROCPRIM_400000_NS6detail17trampoline_kernelINS0_14default_configENS1_33run_length_encode_config_selectorImjNS0_4plusIjEEEEZZNS1_33reduce_by_key_impl_wrapped_configILNS1_25lookback_scan_determinismE0ES3_S7_PKmNS0_17constant_iteratorIjlEEPmPlSF_S6_NS0_8equal_toImEEEE10hipError_tPvRmT2_T3_mT4_T5_T6_T7_T8_P12ihipStream_tbENKUlT_T0_E_clISt17integral_constantIbLb0EESZ_EEDaSU_SV_EUlSU_E_NS1_11comp_targetILNS1_3genE10ELNS1_11target_archE1201ELNS1_3gpuE5ELNS1_3repE0EEENS1_30default_config_static_selectorELNS0_4arch9wavefront6targetE1EEEvT1_
		.amdhsa_group_segment_fixed_size 0
		.amdhsa_private_segment_fixed_size 0
		.amdhsa_kernarg_size 128
		.amdhsa_user_sgpr_count 2
		.amdhsa_user_sgpr_dispatch_ptr 0
		.amdhsa_user_sgpr_queue_ptr 0
		.amdhsa_user_sgpr_kernarg_segment_ptr 1
		.amdhsa_user_sgpr_dispatch_id 0
		.amdhsa_user_sgpr_kernarg_preload_length 0
		.amdhsa_user_sgpr_kernarg_preload_offset 0
		.amdhsa_user_sgpr_private_segment_size 0
		.amdhsa_uses_dynamic_stack 0
		.amdhsa_enable_private_segment 0
		.amdhsa_system_sgpr_workgroup_id_x 1
		.amdhsa_system_sgpr_workgroup_id_y 0
		.amdhsa_system_sgpr_workgroup_id_z 0
		.amdhsa_system_sgpr_workgroup_info 0
		.amdhsa_system_vgpr_workitem_id 0
		.amdhsa_next_free_vgpr 1
		.amdhsa_next_free_sgpr 0
		.amdhsa_accum_offset 4
		.amdhsa_reserve_vcc 0
		.amdhsa_float_round_mode_32 0
		.amdhsa_float_round_mode_16_64 0
		.amdhsa_float_denorm_mode_32 3
		.amdhsa_float_denorm_mode_16_64 3
		.amdhsa_dx10_clamp 1
		.amdhsa_ieee_mode 1
		.amdhsa_fp16_overflow 0
		.amdhsa_tg_split 0
		.amdhsa_exception_fp_ieee_invalid_op 0
		.amdhsa_exception_fp_denorm_src 0
		.amdhsa_exception_fp_ieee_div_zero 0
		.amdhsa_exception_fp_ieee_overflow 0
		.amdhsa_exception_fp_ieee_underflow 0
		.amdhsa_exception_fp_ieee_inexact 0
		.amdhsa_exception_int_div_zero 0
	.end_amdhsa_kernel
	.section	.text._ZN7rocprim17ROCPRIM_400000_NS6detail17trampoline_kernelINS0_14default_configENS1_33run_length_encode_config_selectorImjNS0_4plusIjEEEEZZNS1_33reduce_by_key_impl_wrapped_configILNS1_25lookback_scan_determinismE0ES3_S7_PKmNS0_17constant_iteratorIjlEEPmPlSF_S6_NS0_8equal_toImEEEE10hipError_tPvRmT2_T3_mT4_T5_T6_T7_T8_P12ihipStream_tbENKUlT_T0_E_clISt17integral_constantIbLb0EESZ_EEDaSU_SV_EUlSU_E_NS1_11comp_targetILNS1_3genE10ELNS1_11target_archE1201ELNS1_3gpuE5ELNS1_3repE0EEENS1_30default_config_static_selectorELNS0_4arch9wavefront6targetE1EEEvT1_,"axG",@progbits,_ZN7rocprim17ROCPRIM_400000_NS6detail17trampoline_kernelINS0_14default_configENS1_33run_length_encode_config_selectorImjNS0_4plusIjEEEEZZNS1_33reduce_by_key_impl_wrapped_configILNS1_25lookback_scan_determinismE0ES3_S7_PKmNS0_17constant_iteratorIjlEEPmPlSF_S6_NS0_8equal_toImEEEE10hipError_tPvRmT2_T3_mT4_T5_T6_T7_T8_P12ihipStream_tbENKUlT_T0_E_clISt17integral_constantIbLb0EESZ_EEDaSU_SV_EUlSU_E_NS1_11comp_targetILNS1_3genE10ELNS1_11target_archE1201ELNS1_3gpuE5ELNS1_3repE0EEENS1_30default_config_static_selectorELNS0_4arch9wavefront6targetE1EEEvT1_,comdat
.Lfunc_end723:
	.size	_ZN7rocprim17ROCPRIM_400000_NS6detail17trampoline_kernelINS0_14default_configENS1_33run_length_encode_config_selectorImjNS0_4plusIjEEEEZZNS1_33reduce_by_key_impl_wrapped_configILNS1_25lookback_scan_determinismE0ES3_S7_PKmNS0_17constant_iteratorIjlEEPmPlSF_S6_NS0_8equal_toImEEEE10hipError_tPvRmT2_T3_mT4_T5_T6_T7_T8_P12ihipStream_tbENKUlT_T0_E_clISt17integral_constantIbLb0EESZ_EEDaSU_SV_EUlSU_E_NS1_11comp_targetILNS1_3genE10ELNS1_11target_archE1201ELNS1_3gpuE5ELNS1_3repE0EEENS1_30default_config_static_selectorELNS0_4arch9wavefront6targetE1EEEvT1_, .Lfunc_end723-_ZN7rocprim17ROCPRIM_400000_NS6detail17trampoline_kernelINS0_14default_configENS1_33run_length_encode_config_selectorImjNS0_4plusIjEEEEZZNS1_33reduce_by_key_impl_wrapped_configILNS1_25lookback_scan_determinismE0ES3_S7_PKmNS0_17constant_iteratorIjlEEPmPlSF_S6_NS0_8equal_toImEEEE10hipError_tPvRmT2_T3_mT4_T5_T6_T7_T8_P12ihipStream_tbENKUlT_T0_E_clISt17integral_constantIbLb0EESZ_EEDaSU_SV_EUlSU_E_NS1_11comp_targetILNS1_3genE10ELNS1_11target_archE1201ELNS1_3gpuE5ELNS1_3repE0EEENS1_30default_config_static_selectorELNS0_4arch9wavefront6targetE1EEEvT1_
                                        ; -- End function
	.section	.AMDGPU.csdata,"",@progbits
; Kernel info:
; codeLenInByte = 0
; NumSgprs: 6
; NumVgprs: 0
; NumAgprs: 0
; TotalNumVgprs: 0
; ScratchSize: 0
; MemoryBound: 0
; FloatMode: 240
; IeeeMode: 1
; LDSByteSize: 0 bytes/workgroup (compile time only)
; SGPRBlocks: 0
; VGPRBlocks: 0
; NumSGPRsForWavesPerEU: 6
; NumVGPRsForWavesPerEU: 1
; AccumOffset: 4
; Occupancy: 8
; WaveLimiterHint : 0
; COMPUTE_PGM_RSRC2:SCRATCH_EN: 0
; COMPUTE_PGM_RSRC2:USER_SGPR: 2
; COMPUTE_PGM_RSRC2:TRAP_HANDLER: 0
; COMPUTE_PGM_RSRC2:TGID_X_EN: 1
; COMPUTE_PGM_RSRC2:TGID_Y_EN: 0
; COMPUTE_PGM_RSRC2:TGID_Z_EN: 0
; COMPUTE_PGM_RSRC2:TIDIG_COMP_CNT: 0
; COMPUTE_PGM_RSRC3_GFX90A:ACCUM_OFFSET: 0
; COMPUTE_PGM_RSRC3_GFX90A:TG_SPLIT: 0
	.section	.text._ZN7rocprim17ROCPRIM_400000_NS6detail17trampoline_kernelINS0_14default_configENS1_33run_length_encode_config_selectorImjNS0_4plusIjEEEEZZNS1_33reduce_by_key_impl_wrapped_configILNS1_25lookback_scan_determinismE0ES3_S7_PKmNS0_17constant_iteratorIjlEEPmPlSF_S6_NS0_8equal_toImEEEE10hipError_tPvRmT2_T3_mT4_T5_T6_T7_T8_P12ihipStream_tbENKUlT_T0_E_clISt17integral_constantIbLb0EESZ_EEDaSU_SV_EUlSU_E_NS1_11comp_targetILNS1_3genE10ELNS1_11target_archE1200ELNS1_3gpuE4ELNS1_3repE0EEENS1_30default_config_static_selectorELNS0_4arch9wavefront6targetE1EEEvT1_,"axG",@progbits,_ZN7rocprim17ROCPRIM_400000_NS6detail17trampoline_kernelINS0_14default_configENS1_33run_length_encode_config_selectorImjNS0_4plusIjEEEEZZNS1_33reduce_by_key_impl_wrapped_configILNS1_25lookback_scan_determinismE0ES3_S7_PKmNS0_17constant_iteratorIjlEEPmPlSF_S6_NS0_8equal_toImEEEE10hipError_tPvRmT2_T3_mT4_T5_T6_T7_T8_P12ihipStream_tbENKUlT_T0_E_clISt17integral_constantIbLb0EESZ_EEDaSU_SV_EUlSU_E_NS1_11comp_targetILNS1_3genE10ELNS1_11target_archE1200ELNS1_3gpuE4ELNS1_3repE0EEENS1_30default_config_static_selectorELNS0_4arch9wavefront6targetE1EEEvT1_,comdat
	.protected	_ZN7rocprim17ROCPRIM_400000_NS6detail17trampoline_kernelINS0_14default_configENS1_33run_length_encode_config_selectorImjNS0_4plusIjEEEEZZNS1_33reduce_by_key_impl_wrapped_configILNS1_25lookback_scan_determinismE0ES3_S7_PKmNS0_17constant_iteratorIjlEEPmPlSF_S6_NS0_8equal_toImEEEE10hipError_tPvRmT2_T3_mT4_T5_T6_T7_T8_P12ihipStream_tbENKUlT_T0_E_clISt17integral_constantIbLb0EESZ_EEDaSU_SV_EUlSU_E_NS1_11comp_targetILNS1_3genE10ELNS1_11target_archE1200ELNS1_3gpuE4ELNS1_3repE0EEENS1_30default_config_static_selectorELNS0_4arch9wavefront6targetE1EEEvT1_ ; -- Begin function _ZN7rocprim17ROCPRIM_400000_NS6detail17trampoline_kernelINS0_14default_configENS1_33run_length_encode_config_selectorImjNS0_4plusIjEEEEZZNS1_33reduce_by_key_impl_wrapped_configILNS1_25lookback_scan_determinismE0ES3_S7_PKmNS0_17constant_iteratorIjlEEPmPlSF_S6_NS0_8equal_toImEEEE10hipError_tPvRmT2_T3_mT4_T5_T6_T7_T8_P12ihipStream_tbENKUlT_T0_E_clISt17integral_constantIbLb0EESZ_EEDaSU_SV_EUlSU_E_NS1_11comp_targetILNS1_3genE10ELNS1_11target_archE1200ELNS1_3gpuE4ELNS1_3repE0EEENS1_30default_config_static_selectorELNS0_4arch9wavefront6targetE1EEEvT1_
	.globl	_ZN7rocprim17ROCPRIM_400000_NS6detail17trampoline_kernelINS0_14default_configENS1_33run_length_encode_config_selectorImjNS0_4plusIjEEEEZZNS1_33reduce_by_key_impl_wrapped_configILNS1_25lookback_scan_determinismE0ES3_S7_PKmNS0_17constant_iteratorIjlEEPmPlSF_S6_NS0_8equal_toImEEEE10hipError_tPvRmT2_T3_mT4_T5_T6_T7_T8_P12ihipStream_tbENKUlT_T0_E_clISt17integral_constantIbLb0EESZ_EEDaSU_SV_EUlSU_E_NS1_11comp_targetILNS1_3genE10ELNS1_11target_archE1200ELNS1_3gpuE4ELNS1_3repE0EEENS1_30default_config_static_selectorELNS0_4arch9wavefront6targetE1EEEvT1_
	.p2align	8
	.type	_ZN7rocprim17ROCPRIM_400000_NS6detail17trampoline_kernelINS0_14default_configENS1_33run_length_encode_config_selectorImjNS0_4plusIjEEEEZZNS1_33reduce_by_key_impl_wrapped_configILNS1_25lookback_scan_determinismE0ES3_S7_PKmNS0_17constant_iteratorIjlEEPmPlSF_S6_NS0_8equal_toImEEEE10hipError_tPvRmT2_T3_mT4_T5_T6_T7_T8_P12ihipStream_tbENKUlT_T0_E_clISt17integral_constantIbLb0EESZ_EEDaSU_SV_EUlSU_E_NS1_11comp_targetILNS1_3genE10ELNS1_11target_archE1200ELNS1_3gpuE4ELNS1_3repE0EEENS1_30default_config_static_selectorELNS0_4arch9wavefront6targetE1EEEvT1_,@function
_ZN7rocprim17ROCPRIM_400000_NS6detail17trampoline_kernelINS0_14default_configENS1_33run_length_encode_config_selectorImjNS0_4plusIjEEEEZZNS1_33reduce_by_key_impl_wrapped_configILNS1_25lookback_scan_determinismE0ES3_S7_PKmNS0_17constant_iteratorIjlEEPmPlSF_S6_NS0_8equal_toImEEEE10hipError_tPvRmT2_T3_mT4_T5_T6_T7_T8_P12ihipStream_tbENKUlT_T0_E_clISt17integral_constantIbLb0EESZ_EEDaSU_SV_EUlSU_E_NS1_11comp_targetILNS1_3genE10ELNS1_11target_archE1200ELNS1_3gpuE4ELNS1_3repE0EEENS1_30default_config_static_selectorELNS0_4arch9wavefront6targetE1EEEvT1_: ; @_ZN7rocprim17ROCPRIM_400000_NS6detail17trampoline_kernelINS0_14default_configENS1_33run_length_encode_config_selectorImjNS0_4plusIjEEEEZZNS1_33reduce_by_key_impl_wrapped_configILNS1_25lookback_scan_determinismE0ES3_S7_PKmNS0_17constant_iteratorIjlEEPmPlSF_S6_NS0_8equal_toImEEEE10hipError_tPvRmT2_T3_mT4_T5_T6_T7_T8_P12ihipStream_tbENKUlT_T0_E_clISt17integral_constantIbLb0EESZ_EEDaSU_SV_EUlSU_E_NS1_11comp_targetILNS1_3genE10ELNS1_11target_archE1200ELNS1_3gpuE4ELNS1_3repE0EEENS1_30default_config_static_selectorELNS0_4arch9wavefront6targetE1EEEvT1_
; %bb.0:
	.section	.rodata,"a",@progbits
	.p2align	6, 0x0
	.amdhsa_kernel _ZN7rocprim17ROCPRIM_400000_NS6detail17trampoline_kernelINS0_14default_configENS1_33run_length_encode_config_selectorImjNS0_4plusIjEEEEZZNS1_33reduce_by_key_impl_wrapped_configILNS1_25lookback_scan_determinismE0ES3_S7_PKmNS0_17constant_iteratorIjlEEPmPlSF_S6_NS0_8equal_toImEEEE10hipError_tPvRmT2_T3_mT4_T5_T6_T7_T8_P12ihipStream_tbENKUlT_T0_E_clISt17integral_constantIbLb0EESZ_EEDaSU_SV_EUlSU_E_NS1_11comp_targetILNS1_3genE10ELNS1_11target_archE1200ELNS1_3gpuE4ELNS1_3repE0EEENS1_30default_config_static_selectorELNS0_4arch9wavefront6targetE1EEEvT1_
		.amdhsa_group_segment_fixed_size 0
		.amdhsa_private_segment_fixed_size 0
		.amdhsa_kernarg_size 128
		.amdhsa_user_sgpr_count 2
		.amdhsa_user_sgpr_dispatch_ptr 0
		.amdhsa_user_sgpr_queue_ptr 0
		.amdhsa_user_sgpr_kernarg_segment_ptr 1
		.amdhsa_user_sgpr_dispatch_id 0
		.amdhsa_user_sgpr_kernarg_preload_length 0
		.amdhsa_user_sgpr_kernarg_preload_offset 0
		.amdhsa_user_sgpr_private_segment_size 0
		.amdhsa_uses_dynamic_stack 0
		.amdhsa_enable_private_segment 0
		.amdhsa_system_sgpr_workgroup_id_x 1
		.amdhsa_system_sgpr_workgroup_id_y 0
		.amdhsa_system_sgpr_workgroup_id_z 0
		.amdhsa_system_sgpr_workgroup_info 0
		.amdhsa_system_vgpr_workitem_id 0
		.amdhsa_next_free_vgpr 1
		.amdhsa_next_free_sgpr 0
		.amdhsa_accum_offset 4
		.amdhsa_reserve_vcc 0
		.amdhsa_float_round_mode_32 0
		.amdhsa_float_round_mode_16_64 0
		.amdhsa_float_denorm_mode_32 3
		.amdhsa_float_denorm_mode_16_64 3
		.amdhsa_dx10_clamp 1
		.amdhsa_ieee_mode 1
		.amdhsa_fp16_overflow 0
		.amdhsa_tg_split 0
		.amdhsa_exception_fp_ieee_invalid_op 0
		.amdhsa_exception_fp_denorm_src 0
		.amdhsa_exception_fp_ieee_div_zero 0
		.amdhsa_exception_fp_ieee_overflow 0
		.amdhsa_exception_fp_ieee_underflow 0
		.amdhsa_exception_fp_ieee_inexact 0
		.amdhsa_exception_int_div_zero 0
	.end_amdhsa_kernel
	.section	.text._ZN7rocprim17ROCPRIM_400000_NS6detail17trampoline_kernelINS0_14default_configENS1_33run_length_encode_config_selectorImjNS0_4plusIjEEEEZZNS1_33reduce_by_key_impl_wrapped_configILNS1_25lookback_scan_determinismE0ES3_S7_PKmNS0_17constant_iteratorIjlEEPmPlSF_S6_NS0_8equal_toImEEEE10hipError_tPvRmT2_T3_mT4_T5_T6_T7_T8_P12ihipStream_tbENKUlT_T0_E_clISt17integral_constantIbLb0EESZ_EEDaSU_SV_EUlSU_E_NS1_11comp_targetILNS1_3genE10ELNS1_11target_archE1200ELNS1_3gpuE4ELNS1_3repE0EEENS1_30default_config_static_selectorELNS0_4arch9wavefront6targetE1EEEvT1_,"axG",@progbits,_ZN7rocprim17ROCPRIM_400000_NS6detail17trampoline_kernelINS0_14default_configENS1_33run_length_encode_config_selectorImjNS0_4plusIjEEEEZZNS1_33reduce_by_key_impl_wrapped_configILNS1_25lookback_scan_determinismE0ES3_S7_PKmNS0_17constant_iteratorIjlEEPmPlSF_S6_NS0_8equal_toImEEEE10hipError_tPvRmT2_T3_mT4_T5_T6_T7_T8_P12ihipStream_tbENKUlT_T0_E_clISt17integral_constantIbLb0EESZ_EEDaSU_SV_EUlSU_E_NS1_11comp_targetILNS1_3genE10ELNS1_11target_archE1200ELNS1_3gpuE4ELNS1_3repE0EEENS1_30default_config_static_selectorELNS0_4arch9wavefront6targetE1EEEvT1_,comdat
.Lfunc_end724:
	.size	_ZN7rocprim17ROCPRIM_400000_NS6detail17trampoline_kernelINS0_14default_configENS1_33run_length_encode_config_selectorImjNS0_4plusIjEEEEZZNS1_33reduce_by_key_impl_wrapped_configILNS1_25lookback_scan_determinismE0ES3_S7_PKmNS0_17constant_iteratorIjlEEPmPlSF_S6_NS0_8equal_toImEEEE10hipError_tPvRmT2_T3_mT4_T5_T6_T7_T8_P12ihipStream_tbENKUlT_T0_E_clISt17integral_constantIbLb0EESZ_EEDaSU_SV_EUlSU_E_NS1_11comp_targetILNS1_3genE10ELNS1_11target_archE1200ELNS1_3gpuE4ELNS1_3repE0EEENS1_30default_config_static_selectorELNS0_4arch9wavefront6targetE1EEEvT1_, .Lfunc_end724-_ZN7rocprim17ROCPRIM_400000_NS6detail17trampoline_kernelINS0_14default_configENS1_33run_length_encode_config_selectorImjNS0_4plusIjEEEEZZNS1_33reduce_by_key_impl_wrapped_configILNS1_25lookback_scan_determinismE0ES3_S7_PKmNS0_17constant_iteratorIjlEEPmPlSF_S6_NS0_8equal_toImEEEE10hipError_tPvRmT2_T3_mT4_T5_T6_T7_T8_P12ihipStream_tbENKUlT_T0_E_clISt17integral_constantIbLb0EESZ_EEDaSU_SV_EUlSU_E_NS1_11comp_targetILNS1_3genE10ELNS1_11target_archE1200ELNS1_3gpuE4ELNS1_3repE0EEENS1_30default_config_static_selectorELNS0_4arch9wavefront6targetE1EEEvT1_
                                        ; -- End function
	.section	.AMDGPU.csdata,"",@progbits
; Kernel info:
; codeLenInByte = 0
; NumSgprs: 6
; NumVgprs: 0
; NumAgprs: 0
; TotalNumVgprs: 0
; ScratchSize: 0
; MemoryBound: 0
; FloatMode: 240
; IeeeMode: 1
; LDSByteSize: 0 bytes/workgroup (compile time only)
; SGPRBlocks: 0
; VGPRBlocks: 0
; NumSGPRsForWavesPerEU: 6
; NumVGPRsForWavesPerEU: 1
; AccumOffset: 4
; Occupancy: 8
; WaveLimiterHint : 0
; COMPUTE_PGM_RSRC2:SCRATCH_EN: 0
; COMPUTE_PGM_RSRC2:USER_SGPR: 2
; COMPUTE_PGM_RSRC2:TRAP_HANDLER: 0
; COMPUTE_PGM_RSRC2:TGID_X_EN: 1
; COMPUTE_PGM_RSRC2:TGID_Y_EN: 0
; COMPUTE_PGM_RSRC2:TGID_Z_EN: 0
; COMPUTE_PGM_RSRC2:TIDIG_COMP_CNT: 0
; COMPUTE_PGM_RSRC3_GFX90A:ACCUM_OFFSET: 0
; COMPUTE_PGM_RSRC3_GFX90A:TG_SPLIT: 0
	.section	.text._ZN7rocprim17ROCPRIM_400000_NS6detail17trampoline_kernelINS0_14default_configENS1_33run_length_encode_config_selectorImjNS0_4plusIjEEEEZZNS1_33reduce_by_key_impl_wrapped_configILNS1_25lookback_scan_determinismE0ES3_S7_PKmNS0_17constant_iteratorIjlEEPmPlSF_S6_NS0_8equal_toImEEEE10hipError_tPvRmT2_T3_mT4_T5_T6_T7_T8_P12ihipStream_tbENKUlT_T0_E_clISt17integral_constantIbLb0EESZ_EEDaSU_SV_EUlSU_E_NS1_11comp_targetILNS1_3genE9ELNS1_11target_archE1100ELNS1_3gpuE3ELNS1_3repE0EEENS1_30default_config_static_selectorELNS0_4arch9wavefront6targetE1EEEvT1_,"axG",@progbits,_ZN7rocprim17ROCPRIM_400000_NS6detail17trampoline_kernelINS0_14default_configENS1_33run_length_encode_config_selectorImjNS0_4plusIjEEEEZZNS1_33reduce_by_key_impl_wrapped_configILNS1_25lookback_scan_determinismE0ES3_S7_PKmNS0_17constant_iteratorIjlEEPmPlSF_S6_NS0_8equal_toImEEEE10hipError_tPvRmT2_T3_mT4_T5_T6_T7_T8_P12ihipStream_tbENKUlT_T0_E_clISt17integral_constantIbLb0EESZ_EEDaSU_SV_EUlSU_E_NS1_11comp_targetILNS1_3genE9ELNS1_11target_archE1100ELNS1_3gpuE3ELNS1_3repE0EEENS1_30default_config_static_selectorELNS0_4arch9wavefront6targetE1EEEvT1_,comdat
	.protected	_ZN7rocprim17ROCPRIM_400000_NS6detail17trampoline_kernelINS0_14default_configENS1_33run_length_encode_config_selectorImjNS0_4plusIjEEEEZZNS1_33reduce_by_key_impl_wrapped_configILNS1_25lookback_scan_determinismE0ES3_S7_PKmNS0_17constant_iteratorIjlEEPmPlSF_S6_NS0_8equal_toImEEEE10hipError_tPvRmT2_T3_mT4_T5_T6_T7_T8_P12ihipStream_tbENKUlT_T0_E_clISt17integral_constantIbLb0EESZ_EEDaSU_SV_EUlSU_E_NS1_11comp_targetILNS1_3genE9ELNS1_11target_archE1100ELNS1_3gpuE3ELNS1_3repE0EEENS1_30default_config_static_selectorELNS0_4arch9wavefront6targetE1EEEvT1_ ; -- Begin function _ZN7rocprim17ROCPRIM_400000_NS6detail17trampoline_kernelINS0_14default_configENS1_33run_length_encode_config_selectorImjNS0_4plusIjEEEEZZNS1_33reduce_by_key_impl_wrapped_configILNS1_25lookback_scan_determinismE0ES3_S7_PKmNS0_17constant_iteratorIjlEEPmPlSF_S6_NS0_8equal_toImEEEE10hipError_tPvRmT2_T3_mT4_T5_T6_T7_T8_P12ihipStream_tbENKUlT_T0_E_clISt17integral_constantIbLb0EESZ_EEDaSU_SV_EUlSU_E_NS1_11comp_targetILNS1_3genE9ELNS1_11target_archE1100ELNS1_3gpuE3ELNS1_3repE0EEENS1_30default_config_static_selectorELNS0_4arch9wavefront6targetE1EEEvT1_
	.globl	_ZN7rocprim17ROCPRIM_400000_NS6detail17trampoline_kernelINS0_14default_configENS1_33run_length_encode_config_selectorImjNS0_4plusIjEEEEZZNS1_33reduce_by_key_impl_wrapped_configILNS1_25lookback_scan_determinismE0ES3_S7_PKmNS0_17constant_iteratorIjlEEPmPlSF_S6_NS0_8equal_toImEEEE10hipError_tPvRmT2_T3_mT4_T5_T6_T7_T8_P12ihipStream_tbENKUlT_T0_E_clISt17integral_constantIbLb0EESZ_EEDaSU_SV_EUlSU_E_NS1_11comp_targetILNS1_3genE9ELNS1_11target_archE1100ELNS1_3gpuE3ELNS1_3repE0EEENS1_30default_config_static_selectorELNS0_4arch9wavefront6targetE1EEEvT1_
	.p2align	8
	.type	_ZN7rocprim17ROCPRIM_400000_NS6detail17trampoline_kernelINS0_14default_configENS1_33run_length_encode_config_selectorImjNS0_4plusIjEEEEZZNS1_33reduce_by_key_impl_wrapped_configILNS1_25lookback_scan_determinismE0ES3_S7_PKmNS0_17constant_iteratorIjlEEPmPlSF_S6_NS0_8equal_toImEEEE10hipError_tPvRmT2_T3_mT4_T5_T6_T7_T8_P12ihipStream_tbENKUlT_T0_E_clISt17integral_constantIbLb0EESZ_EEDaSU_SV_EUlSU_E_NS1_11comp_targetILNS1_3genE9ELNS1_11target_archE1100ELNS1_3gpuE3ELNS1_3repE0EEENS1_30default_config_static_selectorELNS0_4arch9wavefront6targetE1EEEvT1_,@function
_ZN7rocprim17ROCPRIM_400000_NS6detail17trampoline_kernelINS0_14default_configENS1_33run_length_encode_config_selectorImjNS0_4plusIjEEEEZZNS1_33reduce_by_key_impl_wrapped_configILNS1_25lookback_scan_determinismE0ES3_S7_PKmNS0_17constant_iteratorIjlEEPmPlSF_S6_NS0_8equal_toImEEEE10hipError_tPvRmT2_T3_mT4_T5_T6_T7_T8_P12ihipStream_tbENKUlT_T0_E_clISt17integral_constantIbLb0EESZ_EEDaSU_SV_EUlSU_E_NS1_11comp_targetILNS1_3genE9ELNS1_11target_archE1100ELNS1_3gpuE3ELNS1_3repE0EEENS1_30default_config_static_selectorELNS0_4arch9wavefront6targetE1EEEvT1_: ; @_ZN7rocprim17ROCPRIM_400000_NS6detail17trampoline_kernelINS0_14default_configENS1_33run_length_encode_config_selectorImjNS0_4plusIjEEEEZZNS1_33reduce_by_key_impl_wrapped_configILNS1_25lookback_scan_determinismE0ES3_S7_PKmNS0_17constant_iteratorIjlEEPmPlSF_S6_NS0_8equal_toImEEEE10hipError_tPvRmT2_T3_mT4_T5_T6_T7_T8_P12ihipStream_tbENKUlT_T0_E_clISt17integral_constantIbLb0EESZ_EEDaSU_SV_EUlSU_E_NS1_11comp_targetILNS1_3genE9ELNS1_11target_archE1100ELNS1_3gpuE3ELNS1_3repE0EEENS1_30default_config_static_selectorELNS0_4arch9wavefront6targetE1EEEvT1_
; %bb.0:
	.section	.rodata,"a",@progbits
	.p2align	6, 0x0
	.amdhsa_kernel _ZN7rocprim17ROCPRIM_400000_NS6detail17trampoline_kernelINS0_14default_configENS1_33run_length_encode_config_selectorImjNS0_4plusIjEEEEZZNS1_33reduce_by_key_impl_wrapped_configILNS1_25lookback_scan_determinismE0ES3_S7_PKmNS0_17constant_iteratorIjlEEPmPlSF_S6_NS0_8equal_toImEEEE10hipError_tPvRmT2_T3_mT4_T5_T6_T7_T8_P12ihipStream_tbENKUlT_T0_E_clISt17integral_constantIbLb0EESZ_EEDaSU_SV_EUlSU_E_NS1_11comp_targetILNS1_3genE9ELNS1_11target_archE1100ELNS1_3gpuE3ELNS1_3repE0EEENS1_30default_config_static_selectorELNS0_4arch9wavefront6targetE1EEEvT1_
		.amdhsa_group_segment_fixed_size 0
		.amdhsa_private_segment_fixed_size 0
		.amdhsa_kernarg_size 128
		.amdhsa_user_sgpr_count 2
		.amdhsa_user_sgpr_dispatch_ptr 0
		.amdhsa_user_sgpr_queue_ptr 0
		.amdhsa_user_sgpr_kernarg_segment_ptr 1
		.amdhsa_user_sgpr_dispatch_id 0
		.amdhsa_user_sgpr_kernarg_preload_length 0
		.amdhsa_user_sgpr_kernarg_preload_offset 0
		.amdhsa_user_sgpr_private_segment_size 0
		.amdhsa_uses_dynamic_stack 0
		.amdhsa_enable_private_segment 0
		.amdhsa_system_sgpr_workgroup_id_x 1
		.amdhsa_system_sgpr_workgroup_id_y 0
		.amdhsa_system_sgpr_workgroup_id_z 0
		.amdhsa_system_sgpr_workgroup_info 0
		.amdhsa_system_vgpr_workitem_id 0
		.amdhsa_next_free_vgpr 1
		.amdhsa_next_free_sgpr 0
		.amdhsa_accum_offset 4
		.amdhsa_reserve_vcc 0
		.amdhsa_float_round_mode_32 0
		.amdhsa_float_round_mode_16_64 0
		.amdhsa_float_denorm_mode_32 3
		.amdhsa_float_denorm_mode_16_64 3
		.amdhsa_dx10_clamp 1
		.amdhsa_ieee_mode 1
		.amdhsa_fp16_overflow 0
		.amdhsa_tg_split 0
		.amdhsa_exception_fp_ieee_invalid_op 0
		.amdhsa_exception_fp_denorm_src 0
		.amdhsa_exception_fp_ieee_div_zero 0
		.amdhsa_exception_fp_ieee_overflow 0
		.amdhsa_exception_fp_ieee_underflow 0
		.amdhsa_exception_fp_ieee_inexact 0
		.amdhsa_exception_int_div_zero 0
	.end_amdhsa_kernel
	.section	.text._ZN7rocprim17ROCPRIM_400000_NS6detail17trampoline_kernelINS0_14default_configENS1_33run_length_encode_config_selectorImjNS0_4plusIjEEEEZZNS1_33reduce_by_key_impl_wrapped_configILNS1_25lookback_scan_determinismE0ES3_S7_PKmNS0_17constant_iteratorIjlEEPmPlSF_S6_NS0_8equal_toImEEEE10hipError_tPvRmT2_T3_mT4_T5_T6_T7_T8_P12ihipStream_tbENKUlT_T0_E_clISt17integral_constantIbLb0EESZ_EEDaSU_SV_EUlSU_E_NS1_11comp_targetILNS1_3genE9ELNS1_11target_archE1100ELNS1_3gpuE3ELNS1_3repE0EEENS1_30default_config_static_selectorELNS0_4arch9wavefront6targetE1EEEvT1_,"axG",@progbits,_ZN7rocprim17ROCPRIM_400000_NS6detail17trampoline_kernelINS0_14default_configENS1_33run_length_encode_config_selectorImjNS0_4plusIjEEEEZZNS1_33reduce_by_key_impl_wrapped_configILNS1_25lookback_scan_determinismE0ES3_S7_PKmNS0_17constant_iteratorIjlEEPmPlSF_S6_NS0_8equal_toImEEEE10hipError_tPvRmT2_T3_mT4_T5_T6_T7_T8_P12ihipStream_tbENKUlT_T0_E_clISt17integral_constantIbLb0EESZ_EEDaSU_SV_EUlSU_E_NS1_11comp_targetILNS1_3genE9ELNS1_11target_archE1100ELNS1_3gpuE3ELNS1_3repE0EEENS1_30default_config_static_selectorELNS0_4arch9wavefront6targetE1EEEvT1_,comdat
.Lfunc_end725:
	.size	_ZN7rocprim17ROCPRIM_400000_NS6detail17trampoline_kernelINS0_14default_configENS1_33run_length_encode_config_selectorImjNS0_4plusIjEEEEZZNS1_33reduce_by_key_impl_wrapped_configILNS1_25lookback_scan_determinismE0ES3_S7_PKmNS0_17constant_iteratorIjlEEPmPlSF_S6_NS0_8equal_toImEEEE10hipError_tPvRmT2_T3_mT4_T5_T6_T7_T8_P12ihipStream_tbENKUlT_T0_E_clISt17integral_constantIbLb0EESZ_EEDaSU_SV_EUlSU_E_NS1_11comp_targetILNS1_3genE9ELNS1_11target_archE1100ELNS1_3gpuE3ELNS1_3repE0EEENS1_30default_config_static_selectorELNS0_4arch9wavefront6targetE1EEEvT1_, .Lfunc_end725-_ZN7rocprim17ROCPRIM_400000_NS6detail17trampoline_kernelINS0_14default_configENS1_33run_length_encode_config_selectorImjNS0_4plusIjEEEEZZNS1_33reduce_by_key_impl_wrapped_configILNS1_25lookback_scan_determinismE0ES3_S7_PKmNS0_17constant_iteratorIjlEEPmPlSF_S6_NS0_8equal_toImEEEE10hipError_tPvRmT2_T3_mT4_T5_T6_T7_T8_P12ihipStream_tbENKUlT_T0_E_clISt17integral_constantIbLb0EESZ_EEDaSU_SV_EUlSU_E_NS1_11comp_targetILNS1_3genE9ELNS1_11target_archE1100ELNS1_3gpuE3ELNS1_3repE0EEENS1_30default_config_static_selectorELNS0_4arch9wavefront6targetE1EEEvT1_
                                        ; -- End function
	.section	.AMDGPU.csdata,"",@progbits
; Kernel info:
; codeLenInByte = 0
; NumSgprs: 6
; NumVgprs: 0
; NumAgprs: 0
; TotalNumVgprs: 0
; ScratchSize: 0
; MemoryBound: 0
; FloatMode: 240
; IeeeMode: 1
; LDSByteSize: 0 bytes/workgroup (compile time only)
; SGPRBlocks: 0
; VGPRBlocks: 0
; NumSGPRsForWavesPerEU: 6
; NumVGPRsForWavesPerEU: 1
; AccumOffset: 4
; Occupancy: 8
; WaveLimiterHint : 0
; COMPUTE_PGM_RSRC2:SCRATCH_EN: 0
; COMPUTE_PGM_RSRC2:USER_SGPR: 2
; COMPUTE_PGM_RSRC2:TRAP_HANDLER: 0
; COMPUTE_PGM_RSRC2:TGID_X_EN: 1
; COMPUTE_PGM_RSRC2:TGID_Y_EN: 0
; COMPUTE_PGM_RSRC2:TGID_Z_EN: 0
; COMPUTE_PGM_RSRC2:TIDIG_COMP_CNT: 0
; COMPUTE_PGM_RSRC3_GFX90A:ACCUM_OFFSET: 0
; COMPUTE_PGM_RSRC3_GFX90A:TG_SPLIT: 0
	.section	.text._ZN7rocprim17ROCPRIM_400000_NS6detail17trampoline_kernelINS0_14default_configENS1_33run_length_encode_config_selectorImjNS0_4plusIjEEEEZZNS1_33reduce_by_key_impl_wrapped_configILNS1_25lookback_scan_determinismE0ES3_S7_PKmNS0_17constant_iteratorIjlEEPmPlSF_S6_NS0_8equal_toImEEEE10hipError_tPvRmT2_T3_mT4_T5_T6_T7_T8_P12ihipStream_tbENKUlT_T0_E_clISt17integral_constantIbLb0EESZ_EEDaSU_SV_EUlSU_E_NS1_11comp_targetILNS1_3genE8ELNS1_11target_archE1030ELNS1_3gpuE2ELNS1_3repE0EEENS1_30default_config_static_selectorELNS0_4arch9wavefront6targetE1EEEvT1_,"axG",@progbits,_ZN7rocprim17ROCPRIM_400000_NS6detail17trampoline_kernelINS0_14default_configENS1_33run_length_encode_config_selectorImjNS0_4plusIjEEEEZZNS1_33reduce_by_key_impl_wrapped_configILNS1_25lookback_scan_determinismE0ES3_S7_PKmNS0_17constant_iteratorIjlEEPmPlSF_S6_NS0_8equal_toImEEEE10hipError_tPvRmT2_T3_mT4_T5_T6_T7_T8_P12ihipStream_tbENKUlT_T0_E_clISt17integral_constantIbLb0EESZ_EEDaSU_SV_EUlSU_E_NS1_11comp_targetILNS1_3genE8ELNS1_11target_archE1030ELNS1_3gpuE2ELNS1_3repE0EEENS1_30default_config_static_selectorELNS0_4arch9wavefront6targetE1EEEvT1_,comdat
	.protected	_ZN7rocprim17ROCPRIM_400000_NS6detail17trampoline_kernelINS0_14default_configENS1_33run_length_encode_config_selectorImjNS0_4plusIjEEEEZZNS1_33reduce_by_key_impl_wrapped_configILNS1_25lookback_scan_determinismE0ES3_S7_PKmNS0_17constant_iteratorIjlEEPmPlSF_S6_NS0_8equal_toImEEEE10hipError_tPvRmT2_T3_mT4_T5_T6_T7_T8_P12ihipStream_tbENKUlT_T0_E_clISt17integral_constantIbLb0EESZ_EEDaSU_SV_EUlSU_E_NS1_11comp_targetILNS1_3genE8ELNS1_11target_archE1030ELNS1_3gpuE2ELNS1_3repE0EEENS1_30default_config_static_selectorELNS0_4arch9wavefront6targetE1EEEvT1_ ; -- Begin function _ZN7rocprim17ROCPRIM_400000_NS6detail17trampoline_kernelINS0_14default_configENS1_33run_length_encode_config_selectorImjNS0_4plusIjEEEEZZNS1_33reduce_by_key_impl_wrapped_configILNS1_25lookback_scan_determinismE0ES3_S7_PKmNS0_17constant_iteratorIjlEEPmPlSF_S6_NS0_8equal_toImEEEE10hipError_tPvRmT2_T3_mT4_T5_T6_T7_T8_P12ihipStream_tbENKUlT_T0_E_clISt17integral_constantIbLb0EESZ_EEDaSU_SV_EUlSU_E_NS1_11comp_targetILNS1_3genE8ELNS1_11target_archE1030ELNS1_3gpuE2ELNS1_3repE0EEENS1_30default_config_static_selectorELNS0_4arch9wavefront6targetE1EEEvT1_
	.globl	_ZN7rocprim17ROCPRIM_400000_NS6detail17trampoline_kernelINS0_14default_configENS1_33run_length_encode_config_selectorImjNS0_4plusIjEEEEZZNS1_33reduce_by_key_impl_wrapped_configILNS1_25lookback_scan_determinismE0ES3_S7_PKmNS0_17constant_iteratorIjlEEPmPlSF_S6_NS0_8equal_toImEEEE10hipError_tPvRmT2_T3_mT4_T5_T6_T7_T8_P12ihipStream_tbENKUlT_T0_E_clISt17integral_constantIbLb0EESZ_EEDaSU_SV_EUlSU_E_NS1_11comp_targetILNS1_3genE8ELNS1_11target_archE1030ELNS1_3gpuE2ELNS1_3repE0EEENS1_30default_config_static_selectorELNS0_4arch9wavefront6targetE1EEEvT1_
	.p2align	8
	.type	_ZN7rocprim17ROCPRIM_400000_NS6detail17trampoline_kernelINS0_14default_configENS1_33run_length_encode_config_selectorImjNS0_4plusIjEEEEZZNS1_33reduce_by_key_impl_wrapped_configILNS1_25lookback_scan_determinismE0ES3_S7_PKmNS0_17constant_iteratorIjlEEPmPlSF_S6_NS0_8equal_toImEEEE10hipError_tPvRmT2_T3_mT4_T5_T6_T7_T8_P12ihipStream_tbENKUlT_T0_E_clISt17integral_constantIbLb0EESZ_EEDaSU_SV_EUlSU_E_NS1_11comp_targetILNS1_3genE8ELNS1_11target_archE1030ELNS1_3gpuE2ELNS1_3repE0EEENS1_30default_config_static_selectorELNS0_4arch9wavefront6targetE1EEEvT1_,@function
_ZN7rocprim17ROCPRIM_400000_NS6detail17trampoline_kernelINS0_14default_configENS1_33run_length_encode_config_selectorImjNS0_4plusIjEEEEZZNS1_33reduce_by_key_impl_wrapped_configILNS1_25lookback_scan_determinismE0ES3_S7_PKmNS0_17constant_iteratorIjlEEPmPlSF_S6_NS0_8equal_toImEEEE10hipError_tPvRmT2_T3_mT4_T5_T6_T7_T8_P12ihipStream_tbENKUlT_T0_E_clISt17integral_constantIbLb0EESZ_EEDaSU_SV_EUlSU_E_NS1_11comp_targetILNS1_3genE8ELNS1_11target_archE1030ELNS1_3gpuE2ELNS1_3repE0EEENS1_30default_config_static_selectorELNS0_4arch9wavefront6targetE1EEEvT1_: ; @_ZN7rocprim17ROCPRIM_400000_NS6detail17trampoline_kernelINS0_14default_configENS1_33run_length_encode_config_selectorImjNS0_4plusIjEEEEZZNS1_33reduce_by_key_impl_wrapped_configILNS1_25lookback_scan_determinismE0ES3_S7_PKmNS0_17constant_iteratorIjlEEPmPlSF_S6_NS0_8equal_toImEEEE10hipError_tPvRmT2_T3_mT4_T5_T6_T7_T8_P12ihipStream_tbENKUlT_T0_E_clISt17integral_constantIbLb0EESZ_EEDaSU_SV_EUlSU_E_NS1_11comp_targetILNS1_3genE8ELNS1_11target_archE1030ELNS1_3gpuE2ELNS1_3repE0EEENS1_30default_config_static_selectorELNS0_4arch9wavefront6targetE1EEEvT1_
; %bb.0:
	.section	.rodata,"a",@progbits
	.p2align	6, 0x0
	.amdhsa_kernel _ZN7rocprim17ROCPRIM_400000_NS6detail17trampoline_kernelINS0_14default_configENS1_33run_length_encode_config_selectorImjNS0_4plusIjEEEEZZNS1_33reduce_by_key_impl_wrapped_configILNS1_25lookback_scan_determinismE0ES3_S7_PKmNS0_17constant_iteratorIjlEEPmPlSF_S6_NS0_8equal_toImEEEE10hipError_tPvRmT2_T3_mT4_T5_T6_T7_T8_P12ihipStream_tbENKUlT_T0_E_clISt17integral_constantIbLb0EESZ_EEDaSU_SV_EUlSU_E_NS1_11comp_targetILNS1_3genE8ELNS1_11target_archE1030ELNS1_3gpuE2ELNS1_3repE0EEENS1_30default_config_static_selectorELNS0_4arch9wavefront6targetE1EEEvT1_
		.amdhsa_group_segment_fixed_size 0
		.amdhsa_private_segment_fixed_size 0
		.amdhsa_kernarg_size 128
		.amdhsa_user_sgpr_count 2
		.amdhsa_user_sgpr_dispatch_ptr 0
		.amdhsa_user_sgpr_queue_ptr 0
		.amdhsa_user_sgpr_kernarg_segment_ptr 1
		.amdhsa_user_sgpr_dispatch_id 0
		.amdhsa_user_sgpr_kernarg_preload_length 0
		.amdhsa_user_sgpr_kernarg_preload_offset 0
		.amdhsa_user_sgpr_private_segment_size 0
		.amdhsa_uses_dynamic_stack 0
		.amdhsa_enable_private_segment 0
		.amdhsa_system_sgpr_workgroup_id_x 1
		.amdhsa_system_sgpr_workgroup_id_y 0
		.amdhsa_system_sgpr_workgroup_id_z 0
		.amdhsa_system_sgpr_workgroup_info 0
		.amdhsa_system_vgpr_workitem_id 0
		.amdhsa_next_free_vgpr 1
		.amdhsa_next_free_sgpr 0
		.amdhsa_accum_offset 4
		.amdhsa_reserve_vcc 0
		.amdhsa_float_round_mode_32 0
		.amdhsa_float_round_mode_16_64 0
		.amdhsa_float_denorm_mode_32 3
		.amdhsa_float_denorm_mode_16_64 3
		.amdhsa_dx10_clamp 1
		.amdhsa_ieee_mode 1
		.amdhsa_fp16_overflow 0
		.amdhsa_tg_split 0
		.amdhsa_exception_fp_ieee_invalid_op 0
		.amdhsa_exception_fp_denorm_src 0
		.amdhsa_exception_fp_ieee_div_zero 0
		.amdhsa_exception_fp_ieee_overflow 0
		.amdhsa_exception_fp_ieee_underflow 0
		.amdhsa_exception_fp_ieee_inexact 0
		.amdhsa_exception_int_div_zero 0
	.end_amdhsa_kernel
	.section	.text._ZN7rocprim17ROCPRIM_400000_NS6detail17trampoline_kernelINS0_14default_configENS1_33run_length_encode_config_selectorImjNS0_4plusIjEEEEZZNS1_33reduce_by_key_impl_wrapped_configILNS1_25lookback_scan_determinismE0ES3_S7_PKmNS0_17constant_iteratorIjlEEPmPlSF_S6_NS0_8equal_toImEEEE10hipError_tPvRmT2_T3_mT4_T5_T6_T7_T8_P12ihipStream_tbENKUlT_T0_E_clISt17integral_constantIbLb0EESZ_EEDaSU_SV_EUlSU_E_NS1_11comp_targetILNS1_3genE8ELNS1_11target_archE1030ELNS1_3gpuE2ELNS1_3repE0EEENS1_30default_config_static_selectorELNS0_4arch9wavefront6targetE1EEEvT1_,"axG",@progbits,_ZN7rocprim17ROCPRIM_400000_NS6detail17trampoline_kernelINS0_14default_configENS1_33run_length_encode_config_selectorImjNS0_4plusIjEEEEZZNS1_33reduce_by_key_impl_wrapped_configILNS1_25lookback_scan_determinismE0ES3_S7_PKmNS0_17constant_iteratorIjlEEPmPlSF_S6_NS0_8equal_toImEEEE10hipError_tPvRmT2_T3_mT4_T5_T6_T7_T8_P12ihipStream_tbENKUlT_T0_E_clISt17integral_constantIbLb0EESZ_EEDaSU_SV_EUlSU_E_NS1_11comp_targetILNS1_3genE8ELNS1_11target_archE1030ELNS1_3gpuE2ELNS1_3repE0EEENS1_30default_config_static_selectorELNS0_4arch9wavefront6targetE1EEEvT1_,comdat
.Lfunc_end726:
	.size	_ZN7rocprim17ROCPRIM_400000_NS6detail17trampoline_kernelINS0_14default_configENS1_33run_length_encode_config_selectorImjNS0_4plusIjEEEEZZNS1_33reduce_by_key_impl_wrapped_configILNS1_25lookback_scan_determinismE0ES3_S7_PKmNS0_17constant_iteratorIjlEEPmPlSF_S6_NS0_8equal_toImEEEE10hipError_tPvRmT2_T3_mT4_T5_T6_T7_T8_P12ihipStream_tbENKUlT_T0_E_clISt17integral_constantIbLb0EESZ_EEDaSU_SV_EUlSU_E_NS1_11comp_targetILNS1_3genE8ELNS1_11target_archE1030ELNS1_3gpuE2ELNS1_3repE0EEENS1_30default_config_static_selectorELNS0_4arch9wavefront6targetE1EEEvT1_, .Lfunc_end726-_ZN7rocprim17ROCPRIM_400000_NS6detail17trampoline_kernelINS0_14default_configENS1_33run_length_encode_config_selectorImjNS0_4plusIjEEEEZZNS1_33reduce_by_key_impl_wrapped_configILNS1_25lookback_scan_determinismE0ES3_S7_PKmNS0_17constant_iteratorIjlEEPmPlSF_S6_NS0_8equal_toImEEEE10hipError_tPvRmT2_T3_mT4_T5_T6_T7_T8_P12ihipStream_tbENKUlT_T0_E_clISt17integral_constantIbLb0EESZ_EEDaSU_SV_EUlSU_E_NS1_11comp_targetILNS1_3genE8ELNS1_11target_archE1030ELNS1_3gpuE2ELNS1_3repE0EEENS1_30default_config_static_selectorELNS0_4arch9wavefront6targetE1EEEvT1_
                                        ; -- End function
	.section	.AMDGPU.csdata,"",@progbits
; Kernel info:
; codeLenInByte = 0
; NumSgprs: 6
; NumVgprs: 0
; NumAgprs: 0
; TotalNumVgprs: 0
; ScratchSize: 0
; MemoryBound: 0
; FloatMode: 240
; IeeeMode: 1
; LDSByteSize: 0 bytes/workgroup (compile time only)
; SGPRBlocks: 0
; VGPRBlocks: 0
; NumSGPRsForWavesPerEU: 6
; NumVGPRsForWavesPerEU: 1
; AccumOffset: 4
; Occupancy: 8
; WaveLimiterHint : 0
; COMPUTE_PGM_RSRC2:SCRATCH_EN: 0
; COMPUTE_PGM_RSRC2:USER_SGPR: 2
; COMPUTE_PGM_RSRC2:TRAP_HANDLER: 0
; COMPUTE_PGM_RSRC2:TGID_X_EN: 1
; COMPUTE_PGM_RSRC2:TGID_Y_EN: 0
; COMPUTE_PGM_RSRC2:TGID_Z_EN: 0
; COMPUTE_PGM_RSRC2:TIDIG_COMP_CNT: 0
; COMPUTE_PGM_RSRC3_GFX90A:ACCUM_OFFSET: 0
; COMPUTE_PGM_RSRC3_GFX90A:TG_SPLIT: 0
	.section	.text._ZN7rocprim17ROCPRIM_400000_NS6detail17trampoline_kernelINS0_14default_configENS1_33run_length_encode_config_selectorImjNS0_4plusIjEEEEZZNS1_33reduce_by_key_impl_wrapped_configILNS1_25lookback_scan_determinismE0ES3_S7_PKmNS0_17constant_iteratorIjlEEPmPlSF_S6_NS0_8equal_toImEEEE10hipError_tPvRmT2_T3_mT4_T5_T6_T7_T8_P12ihipStream_tbENKUlT_T0_E_clISt17integral_constantIbLb1EESZ_EEDaSU_SV_EUlSU_E_NS1_11comp_targetILNS1_3genE0ELNS1_11target_archE4294967295ELNS1_3gpuE0ELNS1_3repE0EEENS1_30default_config_static_selectorELNS0_4arch9wavefront6targetE1EEEvT1_,"axG",@progbits,_ZN7rocprim17ROCPRIM_400000_NS6detail17trampoline_kernelINS0_14default_configENS1_33run_length_encode_config_selectorImjNS0_4plusIjEEEEZZNS1_33reduce_by_key_impl_wrapped_configILNS1_25lookback_scan_determinismE0ES3_S7_PKmNS0_17constant_iteratorIjlEEPmPlSF_S6_NS0_8equal_toImEEEE10hipError_tPvRmT2_T3_mT4_T5_T6_T7_T8_P12ihipStream_tbENKUlT_T0_E_clISt17integral_constantIbLb1EESZ_EEDaSU_SV_EUlSU_E_NS1_11comp_targetILNS1_3genE0ELNS1_11target_archE4294967295ELNS1_3gpuE0ELNS1_3repE0EEENS1_30default_config_static_selectorELNS0_4arch9wavefront6targetE1EEEvT1_,comdat
	.protected	_ZN7rocprim17ROCPRIM_400000_NS6detail17trampoline_kernelINS0_14default_configENS1_33run_length_encode_config_selectorImjNS0_4plusIjEEEEZZNS1_33reduce_by_key_impl_wrapped_configILNS1_25lookback_scan_determinismE0ES3_S7_PKmNS0_17constant_iteratorIjlEEPmPlSF_S6_NS0_8equal_toImEEEE10hipError_tPvRmT2_T3_mT4_T5_T6_T7_T8_P12ihipStream_tbENKUlT_T0_E_clISt17integral_constantIbLb1EESZ_EEDaSU_SV_EUlSU_E_NS1_11comp_targetILNS1_3genE0ELNS1_11target_archE4294967295ELNS1_3gpuE0ELNS1_3repE0EEENS1_30default_config_static_selectorELNS0_4arch9wavefront6targetE1EEEvT1_ ; -- Begin function _ZN7rocprim17ROCPRIM_400000_NS6detail17trampoline_kernelINS0_14default_configENS1_33run_length_encode_config_selectorImjNS0_4plusIjEEEEZZNS1_33reduce_by_key_impl_wrapped_configILNS1_25lookback_scan_determinismE0ES3_S7_PKmNS0_17constant_iteratorIjlEEPmPlSF_S6_NS0_8equal_toImEEEE10hipError_tPvRmT2_T3_mT4_T5_T6_T7_T8_P12ihipStream_tbENKUlT_T0_E_clISt17integral_constantIbLb1EESZ_EEDaSU_SV_EUlSU_E_NS1_11comp_targetILNS1_3genE0ELNS1_11target_archE4294967295ELNS1_3gpuE0ELNS1_3repE0EEENS1_30default_config_static_selectorELNS0_4arch9wavefront6targetE1EEEvT1_
	.globl	_ZN7rocprim17ROCPRIM_400000_NS6detail17trampoline_kernelINS0_14default_configENS1_33run_length_encode_config_selectorImjNS0_4plusIjEEEEZZNS1_33reduce_by_key_impl_wrapped_configILNS1_25lookback_scan_determinismE0ES3_S7_PKmNS0_17constant_iteratorIjlEEPmPlSF_S6_NS0_8equal_toImEEEE10hipError_tPvRmT2_T3_mT4_T5_T6_T7_T8_P12ihipStream_tbENKUlT_T0_E_clISt17integral_constantIbLb1EESZ_EEDaSU_SV_EUlSU_E_NS1_11comp_targetILNS1_3genE0ELNS1_11target_archE4294967295ELNS1_3gpuE0ELNS1_3repE0EEENS1_30default_config_static_selectorELNS0_4arch9wavefront6targetE1EEEvT1_
	.p2align	8
	.type	_ZN7rocprim17ROCPRIM_400000_NS6detail17trampoline_kernelINS0_14default_configENS1_33run_length_encode_config_selectorImjNS0_4plusIjEEEEZZNS1_33reduce_by_key_impl_wrapped_configILNS1_25lookback_scan_determinismE0ES3_S7_PKmNS0_17constant_iteratorIjlEEPmPlSF_S6_NS0_8equal_toImEEEE10hipError_tPvRmT2_T3_mT4_T5_T6_T7_T8_P12ihipStream_tbENKUlT_T0_E_clISt17integral_constantIbLb1EESZ_EEDaSU_SV_EUlSU_E_NS1_11comp_targetILNS1_3genE0ELNS1_11target_archE4294967295ELNS1_3gpuE0ELNS1_3repE0EEENS1_30default_config_static_selectorELNS0_4arch9wavefront6targetE1EEEvT1_,@function
_ZN7rocprim17ROCPRIM_400000_NS6detail17trampoline_kernelINS0_14default_configENS1_33run_length_encode_config_selectorImjNS0_4plusIjEEEEZZNS1_33reduce_by_key_impl_wrapped_configILNS1_25lookback_scan_determinismE0ES3_S7_PKmNS0_17constant_iteratorIjlEEPmPlSF_S6_NS0_8equal_toImEEEE10hipError_tPvRmT2_T3_mT4_T5_T6_T7_T8_P12ihipStream_tbENKUlT_T0_E_clISt17integral_constantIbLb1EESZ_EEDaSU_SV_EUlSU_E_NS1_11comp_targetILNS1_3genE0ELNS1_11target_archE4294967295ELNS1_3gpuE0ELNS1_3repE0EEENS1_30default_config_static_selectorELNS0_4arch9wavefront6targetE1EEEvT1_: ; @_ZN7rocprim17ROCPRIM_400000_NS6detail17trampoline_kernelINS0_14default_configENS1_33run_length_encode_config_selectorImjNS0_4plusIjEEEEZZNS1_33reduce_by_key_impl_wrapped_configILNS1_25lookback_scan_determinismE0ES3_S7_PKmNS0_17constant_iteratorIjlEEPmPlSF_S6_NS0_8equal_toImEEEE10hipError_tPvRmT2_T3_mT4_T5_T6_T7_T8_P12ihipStream_tbENKUlT_T0_E_clISt17integral_constantIbLb1EESZ_EEDaSU_SV_EUlSU_E_NS1_11comp_targetILNS1_3genE0ELNS1_11target_archE4294967295ELNS1_3gpuE0ELNS1_3repE0EEENS1_30default_config_static_selectorELNS0_4arch9wavefront6targetE1EEEvT1_
; %bb.0:
	.section	.rodata,"a",@progbits
	.p2align	6, 0x0
	.amdhsa_kernel _ZN7rocprim17ROCPRIM_400000_NS6detail17trampoline_kernelINS0_14default_configENS1_33run_length_encode_config_selectorImjNS0_4plusIjEEEEZZNS1_33reduce_by_key_impl_wrapped_configILNS1_25lookback_scan_determinismE0ES3_S7_PKmNS0_17constant_iteratorIjlEEPmPlSF_S6_NS0_8equal_toImEEEE10hipError_tPvRmT2_T3_mT4_T5_T6_T7_T8_P12ihipStream_tbENKUlT_T0_E_clISt17integral_constantIbLb1EESZ_EEDaSU_SV_EUlSU_E_NS1_11comp_targetILNS1_3genE0ELNS1_11target_archE4294967295ELNS1_3gpuE0ELNS1_3repE0EEENS1_30default_config_static_selectorELNS0_4arch9wavefront6targetE1EEEvT1_
		.amdhsa_group_segment_fixed_size 0
		.amdhsa_private_segment_fixed_size 0
		.amdhsa_kernarg_size 128
		.amdhsa_user_sgpr_count 2
		.amdhsa_user_sgpr_dispatch_ptr 0
		.amdhsa_user_sgpr_queue_ptr 0
		.amdhsa_user_sgpr_kernarg_segment_ptr 1
		.amdhsa_user_sgpr_dispatch_id 0
		.amdhsa_user_sgpr_kernarg_preload_length 0
		.amdhsa_user_sgpr_kernarg_preload_offset 0
		.amdhsa_user_sgpr_private_segment_size 0
		.amdhsa_uses_dynamic_stack 0
		.amdhsa_enable_private_segment 0
		.amdhsa_system_sgpr_workgroup_id_x 1
		.amdhsa_system_sgpr_workgroup_id_y 0
		.amdhsa_system_sgpr_workgroup_id_z 0
		.amdhsa_system_sgpr_workgroup_info 0
		.amdhsa_system_vgpr_workitem_id 0
		.amdhsa_next_free_vgpr 1
		.amdhsa_next_free_sgpr 0
		.amdhsa_accum_offset 4
		.amdhsa_reserve_vcc 0
		.amdhsa_float_round_mode_32 0
		.amdhsa_float_round_mode_16_64 0
		.amdhsa_float_denorm_mode_32 3
		.amdhsa_float_denorm_mode_16_64 3
		.amdhsa_dx10_clamp 1
		.amdhsa_ieee_mode 1
		.amdhsa_fp16_overflow 0
		.amdhsa_tg_split 0
		.amdhsa_exception_fp_ieee_invalid_op 0
		.amdhsa_exception_fp_denorm_src 0
		.amdhsa_exception_fp_ieee_div_zero 0
		.amdhsa_exception_fp_ieee_overflow 0
		.amdhsa_exception_fp_ieee_underflow 0
		.amdhsa_exception_fp_ieee_inexact 0
		.amdhsa_exception_int_div_zero 0
	.end_amdhsa_kernel
	.section	.text._ZN7rocprim17ROCPRIM_400000_NS6detail17trampoline_kernelINS0_14default_configENS1_33run_length_encode_config_selectorImjNS0_4plusIjEEEEZZNS1_33reduce_by_key_impl_wrapped_configILNS1_25lookback_scan_determinismE0ES3_S7_PKmNS0_17constant_iteratorIjlEEPmPlSF_S6_NS0_8equal_toImEEEE10hipError_tPvRmT2_T3_mT4_T5_T6_T7_T8_P12ihipStream_tbENKUlT_T0_E_clISt17integral_constantIbLb1EESZ_EEDaSU_SV_EUlSU_E_NS1_11comp_targetILNS1_3genE0ELNS1_11target_archE4294967295ELNS1_3gpuE0ELNS1_3repE0EEENS1_30default_config_static_selectorELNS0_4arch9wavefront6targetE1EEEvT1_,"axG",@progbits,_ZN7rocprim17ROCPRIM_400000_NS6detail17trampoline_kernelINS0_14default_configENS1_33run_length_encode_config_selectorImjNS0_4plusIjEEEEZZNS1_33reduce_by_key_impl_wrapped_configILNS1_25lookback_scan_determinismE0ES3_S7_PKmNS0_17constant_iteratorIjlEEPmPlSF_S6_NS0_8equal_toImEEEE10hipError_tPvRmT2_T3_mT4_T5_T6_T7_T8_P12ihipStream_tbENKUlT_T0_E_clISt17integral_constantIbLb1EESZ_EEDaSU_SV_EUlSU_E_NS1_11comp_targetILNS1_3genE0ELNS1_11target_archE4294967295ELNS1_3gpuE0ELNS1_3repE0EEENS1_30default_config_static_selectorELNS0_4arch9wavefront6targetE1EEEvT1_,comdat
.Lfunc_end727:
	.size	_ZN7rocprim17ROCPRIM_400000_NS6detail17trampoline_kernelINS0_14default_configENS1_33run_length_encode_config_selectorImjNS0_4plusIjEEEEZZNS1_33reduce_by_key_impl_wrapped_configILNS1_25lookback_scan_determinismE0ES3_S7_PKmNS0_17constant_iteratorIjlEEPmPlSF_S6_NS0_8equal_toImEEEE10hipError_tPvRmT2_T3_mT4_T5_T6_T7_T8_P12ihipStream_tbENKUlT_T0_E_clISt17integral_constantIbLb1EESZ_EEDaSU_SV_EUlSU_E_NS1_11comp_targetILNS1_3genE0ELNS1_11target_archE4294967295ELNS1_3gpuE0ELNS1_3repE0EEENS1_30default_config_static_selectorELNS0_4arch9wavefront6targetE1EEEvT1_, .Lfunc_end727-_ZN7rocprim17ROCPRIM_400000_NS6detail17trampoline_kernelINS0_14default_configENS1_33run_length_encode_config_selectorImjNS0_4plusIjEEEEZZNS1_33reduce_by_key_impl_wrapped_configILNS1_25lookback_scan_determinismE0ES3_S7_PKmNS0_17constant_iteratorIjlEEPmPlSF_S6_NS0_8equal_toImEEEE10hipError_tPvRmT2_T3_mT4_T5_T6_T7_T8_P12ihipStream_tbENKUlT_T0_E_clISt17integral_constantIbLb1EESZ_EEDaSU_SV_EUlSU_E_NS1_11comp_targetILNS1_3genE0ELNS1_11target_archE4294967295ELNS1_3gpuE0ELNS1_3repE0EEENS1_30default_config_static_selectorELNS0_4arch9wavefront6targetE1EEEvT1_
                                        ; -- End function
	.section	.AMDGPU.csdata,"",@progbits
; Kernel info:
; codeLenInByte = 0
; NumSgprs: 6
; NumVgprs: 0
; NumAgprs: 0
; TotalNumVgprs: 0
; ScratchSize: 0
; MemoryBound: 0
; FloatMode: 240
; IeeeMode: 1
; LDSByteSize: 0 bytes/workgroup (compile time only)
; SGPRBlocks: 0
; VGPRBlocks: 0
; NumSGPRsForWavesPerEU: 6
; NumVGPRsForWavesPerEU: 1
; AccumOffset: 4
; Occupancy: 8
; WaveLimiterHint : 0
; COMPUTE_PGM_RSRC2:SCRATCH_EN: 0
; COMPUTE_PGM_RSRC2:USER_SGPR: 2
; COMPUTE_PGM_RSRC2:TRAP_HANDLER: 0
; COMPUTE_PGM_RSRC2:TGID_X_EN: 1
; COMPUTE_PGM_RSRC2:TGID_Y_EN: 0
; COMPUTE_PGM_RSRC2:TGID_Z_EN: 0
; COMPUTE_PGM_RSRC2:TIDIG_COMP_CNT: 0
; COMPUTE_PGM_RSRC3_GFX90A:ACCUM_OFFSET: 0
; COMPUTE_PGM_RSRC3_GFX90A:TG_SPLIT: 0
	.section	.text._ZN7rocprim17ROCPRIM_400000_NS6detail17trampoline_kernelINS0_14default_configENS1_33run_length_encode_config_selectorImjNS0_4plusIjEEEEZZNS1_33reduce_by_key_impl_wrapped_configILNS1_25lookback_scan_determinismE0ES3_S7_PKmNS0_17constant_iteratorIjlEEPmPlSF_S6_NS0_8equal_toImEEEE10hipError_tPvRmT2_T3_mT4_T5_T6_T7_T8_P12ihipStream_tbENKUlT_T0_E_clISt17integral_constantIbLb1EESZ_EEDaSU_SV_EUlSU_E_NS1_11comp_targetILNS1_3genE5ELNS1_11target_archE942ELNS1_3gpuE9ELNS1_3repE0EEENS1_30default_config_static_selectorELNS0_4arch9wavefront6targetE1EEEvT1_,"axG",@progbits,_ZN7rocprim17ROCPRIM_400000_NS6detail17trampoline_kernelINS0_14default_configENS1_33run_length_encode_config_selectorImjNS0_4plusIjEEEEZZNS1_33reduce_by_key_impl_wrapped_configILNS1_25lookback_scan_determinismE0ES3_S7_PKmNS0_17constant_iteratorIjlEEPmPlSF_S6_NS0_8equal_toImEEEE10hipError_tPvRmT2_T3_mT4_T5_T6_T7_T8_P12ihipStream_tbENKUlT_T0_E_clISt17integral_constantIbLb1EESZ_EEDaSU_SV_EUlSU_E_NS1_11comp_targetILNS1_3genE5ELNS1_11target_archE942ELNS1_3gpuE9ELNS1_3repE0EEENS1_30default_config_static_selectorELNS0_4arch9wavefront6targetE1EEEvT1_,comdat
	.protected	_ZN7rocprim17ROCPRIM_400000_NS6detail17trampoline_kernelINS0_14default_configENS1_33run_length_encode_config_selectorImjNS0_4plusIjEEEEZZNS1_33reduce_by_key_impl_wrapped_configILNS1_25lookback_scan_determinismE0ES3_S7_PKmNS0_17constant_iteratorIjlEEPmPlSF_S6_NS0_8equal_toImEEEE10hipError_tPvRmT2_T3_mT4_T5_T6_T7_T8_P12ihipStream_tbENKUlT_T0_E_clISt17integral_constantIbLb1EESZ_EEDaSU_SV_EUlSU_E_NS1_11comp_targetILNS1_3genE5ELNS1_11target_archE942ELNS1_3gpuE9ELNS1_3repE0EEENS1_30default_config_static_selectorELNS0_4arch9wavefront6targetE1EEEvT1_ ; -- Begin function _ZN7rocprim17ROCPRIM_400000_NS6detail17trampoline_kernelINS0_14default_configENS1_33run_length_encode_config_selectorImjNS0_4plusIjEEEEZZNS1_33reduce_by_key_impl_wrapped_configILNS1_25lookback_scan_determinismE0ES3_S7_PKmNS0_17constant_iteratorIjlEEPmPlSF_S6_NS0_8equal_toImEEEE10hipError_tPvRmT2_T3_mT4_T5_T6_T7_T8_P12ihipStream_tbENKUlT_T0_E_clISt17integral_constantIbLb1EESZ_EEDaSU_SV_EUlSU_E_NS1_11comp_targetILNS1_3genE5ELNS1_11target_archE942ELNS1_3gpuE9ELNS1_3repE0EEENS1_30default_config_static_selectorELNS0_4arch9wavefront6targetE1EEEvT1_
	.globl	_ZN7rocprim17ROCPRIM_400000_NS6detail17trampoline_kernelINS0_14default_configENS1_33run_length_encode_config_selectorImjNS0_4plusIjEEEEZZNS1_33reduce_by_key_impl_wrapped_configILNS1_25lookback_scan_determinismE0ES3_S7_PKmNS0_17constant_iteratorIjlEEPmPlSF_S6_NS0_8equal_toImEEEE10hipError_tPvRmT2_T3_mT4_T5_T6_T7_T8_P12ihipStream_tbENKUlT_T0_E_clISt17integral_constantIbLb1EESZ_EEDaSU_SV_EUlSU_E_NS1_11comp_targetILNS1_3genE5ELNS1_11target_archE942ELNS1_3gpuE9ELNS1_3repE0EEENS1_30default_config_static_selectorELNS0_4arch9wavefront6targetE1EEEvT1_
	.p2align	8
	.type	_ZN7rocprim17ROCPRIM_400000_NS6detail17trampoline_kernelINS0_14default_configENS1_33run_length_encode_config_selectorImjNS0_4plusIjEEEEZZNS1_33reduce_by_key_impl_wrapped_configILNS1_25lookback_scan_determinismE0ES3_S7_PKmNS0_17constant_iteratorIjlEEPmPlSF_S6_NS0_8equal_toImEEEE10hipError_tPvRmT2_T3_mT4_T5_T6_T7_T8_P12ihipStream_tbENKUlT_T0_E_clISt17integral_constantIbLb1EESZ_EEDaSU_SV_EUlSU_E_NS1_11comp_targetILNS1_3genE5ELNS1_11target_archE942ELNS1_3gpuE9ELNS1_3repE0EEENS1_30default_config_static_selectorELNS0_4arch9wavefront6targetE1EEEvT1_,@function
_ZN7rocprim17ROCPRIM_400000_NS6detail17trampoline_kernelINS0_14default_configENS1_33run_length_encode_config_selectorImjNS0_4plusIjEEEEZZNS1_33reduce_by_key_impl_wrapped_configILNS1_25lookback_scan_determinismE0ES3_S7_PKmNS0_17constant_iteratorIjlEEPmPlSF_S6_NS0_8equal_toImEEEE10hipError_tPvRmT2_T3_mT4_T5_T6_T7_T8_P12ihipStream_tbENKUlT_T0_E_clISt17integral_constantIbLb1EESZ_EEDaSU_SV_EUlSU_E_NS1_11comp_targetILNS1_3genE5ELNS1_11target_archE942ELNS1_3gpuE9ELNS1_3repE0EEENS1_30default_config_static_selectorELNS0_4arch9wavefront6targetE1EEEvT1_: ; @_ZN7rocprim17ROCPRIM_400000_NS6detail17trampoline_kernelINS0_14default_configENS1_33run_length_encode_config_selectorImjNS0_4plusIjEEEEZZNS1_33reduce_by_key_impl_wrapped_configILNS1_25lookback_scan_determinismE0ES3_S7_PKmNS0_17constant_iteratorIjlEEPmPlSF_S6_NS0_8equal_toImEEEE10hipError_tPvRmT2_T3_mT4_T5_T6_T7_T8_P12ihipStream_tbENKUlT_T0_E_clISt17integral_constantIbLb1EESZ_EEDaSU_SV_EUlSU_E_NS1_11comp_targetILNS1_3genE5ELNS1_11target_archE942ELNS1_3gpuE9ELNS1_3repE0EEENS1_30default_config_static_selectorELNS0_4arch9wavefront6targetE1EEEvT1_
; %bb.0:
	s_load_dword s10, s[0:1], 0x10
	s_load_dwordx4 s[44:47], s[0:1], 0x20
	s_load_dwordx2 s[48:49], s[0:1], 0x30
	s_load_dwordx2 s[50:51], s[0:1], 0x70
	s_load_dwordx4 s[28:31], s[0:1], 0x60
	s_load_dwordx8 s[36:43], s[0:1], 0x40
	v_cmp_ne_u32_e64 s[2:3], 0, v0
	v_cmp_eq_u32_e64 s[34:35], 0, v0
	s_and_saveexec_b64 s[4:5], s[34:35]
	s_cbranch_execz .LBB728_4
; %bb.1:
	s_mov_b64 s[8:9], exec
	v_mbcnt_lo_u32_b32 v1, s8, 0
	v_mbcnt_hi_u32_b32 v1, s9, v1
	v_cmp_eq_u32_e32 vcc, 0, v1
                                        ; implicit-def: $vgpr2
	s_and_saveexec_b64 s[6:7], vcc
	s_cbranch_execz .LBB728_3
; %bb.2:
	s_load_dwordx2 s[12:13], s[0:1], 0x78
	s_bcnt1_i32_b64 s8, s[8:9]
	v_mov_b32_e32 v2, 0
	v_mov_b32_e32 v3, s8
	s_waitcnt lgkmcnt(0)
	global_atomic_add v2, v2, v3, s[12:13] sc0
.LBB728_3:
	s_or_b64 exec, exec, s[6:7]
	s_waitcnt vmcnt(0)
	v_readfirstlane_b32 s6, v2
	v_mov_b32_e32 v2, 0
	s_nop 0
	v_add_u32_e32 v1, s6, v1
	ds_write_b32 v2, v1
.LBB728_4:
	s_or_b64 exec, exec, s[4:5]
	s_load_dwordx4 s[4:7], s[0:1], 0x0
	v_mov_b32_e32 v3, 0
	s_waitcnt lgkmcnt(0)
	s_barrier
	ds_read_b32 v1, v3
	s_mul_i32 s0, s40, s39
	s_mul_hi_u32 s1, s40, s38
	s_add_i32 s0, s1, s0
	s_mul_i32 s1, s41, s38
	s_add_i32 s8, s0, s1
	s_lshl_b64 s[0:1], s[6:7], 3
	s_add_u32 s0, s4, s0
	s_mul_i32 s9, s40, s38
	s_addc_u32 s1, s5, s1
	s_waitcnt lgkmcnt(0)
	v_readfirstlane_b32 s58, v1
	s_add_u32 s52, s9, s58
	s_movk_i32 s4, 0x1e00
	s_addc_u32 s53, s8, 0
	v_mul_lo_u32 v2, v1, s4
	s_add_u32 s4, s42, -1
	s_addc_u32 s5, s43, -1
	s_cmp_eq_u64 s[52:53], s[4:5]
	v_lshlrev_b64 v[4:5], 3, v[2:3]
	s_cselect_b64 s[40:41], -1, 0
	s_cmp_lg_u64 s[52:53], s[4:5]
	v_lshl_add_u64 v[48:49], s[0:1], 0, v[4:5]
	s_mov_b64 s[6:7], -1
	s_cselect_b64 s[0:1], -1, 0
	s_mul_i32 s33, s4, 0xffffe200
	s_and_b64 vcc, exec, s[40:41]
	s_barrier
	s_cbranch_vccnz .LBB728_6
; %bb.5:
	v_lshlrev_b32_e32 v2, 3, v0
	v_lshl_add_u64 v[4:5], v[48:49], 0, v[2:3]
	v_add_co_u32_e32 v8, vcc, 0x1000, v4
	v_readfirstlane_b32 s4, v48
	s_nop 0
	v_addc_co_u32_e32 v9, vcc, 0, v5, vcc
	v_add_co_u32_e32 v10, vcc, 0x2000, v4
	v_readfirstlane_b32 s5, v49
	s_nop 0
	v_addc_co_u32_e32 v11, vcc, 0, v5, vcc
	v_add_co_u32_e32 v12, vcc, 0x3000, v4
	s_nop 1
	v_addc_co_u32_e32 v13, vcc, 0, v5, vcc
	v_add_co_u32_e32 v14, vcc, 0x4000, v4
	global_load_dwordx2 v[6:7], v2, s[4:5]
	s_nop 0
	v_addc_co_u32_e32 v15, vcc, 0, v5, vcc
	global_load_dwordx2 v[16:17], v[8:9], off
	global_load_dwordx2 v[18:19], v[10:11], off
	;; [unrolled: 1-line block ×4, first 2 shown]
	v_add_co_u32_e32 v8, vcc, 0x5000, v4
	s_movk_i32 s4, 0x70
	s_nop 0
	v_addc_co_u32_e32 v9, vcc, 0, v5, vcc
	v_add_co_u32_e32 v10, vcc, 0x6000, v4
	v_mad_u32_u24 v1, v0, s4, v2
	s_nop 0
	v_addc_co_u32_e32 v11, vcc, 0, v5, vcc
	v_add_co_u32_e32 v12, vcc, 0x7000, v4
	s_mov_b64 s[4:5], -1
	s_nop 0
	v_addc_co_u32_e32 v13, vcc, 0, v5, vcc
	v_add_co_u32_e32 v14, vcc, 0x8000, v4
	s_nop 1
	v_addc_co_u32_e32 v15, vcc, 0, v5, vcc
	global_load_dwordx2 v[24:25], v[8:9], off
	global_load_dwordx2 v[26:27], v[10:11], off
	global_load_dwordx2 v[28:29], v[12:13], off
	global_load_dwordx2 v[30:31], v[14:15], off
	v_add_co_u32_e32 v8, vcc, 0x9000, v4
	s_nop 1
	v_addc_co_u32_e32 v9, vcc, 0, v5, vcc
	v_add_co_u32_e32 v10, vcc, 0xa000, v4
	s_nop 1
	v_addc_co_u32_e32 v11, vcc, 0, v5, vcc
	;; [unrolled: 3-line block ×4, first 2 shown]
	global_load_dwordx2 v[32:33], v[8:9], off
	global_load_dwordx2 v[34:35], v[10:11], off
	;; [unrolled: 1-line block ×4, first 2 shown]
	v_add_co_u32_e32 v8, vcc, 0xd000, v4
	s_nop 1
	v_addc_co_u32_e32 v9, vcc, 0, v5, vcc
	v_add_co_u32_e32 v4, vcc, 0xe000, v4
	global_load_dwordx2 v[8:9], v[8:9], off
	s_nop 0
	v_addc_co_u32_e32 v5, vcc, 0, v5, vcc
	global_load_dwordx2 v[4:5], v[4:5], off
	s_waitcnt vmcnt(13)
	ds_write2st64_b64 v2, v[6:7], v[16:17] offset1:8
	s_waitcnt vmcnt(11)
	ds_write2st64_b64 v2, v[18:19], v[20:21] offset0:16 offset1:24
	s_waitcnt vmcnt(9)
	ds_write2st64_b64 v2, v[22:23], v[24:25] offset0:32 offset1:40
	;; [unrolled: 2-line block ×6, first 2 shown]
	s_waitcnt vmcnt(0)
	ds_write_b64 v2, v[4:5] offset:57344
	s_waitcnt lgkmcnt(0)
	s_barrier
	ds_read2_b64 v[26:29], v1 offset1:1
	ds_read2_b64 v[22:25], v1 offset0:2 offset1:3
	ds_read2_b64 v[18:21], v1 offset0:4 offset1:5
	;; [unrolled: 1-line block ×6, first 2 shown]
	ds_read_b64 v[46:47], v1 offset:112
	s_waitcnt lgkmcnt(7)
	v_mov_b32_e32 v30, v26
	v_mov_b32_e32 v31, v27
	s_waitcnt lgkmcnt(6)
	v_mov_b32_e32 v32, v22
	v_mov_b32_e32 v33, v23
	;; [unrolled: 3-line block ×7, first 2 shown]
	s_add_i32 s33, s33, s28
	s_cbranch_execz .LBB728_7
	s_branch .LBB728_38
.LBB728_6:
	s_mov_b64 s[4:5], 0
                                        ; implicit-def: $vgpr46_vgpr47
                                        ; implicit-def: $vgpr6_vgpr7
                                        ; implicit-def: $vgpr2_vgpr3
                                        ; implicit-def: $vgpr10_vgpr11
                                        ; implicit-def: $vgpr14_vgpr15
                                        ; implicit-def: $vgpr18_vgpr19
                                        ; implicit-def: $vgpr22_vgpr23
                                        ; implicit-def: $vgpr26_vgpr27
                                        ; implicit-def: $vgpr38_vgpr39_vgpr40_vgpr41
                                        ; implicit-def: $vgpr34_vgpr35_vgpr36_vgpr37
                                        ; implicit-def: $vgpr30_vgpr31_vgpr32_vgpr33
                                        ; implicit-def: $vgpr42_vgpr43_vgpr44_vgpr45
	s_add_i32 s33, s33, s28
	s_andn2_b64 vcc, exec, s[6:7]
	s_cbranch_vccnz .LBB728_38
.LBB728_7:
	v_cmp_gt_u32_e32 vcc, s33, v0
                                        ; implicit-def: $vgpr2_vgpr3
	s_and_saveexec_b64 s[4:5], vcc
	s_cbranch_execz .LBB728_9
; %bb.8:
	v_lshlrev_b32_e32 v1, 3, v0
	v_readfirstlane_b32 s6, v48
	v_readfirstlane_b32 s7, v49
	s_nop 4
	global_load_dwordx2 v[2:3], v1, s[6:7]
.LBB728_9:
	s_or_b64 exec, exec, s[4:5]
	v_or_b32_e32 v1, 0x200, v0
	v_cmp_gt_u32_e32 vcc, s33, v1
                                        ; implicit-def: $vgpr4_vgpr5
	s_and_saveexec_b64 s[4:5], vcc
	s_cbranch_execz .LBB728_11
; %bb.10:
	v_lshlrev_b32_e32 v1, 3, v1
	v_readfirstlane_b32 s6, v48
	v_readfirstlane_b32 s7, v49
	s_nop 4
	global_load_dwordx2 v[4:5], v1, s[6:7]
.LBB728_11:
	s_or_b64 exec, exec, s[4:5]
	v_or_b32_e32 v1, 0x400, v0
	v_cmp_gt_u32_e32 vcc, s33, v1
                                        ; implicit-def: $vgpr6_vgpr7
	s_and_saveexec_b64 s[4:5], vcc
	s_cbranch_execz .LBB728_13
; %bb.12:
	v_lshlrev_b32_e32 v1, 3, v1
	v_readfirstlane_b32 s6, v48
	v_readfirstlane_b32 s7, v49
	s_nop 4
	global_load_dwordx2 v[6:7], v1, s[6:7]
.LBB728_13:
	s_or_b64 exec, exec, s[4:5]
	v_or_b32_e32 v1, 0x600, v0
	v_cmp_gt_u32_e32 vcc, s33, v1
                                        ; implicit-def: $vgpr8_vgpr9
	s_and_saveexec_b64 s[4:5], vcc
	s_cbranch_execz .LBB728_15
; %bb.14:
	v_lshlrev_b32_e32 v1, 3, v1
	v_readfirstlane_b32 s6, v48
	v_readfirstlane_b32 s7, v49
	s_nop 4
	global_load_dwordx2 v[8:9], v1, s[6:7]
.LBB728_15:
	s_or_b64 exec, exec, s[4:5]
	v_or_b32_e32 v1, 0x800, v0
	v_cmp_gt_u32_e32 vcc, s33, v1
                                        ; implicit-def: $vgpr10_vgpr11
	s_and_saveexec_b64 s[4:5], vcc
	s_cbranch_execz .LBB728_17
; %bb.16:
	v_lshlrev_b32_e32 v1, 3, v1
	v_readfirstlane_b32 s6, v48
	v_readfirstlane_b32 s7, v49
	s_nop 4
	global_load_dwordx2 v[10:11], v1, s[6:7]
.LBB728_17:
	s_or_b64 exec, exec, s[4:5]
	v_or_b32_e32 v1, 0xa00, v0
	v_cmp_gt_u32_e32 vcc, s33, v1
                                        ; implicit-def: $vgpr12_vgpr13
	s_and_saveexec_b64 s[4:5], vcc
	s_cbranch_execz .LBB728_19
; %bb.18:
	v_lshlrev_b32_e32 v1, 3, v1
	v_readfirstlane_b32 s6, v48
	v_readfirstlane_b32 s7, v49
	s_nop 4
	global_load_dwordx2 v[12:13], v1, s[6:7]
.LBB728_19:
	s_or_b64 exec, exec, s[4:5]
	v_or_b32_e32 v1, 0xc00, v0
	v_cmp_gt_u32_e32 vcc, s33, v1
                                        ; implicit-def: $vgpr14_vgpr15
	s_and_saveexec_b64 s[4:5], vcc
	s_cbranch_execz .LBB728_21
; %bb.20:
	v_lshlrev_b32_e32 v1, 3, v1
	v_readfirstlane_b32 s6, v48
	v_readfirstlane_b32 s7, v49
	s_nop 4
	global_load_dwordx2 v[14:15], v1, s[6:7]
.LBB728_21:
	s_or_b64 exec, exec, s[4:5]
	v_or_b32_e32 v1, 0xe00, v0
	v_cmp_gt_u32_e32 vcc, s33, v1
                                        ; implicit-def: $vgpr16_vgpr17
	s_and_saveexec_b64 s[4:5], vcc
	s_cbranch_execz .LBB728_23
; %bb.22:
	v_lshlrev_b32_e32 v1, 3, v1
	v_readfirstlane_b32 s6, v48
	v_readfirstlane_b32 s7, v49
	s_nop 4
	global_load_dwordx2 v[16:17], v1, s[6:7]
.LBB728_23:
	s_or_b64 exec, exec, s[4:5]
	v_or_b32_e32 v1, 0x1000, v0
	v_cmp_gt_u32_e32 vcc, s33, v1
                                        ; implicit-def: $vgpr18_vgpr19
	s_and_saveexec_b64 s[4:5], vcc
	s_cbranch_execz .LBB728_25
; %bb.24:
	v_lshlrev_b32_e32 v1, 3, v1
	v_readfirstlane_b32 s6, v48
	v_readfirstlane_b32 s7, v49
	s_nop 4
	global_load_dwordx2 v[18:19], v1, s[6:7]
.LBB728_25:
	s_or_b64 exec, exec, s[4:5]
	v_or_b32_e32 v1, 0x1200, v0
	v_cmp_gt_u32_e32 vcc, s33, v1
                                        ; implicit-def: $vgpr20_vgpr21
	s_and_saveexec_b64 s[4:5], vcc
	s_cbranch_execz .LBB728_27
; %bb.26:
	v_lshlrev_b32_e32 v1, 3, v1
	v_readfirstlane_b32 s6, v48
	v_readfirstlane_b32 s7, v49
	s_nop 4
	global_load_dwordx2 v[20:21], v1, s[6:7]
.LBB728_27:
	s_or_b64 exec, exec, s[4:5]
	v_or_b32_e32 v1, 0x1400, v0
	v_cmp_gt_u32_e32 vcc, s33, v1
                                        ; implicit-def: $vgpr22_vgpr23
	s_and_saveexec_b64 s[4:5], vcc
	s_cbranch_execz .LBB728_29
; %bb.28:
	v_lshlrev_b32_e32 v1, 3, v1
	v_readfirstlane_b32 s6, v48
	v_readfirstlane_b32 s7, v49
	s_nop 4
	global_load_dwordx2 v[22:23], v1, s[6:7]
.LBB728_29:
	s_or_b64 exec, exec, s[4:5]
	v_or_b32_e32 v1, 0x1600, v0
	v_cmp_gt_u32_e32 vcc, s33, v1
                                        ; implicit-def: $vgpr24_vgpr25
	s_and_saveexec_b64 s[4:5], vcc
	s_cbranch_execz .LBB728_31
; %bb.30:
	v_lshlrev_b32_e32 v1, 3, v1
	v_readfirstlane_b32 s6, v48
	v_readfirstlane_b32 s7, v49
	s_nop 4
	global_load_dwordx2 v[24:25], v1, s[6:7]
.LBB728_31:
	s_or_b64 exec, exec, s[4:5]
	v_or_b32_e32 v1, 0x1800, v0
	v_cmp_gt_u32_e32 vcc, s33, v1
                                        ; implicit-def: $vgpr26_vgpr27
	s_and_saveexec_b64 s[4:5], vcc
	s_cbranch_execz .LBB728_33
; %bb.32:
	v_lshlrev_b32_e32 v1, 3, v1
	v_readfirstlane_b32 s6, v48
	v_readfirstlane_b32 s7, v49
	s_nop 4
	global_load_dwordx2 v[26:27], v1, s[6:7]
.LBB728_33:
	s_or_b64 exec, exec, s[4:5]
	v_or_b32_e32 v1, 0x1a00, v0
	v_cmp_gt_u32_e32 vcc, s33, v1
                                        ; implicit-def: $vgpr28_vgpr29
	s_and_saveexec_b64 s[4:5], vcc
	s_cbranch_execz .LBB728_35
; %bb.34:
	v_lshlrev_b32_e32 v1, 3, v1
	v_readfirstlane_b32 s6, v48
	v_readfirstlane_b32 s7, v49
	s_nop 4
	global_load_dwordx2 v[28:29], v1, s[6:7]
.LBB728_35:
	s_or_b64 exec, exec, s[4:5]
	v_or_b32_e32 v1, 0x1c00, v0
	v_cmp_gt_u32_e32 vcc, s33, v1
                                        ; implicit-def: $vgpr30_vgpr31
	s_and_saveexec_b64 s[4:5], vcc
	s_cbranch_execz .LBB728_37
; %bb.36:
	v_lshlrev_b32_e32 v1, 3, v1
	v_readfirstlane_b32 s6, v48
	v_readfirstlane_b32 s7, v49
	s_nop 4
	global_load_dwordx2 v[30:31], v1, s[6:7]
.LBB728_37:
	s_or_b64 exec, exec, s[4:5]
	v_lshlrev_b32_e32 v1, 3, v0
	s_movk_i32 s4, 0x70
	s_waitcnt vmcnt(0)
	ds_write2st64_b64 v1, v[2:3], v[4:5] offset1:8
	ds_write2st64_b64 v1, v[6:7], v[8:9] offset0:16 offset1:24
	ds_write2st64_b64 v1, v[10:11], v[12:13] offset0:32 offset1:40
	;; [unrolled: 1-line block ×6, first 2 shown]
	ds_write_b64 v1, v[30:31] offset:57344
	v_mad_u32_u24 v1, v0, s4, v1
	s_waitcnt lgkmcnt(0)
	s_barrier
	ds_read2_b64 v[26:29], v1 offset1:1
	ds_read2_b64 v[22:25], v1 offset0:2 offset1:3
	ds_read2_b64 v[18:21], v1 offset0:4 offset1:5
	;; [unrolled: 1-line block ×6, first 2 shown]
	ds_read_b64 v[46:47], v1 offset:112
	v_mad_u32_u24 v30, v0, 15, 14
	v_cmp_gt_u32_e64 s[4:5], s33, v30
	s_waitcnt lgkmcnt(7)
	v_mov_b32_e32 v30, v26
	v_mov_b32_e32 v31, v27
	s_waitcnt lgkmcnt(6)
	v_mov_b32_e32 v32, v22
	v_mov_b32_e32 v33, v23
	;; [unrolled: 3-line block ×7, first 2 shown]
.LBB728_38:
	v_mov_b32_e32 v68, s10
                                        ; implicit-def: $vgpr69
	s_and_saveexec_b64 s[6:7], s[4:5]
; %bb.39:
	v_mov_b32_e32 v69, s10
; %bb.40:
	s_or_b64 exec, exec, s[6:7]
	s_cmp_eq_u64 s[52:53], 0
	s_cselect_b64 s[42:43], -1, 0
	s_cmp_lg_u64 s[52:53], 0
	s_mov_b64 s[4:5], 0
	s_cselect_b64 s[54:55], -1, 0
	s_and_b64 vcc, exec, s[0:1]
	s_waitcnt lgkmcnt(0)
	s_barrier
	s_cbranch_vccz .LBB728_46
; %bb.41:
	s_and_b64 vcc, exec, s[54:55]
	s_cbranch_vccz .LBB728_47
; %bb.42:
	global_load_dwordx2 v[44:45], v[48:49], off offset:-8
	v_lshlrev_b32_e32 v1, 3, v0
	v_cmp_ne_u64_e32 vcc, v[8:9], v[46:47]
	v_cmp_ne_u64_e64 s[0:1], v[6:7], v[8:9]
	v_cmp_ne_u64_e64 s[4:5], v[4:5], v[6:7]
	;; [unrolled: 1-line block ×13, first 2 shown]
	ds_write_b64 v1, v[46:47]
	s_waitcnt lgkmcnt(0)
	s_barrier
	s_and_saveexec_b64 s[56:57], s[2:3]
	s_cbranch_execz .LBB728_44
; %bb.43:
	v_add_u32_e32 v1, -8, v1
	s_waitcnt vmcnt(0)
	ds_read_b64 v[44:45], v1
.LBB728_44:
	s_or_b64 exec, exec, s[56:57]
	v_cndmask_b32_e64 v1, 0, 1, vcc
	v_cndmask_b32_e64 v72, 0, 1, s[0:1]
	v_cndmask_b32_e64 v73, 0, 1, s[4:5]
	;; [unrolled: 1-line block ×13, first 2 shown]
	s_waitcnt vmcnt(0) lgkmcnt(0)
	v_cmp_ne_u64_e64 s[0:1], v[44:45], v[26:27]
	s_mov_b64 s[4:5], -1
.LBB728_45:
                                        ; implicit-def: $sgpr10
	s_branch .LBB728_59
.LBB728_46:
                                        ; implicit-def: $sgpr0_sgpr1
                                        ; implicit-def: $vgpr1
                                        ; implicit-def: $vgpr72
                                        ; implicit-def: $vgpr73
                                        ; implicit-def: $vgpr74
                                        ; implicit-def: $vgpr75
                                        ; implicit-def: $vgpr76
                                        ; implicit-def: $vgpr77
                                        ; implicit-def: $vgpr78
                                        ; implicit-def: $vgpr79
                                        ; implicit-def: $vgpr80
                                        ; implicit-def: $vgpr81
                                        ; implicit-def: $vgpr82
                                        ; implicit-def: $vgpr83
                                        ; implicit-def: $vgpr84
                                        ; implicit-def: $sgpr10
	s_cbranch_execnz .LBB728_51
	s_branch .LBB728_59
.LBB728_47:
                                        ; implicit-def: $sgpr0_sgpr1
                                        ; implicit-def: $vgpr1
                                        ; implicit-def: $vgpr72
                                        ; implicit-def: $vgpr73
                                        ; implicit-def: $vgpr74
                                        ; implicit-def: $vgpr75
                                        ; implicit-def: $vgpr76
                                        ; implicit-def: $vgpr77
                                        ; implicit-def: $vgpr78
                                        ; implicit-def: $vgpr79
                                        ; implicit-def: $vgpr80
                                        ; implicit-def: $vgpr81
                                        ; implicit-def: $vgpr82
                                        ; implicit-def: $vgpr83
                                        ; implicit-def: $vgpr84
	s_cbranch_execz .LBB728_45
; %bb.48:
	v_cmp_ne_u64_e32 vcc, v[28:29], v[30:31]
	v_lshlrev_b32_e32 v44, 3, v0
	ds_write_b64 v44, v[46:47]
	v_cndmask_b32_e64 v84, 0, 1, vcc
	v_cmp_ne_u64_e32 vcc, v[28:29], v[32:33]
	s_waitcnt lgkmcnt(0)
	s_barrier
	v_cndmask_b32_e64 v83, 0, 1, vcc
	v_cmp_ne_u64_e32 vcc, v[32:33], v[24:25]
	s_waitcnt lgkmcnt(0)
                                        ; implicit-def: $sgpr0_sgpr1
	s_nop 0
	v_cndmask_b32_e64 v82, 0, 1, vcc
	v_cmp_ne_u64_e32 vcc, v[34:35], v[24:25]
	s_nop 1
	v_cndmask_b32_e64 v81, 0, 1, vcc
	v_cmp_ne_u64_e32 vcc, v[20:21], v[34:35]
	;; [unrolled: 3-line block ×11, first 2 shown]
	s_nop 1
	v_cndmask_b32_e64 v1, 0, 1, vcc
	s_and_saveexec_b64 s[6:7], s[2:3]
	s_xor_b64 s[6:7], exec, s[6:7]
	s_cbranch_execz .LBB728_50
; %bb.49:
	v_add_u32_e32 v30, -8, v44
	ds_read_b64 v[30:31], v30
	s_or_b64 s[4:5], s[4:5], exec
	s_waitcnt lgkmcnt(0)
	v_cmp_ne_u64_e32 vcc, v[30:31], v[26:27]
	s_and_b64 s[0:1], vcc, exec
.LBB728_50:
	s_or_b64 exec, exec, s[6:7]
	s_mov_b32 s10, 1
	s_branch .LBB728_59
.LBB728_51:
	s_mul_hi_u32 s1, s52, 0xffffe200
	s_mul_i32 s0, s53, 0xffffe200
	s_sub_i32 s1, s1, s52
	s_add_i32 s1, s1, s0
	s_mul_i32 s0, s52, 0xffffe200
	s_add_u32 s6, s0, s28
	s_addc_u32 s7, s1, s29
	s_and_b64 vcc, exec, s[54:55]
	s_cbranch_vccz .LBB728_56
; %bb.52:
	global_load_dwordx2 v[30:31], v[48:49], off offset:-8
	v_mad_u32_u24 v34, v0, 15, 14
	v_mov_b32_e32 v35, 0
	v_cmp_gt_u64_e32 vcc, s[6:7], v[34:35]
	v_cmp_ne_u64_e64 s[0:1], v[8:9], v[46:47]
	v_mad_u32_u24 v34, v0, 15, 13
	s_and_b64 s[4:5], vcc, s[0:1]
	v_cmp_gt_u64_e32 vcc, s[6:7], v[34:35]
	v_cmp_ne_u64_e64 s[0:1], v[6:7], v[8:9]
	v_mad_u32_u24 v34, v0, 15, 12
	s_and_b64 s[8:9], vcc, s[0:1]
	;; [unrolled: 4-line block ×13, first 2 shown]
	v_cmp_gt_u64_e32 vcc, s[6:7], v[34:35]
	v_cmp_ne_u64_e64 s[0:1], v[26:27], v[28:29]
	v_lshlrev_b32_e32 v1, 3, v0
	v_mul_u32_u24_e32 v32, 15, v0
	s_and_b64 s[0:1], vcc, s[0:1]
	ds_write_b64 v1, v[46:47]
	s_waitcnt lgkmcnt(0)
	s_barrier
	s_and_saveexec_b64 s[54:55], s[2:3]
	s_cbranch_execz .LBB728_54
; %bb.53:
	v_add_u32_e32 v1, -8, v1
	s_waitcnt vmcnt(0)
	ds_read_b64 v[30:31], v1
.LBB728_54:
	s_or_b64 exec, exec, s[54:55]
	v_mov_b32_e32 v33, v35
	v_cndmask_b32_e64 v84, 0, 1, s[0:1]
	v_cmp_gt_u64_e32 vcc, s[6:7], v[32:33]
	s_waitcnt vmcnt(0) lgkmcnt(0)
	v_cmp_ne_u64_e64 s[0:1], v[30:31], v[26:27]
	v_cndmask_b32_e64 v1, 0, 1, s[4:5]
	v_cndmask_b32_e64 v72, 0, 1, s[8:9]
	;; [unrolled: 1-line block ×13, first 2 shown]
	s_and_b64 s[0:1], vcc, s[0:1]
	s_mov_b64 s[4:5], -1
.LBB728_55:
                                        ; implicit-def: $sgpr10
	v_mov_b32_e32 v85, s10
	s_and_saveexec_b64 s[2:3], s[4:5]
	s_cbranch_execnz .LBB728_60
	s_branch .LBB728_61
.LBB728_56:
                                        ; implicit-def: $sgpr0_sgpr1
                                        ; implicit-def: $vgpr1
                                        ; implicit-def: $vgpr72
                                        ; implicit-def: $vgpr73
                                        ; implicit-def: $vgpr74
                                        ; implicit-def: $vgpr75
                                        ; implicit-def: $vgpr76
                                        ; implicit-def: $vgpr77
                                        ; implicit-def: $vgpr78
                                        ; implicit-def: $vgpr79
                                        ; implicit-def: $vgpr80
                                        ; implicit-def: $vgpr81
                                        ; implicit-def: $vgpr82
                                        ; implicit-def: $vgpr83
                                        ; implicit-def: $vgpr84
	s_cbranch_execz .LBB728_55
; %bb.57:
	v_mad_u32_u24 v30, v0, 15, 14
	v_mov_b32_e32 v31, 0
	v_cmp_gt_u64_e32 vcc, s[6:7], v[30:31]
	v_cmp_ne_u64_e64 s[0:1], v[8:9], v[46:47]
	s_and_b64 s[0:1], vcc, s[0:1]
	v_mad_u32_u24 v30, v0, 15, 13
	v_cndmask_b32_e64 v1, 0, 1, s[0:1]
	v_cmp_gt_u64_e32 vcc, s[6:7], v[30:31]
	v_cmp_ne_u64_e64 s[0:1], v[6:7], v[8:9]
	s_and_b64 s[0:1], vcc, s[0:1]
	v_mad_u32_u24 v30, v0, 15, 12
	v_cndmask_b32_e64 v72, 0, 1, s[0:1]
	;; [unrolled: 5-line block ×13, first 2 shown]
	v_cmp_gt_u64_e32 vcc, s[6:7], v[30:31]
	v_cmp_ne_u64_e64 s[0:1], v[26:27], v[28:29]
	s_and_b64 s[0:1], vcc, s[0:1]
	v_lshlrev_b32_e32 v32, 3, v0
	s_mov_b32 s10, 1
	v_cndmask_b32_e64 v84, 0, 1, s[0:1]
	ds_write_b64 v32, v[46:47]
	s_waitcnt lgkmcnt(0)
	s_barrier
	s_waitcnt lgkmcnt(0)
                                        ; implicit-def: $sgpr0_sgpr1
	s_and_saveexec_b64 s[8:9], s[2:3]
	s_cbranch_execz .LBB728_144
; %bb.58:
	v_add_u32_e32 v30, -8, v32
	ds_read_b64 v[32:33], v30
	v_mul_u32_u24_e32 v30, 15, v0
	v_cmp_gt_u64_e32 vcc, s[6:7], v[30:31]
	s_or_b64 s[4:5], s[4:5], exec
	s_waitcnt lgkmcnt(0)
	v_cmp_ne_u64_e64 s[0:1], v[32:33], v[26:27]
	s_and_b64 s[0:1], vcc, s[0:1]
	s_and_b64 s[0:1], s[0:1], exec
	s_or_b64 exec, exec, s[8:9]
.LBB728_59:
	v_mov_b32_e32 v85, s10
	s_and_saveexec_b64 s[2:3], s[4:5]
.LBB728_60:
	v_cndmask_b32_e64 v85, 0, 1, s[0:1]
.LBB728_61:
	s_or_b64 exec, exec, s[2:3]
	s_cmp_eq_u64 s[38:39], 0
	v_add3_u32 v30, v84, v85, v83
	s_cselect_b64 s[38:39], -1, 0
	s_cmp_lg_u32 s58, 0
	v_cmp_eq_u32_e64 s[26:27], 0, v84
	v_cmp_eq_u32_e64 s[24:25], 0, v83
	v_cmp_eq_u32_e64 s[22:23], 0, v82
	v_add3_u32 v87, v30, v82, v81
	v_cmp_eq_u32_e64 s[20:21], 0, v81
	v_cmp_eq_u32_e64 s[18:19], 0, v80
	;; [unrolled: 1-line block ×10, first 2 shown]
	v_cmp_eq_u32_e32 vcc, 0, v1
	v_mbcnt_lo_u32_b32 v86, -1, 0
	v_lshrrev_b32_e32 v70, 6, v0
	v_or_b32_e32 v71, 63, v0
	s_cbranch_scc0 .LBB728_92
; %bb.62:
	v_cndmask_b32_e64 v30, 0, v68, s[26:27]
	v_add_u32_e32 v30, v30, v68
	v_cndmask_b32_e64 v30, 0, v30, s[24:25]
	v_add_u32_e32 v30, v30, v68
	;; [unrolled: 2-line block ×11, first 2 shown]
	v_cndmask_b32_e64 v30, 0, v30, s[4:5]
	v_add3_u32 v31, v87, v80, v79
	v_add_u32_e32 v30, v30, v68
	v_add3_u32 v31, v31, v78, v77
	v_cndmask_b32_e64 v30, 0, v30, s[2:3]
	v_add3_u32 v31, v31, v76, v75
	v_add_u32_e32 v30, v30, v68
	v_add3_u32 v31, v31, v74, v73
	v_cndmask_b32_e32 v30, 0, v30, vcc
	v_add3_u32 v31, v31, v72, v1
	v_add_u32_e32 v30, v30, v69
	v_mbcnt_hi_u32_b32 v39, -1, v86
	v_and_b32_e32 v32, 15, v39
	v_mov_b32_dpp v34, v30 row_shr:1 row_mask:0xf bank_mask:0xf
	v_cmp_eq_u32_e32 vcc, 0, v31
	v_mov_b32_dpp v33, v31 row_shr:1 row_mask:0xf bank_mask:0xf
	v_cmp_lt_u32_e64 s[0:1], 1, v32
	v_cndmask_b32_e32 v34, 0, v34, vcc
	v_cmp_eq_u32_e32 vcc, 0, v32
	s_nop 1
	v_cndmask_b32_e64 v33, v33, 0, vcc
	v_add_u32_e32 v31, v33, v31
	v_cndmask_b32_e64 v33, v34, 0, vcc
	v_add_u32_e32 v30, v33, v30
	v_cmp_eq_u32_e32 vcc, 0, v31
	v_mov_b32_dpp v33, v31 row_shr:2 row_mask:0xf bank_mask:0xf
	v_mov_b32_dpp v34, v30 row_shr:2 row_mask:0xf bank_mask:0xf
	v_cndmask_b32_e64 v33, 0, v33, s[0:1]
	s_and_b64 vcc, s[0:1], vcc
	v_cndmask_b32_e32 v34, 0, v34, vcc
	v_add_u32_e32 v31, v31, v33
	v_add_u32_e32 v30, v34, v30
	v_cmp_eq_u32_e32 vcc, 0, v31
	v_mov_b32_dpp v33, v31 row_shr:4 row_mask:0xf bank_mask:0xf
	v_cmp_lt_u32_e64 s[0:1], 3, v32
	v_mov_b32_dpp v34, v30 row_shr:4 row_mask:0xf bank_mask:0xf
	s_and_b64 vcc, s[0:1], vcc
	v_cndmask_b32_e64 v33, 0, v33, s[0:1]
	v_cndmask_b32_e32 v34, 0, v34, vcc
	v_add_u32_e32 v31, v33, v31
	v_add_u32_e32 v30, v30, v34
	v_cmp_eq_u32_e32 vcc, 0, v31
	v_cmp_lt_u32_e64 s[0:1], 7, v32
	v_mov_b32_dpp v33, v31 row_shr:8 row_mask:0xf bank_mask:0xf
	v_mov_b32_dpp v34, v30 row_shr:8 row_mask:0xf bank_mask:0xf
	s_and_b64 vcc, s[0:1], vcc
	v_cndmask_b32_e64 v32, 0, v33, s[0:1]
	v_cndmask_b32_e32 v33, 0, v34, vcc
	v_add_u32_e32 v30, v33, v30
	v_add_u32_e32 v31, v32, v31
	v_bfe_i32 v34, v39, 4, 1
	v_mov_b32_dpp v33, v30 row_bcast:15 row_mask:0xf bank_mask:0xf
	v_mov_b32_dpp v32, v31 row_bcast:15 row_mask:0xf bank_mask:0xf
	v_cmp_eq_u32_e32 vcc, 0, v31
	v_and_b32_e32 v32, v34, v32
	v_add_u32_e32 v31, v32, v31
	v_cndmask_b32_e32 v33, 0, v33, vcc
	v_and_b32_e32 v32, v34, v33
	v_add_u32_e32 v32, v32, v30
	v_mov_b32_dpp v30, v31 row_bcast:31 row_mask:0xf bank_mask:0xf
	v_cmp_eq_u32_e32 vcc, 0, v31
	v_cmp_lt_u32_e64 s[0:1], 31, v39
	v_mov_b32_dpp v33, v32 row_bcast:31 row_mask:0xf bank_mask:0xf
	s_and_b64 vcc, s[0:1], vcc
	v_cndmask_b32_e64 v30, 0, v30, s[0:1]
	v_add_u32_e32 v30, v30, v31
	v_cndmask_b32_e32 v31, 0, v33, vcc
	v_add_u32_e32 v31, v31, v32
	v_cmp_eq_u32_e32 vcc, v71, v0
	v_lshlrev_b32_e32 v32, 3, v70
	s_and_saveexec_b64 s[0:1], vcc
	s_cbranch_execz .LBB728_64
; %bb.63:
	ds_write_b64 v32, v[30:31] offset:8208
.LBB728_64:
	s_or_b64 exec, exec, s[0:1]
	v_cmp_gt_u32_e32 vcc, 8, v0
	s_waitcnt lgkmcnt(0)
	s_barrier
	s_and_saveexec_b64 s[28:29], vcc
	s_cbranch_execz .LBB728_66
; %bb.65:
	v_lshlrev_b32_e32 v33, 3, v0
	ds_read_b64 v[34:35], v33 offset:8208
	v_and_b32_e32 v36, 7, v39
	v_cmp_lt_u32_e64 s[0:1], 1, v36
	s_waitcnt lgkmcnt(0)
	v_mov_b32_dpp v38, v35 row_shr:1 row_mask:0xf bank_mask:0xf
	v_cmp_eq_u32_e32 vcc, 0, v34
	v_mov_b32_dpp v37, v34 row_shr:1 row_mask:0xf bank_mask:0xf
	s_nop 0
	v_cndmask_b32_e32 v38, 0, v38, vcc
	v_cmp_eq_u32_e32 vcc, 0, v36
	s_nop 1
	v_cndmask_b32_e64 v37, v37, 0, vcc
	v_add_u32_e32 v34, v37, v34
	v_cndmask_b32_e64 v37, v38, 0, vcc
	v_add_u32_e32 v35, v37, v35
	v_cmp_eq_u32_e32 vcc, 0, v34
	v_mov_b32_dpp v37, v34 row_shr:2 row_mask:0xf bank_mask:0xf
	v_mov_b32_dpp v38, v35 row_shr:2 row_mask:0xf bank_mask:0xf
	v_cndmask_b32_e64 v37, 0, v37, s[0:1]
	s_and_b64 vcc, s[0:1], vcc
	v_cndmask_b32_e32 v38, 0, v38, vcc
	v_add_u32_e32 v34, v37, v34
	v_add_u32_e32 v35, v38, v35
	v_cmp_eq_u32_e32 vcc, 0, v34
	v_mov_b32_dpp v37, v34 row_shr:4 row_mask:0xf bank_mask:0xf
	v_cmp_lt_u32_e64 s[0:1], 3, v36
	v_mov_b32_dpp v38, v35 row_shr:4 row_mask:0xf bank_mask:0xf
	s_and_b64 vcc, s[0:1], vcc
	v_cndmask_b32_e64 v36, 0, v37, s[0:1]
	v_add_u32_e32 v34, v36, v34
	v_cndmask_b32_e32 v36, 0, v38, vcc
	v_add_u32_e32 v35, v36, v35
	ds_write_b64 v33, v[34:35] offset:8208
.LBB728_66:
	s_or_b64 exec, exec, s[28:29]
	v_cmp_gt_u32_e32 vcc, 64, v0
	v_cmp_lt_u32_e64 s[0:1], 63, v0
	v_mov_b32_e32 v36, 0
	v_mov_b32_e32 v37, 0
	s_waitcnt lgkmcnt(0)
	s_barrier
	s_and_saveexec_b64 s[28:29], s[0:1]
	s_cbranch_execz .LBB728_68
; %bb.67:
	ds_read_b64 v[36:37], v32 offset:8200
	v_cmp_eq_u32_e64 s[0:1], 0, v30
	s_waitcnt lgkmcnt(0)
	v_add_u32_e32 v32, v36, v30
	v_cndmask_b32_e64 v30, 0, v37, s[0:1]
	v_add_u32_e32 v31, v30, v31
	v_mov_b32_e32 v30, v32
.LBB728_68:
	s_or_b64 exec, exec, s[28:29]
	v_add_u32_e32 v32, -1, v39
	v_and_b32_e32 v33, 64, v39
	v_cmp_lt_i32_e64 s[0:1], v32, v33
	v_cmp_eq_u32_e64 s[28:29], 0, v39
	s_nop 0
	v_cndmask_b32_e64 v32, v32, v39, s[0:1]
	v_lshlrev_b32_e32 v32, 2, v32
	ds_bpermute_b32 v44, v32, v30
	ds_bpermute_b32 v45, v32, v31
	s_and_saveexec_b64 s[52:53], vcc
	s_cbranch_execz .LBB728_91
; %bb.69:
	v_mov_b32_e32 v35, 0
	ds_read_b64 v[30:31], v35 offset:8264
	s_waitcnt lgkmcnt(0)
	v_readfirstlane_b32 s56, v30
	v_readfirstlane_b32 s57, v31
	s_and_saveexec_b64 s[0:1], s[28:29]
	s_cbranch_execz .LBB728_71
; %bb.70:
	s_add_i32 s54, s58, 64
	s_mov_b32 s55, 0
	s_lshl_b64 s[60:61], s[54:55], 4
	s_add_u32 s60, s36, s60
	s_addc_u32 s61, s37, s61
	s_and_b32 s63, s57, 0xff000000
	s_mov_b32 s62, s55
	s_and_b32 s65, s57, 0xff0000
	s_mov_b32 s64, s55
	s_or_b64 s[62:63], s[64:65], s[62:63]
	s_and_b32 s65, s57, 0xff00
	s_or_b64 s[62:63], s[62:63], s[64:65]
	s_and_b32 s65, s57, 0xff
	s_or_b64 s[54:55], s[62:63], s[64:65]
	v_mov_b32_e32 v32, s56
	v_mov_b32_e32 v33, s55
	;; [unrolled: 1-line block ×3, first 2 shown]
	v_mov_b64_e32 v[30:31], s[60:61]
	;;#ASMSTART
	global_store_dwordx4 v[30:31], v[32:35] off sc1	
s_waitcnt vmcnt(0)
	;;#ASMEND
.LBB728_71:
	s_or_b64 exec, exec, s[0:1]
	v_xad_u32 v38, v39, -1, s58
	v_add_u32_e32 v34, 64, v38
	v_lshl_add_u64 v[40:41], v[34:35], 4, s[36:37]
	;;#ASMSTART
	global_load_dwordx4 v[30:33], v[40:41] off sc1	
s_waitcnt vmcnt(0)
	;;#ASMEND
	s_nop 0
	v_and_b32_e32 v33, 0xff, v31
	v_and_b32_e32 v34, 0xff00, v31
	v_or3_b32 v30, v30, 0, 0
	v_and_b32_e32 v42, 0xff000000, v31
	v_or3_b32 v33, 0, v33, v34
	;; [unrolled: 2-line block ×3, first 2 shown]
	v_or3_b32 v30, v30, 0, 0
	v_cmp_eq_u16_sdwa s[54:55], v32, v35 src0_sel:BYTE_0 src1_sel:DWORD
	s_and_saveexec_b64 s[0:1], s[54:55]
	s_cbranch_execz .LBB728_77
; %bb.72:
	s_mov_b32 s59, 1
	s_mov_b64 s[54:55], 0
	v_mov_b32_e32 v34, 0
.LBB728_73:                             ; =>This Loop Header: Depth=1
                                        ;     Child Loop BB728_74 Depth 2
	s_max_u32 s60, s59, 1
.LBB728_74:                             ;   Parent Loop BB728_73 Depth=1
                                        ; =>  This Inner Loop Header: Depth=2
	s_add_i32 s60, s60, -1
	s_cmp_eq_u32 s60, 0
	s_sleep 1
	s_cbranch_scc0 .LBB728_74
; %bb.75:                               ;   in Loop: Header=BB728_73 Depth=1
	s_cmp_lt_u32 s59, 32
	s_cselect_b64 s[60:61], -1, 0
	s_cmp_lg_u64 s[60:61], 0
	s_addc_u32 s59, s59, 0
	;;#ASMSTART
	global_load_dwordx4 v[30:33], v[40:41] off sc1	
s_waitcnt vmcnt(0)
	;;#ASMEND
	s_nop 0
	v_cmp_ne_u16_sdwa s[60:61], v32, v34 src0_sel:BYTE_0 src1_sel:DWORD
	s_or_b64 s[54:55], s[60:61], s[54:55]
	s_andn2_b64 exec, exec, s[54:55]
	s_cbranch_execnz .LBB728_73
; %bb.76:
	s_or_b64 exec, exec, s[54:55]
.LBB728_77:
	s_or_b64 exec, exec, s[0:1]
	v_mov_b32_e32 v48, 2
	v_cmp_eq_u16_sdwa s[0:1], v32, v48 src0_sel:BYTE_0 src1_sel:DWORD
	v_lshlrev_b64 v[40:41], v39, -1
	v_and_b32_e32 v49, 63, v39
	v_and_b32_e32 v33, s1, v41
	v_or_b32_e32 v33, 0x80000000, v33
	v_cmp_ne_u32_e32 vcc, 63, v49
	v_and_b32_e32 v34, s0, v40
	v_ffbl_b32_e32 v33, v33
	v_addc_co_u32_e32 v35, vcc, 0, v39, vcc
	v_add_u32_e32 v33, 32, v33
	v_ffbl_b32_e32 v34, v34
	v_lshlrev_b32_e32 v50, 2, v35
	v_min_u32_e32 v33, v34, v33
	ds_bpermute_b32 v34, v50, v31
	v_cmp_eq_u32_e32 vcc, 0, v30
	v_cmp_lt_u32_e64 s[0:1], v49, v33
	ds_bpermute_b32 v35, v50, v30
	s_and_b64 vcc, s[0:1], vcc
	s_waitcnt lgkmcnt(1)
	v_cndmask_b32_e32 v34, 0, v34, vcc
	v_cmp_gt_u32_e32 vcc, 62, v49
	v_add_u32_e32 v31, v34, v31
	s_waitcnt lgkmcnt(0)
	v_cndmask_b32_e64 v35, 0, v35, s[0:1]
	v_cndmask_b32_e64 v34, 0, 1, vcc
	v_lshlrev_b32_e32 v34, 1, v34
	v_add_lshl_u32 v51, v34, v39, 2
	ds_bpermute_b32 v34, v51, v31
	v_add_u32_e32 v30, v35, v30
	ds_bpermute_b32 v35, v51, v30
	v_add_u32_e32 v52, 2, v49
	v_cmp_eq_u32_e32 vcc, 0, v30
	v_add_u32_e32 v54, 4, v49
	v_add_u32_e32 v56, 8, v49
	s_waitcnt lgkmcnt(1)
	v_cndmask_b32_e32 v34, 0, v34, vcc
	v_cmp_gt_u32_e32 vcc, v52, v33
	v_add_u32_e32 v58, 16, v49
	v_add_u32_e32 v60, 32, v49
	v_cndmask_b32_e64 v34, v34, 0, vcc
	v_add_u32_e32 v31, v34, v31
	s_waitcnt lgkmcnt(0)
	v_cndmask_b32_e64 v34, v35, 0, vcc
	v_cmp_gt_u32_e32 vcc, 60, v49
	v_add_u32_e32 v30, v30, v34
	s_nop 0
	v_cndmask_b32_e64 v35, 0, 1, vcc
	v_lshlrev_b32_e32 v35, 2, v35
	v_add_lshl_u32 v53, v35, v39, 2
	ds_bpermute_b32 v35, v53, v31
	ds_bpermute_b32 v34, v53, v30
	v_cmp_eq_u32_e32 vcc, 0, v30
	s_waitcnt lgkmcnt(1)
	s_nop 0
	v_cndmask_b32_e32 v35, 0, v35, vcc
	v_cmp_gt_u32_e32 vcc, v54, v33
	s_nop 1
	v_cndmask_b32_e64 v35, v35, 0, vcc
	s_waitcnt lgkmcnt(0)
	v_cndmask_b32_e64 v34, v34, 0, vcc
	v_cmp_gt_u32_e32 vcc, 56, v49
	v_add_u32_e32 v31, v31, v35
	v_add_u32_e32 v30, v30, v34
	v_cndmask_b32_e64 v35, 0, 1, vcc
	v_lshlrev_b32_e32 v35, 3, v35
	v_add_lshl_u32 v55, v35, v39, 2
	ds_bpermute_b32 v35, v55, v31
	ds_bpermute_b32 v34, v55, v30
	v_cmp_eq_u32_e32 vcc, 0, v30
	s_waitcnt lgkmcnt(1)
	s_nop 0
	v_cndmask_b32_e32 v35, 0, v35, vcc
	v_cmp_gt_u32_e32 vcc, v56, v33
	s_nop 1
	v_cndmask_b32_e64 v35, v35, 0, vcc
	s_waitcnt lgkmcnt(0)
	v_cndmask_b32_e64 v34, v34, 0, vcc
	v_cmp_gt_u32_e32 vcc, 48, v49
	v_add_u32_e32 v31, v31, v35
	v_add_u32_e32 v30, v30, v34
	;; [unrolled: 17-line block ×3, first 2 shown]
	v_cndmask_b32_e64 v35, 0, 1, vcc
	v_lshlrev_b32_e32 v35, 5, v35
	v_add_lshl_u32 v59, v35, v39, 2
	ds_bpermute_b32 v35, v59, v31
	ds_bpermute_b32 v34, v59, v30
	v_cmp_eq_u32_e32 vcc, 0, v30
	v_mov_b32_e32 v39, 0
	s_waitcnt lgkmcnt(1)
	v_cndmask_b32_e32 v35, 0, v35, vcc
	v_cmp_gt_u32_e32 vcc, v60, v33
	s_nop 1
	v_cndmask_b32_e64 v33, v35, 0, vcc
	v_add_u32_e32 v31, v33, v31
	s_waitcnt lgkmcnt(0)
	v_cndmask_b32_e64 v33, v34, 0, vcc
	v_add_u32_e32 v30, v33, v30
	s_branch .LBB728_79
.LBB728_78:                             ;   in Loop: Header=BB728_79 Depth=1
	s_or_b64 exec, exec, s[0:1]
	v_cmp_eq_u16_sdwa s[0:1], v32, v48 src0_sel:BYTE_0 src1_sel:DWORD
	v_cmp_eq_u32_e32 vcc, 0, v30
	ds_bpermute_b32 v43, v50, v30
	v_and_b32_e32 v33, s1, v41
	v_or_b32_e32 v33, 0x80000000, v33
	v_and_b32_e32 v42, s0, v40
	v_ffbl_b32_e32 v33, v33
	v_add_u32_e32 v33, 32, v33
	v_ffbl_b32_e32 v42, v42
	v_min_u32_e32 v33, v42, v33
	ds_bpermute_b32 v42, v50, v31
	v_cmp_lt_u32_e64 s[0:1], v49, v33
	s_and_b64 vcc, s[0:1], vcc
	v_subrev_u32_e32 v38, 64, v38
	s_waitcnt lgkmcnt(1)
	v_cndmask_b32_e64 v43, 0, v43, s[0:1]
	s_waitcnt lgkmcnt(0)
	v_cndmask_b32_e32 v42, 0, v42, vcc
	v_add_u32_e32 v31, v42, v31
	ds_bpermute_b32 v42, v51, v31
	v_add_u32_e32 v30, v43, v30
	v_cmp_eq_u32_e32 vcc, 0, v30
	ds_bpermute_b32 v43, v51, v30
	s_waitcnt lgkmcnt(1)
	v_cndmask_b32_e32 v42, 0, v42, vcc
	v_cmp_gt_u32_e32 vcc, v52, v33
	s_nop 1
	v_cndmask_b32_e64 v42, v42, 0, vcc
	v_add_u32_e32 v31, v42, v31
	ds_bpermute_b32 v42, v53, v31
	s_waitcnt lgkmcnt(1)
	v_cndmask_b32_e64 v43, v43, 0, vcc
	v_add_u32_e32 v30, v30, v43
	v_cmp_eq_u32_e32 vcc, 0, v30
	ds_bpermute_b32 v43, v53, v30
	s_waitcnt lgkmcnt(1)
	v_cndmask_b32_e32 v42, 0, v42, vcc
	v_cmp_gt_u32_e32 vcc, v54, v33
	s_nop 1
	v_cndmask_b32_e64 v42, v42, 0, vcc
	v_add_u32_e32 v31, v31, v42
	ds_bpermute_b32 v42, v55, v31
	s_waitcnt lgkmcnt(1)
	v_cndmask_b32_e64 v43, v43, 0, vcc
	v_add_u32_e32 v30, v30, v43
	ds_bpermute_b32 v43, v55, v30
	v_cmp_eq_u32_e32 vcc, 0, v30
	s_waitcnt lgkmcnt(1)
	s_nop 0
	v_cndmask_b32_e32 v42, 0, v42, vcc
	v_cmp_gt_u32_e32 vcc, v56, v33
	s_nop 1
	v_cndmask_b32_e64 v42, v42, 0, vcc
	v_add_u32_e32 v31, v31, v42
	ds_bpermute_b32 v42, v57, v31
	s_waitcnt lgkmcnt(1)
	v_cndmask_b32_e64 v43, v43, 0, vcc
	v_add_u32_e32 v30, v30, v43
	ds_bpermute_b32 v43, v57, v30
	v_cmp_eq_u32_e32 vcc, 0, v30
	s_waitcnt lgkmcnt(1)
	s_nop 0
	;; [unrolled: 13-line block ×3, first 2 shown]
	v_cndmask_b32_e32 v42, 0, v42, vcc
	v_cmp_gt_u32_e32 vcc, v60, v33
	s_nop 1
	v_cndmask_b32_e64 v33, v42, 0, vcc
	v_add_u32_e32 v31, v33, v31
	s_waitcnt lgkmcnt(0)
	v_cndmask_b32_e64 v33, v43, 0, vcc
	v_cmp_eq_u32_e32 vcc, 0, v34
	v_add3_u32 v30, v30, v34, v33
	s_nop 0
	v_cndmask_b32_e32 v31, 0, v31, vcc
	v_add_u32_e32 v31, v31, v35
.LBB728_79:                             ; =>This Loop Header: Depth=1
                                        ;     Child Loop BB728_82 Depth 2
                                        ;       Child Loop BB728_83 Depth 3
	v_cmp_ne_u16_sdwa s[0:1], v32, v48 src0_sel:BYTE_0 src1_sel:DWORD
	v_mov_b32_e32 v35, v31
	v_mov_b32_e32 v34, v30
	v_cndmask_b32_e64 v31, 0, 1, s[0:1]
	;;#ASMSTART
	;;#ASMEND
	s_nop 0
	v_cmp_ne_u32_e32 vcc, 0, v31
	s_cmp_lg_u64 vcc, exec
	s_cbranch_scc1 .LBB728_86
; %bb.80:                               ;   in Loop: Header=BB728_79 Depth=1
	v_lshl_add_u64 v[42:43], v[38:39], 4, s[36:37]
	;;#ASMSTART
	global_load_dwordx4 v[30:33], v[42:43] off sc1	
s_waitcnt vmcnt(0)
	;;#ASMEND
	s_nop 0
	v_and_b32_e32 v33, 0xff, v31
	v_and_b32_e32 v61, 0xff00, v31
	v_or3_b32 v30, v30, 0, 0
	v_and_b32_e32 v62, 0xff000000, v31
	v_or3_b32 v33, 0, v33, v61
	;; [unrolled: 2-line block ×3, first 2 shown]
	v_or3_b32 v30, v30, 0, 0
	v_cmp_eq_u16_sdwa s[54:55], v32, v39 src0_sel:BYTE_0 src1_sel:DWORD
	s_and_saveexec_b64 s[0:1], s[54:55]
	s_cbranch_execz .LBB728_78
; %bb.81:                               ;   in Loop: Header=BB728_79 Depth=1
	s_mov_b32 s59, 1
	s_mov_b64 s[54:55], 0
.LBB728_82:                             ;   Parent Loop BB728_79 Depth=1
                                        ; =>  This Loop Header: Depth=2
                                        ;       Child Loop BB728_83 Depth 3
	s_max_u32 s60, s59, 1
.LBB728_83:                             ;   Parent Loop BB728_79 Depth=1
                                        ;     Parent Loop BB728_82 Depth=2
                                        ; =>    This Inner Loop Header: Depth=3
	s_add_i32 s60, s60, -1
	s_cmp_eq_u32 s60, 0
	s_sleep 1
	s_cbranch_scc0 .LBB728_83
; %bb.84:                               ;   in Loop: Header=BB728_82 Depth=2
	s_cmp_lt_u32 s59, 32
	s_cselect_b64 s[60:61], -1, 0
	s_cmp_lg_u64 s[60:61], 0
	s_addc_u32 s59, s59, 0
	;;#ASMSTART
	global_load_dwordx4 v[30:33], v[42:43] off sc1	
s_waitcnt vmcnt(0)
	;;#ASMEND
	s_nop 0
	v_cmp_ne_u16_sdwa s[60:61], v32, v39 src0_sel:BYTE_0 src1_sel:DWORD
	s_or_b64 s[54:55], s[60:61], s[54:55]
	s_andn2_b64 exec, exec, s[54:55]
	s_cbranch_execnz .LBB728_82
; %bb.85:                               ;   in Loop: Header=BB728_79 Depth=1
	s_or_b64 exec, exec, s[54:55]
	s_branch .LBB728_78
.LBB728_86:                             ;   in Loop: Header=BB728_79 Depth=1
                                        ; implicit-def: $vgpr31
                                        ; implicit-def: $vgpr30
                                        ; implicit-def: $vgpr32
	s_cbranch_execz .LBB728_79
; %bb.87:
	s_and_saveexec_b64 s[0:1], s[28:29]
	s_cbranch_execz .LBB728_89
; %bb.88:
	s_cmp_eq_u32 s56, 0
	s_cselect_b64 vcc, -1, 0
	s_mov_b32 s55, 0
	v_cndmask_b32_e32 v30, 0, v35, vcc
	s_add_i32 s54, s58, 64
	v_add_u32_e32 v30, s57, v30
	s_lshl_b64 s[54:55], s[54:55], 4
	s_add_u32 s54, s36, s54
	v_and_b32_e32 v31, 0xff000000, v30
	v_and_b32_e32 v32, 0xff0000, v30
	s_addc_u32 s55, s37, s55
	v_or_b32_e32 v31, v32, v31
	v_and_b32_e32 v32, 0xff00, v30
	v_and_b32_e32 v30, 0xff, v30
	v_add_u32_e32 v38, s56, v34
	v_mov_b32_e32 v41, 0
	v_or3_b32 v39, v31, v32, v30
	v_mov_b32_e32 v40, 2
	v_mov_b64_e32 v[30:31], s[54:55]
	;;#ASMSTART
	global_store_dwordx4 v[30:31], v[38:41] off sc1	
s_waitcnt vmcnt(0)
	;;#ASMEND
	v_mov_b32_e32 v32, s56
	v_mov_b32_e32 v33, s57
	ds_write_b128 v41, v[32:35] offset:8192
.LBB728_89:
	s_or_b64 exec, exec, s[0:1]
	s_and_b64 exec, exec, s[34:35]
	s_cbranch_execz .LBB728_91
; %bb.90:
	v_mov_b32_e32 v30, 0
	ds_write_b64 v30, v[34:35] offset:8264
.LBB728_91:
	s_or_b64 exec, exec, s[52:53]
	v_mov_b32_e32 v32, 0
	s_waitcnt lgkmcnt(0)
	s_barrier
	ds_read_b64 v[30:31], v32 offset:8264
	v_cndmask_b32_e64 v34, v44, v36, s[28:29]
	v_cmp_eq_u32_e32 vcc, 0, v34
	v_cndmask_b32_e64 v33, v45, v37, s[28:29]
	s_waitcnt lgkmcnt(0)
	v_cndmask_b32_e32 v35, 0, v31, vcc
	v_add_u32_e32 v33, v35, v33
	v_cndmask_b32_e64 v67, v33, v31, s[34:35]
	v_cndmask_b32_e64 v31, v34, 0, s[34:35]
	v_cmp_eq_u32_e32 vcc, 0, v85
	v_add_u32_e32 v66, v30, v31
	v_add_u32_e32 v64, v66, v85
	v_cndmask_b32_e32 v30, 0, v67, vcc
	v_add_u32_e32 v65, v30, v68
	v_cndmask_b32_e64 v30, 0, v65, s[26:27]
	v_add_u32_e32 v63, v30, v68
	v_cndmask_b32_e64 v30, 0, v63, s[24:25]
	;; [unrolled: 2-line block ×8, first 2 shown]
	v_add_u32_e32 v49, v30, v68
	v_add_u32_e32 v62, v64, v84
	v_cndmask_b32_e64 v30, 0, v49, s[10:11]
	v_add_u32_e32 v60, v62, v83
	v_add_u32_e32 v45, v30, v68
	v_add_u32_e32 v58, v60, v82
	v_cndmask_b32_e64 v30, 0, v45, s[8:9]
	v_add_u32_e32 v56, v58, v81
	;; [unrolled: 4-line block ×3, first 2 shown]
	v_add_u32_e32 v41, v30, v68
	s_barrier
	ds_read_b128 v[30:33], v32 offset:8192
	v_add_u32_e32 v50, v52, v78
	v_add_u32_e32 v48, v50, v77
	v_add_u32_e32 v44, v48, v76
	v_add_u32_e32 v42, v44, v75
	v_cndmask_b32_e64 v34, 0, v41, s[4:5]
	v_add_u32_e32 v40, v42, v74
	v_add_u32_e32 v37, v34, v68
	s_waitcnt lgkmcnt(0)
	v_cmp_eq_u32_e32 vcc, 0, v30
	v_add_u32_e32 v36, v40, v73
	v_cndmask_b32_e64 v34, 0, v37, s[2:3]
	v_cndmask_b32_e32 v33, 0, v33, vcc
	v_add_u32_e32 v38, v36, v72
	v_add_u32_e32 v39, v34, v68
	;; [unrolled: 1-line block ×3, first 2 shown]
	s_branch .LBB728_104
.LBB728_92:
                                        ; implicit-def: $vgpr30
                                        ; implicit-def: $vgpr34
                                        ; implicit-def: $vgpr38_vgpr39
                                        ; implicit-def: $vgpr36_vgpr37
                                        ; implicit-def: $vgpr40_vgpr41
                                        ; implicit-def: $vgpr42_vgpr43
                                        ; implicit-def: $vgpr66_vgpr67
                                        ; implicit-def: $vgpr64_vgpr65
                                        ; implicit-def: $vgpr62_vgpr63
                                        ; implicit-def: $vgpr60_vgpr61
                                        ; implicit-def: $vgpr58_vgpr59
                                        ; implicit-def: $vgpr56_vgpr57
                                        ; implicit-def: $vgpr54_vgpr55
                                        ; implicit-def: $vgpr52_vgpr53
                                        ; implicit-def: $vgpr50_vgpr51
                                        ; implicit-def: $vgpr48_vgpr49
                                        ; implicit-def: $vgpr44_vgpr45
	s_cbranch_execz .LBB728_104
; %bb.93:
	s_and_b64 s[0:1], s[38:39], exec
	s_cselect_b32 s1, 0, s51
	s_cselect_b32 s0, 0, s50
	s_cmp_eq_u64 s[0:1], 0
	v_mov_b32_e32 v34, v68
	s_cbranch_scc1 .LBB728_95
; %bb.94:
	v_mov_b32_e32 v30, 0
	global_load_dword v34, v30, s[0:1]
.LBB728_95:
	v_cmp_eq_u32_e64 s[2:3], 0, v84
	v_cmp_eq_u32_e64 s[4:5], 0, v83
	v_cmp_eq_u32_e64 s[6:7], 0, v82
	v_cndmask_b32_e64 v30, 0, v68, s[2:3]
	v_add_u32_e32 v30, v30, v68
	v_cndmask_b32_e64 v30, 0, v30, s[4:5]
	v_add_u32_e32 v30, v30, v68
	v_cndmask_b32_e64 v30, 0, v30, s[6:7]
	v_add_u32_e32 v30, v30, v68
	v_cmp_eq_u32_e64 s[8:9], 0, v81
	v_cmp_eq_u32_e64 s[10:11], 0, v80
	v_cmp_eq_u32_e64 s[12:13], 0, v79
	v_cndmask_b32_e64 v30, 0, v30, s[8:9]
	v_add_u32_e32 v30, v30, v68
	v_cndmask_b32_e64 v30, 0, v30, s[10:11]
	v_add_u32_e32 v30, v30, v68
	v_cndmask_b32_e64 v30, 0, v30, s[12:13]
	v_add_u32_e32 v30, v30, v68
	;; [unrolled: 9-line block ×3, first 2 shown]
	v_cmp_eq_u32_e64 s[20:21], 0, v75
	v_cmp_eq_u32_e64 s[22:23], 0, v74
	;; [unrolled: 1-line block ×3, first 2 shown]
	v_cndmask_b32_e64 v30, 0, v30, s[20:21]
	v_add_u32_e32 v30, v30, v68
	v_cndmask_b32_e64 v30, 0, v30, s[22:23]
	v_add_u32_e32 v30, v30, v68
	v_cndmask_b32_e64 v30, 0, v30, s[24:25]
	v_add3_u32 v31, v87, v80, v79
	v_add_u32_e32 v30, v30, v68
	v_cmp_eq_u32_e32 vcc, 0, v72
	v_add3_u32 v31, v31, v78, v77
	v_add3_u32 v31, v31, v76, v75
	v_cndmask_b32_e32 v30, 0, v30, vcc
	v_add_u32_e32 v30, v30, v68
	v_cmp_eq_u32_e64 s[0:1], 0, v1
	v_add3_u32 v31, v31, v74, v73
	v_add3_u32 v31, v31, v72, v1
	v_cndmask_b32_e64 v30, 0, v30, s[0:1]
	v_add_u32_e32 v30, v30, v69
	v_mbcnt_hi_u32_b32 v35, -1, v86
	v_and_b32_e32 v32, 15, v35
	v_mov_b32_dpp v36, v30 row_shr:1 row_mask:0xf bank_mask:0xf
	v_cmp_eq_u32_e64 s[0:1], 0, v31
	v_mov_b32_dpp v33, v31 row_shr:1 row_mask:0xf bank_mask:0xf
	v_cmp_lt_u32_e64 s[26:27], 1, v32
	v_cndmask_b32_e64 v36, 0, v36, s[0:1]
	v_cmp_eq_u32_e64 s[0:1], 0, v32
	s_nop 1
	v_cndmask_b32_e64 v33, v33, 0, s[0:1]
	v_add_u32_e32 v31, v33, v31
	v_cndmask_b32_e64 v33, v36, 0, s[0:1]
	v_add_u32_e32 v30, v33, v30
	v_cmp_eq_u32_e64 s[0:1], 0, v31
	v_mov_b32_dpp v33, v31 row_shr:2 row_mask:0xf bank_mask:0xf
	v_mov_b32_dpp v36, v30 row_shr:2 row_mask:0xf bank_mask:0xf
	v_cndmask_b32_e64 v33, 0, v33, s[26:27]
	s_and_b64 s[0:1], s[26:27], s[0:1]
	v_cndmask_b32_e64 v36, 0, v36, s[0:1]
	v_add_u32_e32 v31, v31, v33
	v_add_u32_e32 v30, v36, v30
	v_cmp_eq_u32_e64 s[0:1], 0, v31
	v_mov_b32_dpp v33, v31 row_shr:4 row_mask:0xf bank_mask:0xf
	v_cmp_lt_u32_e64 s[26:27], 3, v32
	v_mov_b32_dpp v36, v30 row_shr:4 row_mask:0xf bank_mask:0xf
	s_and_b64 s[0:1], s[26:27], s[0:1]
	v_cndmask_b32_e64 v33, 0, v33, s[26:27]
	v_cndmask_b32_e64 v36, 0, v36, s[0:1]
	v_add_u32_e32 v31, v33, v31
	v_add_u32_e32 v30, v30, v36
	v_cmp_eq_u32_e64 s[0:1], 0, v31
	v_cmp_lt_u32_e64 s[26:27], 7, v32
	v_mov_b32_dpp v33, v31 row_shr:8 row_mask:0xf bank_mask:0xf
	v_mov_b32_dpp v36, v30 row_shr:8 row_mask:0xf bank_mask:0xf
	s_and_b64 s[0:1], s[26:27], s[0:1]
	v_cndmask_b32_e64 v32, 0, v33, s[26:27]
	v_cndmask_b32_e64 v33, 0, v36, s[0:1]
	v_add_u32_e32 v30, v33, v30
	v_add_u32_e32 v31, v32, v31
	v_bfe_i32 v36, v35, 4, 1
	v_mov_b32_dpp v33, v30 row_bcast:15 row_mask:0xf bank_mask:0xf
	v_mov_b32_dpp v32, v31 row_bcast:15 row_mask:0xf bank_mask:0xf
	v_cmp_eq_u32_e64 s[0:1], 0, v31
	v_and_b32_e32 v32, v36, v32
	v_add_u32_e32 v31, v32, v31
	v_cndmask_b32_e64 v33, 0, v33, s[0:1]
	v_and_b32_e32 v32, v36, v33
	v_add_u32_e32 v32, v32, v30
	v_mov_b32_dpp v30, v31 row_bcast:31 row_mask:0xf bank_mask:0xf
	v_cmp_eq_u32_e64 s[0:1], 0, v31
	v_cmp_lt_u32_e64 s[26:27], 31, v35
	v_mov_b32_dpp v33, v32 row_bcast:31 row_mask:0xf bank_mask:0xf
	s_and_b64 s[0:1], s[26:27], s[0:1]
	v_cndmask_b32_e64 v30, 0, v30, s[26:27]
	v_add_u32_e32 v30, v30, v31
	v_cndmask_b32_e64 v31, 0, v33, s[0:1]
	v_add_u32_e32 v31, v31, v32
	v_cmp_eq_u32_e64 s[0:1], v71, v0
	s_and_saveexec_b64 s[26:27], s[0:1]
	s_cbranch_execz .LBB728_97
; %bb.96:
	v_lshlrev_b32_e32 v32, 3, v70
	ds_write_b64 v32, v[30:31] offset:8208
.LBB728_97:
	s_or_b64 exec, exec, s[26:27]
	v_cmp_gt_u32_e64 s[0:1], 8, v0
	s_waitcnt lgkmcnt(0)
	s_barrier
	s_and_saveexec_b64 s[28:29], s[0:1]
	s_cbranch_execz .LBB728_99
; %bb.98:
	v_lshlrev_b32_e32 v36, 3, v0
	ds_read_b64 v[32:33], v36 offset:8208
	v_and_b32_e32 v37, 7, v35
	v_cmp_lt_u32_e64 s[26:27], 1, v37
	s_waitcnt lgkmcnt(0)
	v_mov_b32_dpp v39, v33 row_shr:1 row_mask:0xf bank_mask:0xf
	v_cmp_eq_u32_e64 s[0:1], 0, v32
	v_mov_b32_dpp v38, v32 row_shr:1 row_mask:0xf bank_mask:0xf
	s_nop 0
	v_cndmask_b32_e64 v39, 0, v39, s[0:1]
	v_cmp_eq_u32_e64 s[0:1], 0, v37
	s_nop 1
	v_cndmask_b32_e64 v38, v38, 0, s[0:1]
	v_add_u32_e32 v32, v38, v32
	v_cndmask_b32_e64 v38, v39, 0, s[0:1]
	v_add_u32_e32 v33, v38, v33
	v_cmp_eq_u32_e64 s[0:1], 0, v32
	v_mov_b32_dpp v38, v32 row_shr:2 row_mask:0xf bank_mask:0xf
	v_mov_b32_dpp v39, v33 row_shr:2 row_mask:0xf bank_mask:0xf
	v_cndmask_b32_e64 v38, 0, v38, s[26:27]
	s_and_b64 s[0:1], s[26:27], s[0:1]
	v_cndmask_b32_e64 v39, 0, v39, s[0:1]
	v_add_u32_e32 v32, v38, v32
	v_add_u32_e32 v33, v39, v33
	v_cmp_eq_u32_e64 s[0:1], 0, v32
	v_mov_b32_dpp v38, v32 row_shr:4 row_mask:0xf bank_mask:0xf
	v_cmp_lt_u32_e64 s[26:27], 3, v37
	v_mov_b32_dpp v39, v33 row_shr:4 row_mask:0xf bank_mask:0xf
	s_and_b64 s[0:1], s[26:27], s[0:1]
	v_cndmask_b32_e64 v37, 0, v38, s[26:27]
	v_add_u32_e32 v32, v37, v32
	v_cndmask_b32_e64 v37, 0, v39, s[0:1]
	v_add_u32_e32 v33, v37, v33
	ds_write_b64 v36, v[32:33] offset:8208
.LBB728_99:
	s_or_b64 exec, exec, s[28:29]
	v_cmp_lt_u32_e64 s[0:1], 63, v0
	v_mov_b32_e32 v37, 0
	v_mov_b32_e32 v32, 0
	s_waitcnt vmcnt(0)
	v_mov_b32_e32 v33, v34
	s_waitcnt lgkmcnt(0)
	s_barrier
	s_and_saveexec_b64 s[26:27], s[0:1]
	s_cbranch_execz .LBB728_101
; %bb.100:
	v_lshlrev_b32_e32 v32, 3, v70
	ds_read_b64 v[32:33], v32 offset:8200
	s_waitcnt lgkmcnt(0)
	v_cmp_eq_u32_e64 s[0:1], 0, v32
	s_nop 1
	v_cndmask_b32_e64 v36, 0, v34, s[0:1]
	v_add_u32_e32 v33, v36, v33
.LBB728_101:
	s_or_b64 exec, exec, s[26:27]
	v_cmp_eq_u32_e64 s[0:1], 0, v30
	v_add_u32_e32 v36, v32, v30
	v_and_b32_e32 v38, 64, v35
	v_cndmask_b32_e64 v30, 0, v33, s[0:1]
	v_add_u32_e32 v30, v30, v31
	v_add_u32_e32 v31, -1, v35
	v_cmp_lt_i32_e64 s[0:1], v31, v38
	s_nop 1
	v_cndmask_b32_e64 v31, v31, v35, s[0:1]
	v_lshlrev_b32_e32 v31, 2, v31
	ds_bpermute_b32 v30, v31, v30
	ds_bpermute_b32 v36, v31, v36
	v_cmp_eq_u32_e64 s[0:1], 0, v35
	s_waitcnt lgkmcnt(1)
	s_nop 0
	v_cndmask_b32_e64 v30, v30, v33, s[0:1]
	s_waitcnt lgkmcnt(0)
	v_cndmask_b32_e64 v31, v36, v32, s[0:1]
	v_cndmask_b32_e64 v67, v30, v34, s[34:35]
	v_cmp_eq_u32_e64 s[0:1], 0, v85
	v_cndmask_b32_e64 v66, v31, 0, s[34:35]
	v_add_u32_e32 v64, v66, v85
	v_cndmask_b32_e64 v30, 0, v67, s[0:1]
	v_add_u32_e32 v65, v30, v68
	;; [unrolled: 2-line block ×10, first 2 shown]
	v_add_u32_e32 v62, v64, v84
	v_cndmask_b32_e64 v30, 0, v49, s[18:19]
	v_add_u32_e32 v60, v62, v83
	v_add_u32_e32 v45, v30, v68
	v_add_u32_e32 v58, v60, v82
	v_cndmask_b32_e64 v30, 0, v45, s[20:21]
	v_add_u32_e32 v56, v58, v81
	v_add_u32_e32 v43, v30, v68
	;; [unrolled: 4-line block ×3, first 2 shown]
	ds_read_b64 v[30:31], v37 offset:8264
	v_add_u32_e32 v50, v52, v78
	v_add_u32_e32 v48, v50, v77
	v_add_u32_e32 v44, v48, v76
	v_cndmask_b32_e64 v32, 0, v41, s[24:25]
	v_add_u32_e32 v42, v44, v75
	v_add_u32_e32 v37, v32, v68
	;; [unrolled: 1-line block ×3, first 2 shown]
	v_cndmask_b32_e32 v32, 0, v37, vcc
	s_waitcnt lgkmcnt(0)
	v_cmp_eq_u32_e32 vcc, 0, v30
	v_add_u32_e32 v36, v40, v73
	v_add_u32_e32 v39, v32, v68
	v_cndmask_b32_e32 v32, 0, v34, vcc
	v_add_u32_e32 v38, v36, v72
	v_add_u32_e32 v34, v32, v31
	s_and_saveexec_b64 s[0:1], s[34:35]
	s_cbranch_execz .LBB728_103
; %bb.102:
	s_add_u32 s2, s36, 0x400
	v_and_b32_e32 v31, 0xff000000, v34
	v_and_b32_e32 v32, 0xff0000, v34
	s_addc_u32 s3, s37, 0
	v_or_b32_e32 v31, v32, v31
	v_and_b32_e32 v32, 0xff00, v34
	v_and_b32_e32 v35, 0xff, v34
	v_mov_b32_e32 v33, 0
	v_or3_b32 v31, v31, v32, v35
	v_mov_b32_e32 v32, 2
	v_mov_b64_e32 v[68:69], s[2:3]
	;;#ASMSTART
	global_store_dwordx4 v[68:69], v[30:33] off sc1	
s_waitcnt vmcnt(0)
	;;#ASMEND
.LBB728_103:
	s_or_b64 exec, exec, s[0:1]
	v_mov_b32_e32 v32, 0
.LBB728_104:
	s_and_b64 s[0:1], s[38:39], exec
	s_cselect_b32 s1, 0, s31
	s_cselect_b32 s0, 0, s30
	s_cmp_eq_u64 s[0:1], 0
	v_mov_b64_e32 v[68:69], 0
	s_barrier
	s_cbranch_scc1 .LBB728_106
; %bb.105:
	v_mov_b32_e32 v31, 0
	global_load_dwordx2 v[68:69], v31, s[0:1]
.LBB728_106:
	v_cmp_eq_u32_e32 vcc, 0, v85
	s_movk_i32 s0, 0x200
	v_mov_b32_e32 v33, 0
	v_cndmask_b32_e64 v31, 1, 2, vcc
	v_cmp_eq_u32_e32 vcc, 0, v84
	v_cmp_ne_u32_e64 s[30:31], 0, v85
	v_cmp_ne_u32_e64 s[28:29], 0, v84
	v_cndmask_b32_e64 v35, 1, 2, vcc
	v_cmp_eq_u32_e32 vcc, 0, v83
	v_and_b32_e32 v31, v35, v31
	v_cmp_ne_u32_e64 s[26:27], 0, v83
	v_cndmask_b32_e64 v35, 1, 2, vcc
	v_cmp_eq_u32_e32 vcc, 0, v82
	v_and_b32_e32 v31, v31, v35
	;; [unrolled: 4-line block ×13, first 2 shown]
	v_cmp_ne_u32_e64 s[2:3], 0, v1
	v_cndmask_b32_e64 v35, 1, 2, vcc
	v_and_b32_e32 v31, v31, v35
	v_cmp_gt_u32_e32 vcc, s0, v30
	s_mov_b64 s[36:37], -1
	v_cmp_gt_i16_e64 s[0:1], 2, v31
	s_cbranch_vccz .LBB728_113
; %bb.107:
	s_and_saveexec_b64 s[36:37], s[0:1]
	s_cbranch_execz .LBB728_112
; %bb.108:
	s_waitcnt vmcnt(0)
	v_lshlrev_b64 v[70:71], 3, v[68:69]
	v_lshl_add_u64 v[70:71], s[44:45], 0, v[70:71]
	v_lshlrev_b64 v[86:87], 3, v[32:33]
	v_lshl_add_u64 v[70:71], v[70:71], 0, v[86:87]
	v_cmp_ne_u16_e32 vcc, 1, v31
	s_mov_b64 s[38:39], 0
	s_and_saveexec_b64 s[0:1], vcc
	s_xor_b64 s[0:1], exec, s[0:1]
	s_cbranch_execnz .LBB728_145
; %bb.109:
	s_andn2_saveexec_b64 s[0:1], s[0:1]
	s_cbranch_execnz .LBB728_161
.LBB728_110:
	s_or_b64 exec, exec, s[0:1]
	s_and_b64 exec, exec, s[38:39]
	s_cbranch_execz .LBB728_112
.LBB728_111:
	v_sub_u32_e32 v86, v38, v32
	v_mov_b32_e32 v87, 0
	v_lshl_add_u64 v[70:71], v[86:87], 3, v[70:71]
	global_store_dwordx2 v[70:71], v[46:47], off
.LBB728_112:
	s_or_b64 exec, exec, s[36:37]
	s_mov_b64 s[36:37], 0
.LBB728_113:
	s_and_b64 vcc, exec, s[36:37]
	s_cbranch_vccz .LBB728_123
; %bb.114:
	v_cmp_gt_i16_e32 vcc, 2, v31
	s_and_saveexec_b64 s[0:1], vcc
	s_cbranch_execz .LBB728_119
; %bb.115:
	v_cmp_ne_u16_e32 vcc, 1, v31
	s_mov_b64 s[38:39], 0
	s_and_saveexec_b64 s[36:37], vcc
	s_xor_b64 s[36:37], exec, s[36:37]
	s_cbranch_execnz .LBB728_162
; %bb.116:
	s_andn2_saveexec_b64 s[2:3], s[36:37]
	s_cbranch_execnz .LBB728_178
.LBB728_117:
	s_or_b64 exec, exec, s[2:3]
	s_and_b64 exec, exec, s[38:39]
	s_cbranch_execz .LBB728_119
.LBB728_118:
	v_sub_u32_e32 v2, v38, v32
	v_lshlrev_b32_e32 v2, 3, v2
	ds_write_b64 v2, v[46:47]
.LBB728_119:
	s_or_b64 exec, exec, s[0:1]
	v_cmp_lt_u32_e32 vcc, v0, v30
	s_waitcnt lgkmcnt(0)
	s_barrier
	s_and_saveexec_b64 s[0:1], vcc
	s_cbranch_execz .LBB728_122
; %bb.120:
	s_waitcnt vmcnt(0)
	v_lshlrev_b64 v[4:5], 3, v[68:69]
	v_lshlrev_b64 v[6:7], 3, v[32:33]
	v_lshl_add_u64 v[4:5], v[4:5], 0, v[6:7]
	v_lshlrev_b32_e32 v2, 3, v0
	v_mov_b32_e32 v3, 0
	v_lshl_add_u64 v[4:5], s[44:45], 0, v[4:5]
	v_lshl_add_u64 v[4:5], v[4:5], 0, v[2:3]
	s_mov_b64 s[2:3], 0
	s_mov_b64 s[4:5], 0x1000
	v_mov_b32_e32 v3, v0
.LBB728_121:                            ; =>This Inner Loop Header: Depth=1
	ds_read_b64 v[6:7], v2
	v_add_u32_e32 v3, 0x200, v3
	v_cmp_ge_u32_e32 vcc, v3, v30
	v_add_u32_e32 v2, 0x1000, v2
	s_or_b64 s[2:3], vcc, s[2:3]
	s_waitcnt lgkmcnt(0)
	global_store_dwordx2 v[4:5], v[6:7], off
	v_lshl_add_u64 v[4:5], v[4:5], 0, s[4:5]
	s_andn2_b64 exec, exec, s[2:3]
	s_cbranch_execnz .LBB728_121
.LBB728_122:
	s_or_b64 exec, exec, s[0:1]
.LBB728_123:
	s_cmpk_lg_i32 s33, 0x1e00
	s_cselect_b64 s[0:1], -1, 0
	v_cndmask_b32_e64 v10, 0, 1, s[42:43]
	s_and_b64 s[0:1], s[0:1], s[40:41]
	v_sub_u32_e32 v2, v30, v10
	v_cndmask_b32_e64 v3, 0, 1, s[0:1]
	s_and_b64 s[0:1], s[34:35], s[42:43]
	v_add_u32_e32 v12, v2, v3
	v_cndmask_b32_e64 v2, v85, 0, s[0:1]
	s_mul_hi_u32 s0, s33, 0x88888889
	s_lshr_b32 s0, s0, 3
	v_mad_i32_i24 v3, v0, -15, s33
	v_cmp_eq_u32_e32 vcc, s0, v0
	v_cmp_ne_u32_e64 s[0:1], 0, v3
	s_and_b64 vcc, vcc, s[40:41]
	s_mov_b32 s2, 0
	v_cndmask_b32_e64 v4, 1, v2, s[0:1]
	v_cmp_ne_u32_e64 s[0:1], 1, v3
	v_cndmask_b32_e32 v27, v2, v4, vcc
	s_movk_i32 s30, 0x200
	v_cndmask_b32_e64 v5, 1, v84, s[0:1]
	v_cmp_ne_u32_e64 s[0:1], 2, v3
	v_cndmask_b32_e32 v26, v84, v5, vcc
	s_waitcnt vmcnt(0)
	v_lshlrev_b64 v[4:5], 3, v[68:69]
	v_cndmask_b32_e64 v6, 1, v83, s[0:1]
	v_cmp_ne_u32_e64 s[0:1], 3, v3
	v_cndmask_b32_e32 v25, v83, v6, vcc
	s_mov_b64 s[34:35], -1
	v_cndmask_b32_e64 v7, 1, v82, s[0:1]
	v_cmp_ne_u32_e64 s[0:1], 4, v3
	v_cndmask_b32_e32 v24, v82, v7, vcc
	v_lshlrev_b64 v[6:7], 3, v[32:33]
	v_cndmask_b32_e64 v8, 1, v81, s[0:1]
	v_cmp_ne_u32_e64 s[0:1], 5, v3
	v_cndmask_b32_e32 v23, v81, v8, vcc
	v_cmp_ne_u32_e64 s[28:29], 0, v27
	v_cndmask_b32_e64 v9, 1, v80, s[0:1]
	v_cmp_ne_u32_e64 s[0:1], 6, v3
	v_cndmask_b32_e32 v22, v80, v9, vcc
	v_cmp_ne_u32_e64 s[26:27], 0, v26
	v_cndmask_b32_e64 v11, 1, v79, s[0:1]
	v_cmp_ne_u32_e64 s[0:1], 7, v3
	v_cndmask_b32_e32 v21, v79, v11, vcc
	v_mov_b32_e32 v11, s2
	v_cndmask_b32_e64 v13, 1, v78, s[0:1]
	v_cmp_ne_u32_e64 s[0:1], 8, v3
	v_cndmask_b32_e32 v13, v78, v13, vcc
	v_lshl_add_u64 v[8:9], v[10:11], 0, -1
	v_cndmask_b32_e64 v14, 1, v77, s[0:1]
	v_cmp_ne_u32_e64 s[0:1], 9, v3
	v_cndmask_b32_e32 v14, v77, v14, vcc
	v_cmp_ne_u32_e64 s[14:15], 0, v13
	v_cndmask_b32_e64 v15, 1, v76, s[0:1]
	v_cmp_ne_u32_e64 s[0:1], 10, v3
	v_cndmask_b32_e32 v15, v76, v15, vcc
	v_cmp_ne_u32_e64 s[24:25], 0, v25
	;; [unrolled: 4-line block ×6, first 2 shown]
	v_cndmask_b32_e64 v3, 1, v1, s[0:1]
	v_cndmask_b32_e32 v20, v1, v3, vcc
	v_cmp_eq_u32_e32 vcc, 0, v27
	v_add_u32_e32 v1, v32, v10
	v_lshl_add_u64 v[2:3], s[46:47], 0, v[4:5]
	v_cndmask_b32_e64 v10, 1, 2, vcc
	v_cmp_eq_u32_e32 vcc, 0, v26
	v_lshl_add_u64 v[2:3], v[2:3], 0, v[6:7]
	v_cmp_ne_u32_e64 s[12:13], 0, v14
	v_cndmask_b32_e64 v11, 1, 2, vcc
	v_cmp_eq_u32_e32 vcc, 0, v25
	v_and_b32_e32 v10, v11, v10
	v_cmp_ne_u32_e64 s[10:11], 0, v15
	v_cndmask_b32_e64 v11, 1, 2, vcc
	v_cmp_eq_u32_e32 vcc, 0, v24
	v_and_b32_e32 v10, v10, v11
	;; [unrolled: 4-line block ×7, first 2 shown]
	s_nop 0
	v_cndmask_b32_e64 v11, 1, 2, vcc
	v_cmp_eq_u32_e32 vcc, 0, v15
	v_and_b32_e32 v10, v10, v11
	s_barrier
	v_cndmask_b32_e64 v11, 1, 2, vcc
	v_cmp_eq_u32_e32 vcc, 0, v16
	v_and_b32_e32 v10, v10, v11
	s_nop 0
	v_cndmask_b32_e64 v11, 1, 2, vcc
	v_cmp_eq_u32_e32 vcc, 0, v17
	v_and_b32_e32 v10, v10, v11
	s_nop 0
	;; [unrolled: 4-line block ×5, first 2 shown]
	v_cndmask_b32_e64 v11, 1, 2, vcc
	v_and_b32_e32 v13, v10, v11
	v_cmp_gt_u32_e32 vcc, s30, v12
	v_cmp_gt_i16_e64 s[30:31], 2, v13
	s_cbranch_vccz .LBB728_130
; %bb.124:
	s_and_saveexec_b64 s[34:35], s[30:31]
	s_cbranch_execz .LBB728_129
; %bb.125:
	v_lshlrev_b64 v[10:11], 3, v[8:9]
	v_lshl_add_u64 v[10:11], v[2:3], 0, v[10:11]
	v_cmp_ne_u16_e32 vcc, 1, v13
	s_mov_b64 s[36:37], 0
	s_and_saveexec_b64 s[30:31], vcc
	s_xor_b64 s[30:31], exec, s[30:31]
	s_cbranch_execnz .LBB728_179
; %bb.126:
	s_andn2_saveexec_b64 s[30:31], s[30:31]
	s_cbranch_execnz .LBB728_195
.LBB728_127:
	s_or_b64 exec, exec, s[30:31]
	s_and_b64 exec, exec, s[36:37]
	s_cbranch_execz .LBB728_129
.LBB728_128:
	v_mov_b32_e32 v15, 0
	v_sub_u32_e32 v16, v38, v1
	v_mov_b32_e32 v17, v15
	v_mov_b32_e32 v14, v39
	v_lshl_add_u64 v[10:11], v[16:17], 3, v[10:11]
	global_store_dwordx2 v[10:11], v[14:15], off
.LBB728_129:
	s_or_b64 exec, exec, s[34:35]
	s_mov_b64 s[34:35], 0
.LBB728_130:
	s_and_b64 vcc, exec, s[34:35]
	s_cbranch_vccz .LBB728_140
; %bb.131:
	v_cmp_gt_i16_e32 vcc, 2, v13
	s_and_saveexec_b64 s[30:31], vcc
	s_cbranch_execz .LBB728_136
; %bb.132:
	v_cmp_ne_u16_e32 vcc, 1, v13
	s_mov_b64 s[36:37], 0
	s_and_saveexec_b64 s[34:35], vcc
	s_xor_b64 s[34:35], exec, s[34:35]
	s_cbranch_execnz .LBB728_196
; %bb.133:
	s_andn2_saveexec_b64 s[0:1], s[34:35]
	s_cbranch_execnz .LBB728_212
.LBB728_134:
	s_or_b64 exec, exec, s[0:1]
	s_and_b64 exec, exec, s[36:37]
	s_cbranch_execz .LBB728_136
.LBB728_135:
	v_sub_u32_e32 v1, v38, v1
	v_lshlrev_b32_e32 v1, 2, v1
	ds_write_b32 v1, v39
.LBB728_136:
	s_or_b64 exec, exec, s[30:31]
	v_cmp_lt_u32_e32 vcc, v0, v12
	s_waitcnt lgkmcnt(0)
	s_barrier
	s_and_saveexec_b64 s[0:1], vcc
	s_cbranch_execz .LBB728_139
; %bb.137:
	v_lshlrev_b64 v[8:9], 3, v[8:9]
	v_lshl_add_u64 v[4:5], v[4:5], 0, v[8:9]
	v_lshl_add_u64 v[6:7], v[4:5], 0, v[6:7]
	v_lshlrev_b32_e32 v4, 3, v0
	v_mov_b32_e32 v5, 0
	v_lshl_add_u64 v[6:7], s[46:47], 0, v[6:7]
	v_lshlrev_b32_e32 v1, 2, v0
	v_lshl_add_u64 v[6:7], v[6:7], 0, v[4:5]
	s_mov_b64 s[2:3], 0
	s_mov_b64 s[4:5], 0x1000
	v_mov_b32_e32 v8, v0
.LBB728_138:                            ; =>This Inner Loop Header: Depth=1
	ds_read_b32 v4, v1
	v_add_u32_e32 v8, 0x200, v8
	v_cmp_ge_u32_e32 vcc, v8, v12
	v_add_u32_e32 v1, 0x800, v1
	s_or_b64 s[2:3], vcc, s[2:3]
	s_waitcnt lgkmcnt(0)
	global_store_dwordx2 v[6:7], v[4:5], off
	v_lshl_add_u64 v[6:7], v[6:7], 0, s[4:5]
	s_andn2_b64 exec, exec, s[2:3]
	s_cbranch_execnz .LBB728_138
.LBB728_139:
	s_or_b64 exec, exec, s[0:1]
.LBB728_140:
	s_movk_i32 s0, 0x1ff
	v_cmp_eq_u32_e32 vcc, s0, v0
	s_and_b64 s[0:1], vcc, s[40:41]
	s_and_saveexec_b64 s[2:3], s[0:1]
	s_cbranch_execz .LBB728_143
; %bb.141:
	v_mov_b32_e32 v31, 0
	v_lshl_add_u64 v[0:1], v[30:31], 0, v[32:33]
	v_lshl_add_u64 v[0:1], v[0:1], 0, v[68:69]
	s_cmpk_lg_i32 s33, 0x1e00
	global_store_dwordx2 v31, v[0:1], s[48:49]
	s_cbranch_scc1 .LBB728_143
; %bb.142:
	v_lshlrev_b64 v[0:1], 3, v[30:31]
	v_mov_b32_e32 v35, v31
	v_lshl_add_u64 v[0:1], v[2:3], 0, v[0:1]
	global_store_dwordx2 v[0:1], v[34:35], off offset:-8
.LBB728_143:
	s_endpgm
.LBB728_144:
	s_or_b64 exec, exec, s[8:9]
	v_mov_b32_e32 v85, s10
	s_and_saveexec_b64 s[2:3], s[4:5]
	s_cbranch_execnz .LBB728_60
	s_branch .LBB728_61
.LBB728_145:
	s_and_saveexec_b64 s[38:39], s[30:31]
	s_cbranch_execnz .LBB728_213
; %bb.146:
	s_or_b64 exec, exec, s[38:39]
	s_and_saveexec_b64 s[38:39], s[28:29]
	s_cbranch_execnz .LBB728_214
.LBB728_147:
	s_or_b64 exec, exec, s[38:39]
	s_and_saveexec_b64 s[38:39], s[26:27]
	s_cbranch_execnz .LBB728_215
.LBB728_148:
	s_or_b64 exec, exec, s[38:39]
	s_and_saveexec_b64 s[38:39], s[24:25]
	s_cbranch_execnz .LBB728_216
.LBB728_149:
	s_or_b64 exec, exec, s[38:39]
	s_and_saveexec_b64 s[38:39], s[22:23]
	s_cbranch_execnz .LBB728_217
.LBB728_150:
	s_or_b64 exec, exec, s[38:39]
	s_and_saveexec_b64 s[38:39], s[20:21]
	s_cbranch_execnz .LBB728_218
.LBB728_151:
	s_or_b64 exec, exec, s[38:39]
	s_and_saveexec_b64 s[38:39], s[18:19]
	s_cbranch_execnz .LBB728_219
.LBB728_152:
	s_or_b64 exec, exec, s[38:39]
	s_and_saveexec_b64 s[38:39], s[16:17]
	s_cbranch_execnz .LBB728_220
.LBB728_153:
	s_or_b64 exec, exec, s[38:39]
	s_and_saveexec_b64 s[38:39], s[14:15]
	s_cbranch_execnz .LBB728_221
.LBB728_154:
	s_or_b64 exec, exec, s[38:39]
	s_and_saveexec_b64 s[38:39], s[12:13]
	s_cbranch_execnz .LBB728_222
.LBB728_155:
	s_or_b64 exec, exec, s[38:39]
	s_and_saveexec_b64 s[38:39], s[10:11]
	s_cbranch_execnz .LBB728_223
.LBB728_156:
	s_or_b64 exec, exec, s[38:39]
	s_and_saveexec_b64 s[38:39], s[8:9]
	s_cbranch_execnz .LBB728_224
.LBB728_157:
	s_or_b64 exec, exec, s[38:39]
	s_and_saveexec_b64 s[38:39], s[6:7]
	s_cbranch_execnz .LBB728_225
.LBB728_158:
	s_or_b64 exec, exec, s[38:39]
	s_and_saveexec_b64 s[38:39], s[4:5]
	s_cbranch_execz .LBB728_160
.LBB728_159:
	v_sub_u32_e32 v86, v36, v32
	v_mov_b32_e32 v87, 0
	v_lshl_add_u64 v[86:87], v[86:87], 3, v[70:71]
	global_store_dwordx2 v[86:87], v[8:9], off
.LBB728_160:
	s_or_b64 exec, exec, s[38:39]
	s_and_b64 s[38:39], s[2:3], exec
	s_andn2_saveexec_b64 s[0:1], s[0:1]
	s_cbranch_execz .LBB728_110
.LBB728_161:
	v_sub_u32_e32 v86, v66, v32
	v_mov_b32_e32 v87, 0
	v_lshl_add_u64 v[88:89], v[86:87], 3, v[70:71]
	v_sub_u32_e32 v86, v64, v32
	global_store_dwordx2 v[88:89], v[26:27], off
	v_lshl_add_u64 v[88:89], v[86:87], 3, v[70:71]
	v_sub_u32_e32 v86, v62, v32
	global_store_dwordx2 v[88:89], v[28:29], off
	;; [unrolled: 3-line block ×12, first 2 shown]
	v_lshl_add_u64 v[88:89], v[86:87], 3, v[70:71]
	v_sub_u32_e32 v86, v36, v32
	v_lshl_add_u64 v[86:87], v[86:87], 3, v[70:71]
	s_or_b64 s[38:39], s[38:39], exec
	global_store_dwordx2 v[88:89], v[6:7], off
	global_store_dwordx2 v[86:87], v[8:9], off
	s_or_b64 exec, exec, s[0:1]
	s_and_b64 exec, exec, s[38:39]
	s_cbranch_execnz .LBB728_111
	s_branch .LBB728_112
.LBB728_162:
	s_and_saveexec_b64 s[38:39], s[30:31]
	s_cbranch_execnz .LBB728_226
; %bb.163:
	s_or_b64 exec, exec, s[38:39]
	s_and_saveexec_b64 s[30:31], s[28:29]
	s_cbranch_execnz .LBB728_227
.LBB728_164:
	s_or_b64 exec, exec, s[30:31]
	s_and_saveexec_b64 s[28:29], s[26:27]
	s_cbranch_execnz .LBB728_228
.LBB728_165:
	s_or_b64 exec, exec, s[28:29]
	s_and_saveexec_b64 s[26:27], s[24:25]
	s_cbranch_execnz .LBB728_229
.LBB728_166:
	s_or_b64 exec, exec, s[26:27]
	s_and_saveexec_b64 s[24:25], s[22:23]
	s_cbranch_execnz .LBB728_230
.LBB728_167:
	s_or_b64 exec, exec, s[24:25]
	s_and_saveexec_b64 s[22:23], s[20:21]
	s_cbranch_execnz .LBB728_231
.LBB728_168:
	s_or_b64 exec, exec, s[22:23]
	s_and_saveexec_b64 s[20:21], s[18:19]
	s_cbranch_execnz .LBB728_232
.LBB728_169:
	s_or_b64 exec, exec, s[20:21]
	s_and_saveexec_b64 s[18:19], s[16:17]
	s_cbranch_execnz .LBB728_233
.LBB728_170:
	s_or_b64 exec, exec, s[18:19]
	s_and_saveexec_b64 s[16:17], s[14:15]
	s_cbranch_execnz .LBB728_234
.LBB728_171:
	s_or_b64 exec, exec, s[16:17]
	s_and_saveexec_b64 s[14:15], s[12:13]
	s_cbranch_execnz .LBB728_235
.LBB728_172:
	s_or_b64 exec, exec, s[14:15]
	s_and_saveexec_b64 s[12:13], s[10:11]
	s_cbranch_execnz .LBB728_236
.LBB728_173:
	s_or_b64 exec, exec, s[12:13]
	s_and_saveexec_b64 s[10:11], s[8:9]
	s_cbranch_execnz .LBB728_237
.LBB728_174:
	s_or_b64 exec, exec, s[10:11]
	s_and_saveexec_b64 s[8:9], s[6:7]
	s_cbranch_execnz .LBB728_238
.LBB728_175:
	s_or_b64 exec, exec, s[8:9]
	s_and_saveexec_b64 s[6:7], s[4:5]
	s_cbranch_execz .LBB728_177
.LBB728_176:
	v_sub_u32_e32 v2, v36, v32
	v_lshlrev_b32_e32 v2, 3, v2
	ds_write_b64 v2, v[8:9]
.LBB728_177:
	s_or_b64 exec, exec, s[6:7]
	s_and_b64 s[38:39], s[2:3], exec
                                        ; implicit-def: $vgpr8_vgpr9
                                        ; implicit-def: $vgpr4_vgpr5
                                        ; implicit-def: $vgpr12_vgpr13
                                        ; implicit-def: $vgpr16_vgpr17
                                        ; implicit-def: $vgpr20_vgpr21
                                        ; implicit-def: $vgpr24_vgpr25
                                        ; implicit-def: $vgpr28_vgpr29
	s_andn2_saveexec_b64 s[2:3], s[36:37]
	s_cbranch_execz .LBB728_117
.LBB728_178:
	v_sub_u32_e32 v31, v66, v32
	v_lshlrev_b32_e32 v31, 3, v31
	ds_write_b64 v31, v[26:27]
	v_sub_u32_e32 v26, v64, v32
	v_lshlrev_b32_e32 v26, 3, v26
	ds_write_b64 v26, v[28:29]
	;; [unrolled: 3-line block ×13, first 2 shown]
	v_sub_u32_e32 v2, v36, v32
	v_lshlrev_b32_e32 v2, 3, v2
	s_or_b64 s[38:39], s[38:39], exec
	ds_write_b64 v2, v[8:9]
	s_or_b64 exec, exec, s[2:3]
	s_and_b64 exec, exec, s[38:39]
	s_cbranch_execnz .LBB728_118
	s_branch .LBB728_119
.LBB728_179:
	s_and_saveexec_b64 s[36:37], s[28:29]
	s_cbranch_execnz .LBB728_239
; %bb.180:
	s_or_b64 exec, exec, s[36:37]
	s_and_saveexec_b64 s[36:37], s[26:27]
	s_cbranch_execnz .LBB728_240
.LBB728_181:
	s_or_b64 exec, exec, s[36:37]
	s_and_saveexec_b64 s[36:37], s[24:25]
	s_cbranch_execnz .LBB728_241
.LBB728_182:
	s_or_b64 exec, exec, s[36:37]
	s_and_saveexec_b64 s[36:37], s[22:23]
	s_cbranch_execnz .LBB728_242
.LBB728_183:
	s_or_b64 exec, exec, s[36:37]
	s_and_saveexec_b64 s[36:37], s[20:21]
	s_cbranch_execnz .LBB728_243
.LBB728_184:
	s_or_b64 exec, exec, s[36:37]
	s_and_saveexec_b64 s[36:37], s[18:19]
	s_cbranch_execnz .LBB728_244
.LBB728_185:
	s_or_b64 exec, exec, s[36:37]
	s_and_saveexec_b64 s[36:37], s[16:17]
	s_cbranch_execnz .LBB728_245
.LBB728_186:
	s_or_b64 exec, exec, s[36:37]
	s_and_saveexec_b64 s[36:37], s[14:15]
	s_cbranch_execnz .LBB728_246
.LBB728_187:
	s_or_b64 exec, exec, s[36:37]
	s_and_saveexec_b64 s[36:37], s[12:13]
	s_cbranch_execnz .LBB728_247
.LBB728_188:
	s_or_b64 exec, exec, s[36:37]
	s_and_saveexec_b64 s[36:37], s[10:11]
	s_cbranch_execnz .LBB728_248
.LBB728_189:
	s_or_b64 exec, exec, s[36:37]
	s_and_saveexec_b64 s[36:37], s[8:9]
	s_cbranch_execnz .LBB728_249
.LBB728_190:
	s_or_b64 exec, exec, s[36:37]
	s_and_saveexec_b64 s[36:37], s[6:7]
	s_cbranch_execnz .LBB728_250
.LBB728_191:
	s_or_b64 exec, exec, s[36:37]
	s_and_saveexec_b64 s[36:37], s[4:5]
	s_cbranch_execnz .LBB728_251
.LBB728_192:
	s_or_b64 exec, exec, s[36:37]
	s_and_saveexec_b64 s[36:37], s[2:3]
	s_cbranch_execz .LBB728_194
.LBB728_193:
	v_sub_u32_e32 v14, v36, v1
	v_mov_b32_e32 v15, 0
	v_lshl_add_u64 v[16:17], v[14:15], 3, v[10:11]
	v_mov_b32_e32 v14, v37
	global_store_dwordx2 v[16:17], v[14:15], off
.LBB728_194:
	s_or_b64 exec, exec, s[36:37]
	s_and_b64 s[36:37], s[0:1], exec
	s_andn2_saveexec_b64 s[30:31], s[30:31]
	s_cbranch_execz .LBB728_127
.LBB728_195:
	v_mov_b32_e32 v15, 0
	v_sub_u32_e32 v16, v66, v1
	v_mov_b32_e32 v17, v15
	v_mov_b32_e32 v14, v67
	v_lshl_add_u64 v[16:17], v[16:17], 3, v[10:11]
	global_store_dwordx2 v[16:17], v[14:15], off
	v_sub_u32_e32 v16, v64, v1
	v_mov_b32_e32 v17, v15
	v_mov_b32_e32 v14, v65
	v_lshl_add_u64 v[16:17], v[16:17], 3, v[10:11]
	global_store_dwordx2 v[16:17], v[14:15], off
	;; [unrolled: 5-line block ×13, first 2 shown]
	v_sub_u32_e32 v16, v36, v1
	v_mov_b32_e32 v17, v15
	v_mov_b32_e32 v14, v37
	v_lshl_add_u64 v[16:17], v[16:17], 3, v[10:11]
	s_or_b64 s[36:37], s[36:37], exec
	global_store_dwordx2 v[16:17], v[14:15], off
	s_or_b64 exec, exec, s[30:31]
	s_and_b64 exec, exec, s[36:37]
	s_cbranch_execnz .LBB728_128
	s_branch .LBB728_129
.LBB728_196:
	s_and_saveexec_b64 s[36:37], s[28:29]
	s_cbranch_execnz .LBB728_252
; %bb.197:
	s_or_b64 exec, exec, s[36:37]
	s_and_saveexec_b64 s[28:29], s[26:27]
	s_cbranch_execnz .LBB728_253
.LBB728_198:
	s_or_b64 exec, exec, s[28:29]
	s_and_saveexec_b64 s[26:27], s[24:25]
	s_cbranch_execnz .LBB728_254
.LBB728_199:
	s_or_b64 exec, exec, s[26:27]
	s_and_saveexec_b64 s[24:25], s[22:23]
	s_cbranch_execnz .LBB728_255
.LBB728_200:
	s_or_b64 exec, exec, s[24:25]
	s_and_saveexec_b64 s[22:23], s[20:21]
	s_cbranch_execnz .LBB728_256
.LBB728_201:
	s_or_b64 exec, exec, s[22:23]
	s_and_saveexec_b64 s[20:21], s[18:19]
	s_cbranch_execnz .LBB728_257
.LBB728_202:
	s_or_b64 exec, exec, s[20:21]
	s_and_saveexec_b64 s[18:19], s[16:17]
	s_cbranch_execnz .LBB728_258
.LBB728_203:
	s_or_b64 exec, exec, s[18:19]
	s_and_saveexec_b64 s[16:17], s[14:15]
	s_cbranch_execnz .LBB728_259
.LBB728_204:
	s_or_b64 exec, exec, s[16:17]
	s_and_saveexec_b64 s[14:15], s[12:13]
	s_cbranch_execnz .LBB728_260
.LBB728_205:
	s_or_b64 exec, exec, s[14:15]
	s_and_saveexec_b64 s[12:13], s[10:11]
	s_cbranch_execnz .LBB728_261
.LBB728_206:
	s_or_b64 exec, exec, s[12:13]
	s_and_saveexec_b64 s[10:11], s[8:9]
	s_cbranch_execnz .LBB728_262
.LBB728_207:
	s_or_b64 exec, exec, s[10:11]
	s_and_saveexec_b64 s[8:9], s[6:7]
	s_cbranch_execnz .LBB728_263
.LBB728_208:
	s_or_b64 exec, exec, s[8:9]
	s_and_saveexec_b64 s[6:7], s[4:5]
	s_cbranch_execnz .LBB728_264
.LBB728_209:
	s_or_b64 exec, exec, s[6:7]
	s_and_saveexec_b64 s[4:5], s[2:3]
	s_cbranch_execz .LBB728_211
.LBB728_210:
	v_sub_u32_e32 v10, v36, v1
	v_lshlrev_b32_e32 v10, 2, v10
	ds_write_b32 v10, v37
.LBB728_211:
	s_or_b64 exec, exec, s[4:5]
	s_and_b64 s[36:37], s[0:1], exec
                                        ; implicit-def: $vgpr36_vgpr37
                                        ; implicit-def: $vgpr40_vgpr41
                                        ; implicit-def: $vgpr42_vgpr43
                                        ; implicit-def: $vgpr66_vgpr67
                                        ; implicit-def: $vgpr64_vgpr65
                                        ; implicit-def: $vgpr62_vgpr63
                                        ; implicit-def: $vgpr60_vgpr61
                                        ; implicit-def: $vgpr58_vgpr59
                                        ; implicit-def: $vgpr56_vgpr57
                                        ; implicit-def: $vgpr54_vgpr55
                                        ; implicit-def: $vgpr52_vgpr53
                                        ; implicit-def: $vgpr50_vgpr51
                                        ; implicit-def: $vgpr48_vgpr49
                                        ; implicit-def: $vgpr44_vgpr45
	s_andn2_saveexec_b64 s[0:1], s[34:35]
	s_cbranch_execz .LBB728_134
.LBB728_212:
	v_sub_u32_e32 v10, v66, v1
	v_lshlrev_b32_e32 v10, 2, v10
	ds_write_b32 v10, v67
	v_sub_u32_e32 v10, v64, v1
	v_lshlrev_b32_e32 v10, 2, v10
	ds_write_b32 v10, v65
	;; [unrolled: 3-line block ×13, first 2 shown]
	v_sub_u32_e32 v10, v36, v1
	v_lshlrev_b32_e32 v10, 2, v10
	s_or_b64 s[36:37], s[36:37], exec
	ds_write_b32 v10, v37
	s_or_b64 exec, exec, s[0:1]
	s_and_b64 exec, exec, s[36:37]
	s_cbranch_execnz .LBB728_135
	s_branch .LBB728_136
.LBB728_213:
	v_sub_u32_e32 v86, v66, v32
	v_mov_b32_e32 v87, 0
	v_lshl_add_u64 v[86:87], v[86:87], 3, v[70:71]
	global_store_dwordx2 v[86:87], v[26:27], off
	s_or_b64 exec, exec, s[38:39]
	s_and_saveexec_b64 s[38:39], s[28:29]
	s_cbranch_execz .LBB728_147
.LBB728_214:
	v_sub_u32_e32 v86, v64, v32
	v_mov_b32_e32 v87, 0
	v_lshl_add_u64 v[86:87], v[86:87], 3, v[70:71]
	global_store_dwordx2 v[86:87], v[28:29], off
	s_or_b64 exec, exec, s[38:39]
	s_and_saveexec_b64 s[38:39], s[26:27]
	s_cbranch_execz .LBB728_148
.LBB728_215:
	v_sub_u32_e32 v86, v62, v32
	v_mov_b32_e32 v87, 0
	v_lshl_add_u64 v[86:87], v[86:87], 3, v[70:71]
	global_store_dwordx2 v[86:87], v[22:23], off
	s_or_b64 exec, exec, s[38:39]
	s_and_saveexec_b64 s[38:39], s[24:25]
	s_cbranch_execz .LBB728_149
.LBB728_216:
	v_sub_u32_e32 v86, v60, v32
	v_mov_b32_e32 v87, 0
	v_lshl_add_u64 v[86:87], v[86:87], 3, v[70:71]
	global_store_dwordx2 v[86:87], v[24:25], off
	s_or_b64 exec, exec, s[38:39]
	s_and_saveexec_b64 s[38:39], s[22:23]
	s_cbranch_execz .LBB728_150
.LBB728_217:
	v_sub_u32_e32 v86, v58, v32
	v_mov_b32_e32 v87, 0
	v_lshl_add_u64 v[86:87], v[86:87], 3, v[70:71]
	global_store_dwordx2 v[86:87], v[18:19], off
	s_or_b64 exec, exec, s[38:39]
	s_and_saveexec_b64 s[38:39], s[20:21]
	s_cbranch_execz .LBB728_151
.LBB728_218:
	v_sub_u32_e32 v86, v56, v32
	v_mov_b32_e32 v87, 0
	v_lshl_add_u64 v[86:87], v[86:87], 3, v[70:71]
	global_store_dwordx2 v[86:87], v[20:21], off
	s_or_b64 exec, exec, s[38:39]
	s_and_saveexec_b64 s[38:39], s[18:19]
	s_cbranch_execz .LBB728_152
.LBB728_219:
	v_sub_u32_e32 v86, v54, v32
	v_mov_b32_e32 v87, 0
	v_lshl_add_u64 v[86:87], v[86:87], 3, v[70:71]
	global_store_dwordx2 v[86:87], v[14:15], off
	s_or_b64 exec, exec, s[38:39]
	s_and_saveexec_b64 s[38:39], s[16:17]
	s_cbranch_execz .LBB728_153
.LBB728_220:
	v_sub_u32_e32 v86, v52, v32
	v_mov_b32_e32 v87, 0
	v_lshl_add_u64 v[86:87], v[86:87], 3, v[70:71]
	global_store_dwordx2 v[86:87], v[16:17], off
	s_or_b64 exec, exec, s[38:39]
	s_and_saveexec_b64 s[38:39], s[14:15]
	s_cbranch_execz .LBB728_154
.LBB728_221:
	v_sub_u32_e32 v86, v50, v32
	v_mov_b32_e32 v87, 0
	v_lshl_add_u64 v[86:87], v[86:87], 3, v[70:71]
	global_store_dwordx2 v[86:87], v[10:11], off
	s_or_b64 exec, exec, s[38:39]
	s_and_saveexec_b64 s[38:39], s[12:13]
	s_cbranch_execz .LBB728_155
.LBB728_222:
	v_sub_u32_e32 v86, v48, v32
	v_mov_b32_e32 v87, 0
	v_lshl_add_u64 v[86:87], v[86:87], 3, v[70:71]
	global_store_dwordx2 v[86:87], v[12:13], off
	s_or_b64 exec, exec, s[38:39]
	s_and_saveexec_b64 s[38:39], s[10:11]
	s_cbranch_execz .LBB728_156
.LBB728_223:
	v_sub_u32_e32 v86, v44, v32
	v_mov_b32_e32 v87, 0
	v_lshl_add_u64 v[86:87], v[86:87], 3, v[70:71]
	global_store_dwordx2 v[86:87], v[2:3], off
	s_or_b64 exec, exec, s[38:39]
	s_and_saveexec_b64 s[38:39], s[8:9]
	s_cbranch_execz .LBB728_157
.LBB728_224:
	v_sub_u32_e32 v86, v42, v32
	v_mov_b32_e32 v87, 0
	v_lshl_add_u64 v[86:87], v[86:87], 3, v[70:71]
	global_store_dwordx2 v[86:87], v[4:5], off
	s_or_b64 exec, exec, s[38:39]
	s_and_saveexec_b64 s[38:39], s[6:7]
	s_cbranch_execz .LBB728_158
.LBB728_225:
	v_sub_u32_e32 v86, v40, v32
	v_mov_b32_e32 v87, 0
	v_lshl_add_u64 v[86:87], v[86:87], 3, v[70:71]
	global_store_dwordx2 v[86:87], v[6:7], off
	s_or_b64 exec, exec, s[38:39]
	s_and_saveexec_b64 s[38:39], s[4:5]
	s_cbranch_execnz .LBB728_159
	s_branch .LBB728_160
.LBB728_226:
	v_sub_u32_e32 v31, v66, v32
	v_lshlrev_b32_e32 v31, 3, v31
	ds_write_b64 v31, v[26:27]
	s_or_b64 exec, exec, s[38:39]
	s_and_saveexec_b64 s[30:31], s[28:29]
	s_cbranch_execz .LBB728_164
.LBB728_227:
	v_sub_u32_e32 v26, v64, v32
	v_lshlrev_b32_e32 v26, 3, v26
	ds_write_b64 v26, v[28:29]
	s_or_b64 exec, exec, s[30:31]
	s_and_saveexec_b64 s[28:29], s[26:27]
	s_cbranch_execz .LBB728_165
.LBB728_228:
	v_sub_u32_e32 v26, v62, v32
	v_lshlrev_b32_e32 v26, 3, v26
	ds_write_b64 v26, v[22:23]
	s_or_b64 exec, exec, s[28:29]
	s_and_saveexec_b64 s[26:27], s[24:25]
	s_cbranch_execz .LBB728_166
.LBB728_229:
	v_sub_u32_e32 v22, v60, v32
	v_lshlrev_b32_e32 v22, 3, v22
	ds_write_b64 v22, v[24:25]
	s_or_b64 exec, exec, s[26:27]
	s_and_saveexec_b64 s[24:25], s[22:23]
	s_cbranch_execz .LBB728_167
.LBB728_230:
	v_sub_u32_e32 v22, v58, v32
	v_lshlrev_b32_e32 v22, 3, v22
	ds_write_b64 v22, v[18:19]
	s_or_b64 exec, exec, s[24:25]
	s_and_saveexec_b64 s[22:23], s[20:21]
	s_cbranch_execz .LBB728_168
.LBB728_231:
	v_sub_u32_e32 v18, v56, v32
	v_lshlrev_b32_e32 v18, 3, v18
	ds_write_b64 v18, v[20:21]
	s_or_b64 exec, exec, s[22:23]
	s_and_saveexec_b64 s[20:21], s[18:19]
	s_cbranch_execz .LBB728_169
.LBB728_232:
	v_sub_u32_e32 v18, v54, v32
	v_lshlrev_b32_e32 v18, 3, v18
	ds_write_b64 v18, v[14:15]
	s_or_b64 exec, exec, s[20:21]
	s_and_saveexec_b64 s[18:19], s[16:17]
	s_cbranch_execz .LBB728_170
.LBB728_233:
	v_sub_u32_e32 v14, v52, v32
	v_lshlrev_b32_e32 v14, 3, v14
	ds_write_b64 v14, v[16:17]
	s_or_b64 exec, exec, s[18:19]
	s_and_saveexec_b64 s[16:17], s[14:15]
	s_cbranch_execz .LBB728_171
.LBB728_234:
	v_sub_u32_e32 v14, v50, v32
	v_lshlrev_b32_e32 v14, 3, v14
	ds_write_b64 v14, v[10:11]
	s_or_b64 exec, exec, s[16:17]
	s_and_saveexec_b64 s[14:15], s[12:13]
	s_cbranch_execz .LBB728_172
.LBB728_235:
	v_sub_u32_e32 v10, v48, v32
	v_lshlrev_b32_e32 v10, 3, v10
	ds_write_b64 v10, v[12:13]
	s_or_b64 exec, exec, s[14:15]
	s_and_saveexec_b64 s[12:13], s[10:11]
	s_cbranch_execz .LBB728_173
.LBB728_236:
	v_sub_u32_e32 v10, v44, v32
	v_lshlrev_b32_e32 v10, 3, v10
	ds_write_b64 v10, v[2:3]
	s_or_b64 exec, exec, s[12:13]
	s_and_saveexec_b64 s[10:11], s[8:9]
	s_cbranch_execz .LBB728_174
.LBB728_237:
	v_sub_u32_e32 v2, v42, v32
	v_lshlrev_b32_e32 v2, 3, v2
	ds_write_b64 v2, v[4:5]
	s_or_b64 exec, exec, s[10:11]
	s_and_saveexec_b64 s[8:9], s[6:7]
	s_cbranch_execz .LBB728_175
.LBB728_238:
	v_sub_u32_e32 v2, v40, v32
	v_lshlrev_b32_e32 v2, 3, v2
	ds_write_b64 v2, v[6:7]
	s_or_b64 exec, exec, s[8:9]
	s_and_saveexec_b64 s[6:7], s[4:5]
	s_cbranch_execnz .LBB728_176
	s_branch .LBB728_177
.LBB728_239:
	v_sub_u32_e32 v14, v66, v1
	v_mov_b32_e32 v15, 0
	v_lshl_add_u64 v[16:17], v[14:15], 3, v[10:11]
	v_mov_b32_e32 v14, v67
	global_store_dwordx2 v[16:17], v[14:15], off
	s_or_b64 exec, exec, s[36:37]
	s_and_saveexec_b64 s[36:37], s[26:27]
	s_cbranch_execz .LBB728_181
.LBB728_240:
	v_sub_u32_e32 v14, v64, v1
	v_mov_b32_e32 v15, 0
	v_lshl_add_u64 v[16:17], v[14:15], 3, v[10:11]
	v_mov_b32_e32 v14, v65
	global_store_dwordx2 v[16:17], v[14:15], off
	s_or_b64 exec, exec, s[36:37]
	s_and_saveexec_b64 s[36:37], s[24:25]
	s_cbranch_execz .LBB728_182
.LBB728_241:
	v_sub_u32_e32 v14, v62, v1
	v_mov_b32_e32 v15, 0
	v_lshl_add_u64 v[16:17], v[14:15], 3, v[10:11]
	v_mov_b32_e32 v14, v63
	global_store_dwordx2 v[16:17], v[14:15], off
	s_or_b64 exec, exec, s[36:37]
	s_and_saveexec_b64 s[36:37], s[22:23]
	s_cbranch_execz .LBB728_183
.LBB728_242:
	v_sub_u32_e32 v14, v60, v1
	v_mov_b32_e32 v15, 0
	v_lshl_add_u64 v[16:17], v[14:15], 3, v[10:11]
	v_mov_b32_e32 v14, v61
	global_store_dwordx2 v[16:17], v[14:15], off
	s_or_b64 exec, exec, s[36:37]
	s_and_saveexec_b64 s[36:37], s[20:21]
	s_cbranch_execz .LBB728_184
.LBB728_243:
	v_sub_u32_e32 v14, v58, v1
	v_mov_b32_e32 v15, 0
	v_lshl_add_u64 v[16:17], v[14:15], 3, v[10:11]
	v_mov_b32_e32 v14, v59
	global_store_dwordx2 v[16:17], v[14:15], off
	s_or_b64 exec, exec, s[36:37]
	s_and_saveexec_b64 s[36:37], s[18:19]
	s_cbranch_execz .LBB728_185
.LBB728_244:
	v_sub_u32_e32 v14, v56, v1
	v_mov_b32_e32 v15, 0
	v_lshl_add_u64 v[16:17], v[14:15], 3, v[10:11]
	v_mov_b32_e32 v14, v57
	global_store_dwordx2 v[16:17], v[14:15], off
	s_or_b64 exec, exec, s[36:37]
	s_and_saveexec_b64 s[36:37], s[16:17]
	s_cbranch_execz .LBB728_186
.LBB728_245:
	v_sub_u32_e32 v14, v54, v1
	v_mov_b32_e32 v15, 0
	v_lshl_add_u64 v[16:17], v[14:15], 3, v[10:11]
	v_mov_b32_e32 v14, v55
	global_store_dwordx2 v[16:17], v[14:15], off
	s_or_b64 exec, exec, s[36:37]
	s_and_saveexec_b64 s[36:37], s[14:15]
	s_cbranch_execz .LBB728_187
.LBB728_246:
	v_sub_u32_e32 v14, v52, v1
	v_mov_b32_e32 v15, 0
	v_lshl_add_u64 v[16:17], v[14:15], 3, v[10:11]
	v_mov_b32_e32 v14, v53
	global_store_dwordx2 v[16:17], v[14:15], off
	s_or_b64 exec, exec, s[36:37]
	s_and_saveexec_b64 s[36:37], s[12:13]
	s_cbranch_execz .LBB728_188
.LBB728_247:
	v_sub_u32_e32 v14, v50, v1
	v_mov_b32_e32 v15, 0
	v_lshl_add_u64 v[16:17], v[14:15], 3, v[10:11]
	v_mov_b32_e32 v14, v51
	global_store_dwordx2 v[16:17], v[14:15], off
	s_or_b64 exec, exec, s[36:37]
	s_and_saveexec_b64 s[36:37], s[10:11]
	s_cbranch_execz .LBB728_189
.LBB728_248:
	v_sub_u32_e32 v14, v48, v1
	v_mov_b32_e32 v15, 0
	v_lshl_add_u64 v[16:17], v[14:15], 3, v[10:11]
	v_mov_b32_e32 v14, v49
	global_store_dwordx2 v[16:17], v[14:15], off
	s_or_b64 exec, exec, s[36:37]
	s_and_saveexec_b64 s[36:37], s[8:9]
	s_cbranch_execz .LBB728_190
.LBB728_249:
	v_sub_u32_e32 v14, v44, v1
	v_mov_b32_e32 v15, 0
	v_lshl_add_u64 v[16:17], v[14:15], 3, v[10:11]
	v_mov_b32_e32 v14, v45
	global_store_dwordx2 v[16:17], v[14:15], off
	s_or_b64 exec, exec, s[36:37]
	s_and_saveexec_b64 s[36:37], s[6:7]
	s_cbranch_execz .LBB728_191
.LBB728_250:
	v_sub_u32_e32 v14, v42, v1
	v_mov_b32_e32 v15, 0
	v_lshl_add_u64 v[16:17], v[14:15], 3, v[10:11]
	v_mov_b32_e32 v14, v43
	global_store_dwordx2 v[16:17], v[14:15], off
	s_or_b64 exec, exec, s[36:37]
	s_and_saveexec_b64 s[36:37], s[4:5]
	s_cbranch_execz .LBB728_192
.LBB728_251:
	v_sub_u32_e32 v14, v40, v1
	v_mov_b32_e32 v15, 0
	v_lshl_add_u64 v[16:17], v[14:15], 3, v[10:11]
	v_mov_b32_e32 v14, v41
	global_store_dwordx2 v[16:17], v[14:15], off
	s_or_b64 exec, exec, s[36:37]
	s_and_saveexec_b64 s[36:37], s[2:3]
	s_cbranch_execnz .LBB728_193
	s_branch .LBB728_194
.LBB728_252:
	v_sub_u32_e32 v10, v66, v1
	v_lshlrev_b32_e32 v10, 2, v10
	ds_write_b32 v10, v67
	s_or_b64 exec, exec, s[36:37]
	s_and_saveexec_b64 s[28:29], s[26:27]
	s_cbranch_execz .LBB728_198
.LBB728_253:
	v_sub_u32_e32 v10, v64, v1
	v_lshlrev_b32_e32 v10, 2, v10
	ds_write_b32 v10, v65
	s_or_b64 exec, exec, s[28:29]
	s_and_saveexec_b64 s[26:27], s[24:25]
	s_cbranch_execz .LBB728_199
.LBB728_254:
	v_sub_u32_e32 v10, v62, v1
	v_lshlrev_b32_e32 v10, 2, v10
	ds_write_b32 v10, v63
	s_or_b64 exec, exec, s[26:27]
	s_and_saveexec_b64 s[24:25], s[22:23]
	s_cbranch_execz .LBB728_200
.LBB728_255:
	v_sub_u32_e32 v10, v60, v1
	v_lshlrev_b32_e32 v10, 2, v10
	ds_write_b32 v10, v61
	s_or_b64 exec, exec, s[24:25]
	s_and_saveexec_b64 s[22:23], s[20:21]
	s_cbranch_execz .LBB728_201
.LBB728_256:
	v_sub_u32_e32 v10, v58, v1
	v_lshlrev_b32_e32 v10, 2, v10
	ds_write_b32 v10, v59
	s_or_b64 exec, exec, s[22:23]
	s_and_saveexec_b64 s[20:21], s[18:19]
	s_cbranch_execz .LBB728_202
.LBB728_257:
	v_sub_u32_e32 v10, v56, v1
	v_lshlrev_b32_e32 v10, 2, v10
	ds_write_b32 v10, v57
	s_or_b64 exec, exec, s[20:21]
	s_and_saveexec_b64 s[18:19], s[16:17]
	s_cbranch_execz .LBB728_203
.LBB728_258:
	v_sub_u32_e32 v10, v54, v1
	v_lshlrev_b32_e32 v10, 2, v10
	ds_write_b32 v10, v55
	s_or_b64 exec, exec, s[18:19]
	s_and_saveexec_b64 s[16:17], s[14:15]
	s_cbranch_execz .LBB728_204
.LBB728_259:
	v_sub_u32_e32 v10, v52, v1
	v_lshlrev_b32_e32 v10, 2, v10
	ds_write_b32 v10, v53
	s_or_b64 exec, exec, s[16:17]
	s_and_saveexec_b64 s[14:15], s[12:13]
	s_cbranch_execz .LBB728_205
.LBB728_260:
	v_sub_u32_e32 v10, v50, v1
	v_lshlrev_b32_e32 v10, 2, v10
	ds_write_b32 v10, v51
	s_or_b64 exec, exec, s[14:15]
	s_and_saveexec_b64 s[12:13], s[10:11]
	s_cbranch_execz .LBB728_206
.LBB728_261:
	v_sub_u32_e32 v10, v48, v1
	v_lshlrev_b32_e32 v10, 2, v10
	ds_write_b32 v10, v49
	s_or_b64 exec, exec, s[12:13]
	s_and_saveexec_b64 s[10:11], s[8:9]
	s_cbranch_execz .LBB728_207
.LBB728_262:
	v_sub_u32_e32 v10, v44, v1
	v_lshlrev_b32_e32 v10, 2, v10
	ds_write_b32 v10, v45
	s_or_b64 exec, exec, s[10:11]
	s_and_saveexec_b64 s[8:9], s[6:7]
	s_cbranch_execz .LBB728_208
.LBB728_263:
	v_sub_u32_e32 v10, v42, v1
	v_lshlrev_b32_e32 v10, 2, v10
	ds_write_b32 v10, v43
	s_or_b64 exec, exec, s[8:9]
	s_and_saveexec_b64 s[6:7], s[4:5]
	s_cbranch_execz .LBB728_209
.LBB728_264:
	v_sub_u32_e32 v10, v40, v1
	v_lshlrev_b32_e32 v10, 2, v10
	ds_write_b32 v10, v41
	s_or_b64 exec, exec, s[6:7]
	s_and_saveexec_b64 s[4:5], s[2:3]
	s_cbranch_execnz .LBB728_210
	s_branch .LBB728_211
	.section	.rodata,"a",@progbits
	.p2align	6, 0x0
	.amdhsa_kernel _ZN7rocprim17ROCPRIM_400000_NS6detail17trampoline_kernelINS0_14default_configENS1_33run_length_encode_config_selectorImjNS0_4plusIjEEEEZZNS1_33reduce_by_key_impl_wrapped_configILNS1_25lookback_scan_determinismE0ES3_S7_PKmNS0_17constant_iteratorIjlEEPmPlSF_S6_NS0_8equal_toImEEEE10hipError_tPvRmT2_T3_mT4_T5_T6_T7_T8_P12ihipStream_tbENKUlT_T0_E_clISt17integral_constantIbLb1EESZ_EEDaSU_SV_EUlSU_E_NS1_11comp_targetILNS1_3genE5ELNS1_11target_archE942ELNS1_3gpuE9ELNS1_3repE0EEENS1_30default_config_static_selectorELNS0_4arch9wavefront6targetE1EEEvT1_
		.amdhsa_group_segment_fixed_size 61440
		.amdhsa_private_segment_fixed_size 0
		.amdhsa_kernarg_size 128
		.amdhsa_user_sgpr_count 2
		.amdhsa_user_sgpr_dispatch_ptr 0
		.amdhsa_user_sgpr_queue_ptr 0
		.amdhsa_user_sgpr_kernarg_segment_ptr 1
		.amdhsa_user_sgpr_dispatch_id 0
		.amdhsa_user_sgpr_kernarg_preload_length 0
		.amdhsa_user_sgpr_kernarg_preload_offset 0
		.amdhsa_user_sgpr_private_segment_size 0
		.amdhsa_uses_dynamic_stack 0
		.amdhsa_enable_private_segment 0
		.amdhsa_system_sgpr_workgroup_id_x 1
		.amdhsa_system_sgpr_workgroup_id_y 0
		.amdhsa_system_sgpr_workgroup_id_z 0
		.amdhsa_system_sgpr_workgroup_info 0
		.amdhsa_system_vgpr_workitem_id 0
		.amdhsa_next_free_vgpr 90
		.amdhsa_next_free_sgpr 66
		.amdhsa_accum_offset 92
		.amdhsa_reserve_vcc 1
		.amdhsa_float_round_mode_32 0
		.amdhsa_float_round_mode_16_64 0
		.amdhsa_float_denorm_mode_32 3
		.amdhsa_float_denorm_mode_16_64 3
		.amdhsa_dx10_clamp 1
		.amdhsa_ieee_mode 1
		.amdhsa_fp16_overflow 0
		.amdhsa_tg_split 0
		.amdhsa_exception_fp_ieee_invalid_op 0
		.amdhsa_exception_fp_denorm_src 0
		.amdhsa_exception_fp_ieee_div_zero 0
		.amdhsa_exception_fp_ieee_overflow 0
		.amdhsa_exception_fp_ieee_underflow 0
		.amdhsa_exception_fp_ieee_inexact 0
		.amdhsa_exception_int_div_zero 0
	.end_amdhsa_kernel
	.section	.text._ZN7rocprim17ROCPRIM_400000_NS6detail17trampoline_kernelINS0_14default_configENS1_33run_length_encode_config_selectorImjNS0_4plusIjEEEEZZNS1_33reduce_by_key_impl_wrapped_configILNS1_25lookback_scan_determinismE0ES3_S7_PKmNS0_17constant_iteratorIjlEEPmPlSF_S6_NS0_8equal_toImEEEE10hipError_tPvRmT2_T3_mT4_T5_T6_T7_T8_P12ihipStream_tbENKUlT_T0_E_clISt17integral_constantIbLb1EESZ_EEDaSU_SV_EUlSU_E_NS1_11comp_targetILNS1_3genE5ELNS1_11target_archE942ELNS1_3gpuE9ELNS1_3repE0EEENS1_30default_config_static_selectorELNS0_4arch9wavefront6targetE1EEEvT1_,"axG",@progbits,_ZN7rocprim17ROCPRIM_400000_NS6detail17trampoline_kernelINS0_14default_configENS1_33run_length_encode_config_selectorImjNS0_4plusIjEEEEZZNS1_33reduce_by_key_impl_wrapped_configILNS1_25lookback_scan_determinismE0ES3_S7_PKmNS0_17constant_iteratorIjlEEPmPlSF_S6_NS0_8equal_toImEEEE10hipError_tPvRmT2_T3_mT4_T5_T6_T7_T8_P12ihipStream_tbENKUlT_T0_E_clISt17integral_constantIbLb1EESZ_EEDaSU_SV_EUlSU_E_NS1_11comp_targetILNS1_3genE5ELNS1_11target_archE942ELNS1_3gpuE9ELNS1_3repE0EEENS1_30default_config_static_selectorELNS0_4arch9wavefront6targetE1EEEvT1_,comdat
.Lfunc_end728:
	.size	_ZN7rocprim17ROCPRIM_400000_NS6detail17trampoline_kernelINS0_14default_configENS1_33run_length_encode_config_selectorImjNS0_4plusIjEEEEZZNS1_33reduce_by_key_impl_wrapped_configILNS1_25lookback_scan_determinismE0ES3_S7_PKmNS0_17constant_iteratorIjlEEPmPlSF_S6_NS0_8equal_toImEEEE10hipError_tPvRmT2_T3_mT4_T5_T6_T7_T8_P12ihipStream_tbENKUlT_T0_E_clISt17integral_constantIbLb1EESZ_EEDaSU_SV_EUlSU_E_NS1_11comp_targetILNS1_3genE5ELNS1_11target_archE942ELNS1_3gpuE9ELNS1_3repE0EEENS1_30default_config_static_selectorELNS0_4arch9wavefront6targetE1EEEvT1_, .Lfunc_end728-_ZN7rocprim17ROCPRIM_400000_NS6detail17trampoline_kernelINS0_14default_configENS1_33run_length_encode_config_selectorImjNS0_4plusIjEEEEZZNS1_33reduce_by_key_impl_wrapped_configILNS1_25lookback_scan_determinismE0ES3_S7_PKmNS0_17constant_iteratorIjlEEPmPlSF_S6_NS0_8equal_toImEEEE10hipError_tPvRmT2_T3_mT4_T5_T6_T7_T8_P12ihipStream_tbENKUlT_T0_E_clISt17integral_constantIbLb1EESZ_EEDaSU_SV_EUlSU_E_NS1_11comp_targetILNS1_3genE5ELNS1_11target_archE942ELNS1_3gpuE9ELNS1_3repE0EEENS1_30default_config_static_selectorELNS0_4arch9wavefront6targetE1EEEvT1_
                                        ; -- End function
	.section	.AMDGPU.csdata,"",@progbits
; Kernel info:
; codeLenInByte = 14380
; NumSgprs: 72
; NumVgprs: 90
; NumAgprs: 0
; TotalNumVgprs: 90
; ScratchSize: 0
; MemoryBound: 0
; FloatMode: 240
; IeeeMode: 1
; LDSByteSize: 61440 bytes/workgroup (compile time only)
; SGPRBlocks: 8
; VGPRBlocks: 11
; NumSGPRsForWavesPerEU: 72
; NumVGPRsForWavesPerEU: 90
; AccumOffset: 92
; Occupancy: 2
; WaveLimiterHint : 1
; COMPUTE_PGM_RSRC2:SCRATCH_EN: 0
; COMPUTE_PGM_RSRC2:USER_SGPR: 2
; COMPUTE_PGM_RSRC2:TRAP_HANDLER: 0
; COMPUTE_PGM_RSRC2:TGID_X_EN: 1
; COMPUTE_PGM_RSRC2:TGID_Y_EN: 0
; COMPUTE_PGM_RSRC2:TGID_Z_EN: 0
; COMPUTE_PGM_RSRC2:TIDIG_COMP_CNT: 0
; COMPUTE_PGM_RSRC3_GFX90A:ACCUM_OFFSET: 22
; COMPUTE_PGM_RSRC3_GFX90A:TG_SPLIT: 0
	.section	.text._ZN7rocprim17ROCPRIM_400000_NS6detail17trampoline_kernelINS0_14default_configENS1_33run_length_encode_config_selectorImjNS0_4plusIjEEEEZZNS1_33reduce_by_key_impl_wrapped_configILNS1_25lookback_scan_determinismE0ES3_S7_PKmNS0_17constant_iteratorIjlEEPmPlSF_S6_NS0_8equal_toImEEEE10hipError_tPvRmT2_T3_mT4_T5_T6_T7_T8_P12ihipStream_tbENKUlT_T0_E_clISt17integral_constantIbLb1EESZ_EEDaSU_SV_EUlSU_E_NS1_11comp_targetILNS1_3genE4ELNS1_11target_archE910ELNS1_3gpuE8ELNS1_3repE0EEENS1_30default_config_static_selectorELNS0_4arch9wavefront6targetE1EEEvT1_,"axG",@progbits,_ZN7rocprim17ROCPRIM_400000_NS6detail17trampoline_kernelINS0_14default_configENS1_33run_length_encode_config_selectorImjNS0_4plusIjEEEEZZNS1_33reduce_by_key_impl_wrapped_configILNS1_25lookback_scan_determinismE0ES3_S7_PKmNS0_17constant_iteratorIjlEEPmPlSF_S6_NS0_8equal_toImEEEE10hipError_tPvRmT2_T3_mT4_T5_T6_T7_T8_P12ihipStream_tbENKUlT_T0_E_clISt17integral_constantIbLb1EESZ_EEDaSU_SV_EUlSU_E_NS1_11comp_targetILNS1_3genE4ELNS1_11target_archE910ELNS1_3gpuE8ELNS1_3repE0EEENS1_30default_config_static_selectorELNS0_4arch9wavefront6targetE1EEEvT1_,comdat
	.protected	_ZN7rocprim17ROCPRIM_400000_NS6detail17trampoline_kernelINS0_14default_configENS1_33run_length_encode_config_selectorImjNS0_4plusIjEEEEZZNS1_33reduce_by_key_impl_wrapped_configILNS1_25lookback_scan_determinismE0ES3_S7_PKmNS0_17constant_iteratorIjlEEPmPlSF_S6_NS0_8equal_toImEEEE10hipError_tPvRmT2_T3_mT4_T5_T6_T7_T8_P12ihipStream_tbENKUlT_T0_E_clISt17integral_constantIbLb1EESZ_EEDaSU_SV_EUlSU_E_NS1_11comp_targetILNS1_3genE4ELNS1_11target_archE910ELNS1_3gpuE8ELNS1_3repE0EEENS1_30default_config_static_selectorELNS0_4arch9wavefront6targetE1EEEvT1_ ; -- Begin function _ZN7rocprim17ROCPRIM_400000_NS6detail17trampoline_kernelINS0_14default_configENS1_33run_length_encode_config_selectorImjNS0_4plusIjEEEEZZNS1_33reduce_by_key_impl_wrapped_configILNS1_25lookback_scan_determinismE0ES3_S7_PKmNS0_17constant_iteratorIjlEEPmPlSF_S6_NS0_8equal_toImEEEE10hipError_tPvRmT2_T3_mT4_T5_T6_T7_T8_P12ihipStream_tbENKUlT_T0_E_clISt17integral_constantIbLb1EESZ_EEDaSU_SV_EUlSU_E_NS1_11comp_targetILNS1_3genE4ELNS1_11target_archE910ELNS1_3gpuE8ELNS1_3repE0EEENS1_30default_config_static_selectorELNS0_4arch9wavefront6targetE1EEEvT1_
	.globl	_ZN7rocprim17ROCPRIM_400000_NS6detail17trampoline_kernelINS0_14default_configENS1_33run_length_encode_config_selectorImjNS0_4plusIjEEEEZZNS1_33reduce_by_key_impl_wrapped_configILNS1_25lookback_scan_determinismE0ES3_S7_PKmNS0_17constant_iteratorIjlEEPmPlSF_S6_NS0_8equal_toImEEEE10hipError_tPvRmT2_T3_mT4_T5_T6_T7_T8_P12ihipStream_tbENKUlT_T0_E_clISt17integral_constantIbLb1EESZ_EEDaSU_SV_EUlSU_E_NS1_11comp_targetILNS1_3genE4ELNS1_11target_archE910ELNS1_3gpuE8ELNS1_3repE0EEENS1_30default_config_static_selectorELNS0_4arch9wavefront6targetE1EEEvT1_
	.p2align	8
	.type	_ZN7rocprim17ROCPRIM_400000_NS6detail17trampoline_kernelINS0_14default_configENS1_33run_length_encode_config_selectorImjNS0_4plusIjEEEEZZNS1_33reduce_by_key_impl_wrapped_configILNS1_25lookback_scan_determinismE0ES3_S7_PKmNS0_17constant_iteratorIjlEEPmPlSF_S6_NS0_8equal_toImEEEE10hipError_tPvRmT2_T3_mT4_T5_T6_T7_T8_P12ihipStream_tbENKUlT_T0_E_clISt17integral_constantIbLb1EESZ_EEDaSU_SV_EUlSU_E_NS1_11comp_targetILNS1_3genE4ELNS1_11target_archE910ELNS1_3gpuE8ELNS1_3repE0EEENS1_30default_config_static_selectorELNS0_4arch9wavefront6targetE1EEEvT1_,@function
_ZN7rocprim17ROCPRIM_400000_NS6detail17trampoline_kernelINS0_14default_configENS1_33run_length_encode_config_selectorImjNS0_4plusIjEEEEZZNS1_33reduce_by_key_impl_wrapped_configILNS1_25lookback_scan_determinismE0ES3_S7_PKmNS0_17constant_iteratorIjlEEPmPlSF_S6_NS0_8equal_toImEEEE10hipError_tPvRmT2_T3_mT4_T5_T6_T7_T8_P12ihipStream_tbENKUlT_T0_E_clISt17integral_constantIbLb1EESZ_EEDaSU_SV_EUlSU_E_NS1_11comp_targetILNS1_3genE4ELNS1_11target_archE910ELNS1_3gpuE8ELNS1_3repE0EEENS1_30default_config_static_selectorELNS0_4arch9wavefront6targetE1EEEvT1_: ; @_ZN7rocprim17ROCPRIM_400000_NS6detail17trampoline_kernelINS0_14default_configENS1_33run_length_encode_config_selectorImjNS0_4plusIjEEEEZZNS1_33reduce_by_key_impl_wrapped_configILNS1_25lookback_scan_determinismE0ES3_S7_PKmNS0_17constant_iteratorIjlEEPmPlSF_S6_NS0_8equal_toImEEEE10hipError_tPvRmT2_T3_mT4_T5_T6_T7_T8_P12ihipStream_tbENKUlT_T0_E_clISt17integral_constantIbLb1EESZ_EEDaSU_SV_EUlSU_E_NS1_11comp_targetILNS1_3genE4ELNS1_11target_archE910ELNS1_3gpuE8ELNS1_3repE0EEENS1_30default_config_static_selectorELNS0_4arch9wavefront6targetE1EEEvT1_
; %bb.0:
	.section	.rodata,"a",@progbits
	.p2align	6, 0x0
	.amdhsa_kernel _ZN7rocprim17ROCPRIM_400000_NS6detail17trampoline_kernelINS0_14default_configENS1_33run_length_encode_config_selectorImjNS0_4plusIjEEEEZZNS1_33reduce_by_key_impl_wrapped_configILNS1_25lookback_scan_determinismE0ES3_S7_PKmNS0_17constant_iteratorIjlEEPmPlSF_S6_NS0_8equal_toImEEEE10hipError_tPvRmT2_T3_mT4_T5_T6_T7_T8_P12ihipStream_tbENKUlT_T0_E_clISt17integral_constantIbLb1EESZ_EEDaSU_SV_EUlSU_E_NS1_11comp_targetILNS1_3genE4ELNS1_11target_archE910ELNS1_3gpuE8ELNS1_3repE0EEENS1_30default_config_static_selectorELNS0_4arch9wavefront6targetE1EEEvT1_
		.amdhsa_group_segment_fixed_size 0
		.amdhsa_private_segment_fixed_size 0
		.amdhsa_kernarg_size 128
		.amdhsa_user_sgpr_count 2
		.amdhsa_user_sgpr_dispatch_ptr 0
		.amdhsa_user_sgpr_queue_ptr 0
		.amdhsa_user_sgpr_kernarg_segment_ptr 1
		.amdhsa_user_sgpr_dispatch_id 0
		.amdhsa_user_sgpr_kernarg_preload_length 0
		.amdhsa_user_sgpr_kernarg_preload_offset 0
		.amdhsa_user_sgpr_private_segment_size 0
		.amdhsa_uses_dynamic_stack 0
		.amdhsa_enable_private_segment 0
		.amdhsa_system_sgpr_workgroup_id_x 1
		.amdhsa_system_sgpr_workgroup_id_y 0
		.amdhsa_system_sgpr_workgroup_id_z 0
		.amdhsa_system_sgpr_workgroup_info 0
		.amdhsa_system_vgpr_workitem_id 0
		.amdhsa_next_free_vgpr 1
		.amdhsa_next_free_sgpr 0
		.amdhsa_accum_offset 4
		.amdhsa_reserve_vcc 0
		.amdhsa_float_round_mode_32 0
		.amdhsa_float_round_mode_16_64 0
		.amdhsa_float_denorm_mode_32 3
		.amdhsa_float_denorm_mode_16_64 3
		.amdhsa_dx10_clamp 1
		.amdhsa_ieee_mode 1
		.amdhsa_fp16_overflow 0
		.amdhsa_tg_split 0
		.amdhsa_exception_fp_ieee_invalid_op 0
		.amdhsa_exception_fp_denorm_src 0
		.amdhsa_exception_fp_ieee_div_zero 0
		.amdhsa_exception_fp_ieee_overflow 0
		.amdhsa_exception_fp_ieee_underflow 0
		.amdhsa_exception_fp_ieee_inexact 0
		.amdhsa_exception_int_div_zero 0
	.end_amdhsa_kernel
	.section	.text._ZN7rocprim17ROCPRIM_400000_NS6detail17trampoline_kernelINS0_14default_configENS1_33run_length_encode_config_selectorImjNS0_4plusIjEEEEZZNS1_33reduce_by_key_impl_wrapped_configILNS1_25lookback_scan_determinismE0ES3_S7_PKmNS0_17constant_iteratorIjlEEPmPlSF_S6_NS0_8equal_toImEEEE10hipError_tPvRmT2_T3_mT4_T5_T6_T7_T8_P12ihipStream_tbENKUlT_T0_E_clISt17integral_constantIbLb1EESZ_EEDaSU_SV_EUlSU_E_NS1_11comp_targetILNS1_3genE4ELNS1_11target_archE910ELNS1_3gpuE8ELNS1_3repE0EEENS1_30default_config_static_selectorELNS0_4arch9wavefront6targetE1EEEvT1_,"axG",@progbits,_ZN7rocprim17ROCPRIM_400000_NS6detail17trampoline_kernelINS0_14default_configENS1_33run_length_encode_config_selectorImjNS0_4plusIjEEEEZZNS1_33reduce_by_key_impl_wrapped_configILNS1_25lookback_scan_determinismE0ES3_S7_PKmNS0_17constant_iteratorIjlEEPmPlSF_S6_NS0_8equal_toImEEEE10hipError_tPvRmT2_T3_mT4_T5_T6_T7_T8_P12ihipStream_tbENKUlT_T0_E_clISt17integral_constantIbLb1EESZ_EEDaSU_SV_EUlSU_E_NS1_11comp_targetILNS1_3genE4ELNS1_11target_archE910ELNS1_3gpuE8ELNS1_3repE0EEENS1_30default_config_static_selectorELNS0_4arch9wavefront6targetE1EEEvT1_,comdat
.Lfunc_end729:
	.size	_ZN7rocprim17ROCPRIM_400000_NS6detail17trampoline_kernelINS0_14default_configENS1_33run_length_encode_config_selectorImjNS0_4plusIjEEEEZZNS1_33reduce_by_key_impl_wrapped_configILNS1_25lookback_scan_determinismE0ES3_S7_PKmNS0_17constant_iteratorIjlEEPmPlSF_S6_NS0_8equal_toImEEEE10hipError_tPvRmT2_T3_mT4_T5_T6_T7_T8_P12ihipStream_tbENKUlT_T0_E_clISt17integral_constantIbLb1EESZ_EEDaSU_SV_EUlSU_E_NS1_11comp_targetILNS1_3genE4ELNS1_11target_archE910ELNS1_3gpuE8ELNS1_3repE0EEENS1_30default_config_static_selectorELNS0_4arch9wavefront6targetE1EEEvT1_, .Lfunc_end729-_ZN7rocprim17ROCPRIM_400000_NS6detail17trampoline_kernelINS0_14default_configENS1_33run_length_encode_config_selectorImjNS0_4plusIjEEEEZZNS1_33reduce_by_key_impl_wrapped_configILNS1_25lookback_scan_determinismE0ES3_S7_PKmNS0_17constant_iteratorIjlEEPmPlSF_S6_NS0_8equal_toImEEEE10hipError_tPvRmT2_T3_mT4_T5_T6_T7_T8_P12ihipStream_tbENKUlT_T0_E_clISt17integral_constantIbLb1EESZ_EEDaSU_SV_EUlSU_E_NS1_11comp_targetILNS1_3genE4ELNS1_11target_archE910ELNS1_3gpuE8ELNS1_3repE0EEENS1_30default_config_static_selectorELNS0_4arch9wavefront6targetE1EEEvT1_
                                        ; -- End function
	.section	.AMDGPU.csdata,"",@progbits
; Kernel info:
; codeLenInByte = 0
; NumSgprs: 6
; NumVgprs: 0
; NumAgprs: 0
; TotalNumVgprs: 0
; ScratchSize: 0
; MemoryBound: 0
; FloatMode: 240
; IeeeMode: 1
; LDSByteSize: 0 bytes/workgroup (compile time only)
; SGPRBlocks: 0
; VGPRBlocks: 0
; NumSGPRsForWavesPerEU: 6
; NumVGPRsForWavesPerEU: 1
; AccumOffset: 4
; Occupancy: 8
; WaveLimiterHint : 0
; COMPUTE_PGM_RSRC2:SCRATCH_EN: 0
; COMPUTE_PGM_RSRC2:USER_SGPR: 2
; COMPUTE_PGM_RSRC2:TRAP_HANDLER: 0
; COMPUTE_PGM_RSRC2:TGID_X_EN: 1
; COMPUTE_PGM_RSRC2:TGID_Y_EN: 0
; COMPUTE_PGM_RSRC2:TGID_Z_EN: 0
; COMPUTE_PGM_RSRC2:TIDIG_COMP_CNT: 0
; COMPUTE_PGM_RSRC3_GFX90A:ACCUM_OFFSET: 0
; COMPUTE_PGM_RSRC3_GFX90A:TG_SPLIT: 0
	.section	.text._ZN7rocprim17ROCPRIM_400000_NS6detail17trampoline_kernelINS0_14default_configENS1_33run_length_encode_config_selectorImjNS0_4plusIjEEEEZZNS1_33reduce_by_key_impl_wrapped_configILNS1_25lookback_scan_determinismE0ES3_S7_PKmNS0_17constant_iteratorIjlEEPmPlSF_S6_NS0_8equal_toImEEEE10hipError_tPvRmT2_T3_mT4_T5_T6_T7_T8_P12ihipStream_tbENKUlT_T0_E_clISt17integral_constantIbLb1EESZ_EEDaSU_SV_EUlSU_E_NS1_11comp_targetILNS1_3genE3ELNS1_11target_archE908ELNS1_3gpuE7ELNS1_3repE0EEENS1_30default_config_static_selectorELNS0_4arch9wavefront6targetE1EEEvT1_,"axG",@progbits,_ZN7rocprim17ROCPRIM_400000_NS6detail17trampoline_kernelINS0_14default_configENS1_33run_length_encode_config_selectorImjNS0_4plusIjEEEEZZNS1_33reduce_by_key_impl_wrapped_configILNS1_25lookback_scan_determinismE0ES3_S7_PKmNS0_17constant_iteratorIjlEEPmPlSF_S6_NS0_8equal_toImEEEE10hipError_tPvRmT2_T3_mT4_T5_T6_T7_T8_P12ihipStream_tbENKUlT_T0_E_clISt17integral_constantIbLb1EESZ_EEDaSU_SV_EUlSU_E_NS1_11comp_targetILNS1_3genE3ELNS1_11target_archE908ELNS1_3gpuE7ELNS1_3repE0EEENS1_30default_config_static_selectorELNS0_4arch9wavefront6targetE1EEEvT1_,comdat
	.protected	_ZN7rocprim17ROCPRIM_400000_NS6detail17trampoline_kernelINS0_14default_configENS1_33run_length_encode_config_selectorImjNS0_4plusIjEEEEZZNS1_33reduce_by_key_impl_wrapped_configILNS1_25lookback_scan_determinismE0ES3_S7_PKmNS0_17constant_iteratorIjlEEPmPlSF_S6_NS0_8equal_toImEEEE10hipError_tPvRmT2_T3_mT4_T5_T6_T7_T8_P12ihipStream_tbENKUlT_T0_E_clISt17integral_constantIbLb1EESZ_EEDaSU_SV_EUlSU_E_NS1_11comp_targetILNS1_3genE3ELNS1_11target_archE908ELNS1_3gpuE7ELNS1_3repE0EEENS1_30default_config_static_selectorELNS0_4arch9wavefront6targetE1EEEvT1_ ; -- Begin function _ZN7rocprim17ROCPRIM_400000_NS6detail17trampoline_kernelINS0_14default_configENS1_33run_length_encode_config_selectorImjNS0_4plusIjEEEEZZNS1_33reduce_by_key_impl_wrapped_configILNS1_25lookback_scan_determinismE0ES3_S7_PKmNS0_17constant_iteratorIjlEEPmPlSF_S6_NS0_8equal_toImEEEE10hipError_tPvRmT2_T3_mT4_T5_T6_T7_T8_P12ihipStream_tbENKUlT_T0_E_clISt17integral_constantIbLb1EESZ_EEDaSU_SV_EUlSU_E_NS1_11comp_targetILNS1_3genE3ELNS1_11target_archE908ELNS1_3gpuE7ELNS1_3repE0EEENS1_30default_config_static_selectorELNS0_4arch9wavefront6targetE1EEEvT1_
	.globl	_ZN7rocprim17ROCPRIM_400000_NS6detail17trampoline_kernelINS0_14default_configENS1_33run_length_encode_config_selectorImjNS0_4plusIjEEEEZZNS1_33reduce_by_key_impl_wrapped_configILNS1_25lookback_scan_determinismE0ES3_S7_PKmNS0_17constant_iteratorIjlEEPmPlSF_S6_NS0_8equal_toImEEEE10hipError_tPvRmT2_T3_mT4_T5_T6_T7_T8_P12ihipStream_tbENKUlT_T0_E_clISt17integral_constantIbLb1EESZ_EEDaSU_SV_EUlSU_E_NS1_11comp_targetILNS1_3genE3ELNS1_11target_archE908ELNS1_3gpuE7ELNS1_3repE0EEENS1_30default_config_static_selectorELNS0_4arch9wavefront6targetE1EEEvT1_
	.p2align	8
	.type	_ZN7rocprim17ROCPRIM_400000_NS6detail17trampoline_kernelINS0_14default_configENS1_33run_length_encode_config_selectorImjNS0_4plusIjEEEEZZNS1_33reduce_by_key_impl_wrapped_configILNS1_25lookback_scan_determinismE0ES3_S7_PKmNS0_17constant_iteratorIjlEEPmPlSF_S6_NS0_8equal_toImEEEE10hipError_tPvRmT2_T3_mT4_T5_T6_T7_T8_P12ihipStream_tbENKUlT_T0_E_clISt17integral_constantIbLb1EESZ_EEDaSU_SV_EUlSU_E_NS1_11comp_targetILNS1_3genE3ELNS1_11target_archE908ELNS1_3gpuE7ELNS1_3repE0EEENS1_30default_config_static_selectorELNS0_4arch9wavefront6targetE1EEEvT1_,@function
_ZN7rocprim17ROCPRIM_400000_NS6detail17trampoline_kernelINS0_14default_configENS1_33run_length_encode_config_selectorImjNS0_4plusIjEEEEZZNS1_33reduce_by_key_impl_wrapped_configILNS1_25lookback_scan_determinismE0ES3_S7_PKmNS0_17constant_iteratorIjlEEPmPlSF_S6_NS0_8equal_toImEEEE10hipError_tPvRmT2_T3_mT4_T5_T6_T7_T8_P12ihipStream_tbENKUlT_T0_E_clISt17integral_constantIbLb1EESZ_EEDaSU_SV_EUlSU_E_NS1_11comp_targetILNS1_3genE3ELNS1_11target_archE908ELNS1_3gpuE7ELNS1_3repE0EEENS1_30default_config_static_selectorELNS0_4arch9wavefront6targetE1EEEvT1_: ; @_ZN7rocprim17ROCPRIM_400000_NS6detail17trampoline_kernelINS0_14default_configENS1_33run_length_encode_config_selectorImjNS0_4plusIjEEEEZZNS1_33reduce_by_key_impl_wrapped_configILNS1_25lookback_scan_determinismE0ES3_S7_PKmNS0_17constant_iteratorIjlEEPmPlSF_S6_NS0_8equal_toImEEEE10hipError_tPvRmT2_T3_mT4_T5_T6_T7_T8_P12ihipStream_tbENKUlT_T0_E_clISt17integral_constantIbLb1EESZ_EEDaSU_SV_EUlSU_E_NS1_11comp_targetILNS1_3genE3ELNS1_11target_archE908ELNS1_3gpuE7ELNS1_3repE0EEENS1_30default_config_static_selectorELNS0_4arch9wavefront6targetE1EEEvT1_
; %bb.0:
	.section	.rodata,"a",@progbits
	.p2align	6, 0x0
	.amdhsa_kernel _ZN7rocprim17ROCPRIM_400000_NS6detail17trampoline_kernelINS0_14default_configENS1_33run_length_encode_config_selectorImjNS0_4plusIjEEEEZZNS1_33reduce_by_key_impl_wrapped_configILNS1_25lookback_scan_determinismE0ES3_S7_PKmNS0_17constant_iteratorIjlEEPmPlSF_S6_NS0_8equal_toImEEEE10hipError_tPvRmT2_T3_mT4_T5_T6_T7_T8_P12ihipStream_tbENKUlT_T0_E_clISt17integral_constantIbLb1EESZ_EEDaSU_SV_EUlSU_E_NS1_11comp_targetILNS1_3genE3ELNS1_11target_archE908ELNS1_3gpuE7ELNS1_3repE0EEENS1_30default_config_static_selectorELNS0_4arch9wavefront6targetE1EEEvT1_
		.amdhsa_group_segment_fixed_size 0
		.amdhsa_private_segment_fixed_size 0
		.amdhsa_kernarg_size 128
		.amdhsa_user_sgpr_count 2
		.amdhsa_user_sgpr_dispatch_ptr 0
		.amdhsa_user_sgpr_queue_ptr 0
		.amdhsa_user_sgpr_kernarg_segment_ptr 1
		.amdhsa_user_sgpr_dispatch_id 0
		.amdhsa_user_sgpr_kernarg_preload_length 0
		.amdhsa_user_sgpr_kernarg_preload_offset 0
		.amdhsa_user_sgpr_private_segment_size 0
		.amdhsa_uses_dynamic_stack 0
		.amdhsa_enable_private_segment 0
		.amdhsa_system_sgpr_workgroup_id_x 1
		.amdhsa_system_sgpr_workgroup_id_y 0
		.amdhsa_system_sgpr_workgroup_id_z 0
		.amdhsa_system_sgpr_workgroup_info 0
		.amdhsa_system_vgpr_workitem_id 0
		.amdhsa_next_free_vgpr 1
		.amdhsa_next_free_sgpr 0
		.amdhsa_accum_offset 4
		.amdhsa_reserve_vcc 0
		.amdhsa_float_round_mode_32 0
		.amdhsa_float_round_mode_16_64 0
		.amdhsa_float_denorm_mode_32 3
		.amdhsa_float_denorm_mode_16_64 3
		.amdhsa_dx10_clamp 1
		.amdhsa_ieee_mode 1
		.amdhsa_fp16_overflow 0
		.amdhsa_tg_split 0
		.amdhsa_exception_fp_ieee_invalid_op 0
		.amdhsa_exception_fp_denorm_src 0
		.amdhsa_exception_fp_ieee_div_zero 0
		.amdhsa_exception_fp_ieee_overflow 0
		.amdhsa_exception_fp_ieee_underflow 0
		.amdhsa_exception_fp_ieee_inexact 0
		.amdhsa_exception_int_div_zero 0
	.end_amdhsa_kernel
	.section	.text._ZN7rocprim17ROCPRIM_400000_NS6detail17trampoline_kernelINS0_14default_configENS1_33run_length_encode_config_selectorImjNS0_4plusIjEEEEZZNS1_33reduce_by_key_impl_wrapped_configILNS1_25lookback_scan_determinismE0ES3_S7_PKmNS0_17constant_iteratorIjlEEPmPlSF_S6_NS0_8equal_toImEEEE10hipError_tPvRmT2_T3_mT4_T5_T6_T7_T8_P12ihipStream_tbENKUlT_T0_E_clISt17integral_constantIbLb1EESZ_EEDaSU_SV_EUlSU_E_NS1_11comp_targetILNS1_3genE3ELNS1_11target_archE908ELNS1_3gpuE7ELNS1_3repE0EEENS1_30default_config_static_selectorELNS0_4arch9wavefront6targetE1EEEvT1_,"axG",@progbits,_ZN7rocprim17ROCPRIM_400000_NS6detail17trampoline_kernelINS0_14default_configENS1_33run_length_encode_config_selectorImjNS0_4plusIjEEEEZZNS1_33reduce_by_key_impl_wrapped_configILNS1_25lookback_scan_determinismE0ES3_S7_PKmNS0_17constant_iteratorIjlEEPmPlSF_S6_NS0_8equal_toImEEEE10hipError_tPvRmT2_T3_mT4_T5_T6_T7_T8_P12ihipStream_tbENKUlT_T0_E_clISt17integral_constantIbLb1EESZ_EEDaSU_SV_EUlSU_E_NS1_11comp_targetILNS1_3genE3ELNS1_11target_archE908ELNS1_3gpuE7ELNS1_3repE0EEENS1_30default_config_static_selectorELNS0_4arch9wavefront6targetE1EEEvT1_,comdat
.Lfunc_end730:
	.size	_ZN7rocprim17ROCPRIM_400000_NS6detail17trampoline_kernelINS0_14default_configENS1_33run_length_encode_config_selectorImjNS0_4plusIjEEEEZZNS1_33reduce_by_key_impl_wrapped_configILNS1_25lookback_scan_determinismE0ES3_S7_PKmNS0_17constant_iteratorIjlEEPmPlSF_S6_NS0_8equal_toImEEEE10hipError_tPvRmT2_T3_mT4_T5_T6_T7_T8_P12ihipStream_tbENKUlT_T0_E_clISt17integral_constantIbLb1EESZ_EEDaSU_SV_EUlSU_E_NS1_11comp_targetILNS1_3genE3ELNS1_11target_archE908ELNS1_3gpuE7ELNS1_3repE0EEENS1_30default_config_static_selectorELNS0_4arch9wavefront6targetE1EEEvT1_, .Lfunc_end730-_ZN7rocprim17ROCPRIM_400000_NS6detail17trampoline_kernelINS0_14default_configENS1_33run_length_encode_config_selectorImjNS0_4plusIjEEEEZZNS1_33reduce_by_key_impl_wrapped_configILNS1_25lookback_scan_determinismE0ES3_S7_PKmNS0_17constant_iteratorIjlEEPmPlSF_S6_NS0_8equal_toImEEEE10hipError_tPvRmT2_T3_mT4_T5_T6_T7_T8_P12ihipStream_tbENKUlT_T0_E_clISt17integral_constantIbLb1EESZ_EEDaSU_SV_EUlSU_E_NS1_11comp_targetILNS1_3genE3ELNS1_11target_archE908ELNS1_3gpuE7ELNS1_3repE0EEENS1_30default_config_static_selectorELNS0_4arch9wavefront6targetE1EEEvT1_
                                        ; -- End function
	.section	.AMDGPU.csdata,"",@progbits
; Kernel info:
; codeLenInByte = 0
; NumSgprs: 6
; NumVgprs: 0
; NumAgprs: 0
; TotalNumVgprs: 0
; ScratchSize: 0
; MemoryBound: 0
; FloatMode: 240
; IeeeMode: 1
; LDSByteSize: 0 bytes/workgroup (compile time only)
; SGPRBlocks: 0
; VGPRBlocks: 0
; NumSGPRsForWavesPerEU: 6
; NumVGPRsForWavesPerEU: 1
; AccumOffset: 4
; Occupancy: 8
; WaveLimiterHint : 0
; COMPUTE_PGM_RSRC2:SCRATCH_EN: 0
; COMPUTE_PGM_RSRC2:USER_SGPR: 2
; COMPUTE_PGM_RSRC2:TRAP_HANDLER: 0
; COMPUTE_PGM_RSRC2:TGID_X_EN: 1
; COMPUTE_PGM_RSRC2:TGID_Y_EN: 0
; COMPUTE_PGM_RSRC2:TGID_Z_EN: 0
; COMPUTE_PGM_RSRC2:TIDIG_COMP_CNT: 0
; COMPUTE_PGM_RSRC3_GFX90A:ACCUM_OFFSET: 0
; COMPUTE_PGM_RSRC3_GFX90A:TG_SPLIT: 0
	.section	.text._ZN7rocprim17ROCPRIM_400000_NS6detail17trampoline_kernelINS0_14default_configENS1_33run_length_encode_config_selectorImjNS0_4plusIjEEEEZZNS1_33reduce_by_key_impl_wrapped_configILNS1_25lookback_scan_determinismE0ES3_S7_PKmNS0_17constant_iteratorIjlEEPmPlSF_S6_NS0_8equal_toImEEEE10hipError_tPvRmT2_T3_mT4_T5_T6_T7_T8_P12ihipStream_tbENKUlT_T0_E_clISt17integral_constantIbLb1EESZ_EEDaSU_SV_EUlSU_E_NS1_11comp_targetILNS1_3genE2ELNS1_11target_archE906ELNS1_3gpuE6ELNS1_3repE0EEENS1_30default_config_static_selectorELNS0_4arch9wavefront6targetE1EEEvT1_,"axG",@progbits,_ZN7rocprim17ROCPRIM_400000_NS6detail17trampoline_kernelINS0_14default_configENS1_33run_length_encode_config_selectorImjNS0_4plusIjEEEEZZNS1_33reduce_by_key_impl_wrapped_configILNS1_25lookback_scan_determinismE0ES3_S7_PKmNS0_17constant_iteratorIjlEEPmPlSF_S6_NS0_8equal_toImEEEE10hipError_tPvRmT2_T3_mT4_T5_T6_T7_T8_P12ihipStream_tbENKUlT_T0_E_clISt17integral_constantIbLb1EESZ_EEDaSU_SV_EUlSU_E_NS1_11comp_targetILNS1_3genE2ELNS1_11target_archE906ELNS1_3gpuE6ELNS1_3repE0EEENS1_30default_config_static_selectorELNS0_4arch9wavefront6targetE1EEEvT1_,comdat
	.protected	_ZN7rocprim17ROCPRIM_400000_NS6detail17trampoline_kernelINS0_14default_configENS1_33run_length_encode_config_selectorImjNS0_4plusIjEEEEZZNS1_33reduce_by_key_impl_wrapped_configILNS1_25lookback_scan_determinismE0ES3_S7_PKmNS0_17constant_iteratorIjlEEPmPlSF_S6_NS0_8equal_toImEEEE10hipError_tPvRmT2_T3_mT4_T5_T6_T7_T8_P12ihipStream_tbENKUlT_T0_E_clISt17integral_constantIbLb1EESZ_EEDaSU_SV_EUlSU_E_NS1_11comp_targetILNS1_3genE2ELNS1_11target_archE906ELNS1_3gpuE6ELNS1_3repE0EEENS1_30default_config_static_selectorELNS0_4arch9wavefront6targetE1EEEvT1_ ; -- Begin function _ZN7rocprim17ROCPRIM_400000_NS6detail17trampoline_kernelINS0_14default_configENS1_33run_length_encode_config_selectorImjNS0_4plusIjEEEEZZNS1_33reduce_by_key_impl_wrapped_configILNS1_25lookback_scan_determinismE0ES3_S7_PKmNS0_17constant_iteratorIjlEEPmPlSF_S6_NS0_8equal_toImEEEE10hipError_tPvRmT2_T3_mT4_T5_T6_T7_T8_P12ihipStream_tbENKUlT_T0_E_clISt17integral_constantIbLb1EESZ_EEDaSU_SV_EUlSU_E_NS1_11comp_targetILNS1_3genE2ELNS1_11target_archE906ELNS1_3gpuE6ELNS1_3repE0EEENS1_30default_config_static_selectorELNS0_4arch9wavefront6targetE1EEEvT1_
	.globl	_ZN7rocprim17ROCPRIM_400000_NS6detail17trampoline_kernelINS0_14default_configENS1_33run_length_encode_config_selectorImjNS0_4plusIjEEEEZZNS1_33reduce_by_key_impl_wrapped_configILNS1_25lookback_scan_determinismE0ES3_S7_PKmNS0_17constant_iteratorIjlEEPmPlSF_S6_NS0_8equal_toImEEEE10hipError_tPvRmT2_T3_mT4_T5_T6_T7_T8_P12ihipStream_tbENKUlT_T0_E_clISt17integral_constantIbLb1EESZ_EEDaSU_SV_EUlSU_E_NS1_11comp_targetILNS1_3genE2ELNS1_11target_archE906ELNS1_3gpuE6ELNS1_3repE0EEENS1_30default_config_static_selectorELNS0_4arch9wavefront6targetE1EEEvT1_
	.p2align	8
	.type	_ZN7rocprim17ROCPRIM_400000_NS6detail17trampoline_kernelINS0_14default_configENS1_33run_length_encode_config_selectorImjNS0_4plusIjEEEEZZNS1_33reduce_by_key_impl_wrapped_configILNS1_25lookback_scan_determinismE0ES3_S7_PKmNS0_17constant_iteratorIjlEEPmPlSF_S6_NS0_8equal_toImEEEE10hipError_tPvRmT2_T3_mT4_T5_T6_T7_T8_P12ihipStream_tbENKUlT_T0_E_clISt17integral_constantIbLb1EESZ_EEDaSU_SV_EUlSU_E_NS1_11comp_targetILNS1_3genE2ELNS1_11target_archE906ELNS1_3gpuE6ELNS1_3repE0EEENS1_30default_config_static_selectorELNS0_4arch9wavefront6targetE1EEEvT1_,@function
_ZN7rocprim17ROCPRIM_400000_NS6detail17trampoline_kernelINS0_14default_configENS1_33run_length_encode_config_selectorImjNS0_4plusIjEEEEZZNS1_33reduce_by_key_impl_wrapped_configILNS1_25lookback_scan_determinismE0ES3_S7_PKmNS0_17constant_iteratorIjlEEPmPlSF_S6_NS0_8equal_toImEEEE10hipError_tPvRmT2_T3_mT4_T5_T6_T7_T8_P12ihipStream_tbENKUlT_T0_E_clISt17integral_constantIbLb1EESZ_EEDaSU_SV_EUlSU_E_NS1_11comp_targetILNS1_3genE2ELNS1_11target_archE906ELNS1_3gpuE6ELNS1_3repE0EEENS1_30default_config_static_selectorELNS0_4arch9wavefront6targetE1EEEvT1_: ; @_ZN7rocprim17ROCPRIM_400000_NS6detail17trampoline_kernelINS0_14default_configENS1_33run_length_encode_config_selectorImjNS0_4plusIjEEEEZZNS1_33reduce_by_key_impl_wrapped_configILNS1_25lookback_scan_determinismE0ES3_S7_PKmNS0_17constant_iteratorIjlEEPmPlSF_S6_NS0_8equal_toImEEEE10hipError_tPvRmT2_T3_mT4_T5_T6_T7_T8_P12ihipStream_tbENKUlT_T0_E_clISt17integral_constantIbLb1EESZ_EEDaSU_SV_EUlSU_E_NS1_11comp_targetILNS1_3genE2ELNS1_11target_archE906ELNS1_3gpuE6ELNS1_3repE0EEENS1_30default_config_static_selectorELNS0_4arch9wavefront6targetE1EEEvT1_
; %bb.0:
	.section	.rodata,"a",@progbits
	.p2align	6, 0x0
	.amdhsa_kernel _ZN7rocprim17ROCPRIM_400000_NS6detail17trampoline_kernelINS0_14default_configENS1_33run_length_encode_config_selectorImjNS0_4plusIjEEEEZZNS1_33reduce_by_key_impl_wrapped_configILNS1_25lookback_scan_determinismE0ES3_S7_PKmNS0_17constant_iteratorIjlEEPmPlSF_S6_NS0_8equal_toImEEEE10hipError_tPvRmT2_T3_mT4_T5_T6_T7_T8_P12ihipStream_tbENKUlT_T0_E_clISt17integral_constantIbLb1EESZ_EEDaSU_SV_EUlSU_E_NS1_11comp_targetILNS1_3genE2ELNS1_11target_archE906ELNS1_3gpuE6ELNS1_3repE0EEENS1_30default_config_static_selectorELNS0_4arch9wavefront6targetE1EEEvT1_
		.amdhsa_group_segment_fixed_size 0
		.amdhsa_private_segment_fixed_size 0
		.amdhsa_kernarg_size 128
		.amdhsa_user_sgpr_count 2
		.amdhsa_user_sgpr_dispatch_ptr 0
		.amdhsa_user_sgpr_queue_ptr 0
		.amdhsa_user_sgpr_kernarg_segment_ptr 1
		.amdhsa_user_sgpr_dispatch_id 0
		.amdhsa_user_sgpr_kernarg_preload_length 0
		.amdhsa_user_sgpr_kernarg_preload_offset 0
		.amdhsa_user_sgpr_private_segment_size 0
		.amdhsa_uses_dynamic_stack 0
		.amdhsa_enable_private_segment 0
		.amdhsa_system_sgpr_workgroup_id_x 1
		.amdhsa_system_sgpr_workgroup_id_y 0
		.amdhsa_system_sgpr_workgroup_id_z 0
		.amdhsa_system_sgpr_workgroup_info 0
		.amdhsa_system_vgpr_workitem_id 0
		.amdhsa_next_free_vgpr 1
		.amdhsa_next_free_sgpr 0
		.amdhsa_accum_offset 4
		.amdhsa_reserve_vcc 0
		.amdhsa_float_round_mode_32 0
		.amdhsa_float_round_mode_16_64 0
		.amdhsa_float_denorm_mode_32 3
		.amdhsa_float_denorm_mode_16_64 3
		.amdhsa_dx10_clamp 1
		.amdhsa_ieee_mode 1
		.amdhsa_fp16_overflow 0
		.amdhsa_tg_split 0
		.amdhsa_exception_fp_ieee_invalid_op 0
		.amdhsa_exception_fp_denorm_src 0
		.amdhsa_exception_fp_ieee_div_zero 0
		.amdhsa_exception_fp_ieee_overflow 0
		.amdhsa_exception_fp_ieee_underflow 0
		.amdhsa_exception_fp_ieee_inexact 0
		.amdhsa_exception_int_div_zero 0
	.end_amdhsa_kernel
	.section	.text._ZN7rocprim17ROCPRIM_400000_NS6detail17trampoline_kernelINS0_14default_configENS1_33run_length_encode_config_selectorImjNS0_4plusIjEEEEZZNS1_33reduce_by_key_impl_wrapped_configILNS1_25lookback_scan_determinismE0ES3_S7_PKmNS0_17constant_iteratorIjlEEPmPlSF_S6_NS0_8equal_toImEEEE10hipError_tPvRmT2_T3_mT4_T5_T6_T7_T8_P12ihipStream_tbENKUlT_T0_E_clISt17integral_constantIbLb1EESZ_EEDaSU_SV_EUlSU_E_NS1_11comp_targetILNS1_3genE2ELNS1_11target_archE906ELNS1_3gpuE6ELNS1_3repE0EEENS1_30default_config_static_selectorELNS0_4arch9wavefront6targetE1EEEvT1_,"axG",@progbits,_ZN7rocprim17ROCPRIM_400000_NS6detail17trampoline_kernelINS0_14default_configENS1_33run_length_encode_config_selectorImjNS0_4plusIjEEEEZZNS1_33reduce_by_key_impl_wrapped_configILNS1_25lookback_scan_determinismE0ES3_S7_PKmNS0_17constant_iteratorIjlEEPmPlSF_S6_NS0_8equal_toImEEEE10hipError_tPvRmT2_T3_mT4_T5_T6_T7_T8_P12ihipStream_tbENKUlT_T0_E_clISt17integral_constantIbLb1EESZ_EEDaSU_SV_EUlSU_E_NS1_11comp_targetILNS1_3genE2ELNS1_11target_archE906ELNS1_3gpuE6ELNS1_3repE0EEENS1_30default_config_static_selectorELNS0_4arch9wavefront6targetE1EEEvT1_,comdat
.Lfunc_end731:
	.size	_ZN7rocprim17ROCPRIM_400000_NS6detail17trampoline_kernelINS0_14default_configENS1_33run_length_encode_config_selectorImjNS0_4plusIjEEEEZZNS1_33reduce_by_key_impl_wrapped_configILNS1_25lookback_scan_determinismE0ES3_S7_PKmNS0_17constant_iteratorIjlEEPmPlSF_S6_NS0_8equal_toImEEEE10hipError_tPvRmT2_T3_mT4_T5_T6_T7_T8_P12ihipStream_tbENKUlT_T0_E_clISt17integral_constantIbLb1EESZ_EEDaSU_SV_EUlSU_E_NS1_11comp_targetILNS1_3genE2ELNS1_11target_archE906ELNS1_3gpuE6ELNS1_3repE0EEENS1_30default_config_static_selectorELNS0_4arch9wavefront6targetE1EEEvT1_, .Lfunc_end731-_ZN7rocprim17ROCPRIM_400000_NS6detail17trampoline_kernelINS0_14default_configENS1_33run_length_encode_config_selectorImjNS0_4plusIjEEEEZZNS1_33reduce_by_key_impl_wrapped_configILNS1_25lookback_scan_determinismE0ES3_S7_PKmNS0_17constant_iteratorIjlEEPmPlSF_S6_NS0_8equal_toImEEEE10hipError_tPvRmT2_T3_mT4_T5_T6_T7_T8_P12ihipStream_tbENKUlT_T0_E_clISt17integral_constantIbLb1EESZ_EEDaSU_SV_EUlSU_E_NS1_11comp_targetILNS1_3genE2ELNS1_11target_archE906ELNS1_3gpuE6ELNS1_3repE0EEENS1_30default_config_static_selectorELNS0_4arch9wavefront6targetE1EEEvT1_
                                        ; -- End function
	.section	.AMDGPU.csdata,"",@progbits
; Kernel info:
; codeLenInByte = 0
; NumSgprs: 6
; NumVgprs: 0
; NumAgprs: 0
; TotalNumVgprs: 0
; ScratchSize: 0
; MemoryBound: 0
; FloatMode: 240
; IeeeMode: 1
; LDSByteSize: 0 bytes/workgroup (compile time only)
; SGPRBlocks: 0
; VGPRBlocks: 0
; NumSGPRsForWavesPerEU: 6
; NumVGPRsForWavesPerEU: 1
; AccumOffset: 4
; Occupancy: 8
; WaveLimiterHint : 0
; COMPUTE_PGM_RSRC2:SCRATCH_EN: 0
; COMPUTE_PGM_RSRC2:USER_SGPR: 2
; COMPUTE_PGM_RSRC2:TRAP_HANDLER: 0
; COMPUTE_PGM_RSRC2:TGID_X_EN: 1
; COMPUTE_PGM_RSRC2:TGID_Y_EN: 0
; COMPUTE_PGM_RSRC2:TGID_Z_EN: 0
; COMPUTE_PGM_RSRC2:TIDIG_COMP_CNT: 0
; COMPUTE_PGM_RSRC3_GFX90A:ACCUM_OFFSET: 0
; COMPUTE_PGM_RSRC3_GFX90A:TG_SPLIT: 0
	.section	.text._ZN7rocprim17ROCPRIM_400000_NS6detail17trampoline_kernelINS0_14default_configENS1_33run_length_encode_config_selectorImjNS0_4plusIjEEEEZZNS1_33reduce_by_key_impl_wrapped_configILNS1_25lookback_scan_determinismE0ES3_S7_PKmNS0_17constant_iteratorIjlEEPmPlSF_S6_NS0_8equal_toImEEEE10hipError_tPvRmT2_T3_mT4_T5_T6_T7_T8_P12ihipStream_tbENKUlT_T0_E_clISt17integral_constantIbLb1EESZ_EEDaSU_SV_EUlSU_E_NS1_11comp_targetILNS1_3genE10ELNS1_11target_archE1201ELNS1_3gpuE5ELNS1_3repE0EEENS1_30default_config_static_selectorELNS0_4arch9wavefront6targetE1EEEvT1_,"axG",@progbits,_ZN7rocprim17ROCPRIM_400000_NS6detail17trampoline_kernelINS0_14default_configENS1_33run_length_encode_config_selectorImjNS0_4plusIjEEEEZZNS1_33reduce_by_key_impl_wrapped_configILNS1_25lookback_scan_determinismE0ES3_S7_PKmNS0_17constant_iteratorIjlEEPmPlSF_S6_NS0_8equal_toImEEEE10hipError_tPvRmT2_T3_mT4_T5_T6_T7_T8_P12ihipStream_tbENKUlT_T0_E_clISt17integral_constantIbLb1EESZ_EEDaSU_SV_EUlSU_E_NS1_11comp_targetILNS1_3genE10ELNS1_11target_archE1201ELNS1_3gpuE5ELNS1_3repE0EEENS1_30default_config_static_selectorELNS0_4arch9wavefront6targetE1EEEvT1_,comdat
	.protected	_ZN7rocprim17ROCPRIM_400000_NS6detail17trampoline_kernelINS0_14default_configENS1_33run_length_encode_config_selectorImjNS0_4plusIjEEEEZZNS1_33reduce_by_key_impl_wrapped_configILNS1_25lookback_scan_determinismE0ES3_S7_PKmNS0_17constant_iteratorIjlEEPmPlSF_S6_NS0_8equal_toImEEEE10hipError_tPvRmT2_T3_mT4_T5_T6_T7_T8_P12ihipStream_tbENKUlT_T0_E_clISt17integral_constantIbLb1EESZ_EEDaSU_SV_EUlSU_E_NS1_11comp_targetILNS1_3genE10ELNS1_11target_archE1201ELNS1_3gpuE5ELNS1_3repE0EEENS1_30default_config_static_selectorELNS0_4arch9wavefront6targetE1EEEvT1_ ; -- Begin function _ZN7rocprim17ROCPRIM_400000_NS6detail17trampoline_kernelINS0_14default_configENS1_33run_length_encode_config_selectorImjNS0_4plusIjEEEEZZNS1_33reduce_by_key_impl_wrapped_configILNS1_25lookback_scan_determinismE0ES3_S7_PKmNS0_17constant_iteratorIjlEEPmPlSF_S6_NS0_8equal_toImEEEE10hipError_tPvRmT2_T3_mT4_T5_T6_T7_T8_P12ihipStream_tbENKUlT_T0_E_clISt17integral_constantIbLb1EESZ_EEDaSU_SV_EUlSU_E_NS1_11comp_targetILNS1_3genE10ELNS1_11target_archE1201ELNS1_3gpuE5ELNS1_3repE0EEENS1_30default_config_static_selectorELNS0_4arch9wavefront6targetE1EEEvT1_
	.globl	_ZN7rocprim17ROCPRIM_400000_NS6detail17trampoline_kernelINS0_14default_configENS1_33run_length_encode_config_selectorImjNS0_4plusIjEEEEZZNS1_33reduce_by_key_impl_wrapped_configILNS1_25lookback_scan_determinismE0ES3_S7_PKmNS0_17constant_iteratorIjlEEPmPlSF_S6_NS0_8equal_toImEEEE10hipError_tPvRmT2_T3_mT4_T5_T6_T7_T8_P12ihipStream_tbENKUlT_T0_E_clISt17integral_constantIbLb1EESZ_EEDaSU_SV_EUlSU_E_NS1_11comp_targetILNS1_3genE10ELNS1_11target_archE1201ELNS1_3gpuE5ELNS1_3repE0EEENS1_30default_config_static_selectorELNS0_4arch9wavefront6targetE1EEEvT1_
	.p2align	8
	.type	_ZN7rocprim17ROCPRIM_400000_NS6detail17trampoline_kernelINS0_14default_configENS1_33run_length_encode_config_selectorImjNS0_4plusIjEEEEZZNS1_33reduce_by_key_impl_wrapped_configILNS1_25lookback_scan_determinismE0ES3_S7_PKmNS0_17constant_iteratorIjlEEPmPlSF_S6_NS0_8equal_toImEEEE10hipError_tPvRmT2_T3_mT4_T5_T6_T7_T8_P12ihipStream_tbENKUlT_T0_E_clISt17integral_constantIbLb1EESZ_EEDaSU_SV_EUlSU_E_NS1_11comp_targetILNS1_3genE10ELNS1_11target_archE1201ELNS1_3gpuE5ELNS1_3repE0EEENS1_30default_config_static_selectorELNS0_4arch9wavefront6targetE1EEEvT1_,@function
_ZN7rocprim17ROCPRIM_400000_NS6detail17trampoline_kernelINS0_14default_configENS1_33run_length_encode_config_selectorImjNS0_4plusIjEEEEZZNS1_33reduce_by_key_impl_wrapped_configILNS1_25lookback_scan_determinismE0ES3_S7_PKmNS0_17constant_iteratorIjlEEPmPlSF_S6_NS0_8equal_toImEEEE10hipError_tPvRmT2_T3_mT4_T5_T6_T7_T8_P12ihipStream_tbENKUlT_T0_E_clISt17integral_constantIbLb1EESZ_EEDaSU_SV_EUlSU_E_NS1_11comp_targetILNS1_3genE10ELNS1_11target_archE1201ELNS1_3gpuE5ELNS1_3repE0EEENS1_30default_config_static_selectorELNS0_4arch9wavefront6targetE1EEEvT1_: ; @_ZN7rocprim17ROCPRIM_400000_NS6detail17trampoline_kernelINS0_14default_configENS1_33run_length_encode_config_selectorImjNS0_4plusIjEEEEZZNS1_33reduce_by_key_impl_wrapped_configILNS1_25lookback_scan_determinismE0ES3_S7_PKmNS0_17constant_iteratorIjlEEPmPlSF_S6_NS0_8equal_toImEEEE10hipError_tPvRmT2_T3_mT4_T5_T6_T7_T8_P12ihipStream_tbENKUlT_T0_E_clISt17integral_constantIbLb1EESZ_EEDaSU_SV_EUlSU_E_NS1_11comp_targetILNS1_3genE10ELNS1_11target_archE1201ELNS1_3gpuE5ELNS1_3repE0EEENS1_30default_config_static_selectorELNS0_4arch9wavefront6targetE1EEEvT1_
; %bb.0:
	.section	.rodata,"a",@progbits
	.p2align	6, 0x0
	.amdhsa_kernel _ZN7rocprim17ROCPRIM_400000_NS6detail17trampoline_kernelINS0_14default_configENS1_33run_length_encode_config_selectorImjNS0_4plusIjEEEEZZNS1_33reduce_by_key_impl_wrapped_configILNS1_25lookback_scan_determinismE0ES3_S7_PKmNS0_17constant_iteratorIjlEEPmPlSF_S6_NS0_8equal_toImEEEE10hipError_tPvRmT2_T3_mT4_T5_T6_T7_T8_P12ihipStream_tbENKUlT_T0_E_clISt17integral_constantIbLb1EESZ_EEDaSU_SV_EUlSU_E_NS1_11comp_targetILNS1_3genE10ELNS1_11target_archE1201ELNS1_3gpuE5ELNS1_3repE0EEENS1_30default_config_static_selectorELNS0_4arch9wavefront6targetE1EEEvT1_
		.amdhsa_group_segment_fixed_size 0
		.amdhsa_private_segment_fixed_size 0
		.amdhsa_kernarg_size 128
		.amdhsa_user_sgpr_count 2
		.amdhsa_user_sgpr_dispatch_ptr 0
		.amdhsa_user_sgpr_queue_ptr 0
		.amdhsa_user_sgpr_kernarg_segment_ptr 1
		.amdhsa_user_sgpr_dispatch_id 0
		.amdhsa_user_sgpr_kernarg_preload_length 0
		.amdhsa_user_sgpr_kernarg_preload_offset 0
		.amdhsa_user_sgpr_private_segment_size 0
		.amdhsa_uses_dynamic_stack 0
		.amdhsa_enable_private_segment 0
		.amdhsa_system_sgpr_workgroup_id_x 1
		.amdhsa_system_sgpr_workgroup_id_y 0
		.amdhsa_system_sgpr_workgroup_id_z 0
		.amdhsa_system_sgpr_workgroup_info 0
		.amdhsa_system_vgpr_workitem_id 0
		.amdhsa_next_free_vgpr 1
		.amdhsa_next_free_sgpr 0
		.amdhsa_accum_offset 4
		.amdhsa_reserve_vcc 0
		.amdhsa_float_round_mode_32 0
		.amdhsa_float_round_mode_16_64 0
		.amdhsa_float_denorm_mode_32 3
		.amdhsa_float_denorm_mode_16_64 3
		.amdhsa_dx10_clamp 1
		.amdhsa_ieee_mode 1
		.amdhsa_fp16_overflow 0
		.amdhsa_tg_split 0
		.amdhsa_exception_fp_ieee_invalid_op 0
		.amdhsa_exception_fp_denorm_src 0
		.amdhsa_exception_fp_ieee_div_zero 0
		.amdhsa_exception_fp_ieee_overflow 0
		.amdhsa_exception_fp_ieee_underflow 0
		.amdhsa_exception_fp_ieee_inexact 0
		.amdhsa_exception_int_div_zero 0
	.end_amdhsa_kernel
	.section	.text._ZN7rocprim17ROCPRIM_400000_NS6detail17trampoline_kernelINS0_14default_configENS1_33run_length_encode_config_selectorImjNS0_4plusIjEEEEZZNS1_33reduce_by_key_impl_wrapped_configILNS1_25lookback_scan_determinismE0ES3_S7_PKmNS0_17constant_iteratorIjlEEPmPlSF_S6_NS0_8equal_toImEEEE10hipError_tPvRmT2_T3_mT4_T5_T6_T7_T8_P12ihipStream_tbENKUlT_T0_E_clISt17integral_constantIbLb1EESZ_EEDaSU_SV_EUlSU_E_NS1_11comp_targetILNS1_3genE10ELNS1_11target_archE1201ELNS1_3gpuE5ELNS1_3repE0EEENS1_30default_config_static_selectorELNS0_4arch9wavefront6targetE1EEEvT1_,"axG",@progbits,_ZN7rocprim17ROCPRIM_400000_NS6detail17trampoline_kernelINS0_14default_configENS1_33run_length_encode_config_selectorImjNS0_4plusIjEEEEZZNS1_33reduce_by_key_impl_wrapped_configILNS1_25lookback_scan_determinismE0ES3_S7_PKmNS0_17constant_iteratorIjlEEPmPlSF_S6_NS0_8equal_toImEEEE10hipError_tPvRmT2_T3_mT4_T5_T6_T7_T8_P12ihipStream_tbENKUlT_T0_E_clISt17integral_constantIbLb1EESZ_EEDaSU_SV_EUlSU_E_NS1_11comp_targetILNS1_3genE10ELNS1_11target_archE1201ELNS1_3gpuE5ELNS1_3repE0EEENS1_30default_config_static_selectorELNS0_4arch9wavefront6targetE1EEEvT1_,comdat
.Lfunc_end732:
	.size	_ZN7rocprim17ROCPRIM_400000_NS6detail17trampoline_kernelINS0_14default_configENS1_33run_length_encode_config_selectorImjNS0_4plusIjEEEEZZNS1_33reduce_by_key_impl_wrapped_configILNS1_25lookback_scan_determinismE0ES3_S7_PKmNS0_17constant_iteratorIjlEEPmPlSF_S6_NS0_8equal_toImEEEE10hipError_tPvRmT2_T3_mT4_T5_T6_T7_T8_P12ihipStream_tbENKUlT_T0_E_clISt17integral_constantIbLb1EESZ_EEDaSU_SV_EUlSU_E_NS1_11comp_targetILNS1_3genE10ELNS1_11target_archE1201ELNS1_3gpuE5ELNS1_3repE0EEENS1_30default_config_static_selectorELNS0_4arch9wavefront6targetE1EEEvT1_, .Lfunc_end732-_ZN7rocprim17ROCPRIM_400000_NS6detail17trampoline_kernelINS0_14default_configENS1_33run_length_encode_config_selectorImjNS0_4plusIjEEEEZZNS1_33reduce_by_key_impl_wrapped_configILNS1_25lookback_scan_determinismE0ES3_S7_PKmNS0_17constant_iteratorIjlEEPmPlSF_S6_NS0_8equal_toImEEEE10hipError_tPvRmT2_T3_mT4_T5_T6_T7_T8_P12ihipStream_tbENKUlT_T0_E_clISt17integral_constantIbLb1EESZ_EEDaSU_SV_EUlSU_E_NS1_11comp_targetILNS1_3genE10ELNS1_11target_archE1201ELNS1_3gpuE5ELNS1_3repE0EEENS1_30default_config_static_selectorELNS0_4arch9wavefront6targetE1EEEvT1_
                                        ; -- End function
	.section	.AMDGPU.csdata,"",@progbits
; Kernel info:
; codeLenInByte = 0
; NumSgprs: 6
; NumVgprs: 0
; NumAgprs: 0
; TotalNumVgprs: 0
; ScratchSize: 0
; MemoryBound: 0
; FloatMode: 240
; IeeeMode: 1
; LDSByteSize: 0 bytes/workgroup (compile time only)
; SGPRBlocks: 0
; VGPRBlocks: 0
; NumSGPRsForWavesPerEU: 6
; NumVGPRsForWavesPerEU: 1
; AccumOffset: 4
; Occupancy: 8
; WaveLimiterHint : 0
; COMPUTE_PGM_RSRC2:SCRATCH_EN: 0
; COMPUTE_PGM_RSRC2:USER_SGPR: 2
; COMPUTE_PGM_RSRC2:TRAP_HANDLER: 0
; COMPUTE_PGM_RSRC2:TGID_X_EN: 1
; COMPUTE_PGM_RSRC2:TGID_Y_EN: 0
; COMPUTE_PGM_RSRC2:TGID_Z_EN: 0
; COMPUTE_PGM_RSRC2:TIDIG_COMP_CNT: 0
; COMPUTE_PGM_RSRC3_GFX90A:ACCUM_OFFSET: 0
; COMPUTE_PGM_RSRC3_GFX90A:TG_SPLIT: 0
	.section	.text._ZN7rocprim17ROCPRIM_400000_NS6detail17trampoline_kernelINS0_14default_configENS1_33run_length_encode_config_selectorImjNS0_4plusIjEEEEZZNS1_33reduce_by_key_impl_wrapped_configILNS1_25lookback_scan_determinismE0ES3_S7_PKmNS0_17constant_iteratorIjlEEPmPlSF_S6_NS0_8equal_toImEEEE10hipError_tPvRmT2_T3_mT4_T5_T6_T7_T8_P12ihipStream_tbENKUlT_T0_E_clISt17integral_constantIbLb1EESZ_EEDaSU_SV_EUlSU_E_NS1_11comp_targetILNS1_3genE10ELNS1_11target_archE1200ELNS1_3gpuE4ELNS1_3repE0EEENS1_30default_config_static_selectorELNS0_4arch9wavefront6targetE1EEEvT1_,"axG",@progbits,_ZN7rocprim17ROCPRIM_400000_NS6detail17trampoline_kernelINS0_14default_configENS1_33run_length_encode_config_selectorImjNS0_4plusIjEEEEZZNS1_33reduce_by_key_impl_wrapped_configILNS1_25lookback_scan_determinismE0ES3_S7_PKmNS0_17constant_iteratorIjlEEPmPlSF_S6_NS0_8equal_toImEEEE10hipError_tPvRmT2_T3_mT4_T5_T6_T7_T8_P12ihipStream_tbENKUlT_T0_E_clISt17integral_constantIbLb1EESZ_EEDaSU_SV_EUlSU_E_NS1_11comp_targetILNS1_3genE10ELNS1_11target_archE1200ELNS1_3gpuE4ELNS1_3repE0EEENS1_30default_config_static_selectorELNS0_4arch9wavefront6targetE1EEEvT1_,comdat
	.protected	_ZN7rocprim17ROCPRIM_400000_NS6detail17trampoline_kernelINS0_14default_configENS1_33run_length_encode_config_selectorImjNS0_4plusIjEEEEZZNS1_33reduce_by_key_impl_wrapped_configILNS1_25lookback_scan_determinismE0ES3_S7_PKmNS0_17constant_iteratorIjlEEPmPlSF_S6_NS0_8equal_toImEEEE10hipError_tPvRmT2_T3_mT4_T5_T6_T7_T8_P12ihipStream_tbENKUlT_T0_E_clISt17integral_constantIbLb1EESZ_EEDaSU_SV_EUlSU_E_NS1_11comp_targetILNS1_3genE10ELNS1_11target_archE1200ELNS1_3gpuE4ELNS1_3repE0EEENS1_30default_config_static_selectorELNS0_4arch9wavefront6targetE1EEEvT1_ ; -- Begin function _ZN7rocprim17ROCPRIM_400000_NS6detail17trampoline_kernelINS0_14default_configENS1_33run_length_encode_config_selectorImjNS0_4plusIjEEEEZZNS1_33reduce_by_key_impl_wrapped_configILNS1_25lookback_scan_determinismE0ES3_S7_PKmNS0_17constant_iteratorIjlEEPmPlSF_S6_NS0_8equal_toImEEEE10hipError_tPvRmT2_T3_mT4_T5_T6_T7_T8_P12ihipStream_tbENKUlT_T0_E_clISt17integral_constantIbLb1EESZ_EEDaSU_SV_EUlSU_E_NS1_11comp_targetILNS1_3genE10ELNS1_11target_archE1200ELNS1_3gpuE4ELNS1_3repE0EEENS1_30default_config_static_selectorELNS0_4arch9wavefront6targetE1EEEvT1_
	.globl	_ZN7rocprim17ROCPRIM_400000_NS6detail17trampoline_kernelINS0_14default_configENS1_33run_length_encode_config_selectorImjNS0_4plusIjEEEEZZNS1_33reduce_by_key_impl_wrapped_configILNS1_25lookback_scan_determinismE0ES3_S7_PKmNS0_17constant_iteratorIjlEEPmPlSF_S6_NS0_8equal_toImEEEE10hipError_tPvRmT2_T3_mT4_T5_T6_T7_T8_P12ihipStream_tbENKUlT_T0_E_clISt17integral_constantIbLb1EESZ_EEDaSU_SV_EUlSU_E_NS1_11comp_targetILNS1_3genE10ELNS1_11target_archE1200ELNS1_3gpuE4ELNS1_3repE0EEENS1_30default_config_static_selectorELNS0_4arch9wavefront6targetE1EEEvT1_
	.p2align	8
	.type	_ZN7rocprim17ROCPRIM_400000_NS6detail17trampoline_kernelINS0_14default_configENS1_33run_length_encode_config_selectorImjNS0_4plusIjEEEEZZNS1_33reduce_by_key_impl_wrapped_configILNS1_25lookback_scan_determinismE0ES3_S7_PKmNS0_17constant_iteratorIjlEEPmPlSF_S6_NS0_8equal_toImEEEE10hipError_tPvRmT2_T3_mT4_T5_T6_T7_T8_P12ihipStream_tbENKUlT_T0_E_clISt17integral_constantIbLb1EESZ_EEDaSU_SV_EUlSU_E_NS1_11comp_targetILNS1_3genE10ELNS1_11target_archE1200ELNS1_3gpuE4ELNS1_3repE0EEENS1_30default_config_static_selectorELNS0_4arch9wavefront6targetE1EEEvT1_,@function
_ZN7rocprim17ROCPRIM_400000_NS6detail17trampoline_kernelINS0_14default_configENS1_33run_length_encode_config_selectorImjNS0_4plusIjEEEEZZNS1_33reduce_by_key_impl_wrapped_configILNS1_25lookback_scan_determinismE0ES3_S7_PKmNS0_17constant_iteratorIjlEEPmPlSF_S6_NS0_8equal_toImEEEE10hipError_tPvRmT2_T3_mT4_T5_T6_T7_T8_P12ihipStream_tbENKUlT_T0_E_clISt17integral_constantIbLb1EESZ_EEDaSU_SV_EUlSU_E_NS1_11comp_targetILNS1_3genE10ELNS1_11target_archE1200ELNS1_3gpuE4ELNS1_3repE0EEENS1_30default_config_static_selectorELNS0_4arch9wavefront6targetE1EEEvT1_: ; @_ZN7rocprim17ROCPRIM_400000_NS6detail17trampoline_kernelINS0_14default_configENS1_33run_length_encode_config_selectorImjNS0_4plusIjEEEEZZNS1_33reduce_by_key_impl_wrapped_configILNS1_25lookback_scan_determinismE0ES3_S7_PKmNS0_17constant_iteratorIjlEEPmPlSF_S6_NS0_8equal_toImEEEE10hipError_tPvRmT2_T3_mT4_T5_T6_T7_T8_P12ihipStream_tbENKUlT_T0_E_clISt17integral_constantIbLb1EESZ_EEDaSU_SV_EUlSU_E_NS1_11comp_targetILNS1_3genE10ELNS1_11target_archE1200ELNS1_3gpuE4ELNS1_3repE0EEENS1_30default_config_static_selectorELNS0_4arch9wavefront6targetE1EEEvT1_
; %bb.0:
	.section	.rodata,"a",@progbits
	.p2align	6, 0x0
	.amdhsa_kernel _ZN7rocprim17ROCPRIM_400000_NS6detail17trampoline_kernelINS0_14default_configENS1_33run_length_encode_config_selectorImjNS0_4plusIjEEEEZZNS1_33reduce_by_key_impl_wrapped_configILNS1_25lookback_scan_determinismE0ES3_S7_PKmNS0_17constant_iteratorIjlEEPmPlSF_S6_NS0_8equal_toImEEEE10hipError_tPvRmT2_T3_mT4_T5_T6_T7_T8_P12ihipStream_tbENKUlT_T0_E_clISt17integral_constantIbLb1EESZ_EEDaSU_SV_EUlSU_E_NS1_11comp_targetILNS1_3genE10ELNS1_11target_archE1200ELNS1_3gpuE4ELNS1_3repE0EEENS1_30default_config_static_selectorELNS0_4arch9wavefront6targetE1EEEvT1_
		.amdhsa_group_segment_fixed_size 0
		.amdhsa_private_segment_fixed_size 0
		.amdhsa_kernarg_size 128
		.amdhsa_user_sgpr_count 2
		.amdhsa_user_sgpr_dispatch_ptr 0
		.amdhsa_user_sgpr_queue_ptr 0
		.amdhsa_user_sgpr_kernarg_segment_ptr 1
		.amdhsa_user_sgpr_dispatch_id 0
		.amdhsa_user_sgpr_kernarg_preload_length 0
		.amdhsa_user_sgpr_kernarg_preload_offset 0
		.amdhsa_user_sgpr_private_segment_size 0
		.amdhsa_uses_dynamic_stack 0
		.amdhsa_enable_private_segment 0
		.amdhsa_system_sgpr_workgroup_id_x 1
		.amdhsa_system_sgpr_workgroup_id_y 0
		.amdhsa_system_sgpr_workgroup_id_z 0
		.amdhsa_system_sgpr_workgroup_info 0
		.amdhsa_system_vgpr_workitem_id 0
		.amdhsa_next_free_vgpr 1
		.amdhsa_next_free_sgpr 0
		.amdhsa_accum_offset 4
		.amdhsa_reserve_vcc 0
		.amdhsa_float_round_mode_32 0
		.amdhsa_float_round_mode_16_64 0
		.amdhsa_float_denorm_mode_32 3
		.amdhsa_float_denorm_mode_16_64 3
		.amdhsa_dx10_clamp 1
		.amdhsa_ieee_mode 1
		.amdhsa_fp16_overflow 0
		.amdhsa_tg_split 0
		.amdhsa_exception_fp_ieee_invalid_op 0
		.amdhsa_exception_fp_denorm_src 0
		.amdhsa_exception_fp_ieee_div_zero 0
		.amdhsa_exception_fp_ieee_overflow 0
		.amdhsa_exception_fp_ieee_underflow 0
		.amdhsa_exception_fp_ieee_inexact 0
		.amdhsa_exception_int_div_zero 0
	.end_amdhsa_kernel
	.section	.text._ZN7rocprim17ROCPRIM_400000_NS6detail17trampoline_kernelINS0_14default_configENS1_33run_length_encode_config_selectorImjNS0_4plusIjEEEEZZNS1_33reduce_by_key_impl_wrapped_configILNS1_25lookback_scan_determinismE0ES3_S7_PKmNS0_17constant_iteratorIjlEEPmPlSF_S6_NS0_8equal_toImEEEE10hipError_tPvRmT2_T3_mT4_T5_T6_T7_T8_P12ihipStream_tbENKUlT_T0_E_clISt17integral_constantIbLb1EESZ_EEDaSU_SV_EUlSU_E_NS1_11comp_targetILNS1_3genE10ELNS1_11target_archE1200ELNS1_3gpuE4ELNS1_3repE0EEENS1_30default_config_static_selectorELNS0_4arch9wavefront6targetE1EEEvT1_,"axG",@progbits,_ZN7rocprim17ROCPRIM_400000_NS6detail17trampoline_kernelINS0_14default_configENS1_33run_length_encode_config_selectorImjNS0_4plusIjEEEEZZNS1_33reduce_by_key_impl_wrapped_configILNS1_25lookback_scan_determinismE0ES3_S7_PKmNS0_17constant_iteratorIjlEEPmPlSF_S6_NS0_8equal_toImEEEE10hipError_tPvRmT2_T3_mT4_T5_T6_T7_T8_P12ihipStream_tbENKUlT_T0_E_clISt17integral_constantIbLb1EESZ_EEDaSU_SV_EUlSU_E_NS1_11comp_targetILNS1_3genE10ELNS1_11target_archE1200ELNS1_3gpuE4ELNS1_3repE0EEENS1_30default_config_static_selectorELNS0_4arch9wavefront6targetE1EEEvT1_,comdat
.Lfunc_end733:
	.size	_ZN7rocprim17ROCPRIM_400000_NS6detail17trampoline_kernelINS0_14default_configENS1_33run_length_encode_config_selectorImjNS0_4plusIjEEEEZZNS1_33reduce_by_key_impl_wrapped_configILNS1_25lookback_scan_determinismE0ES3_S7_PKmNS0_17constant_iteratorIjlEEPmPlSF_S6_NS0_8equal_toImEEEE10hipError_tPvRmT2_T3_mT4_T5_T6_T7_T8_P12ihipStream_tbENKUlT_T0_E_clISt17integral_constantIbLb1EESZ_EEDaSU_SV_EUlSU_E_NS1_11comp_targetILNS1_3genE10ELNS1_11target_archE1200ELNS1_3gpuE4ELNS1_3repE0EEENS1_30default_config_static_selectorELNS0_4arch9wavefront6targetE1EEEvT1_, .Lfunc_end733-_ZN7rocprim17ROCPRIM_400000_NS6detail17trampoline_kernelINS0_14default_configENS1_33run_length_encode_config_selectorImjNS0_4plusIjEEEEZZNS1_33reduce_by_key_impl_wrapped_configILNS1_25lookback_scan_determinismE0ES3_S7_PKmNS0_17constant_iteratorIjlEEPmPlSF_S6_NS0_8equal_toImEEEE10hipError_tPvRmT2_T3_mT4_T5_T6_T7_T8_P12ihipStream_tbENKUlT_T0_E_clISt17integral_constantIbLb1EESZ_EEDaSU_SV_EUlSU_E_NS1_11comp_targetILNS1_3genE10ELNS1_11target_archE1200ELNS1_3gpuE4ELNS1_3repE0EEENS1_30default_config_static_selectorELNS0_4arch9wavefront6targetE1EEEvT1_
                                        ; -- End function
	.section	.AMDGPU.csdata,"",@progbits
; Kernel info:
; codeLenInByte = 0
; NumSgprs: 6
; NumVgprs: 0
; NumAgprs: 0
; TotalNumVgprs: 0
; ScratchSize: 0
; MemoryBound: 0
; FloatMode: 240
; IeeeMode: 1
; LDSByteSize: 0 bytes/workgroup (compile time only)
; SGPRBlocks: 0
; VGPRBlocks: 0
; NumSGPRsForWavesPerEU: 6
; NumVGPRsForWavesPerEU: 1
; AccumOffset: 4
; Occupancy: 8
; WaveLimiterHint : 0
; COMPUTE_PGM_RSRC2:SCRATCH_EN: 0
; COMPUTE_PGM_RSRC2:USER_SGPR: 2
; COMPUTE_PGM_RSRC2:TRAP_HANDLER: 0
; COMPUTE_PGM_RSRC2:TGID_X_EN: 1
; COMPUTE_PGM_RSRC2:TGID_Y_EN: 0
; COMPUTE_PGM_RSRC2:TGID_Z_EN: 0
; COMPUTE_PGM_RSRC2:TIDIG_COMP_CNT: 0
; COMPUTE_PGM_RSRC3_GFX90A:ACCUM_OFFSET: 0
; COMPUTE_PGM_RSRC3_GFX90A:TG_SPLIT: 0
	.section	.text._ZN7rocprim17ROCPRIM_400000_NS6detail17trampoline_kernelINS0_14default_configENS1_33run_length_encode_config_selectorImjNS0_4plusIjEEEEZZNS1_33reduce_by_key_impl_wrapped_configILNS1_25lookback_scan_determinismE0ES3_S7_PKmNS0_17constant_iteratorIjlEEPmPlSF_S6_NS0_8equal_toImEEEE10hipError_tPvRmT2_T3_mT4_T5_T6_T7_T8_P12ihipStream_tbENKUlT_T0_E_clISt17integral_constantIbLb1EESZ_EEDaSU_SV_EUlSU_E_NS1_11comp_targetILNS1_3genE9ELNS1_11target_archE1100ELNS1_3gpuE3ELNS1_3repE0EEENS1_30default_config_static_selectorELNS0_4arch9wavefront6targetE1EEEvT1_,"axG",@progbits,_ZN7rocprim17ROCPRIM_400000_NS6detail17trampoline_kernelINS0_14default_configENS1_33run_length_encode_config_selectorImjNS0_4plusIjEEEEZZNS1_33reduce_by_key_impl_wrapped_configILNS1_25lookback_scan_determinismE0ES3_S7_PKmNS0_17constant_iteratorIjlEEPmPlSF_S6_NS0_8equal_toImEEEE10hipError_tPvRmT2_T3_mT4_T5_T6_T7_T8_P12ihipStream_tbENKUlT_T0_E_clISt17integral_constantIbLb1EESZ_EEDaSU_SV_EUlSU_E_NS1_11comp_targetILNS1_3genE9ELNS1_11target_archE1100ELNS1_3gpuE3ELNS1_3repE0EEENS1_30default_config_static_selectorELNS0_4arch9wavefront6targetE1EEEvT1_,comdat
	.protected	_ZN7rocprim17ROCPRIM_400000_NS6detail17trampoline_kernelINS0_14default_configENS1_33run_length_encode_config_selectorImjNS0_4plusIjEEEEZZNS1_33reduce_by_key_impl_wrapped_configILNS1_25lookback_scan_determinismE0ES3_S7_PKmNS0_17constant_iteratorIjlEEPmPlSF_S6_NS0_8equal_toImEEEE10hipError_tPvRmT2_T3_mT4_T5_T6_T7_T8_P12ihipStream_tbENKUlT_T0_E_clISt17integral_constantIbLb1EESZ_EEDaSU_SV_EUlSU_E_NS1_11comp_targetILNS1_3genE9ELNS1_11target_archE1100ELNS1_3gpuE3ELNS1_3repE0EEENS1_30default_config_static_selectorELNS0_4arch9wavefront6targetE1EEEvT1_ ; -- Begin function _ZN7rocprim17ROCPRIM_400000_NS6detail17trampoline_kernelINS0_14default_configENS1_33run_length_encode_config_selectorImjNS0_4plusIjEEEEZZNS1_33reduce_by_key_impl_wrapped_configILNS1_25lookback_scan_determinismE0ES3_S7_PKmNS0_17constant_iteratorIjlEEPmPlSF_S6_NS0_8equal_toImEEEE10hipError_tPvRmT2_T3_mT4_T5_T6_T7_T8_P12ihipStream_tbENKUlT_T0_E_clISt17integral_constantIbLb1EESZ_EEDaSU_SV_EUlSU_E_NS1_11comp_targetILNS1_3genE9ELNS1_11target_archE1100ELNS1_3gpuE3ELNS1_3repE0EEENS1_30default_config_static_selectorELNS0_4arch9wavefront6targetE1EEEvT1_
	.globl	_ZN7rocprim17ROCPRIM_400000_NS6detail17trampoline_kernelINS0_14default_configENS1_33run_length_encode_config_selectorImjNS0_4plusIjEEEEZZNS1_33reduce_by_key_impl_wrapped_configILNS1_25lookback_scan_determinismE0ES3_S7_PKmNS0_17constant_iteratorIjlEEPmPlSF_S6_NS0_8equal_toImEEEE10hipError_tPvRmT2_T3_mT4_T5_T6_T7_T8_P12ihipStream_tbENKUlT_T0_E_clISt17integral_constantIbLb1EESZ_EEDaSU_SV_EUlSU_E_NS1_11comp_targetILNS1_3genE9ELNS1_11target_archE1100ELNS1_3gpuE3ELNS1_3repE0EEENS1_30default_config_static_selectorELNS0_4arch9wavefront6targetE1EEEvT1_
	.p2align	8
	.type	_ZN7rocprim17ROCPRIM_400000_NS6detail17trampoline_kernelINS0_14default_configENS1_33run_length_encode_config_selectorImjNS0_4plusIjEEEEZZNS1_33reduce_by_key_impl_wrapped_configILNS1_25lookback_scan_determinismE0ES3_S7_PKmNS0_17constant_iteratorIjlEEPmPlSF_S6_NS0_8equal_toImEEEE10hipError_tPvRmT2_T3_mT4_T5_T6_T7_T8_P12ihipStream_tbENKUlT_T0_E_clISt17integral_constantIbLb1EESZ_EEDaSU_SV_EUlSU_E_NS1_11comp_targetILNS1_3genE9ELNS1_11target_archE1100ELNS1_3gpuE3ELNS1_3repE0EEENS1_30default_config_static_selectorELNS0_4arch9wavefront6targetE1EEEvT1_,@function
_ZN7rocprim17ROCPRIM_400000_NS6detail17trampoline_kernelINS0_14default_configENS1_33run_length_encode_config_selectorImjNS0_4plusIjEEEEZZNS1_33reduce_by_key_impl_wrapped_configILNS1_25lookback_scan_determinismE0ES3_S7_PKmNS0_17constant_iteratorIjlEEPmPlSF_S6_NS0_8equal_toImEEEE10hipError_tPvRmT2_T3_mT4_T5_T6_T7_T8_P12ihipStream_tbENKUlT_T0_E_clISt17integral_constantIbLb1EESZ_EEDaSU_SV_EUlSU_E_NS1_11comp_targetILNS1_3genE9ELNS1_11target_archE1100ELNS1_3gpuE3ELNS1_3repE0EEENS1_30default_config_static_selectorELNS0_4arch9wavefront6targetE1EEEvT1_: ; @_ZN7rocprim17ROCPRIM_400000_NS6detail17trampoline_kernelINS0_14default_configENS1_33run_length_encode_config_selectorImjNS0_4plusIjEEEEZZNS1_33reduce_by_key_impl_wrapped_configILNS1_25lookback_scan_determinismE0ES3_S7_PKmNS0_17constant_iteratorIjlEEPmPlSF_S6_NS0_8equal_toImEEEE10hipError_tPvRmT2_T3_mT4_T5_T6_T7_T8_P12ihipStream_tbENKUlT_T0_E_clISt17integral_constantIbLb1EESZ_EEDaSU_SV_EUlSU_E_NS1_11comp_targetILNS1_3genE9ELNS1_11target_archE1100ELNS1_3gpuE3ELNS1_3repE0EEENS1_30default_config_static_selectorELNS0_4arch9wavefront6targetE1EEEvT1_
; %bb.0:
	.section	.rodata,"a",@progbits
	.p2align	6, 0x0
	.amdhsa_kernel _ZN7rocprim17ROCPRIM_400000_NS6detail17trampoline_kernelINS0_14default_configENS1_33run_length_encode_config_selectorImjNS0_4plusIjEEEEZZNS1_33reduce_by_key_impl_wrapped_configILNS1_25lookback_scan_determinismE0ES3_S7_PKmNS0_17constant_iteratorIjlEEPmPlSF_S6_NS0_8equal_toImEEEE10hipError_tPvRmT2_T3_mT4_T5_T6_T7_T8_P12ihipStream_tbENKUlT_T0_E_clISt17integral_constantIbLb1EESZ_EEDaSU_SV_EUlSU_E_NS1_11comp_targetILNS1_3genE9ELNS1_11target_archE1100ELNS1_3gpuE3ELNS1_3repE0EEENS1_30default_config_static_selectorELNS0_4arch9wavefront6targetE1EEEvT1_
		.amdhsa_group_segment_fixed_size 0
		.amdhsa_private_segment_fixed_size 0
		.amdhsa_kernarg_size 128
		.amdhsa_user_sgpr_count 2
		.amdhsa_user_sgpr_dispatch_ptr 0
		.amdhsa_user_sgpr_queue_ptr 0
		.amdhsa_user_sgpr_kernarg_segment_ptr 1
		.amdhsa_user_sgpr_dispatch_id 0
		.amdhsa_user_sgpr_kernarg_preload_length 0
		.amdhsa_user_sgpr_kernarg_preload_offset 0
		.amdhsa_user_sgpr_private_segment_size 0
		.amdhsa_uses_dynamic_stack 0
		.amdhsa_enable_private_segment 0
		.amdhsa_system_sgpr_workgroup_id_x 1
		.amdhsa_system_sgpr_workgroup_id_y 0
		.amdhsa_system_sgpr_workgroup_id_z 0
		.amdhsa_system_sgpr_workgroup_info 0
		.amdhsa_system_vgpr_workitem_id 0
		.amdhsa_next_free_vgpr 1
		.amdhsa_next_free_sgpr 0
		.amdhsa_accum_offset 4
		.amdhsa_reserve_vcc 0
		.amdhsa_float_round_mode_32 0
		.amdhsa_float_round_mode_16_64 0
		.amdhsa_float_denorm_mode_32 3
		.amdhsa_float_denorm_mode_16_64 3
		.amdhsa_dx10_clamp 1
		.amdhsa_ieee_mode 1
		.amdhsa_fp16_overflow 0
		.amdhsa_tg_split 0
		.amdhsa_exception_fp_ieee_invalid_op 0
		.amdhsa_exception_fp_denorm_src 0
		.amdhsa_exception_fp_ieee_div_zero 0
		.amdhsa_exception_fp_ieee_overflow 0
		.amdhsa_exception_fp_ieee_underflow 0
		.amdhsa_exception_fp_ieee_inexact 0
		.amdhsa_exception_int_div_zero 0
	.end_amdhsa_kernel
	.section	.text._ZN7rocprim17ROCPRIM_400000_NS6detail17trampoline_kernelINS0_14default_configENS1_33run_length_encode_config_selectorImjNS0_4plusIjEEEEZZNS1_33reduce_by_key_impl_wrapped_configILNS1_25lookback_scan_determinismE0ES3_S7_PKmNS0_17constant_iteratorIjlEEPmPlSF_S6_NS0_8equal_toImEEEE10hipError_tPvRmT2_T3_mT4_T5_T6_T7_T8_P12ihipStream_tbENKUlT_T0_E_clISt17integral_constantIbLb1EESZ_EEDaSU_SV_EUlSU_E_NS1_11comp_targetILNS1_3genE9ELNS1_11target_archE1100ELNS1_3gpuE3ELNS1_3repE0EEENS1_30default_config_static_selectorELNS0_4arch9wavefront6targetE1EEEvT1_,"axG",@progbits,_ZN7rocprim17ROCPRIM_400000_NS6detail17trampoline_kernelINS0_14default_configENS1_33run_length_encode_config_selectorImjNS0_4plusIjEEEEZZNS1_33reduce_by_key_impl_wrapped_configILNS1_25lookback_scan_determinismE0ES3_S7_PKmNS0_17constant_iteratorIjlEEPmPlSF_S6_NS0_8equal_toImEEEE10hipError_tPvRmT2_T3_mT4_T5_T6_T7_T8_P12ihipStream_tbENKUlT_T0_E_clISt17integral_constantIbLb1EESZ_EEDaSU_SV_EUlSU_E_NS1_11comp_targetILNS1_3genE9ELNS1_11target_archE1100ELNS1_3gpuE3ELNS1_3repE0EEENS1_30default_config_static_selectorELNS0_4arch9wavefront6targetE1EEEvT1_,comdat
.Lfunc_end734:
	.size	_ZN7rocprim17ROCPRIM_400000_NS6detail17trampoline_kernelINS0_14default_configENS1_33run_length_encode_config_selectorImjNS0_4plusIjEEEEZZNS1_33reduce_by_key_impl_wrapped_configILNS1_25lookback_scan_determinismE0ES3_S7_PKmNS0_17constant_iteratorIjlEEPmPlSF_S6_NS0_8equal_toImEEEE10hipError_tPvRmT2_T3_mT4_T5_T6_T7_T8_P12ihipStream_tbENKUlT_T0_E_clISt17integral_constantIbLb1EESZ_EEDaSU_SV_EUlSU_E_NS1_11comp_targetILNS1_3genE9ELNS1_11target_archE1100ELNS1_3gpuE3ELNS1_3repE0EEENS1_30default_config_static_selectorELNS0_4arch9wavefront6targetE1EEEvT1_, .Lfunc_end734-_ZN7rocprim17ROCPRIM_400000_NS6detail17trampoline_kernelINS0_14default_configENS1_33run_length_encode_config_selectorImjNS0_4plusIjEEEEZZNS1_33reduce_by_key_impl_wrapped_configILNS1_25lookback_scan_determinismE0ES3_S7_PKmNS0_17constant_iteratorIjlEEPmPlSF_S6_NS0_8equal_toImEEEE10hipError_tPvRmT2_T3_mT4_T5_T6_T7_T8_P12ihipStream_tbENKUlT_T0_E_clISt17integral_constantIbLb1EESZ_EEDaSU_SV_EUlSU_E_NS1_11comp_targetILNS1_3genE9ELNS1_11target_archE1100ELNS1_3gpuE3ELNS1_3repE0EEENS1_30default_config_static_selectorELNS0_4arch9wavefront6targetE1EEEvT1_
                                        ; -- End function
	.section	.AMDGPU.csdata,"",@progbits
; Kernel info:
; codeLenInByte = 0
; NumSgprs: 6
; NumVgprs: 0
; NumAgprs: 0
; TotalNumVgprs: 0
; ScratchSize: 0
; MemoryBound: 0
; FloatMode: 240
; IeeeMode: 1
; LDSByteSize: 0 bytes/workgroup (compile time only)
; SGPRBlocks: 0
; VGPRBlocks: 0
; NumSGPRsForWavesPerEU: 6
; NumVGPRsForWavesPerEU: 1
; AccumOffset: 4
; Occupancy: 8
; WaveLimiterHint : 0
; COMPUTE_PGM_RSRC2:SCRATCH_EN: 0
; COMPUTE_PGM_RSRC2:USER_SGPR: 2
; COMPUTE_PGM_RSRC2:TRAP_HANDLER: 0
; COMPUTE_PGM_RSRC2:TGID_X_EN: 1
; COMPUTE_PGM_RSRC2:TGID_Y_EN: 0
; COMPUTE_PGM_RSRC2:TGID_Z_EN: 0
; COMPUTE_PGM_RSRC2:TIDIG_COMP_CNT: 0
; COMPUTE_PGM_RSRC3_GFX90A:ACCUM_OFFSET: 0
; COMPUTE_PGM_RSRC3_GFX90A:TG_SPLIT: 0
	.section	.text._ZN7rocprim17ROCPRIM_400000_NS6detail17trampoline_kernelINS0_14default_configENS1_33run_length_encode_config_selectorImjNS0_4plusIjEEEEZZNS1_33reduce_by_key_impl_wrapped_configILNS1_25lookback_scan_determinismE0ES3_S7_PKmNS0_17constant_iteratorIjlEEPmPlSF_S6_NS0_8equal_toImEEEE10hipError_tPvRmT2_T3_mT4_T5_T6_T7_T8_P12ihipStream_tbENKUlT_T0_E_clISt17integral_constantIbLb1EESZ_EEDaSU_SV_EUlSU_E_NS1_11comp_targetILNS1_3genE8ELNS1_11target_archE1030ELNS1_3gpuE2ELNS1_3repE0EEENS1_30default_config_static_selectorELNS0_4arch9wavefront6targetE1EEEvT1_,"axG",@progbits,_ZN7rocprim17ROCPRIM_400000_NS6detail17trampoline_kernelINS0_14default_configENS1_33run_length_encode_config_selectorImjNS0_4plusIjEEEEZZNS1_33reduce_by_key_impl_wrapped_configILNS1_25lookback_scan_determinismE0ES3_S7_PKmNS0_17constant_iteratorIjlEEPmPlSF_S6_NS0_8equal_toImEEEE10hipError_tPvRmT2_T3_mT4_T5_T6_T7_T8_P12ihipStream_tbENKUlT_T0_E_clISt17integral_constantIbLb1EESZ_EEDaSU_SV_EUlSU_E_NS1_11comp_targetILNS1_3genE8ELNS1_11target_archE1030ELNS1_3gpuE2ELNS1_3repE0EEENS1_30default_config_static_selectorELNS0_4arch9wavefront6targetE1EEEvT1_,comdat
	.protected	_ZN7rocprim17ROCPRIM_400000_NS6detail17trampoline_kernelINS0_14default_configENS1_33run_length_encode_config_selectorImjNS0_4plusIjEEEEZZNS1_33reduce_by_key_impl_wrapped_configILNS1_25lookback_scan_determinismE0ES3_S7_PKmNS0_17constant_iteratorIjlEEPmPlSF_S6_NS0_8equal_toImEEEE10hipError_tPvRmT2_T3_mT4_T5_T6_T7_T8_P12ihipStream_tbENKUlT_T0_E_clISt17integral_constantIbLb1EESZ_EEDaSU_SV_EUlSU_E_NS1_11comp_targetILNS1_3genE8ELNS1_11target_archE1030ELNS1_3gpuE2ELNS1_3repE0EEENS1_30default_config_static_selectorELNS0_4arch9wavefront6targetE1EEEvT1_ ; -- Begin function _ZN7rocprim17ROCPRIM_400000_NS6detail17trampoline_kernelINS0_14default_configENS1_33run_length_encode_config_selectorImjNS0_4plusIjEEEEZZNS1_33reduce_by_key_impl_wrapped_configILNS1_25lookback_scan_determinismE0ES3_S7_PKmNS0_17constant_iteratorIjlEEPmPlSF_S6_NS0_8equal_toImEEEE10hipError_tPvRmT2_T3_mT4_T5_T6_T7_T8_P12ihipStream_tbENKUlT_T0_E_clISt17integral_constantIbLb1EESZ_EEDaSU_SV_EUlSU_E_NS1_11comp_targetILNS1_3genE8ELNS1_11target_archE1030ELNS1_3gpuE2ELNS1_3repE0EEENS1_30default_config_static_selectorELNS0_4arch9wavefront6targetE1EEEvT1_
	.globl	_ZN7rocprim17ROCPRIM_400000_NS6detail17trampoline_kernelINS0_14default_configENS1_33run_length_encode_config_selectorImjNS0_4plusIjEEEEZZNS1_33reduce_by_key_impl_wrapped_configILNS1_25lookback_scan_determinismE0ES3_S7_PKmNS0_17constant_iteratorIjlEEPmPlSF_S6_NS0_8equal_toImEEEE10hipError_tPvRmT2_T3_mT4_T5_T6_T7_T8_P12ihipStream_tbENKUlT_T0_E_clISt17integral_constantIbLb1EESZ_EEDaSU_SV_EUlSU_E_NS1_11comp_targetILNS1_3genE8ELNS1_11target_archE1030ELNS1_3gpuE2ELNS1_3repE0EEENS1_30default_config_static_selectorELNS0_4arch9wavefront6targetE1EEEvT1_
	.p2align	8
	.type	_ZN7rocprim17ROCPRIM_400000_NS6detail17trampoline_kernelINS0_14default_configENS1_33run_length_encode_config_selectorImjNS0_4plusIjEEEEZZNS1_33reduce_by_key_impl_wrapped_configILNS1_25lookback_scan_determinismE0ES3_S7_PKmNS0_17constant_iteratorIjlEEPmPlSF_S6_NS0_8equal_toImEEEE10hipError_tPvRmT2_T3_mT4_T5_T6_T7_T8_P12ihipStream_tbENKUlT_T0_E_clISt17integral_constantIbLb1EESZ_EEDaSU_SV_EUlSU_E_NS1_11comp_targetILNS1_3genE8ELNS1_11target_archE1030ELNS1_3gpuE2ELNS1_3repE0EEENS1_30default_config_static_selectorELNS0_4arch9wavefront6targetE1EEEvT1_,@function
_ZN7rocprim17ROCPRIM_400000_NS6detail17trampoline_kernelINS0_14default_configENS1_33run_length_encode_config_selectorImjNS0_4plusIjEEEEZZNS1_33reduce_by_key_impl_wrapped_configILNS1_25lookback_scan_determinismE0ES3_S7_PKmNS0_17constant_iteratorIjlEEPmPlSF_S6_NS0_8equal_toImEEEE10hipError_tPvRmT2_T3_mT4_T5_T6_T7_T8_P12ihipStream_tbENKUlT_T0_E_clISt17integral_constantIbLb1EESZ_EEDaSU_SV_EUlSU_E_NS1_11comp_targetILNS1_3genE8ELNS1_11target_archE1030ELNS1_3gpuE2ELNS1_3repE0EEENS1_30default_config_static_selectorELNS0_4arch9wavefront6targetE1EEEvT1_: ; @_ZN7rocprim17ROCPRIM_400000_NS6detail17trampoline_kernelINS0_14default_configENS1_33run_length_encode_config_selectorImjNS0_4plusIjEEEEZZNS1_33reduce_by_key_impl_wrapped_configILNS1_25lookback_scan_determinismE0ES3_S7_PKmNS0_17constant_iteratorIjlEEPmPlSF_S6_NS0_8equal_toImEEEE10hipError_tPvRmT2_T3_mT4_T5_T6_T7_T8_P12ihipStream_tbENKUlT_T0_E_clISt17integral_constantIbLb1EESZ_EEDaSU_SV_EUlSU_E_NS1_11comp_targetILNS1_3genE8ELNS1_11target_archE1030ELNS1_3gpuE2ELNS1_3repE0EEENS1_30default_config_static_selectorELNS0_4arch9wavefront6targetE1EEEvT1_
; %bb.0:
	.section	.rodata,"a",@progbits
	.p2align	6, 0x0
	.amdhsa_kernel _ZN7rocprim17ROCPRIM_400000_NS6detail17trampoline_kernelINS0_14default_configENS1_33run_length_encode_config_selectorImjNS0_4plusIjEEEEZZNS1_33reduce_by_key_impl_wrapped_configILNS1_25lookback_scan_determinismE0ES3_S7_PKmNS0_17constant_iteratorIjlEEPmPlSF_S6_NS0_8equal_toImEEEE10hipError_tPvRmT2_T3_mT4_T5_T6_T7_T8_P12ihipStream_tbENKUlT_T0_E_clISt17integral_constantIbLb1EESZ_EEDaSU_SV_EUlSU_E_NS1_11comp_targetILNS1_3genE8ELNS1_11target_archE1030ELNS1_3gpuE2ELNS1_3repE0EEENS1_30default_config_static_selectorELNS0_4arch9wavefront6targetE1EEEvT1_
		.amdhsa_group_segment_fixed_size 0
		.amdhsa_private_segment_fixed_size 0
		.amdhsa_kernarg_size 128
		.amdhsa_user_sgpr_count 2
		.amdhsa_user_sgpr_dispatch_ptr 0
		.amdhsa_user_sgpr_queue_ptr 0
		.amdhsa_user_sgpr_kernarg_segment_ptr 1
		.amdhsa_user_sgpr_dispatch_id 0
		.amdhsa_user_sgpr_kernarg_preload_length 0
		.amdhsa_user_sgpr_kernarg_preload_offset 0
		.amdhsa_user_sgpr_private_segment_size 0
		.amdhsa_uses_dynamic_stack 0
		.amdhsa_enable_private_segment 0
		.amdhsa_system_sgpr_workgroup_id_x 1
		.amdhsa_system_sgpr_workgroup_id_y 0
		.amdhsa_system_sgpr_workgroup_id_z 0
		.amdhsa_system_sgpr_workgroup_info 0
		.amdhsa_system_vgpr_workitem_id 0
		.amdhsa_next_free_vgpr 1
		.amdhsa_next_free_sgpr 0
		.amdhsa_accum_offset 4
		.amdhsa_reserve_vcc 0
		.amdhsa_float_round_mode_32 0
		.amdhsa_float_round_mode_16_64 0
		.amdhsa_float_denorm_mode_32 3
		.amdhsa_float_denorm_mode_16_64 3
		.amdhsa_dx10_clamp 1
		.amdhsa_ieee_mode 1
		.amdhsa_fp16_overflow 0
		.amdhsa_tg_split 0
		.amdhsa_exception_fp_ieee_invalid_op 0
		.amdhsa_exception_fp_denorm_src 0
		.amdhsa_exception_fp_ieee_div_zero 0
		.amdhsa_exception_fp_ieee_overflow 0
		.amdhsa_exception_fp_ieee_underflow 0
		.amdhsa_exception_fp_ieee_inexact 0
		.amdhsa_exception_int_div_zero 0
	.end_amdhsa_kernel
	.section	.text._ZN7rocprim17ROCPRIM_400000_NS6detail17trampoline_kernelINS0_14default_configENS1_33run_length_encode_config_selectorImjNS0_4plusIjEEEEZZNS1_33reduce_by_key_impl_wrapped_configILNS1_25lookback_scan_determinismE0ES3_S7_PKmNS0_17constant_iteratorIjlEEPmPlSF_S6_NS0_8equal_toImEEEE10hipError_tPvRmT2_T3_mT4_T5_T6_T7_T8_P12ihipStream_tbENKUlT_T0_E_clISt17integral_constantIbLb1EESZ_EEDaSU_SV_EUlSU_E_NS1_11comp_targetILNS1_3genE8ELNS1_11target_archE1030ELNS1_3gpuE2ELNS1_3repE0EEENS1_30default_config_static_selectorELNS0_4arch9wavefront6targetE1EEEvT1_,"axG",@progbits,_ZN7rocprim17ROCPRIM_400000_NS6detail17trampoline_kernelINS0_14default_configENS1_33run_length_encode_config_selectorImjNS0_4plusIjEEEEZZNS1_33reduce_by_key_impl_wrapped_configILNS1_25lookback_scan_determinismE0ES3_S7_PKmNS0_17constant_iteratorIjlEEPmPlSF_S6_NS0_8equal_toImEEEE10hipError_tPvRmT2_T3_mT4_T5_T6_T7_T8_P12ihipStream_tbENKUlT_T0_E_clISt17integral_constantIbLb1EESZ_EEDaSU_SV_EUlSU_E_NS1_11comp_targetILNS1_3genE8ELNS1_11target_archE1030ELNS1_3gpuE2ELNS1_3repE0EEENS1_30default_config_static_selectorELNS0_4arch9wavefront6targetE1EEEvT1_,comdat
.Lfunc_end735:
	.size	_ZN7rocprim17ROCPRIM_400000_NS6detail17trampoline_kernelINS0_14default_configENS1_33run_length_encode_config_selectorImjNS0_4plusIjEEEEZZNS1_33reduce_by_key_impl_wrapped_configILNS1_25lookback_scan_determinismE0ES3_S7_PKmNS0_17constant_iteratorIjlEEPmPlSF_S6_NS0_8equal_toImEEEE10hipError_tPvRmT2_T3_mT4_T5_T6_T7_T8_P12ihipStream_tbENKUlT_T0_E_clISt17integral_constantIbLb1EESZ_EEDaSU_SV_EUlSU_E_NS1_11comp_targetILNS1_3genE8ELNS1_11target_archE1030ELNS1_3gpuE2ELNS1_3repE0EEENS1_30default_config_static_selectorELNS0_4arch9wavefront6targetE1EEEvT1_, .Lfunc_end735-_ZN7rocprim17ROCPRIM_400000_NS6detail17trampoline_kernelINS0_14default_configENS1_33run_length_encode_config_selectorImjNS0_4plusIjEEEEZZNS1_33reduce_by_key_impl_wrapped_configILNS1_25lookback_scan_determinismE0ES3_S7_PKmNS0_17constant_iteratorIjlEEPmPlSF_S6_NS0_8equal_toImEEEE10hipError_tPvRmT2_T3_mT4_T5_T6_T7_T8_P12ihipStream_tbENKUlT_T0_E_clISt17integral_constantIbLb1EESZ_EEDaSU_SV_EUlSU_E_NS1_11comp_targetILNS1_3genE8ELNS1_11target_archE1030ELNS1_3gpuE2ELNS1_3repE0EEENS1_30default_config_static_selectorELNS0_4arch9wavefront6targetE1EEEvT1_
                                        ; -- End function
	.section	.AMDGPU.csdata,"",@progbits
; Kernel info:
; codeLenInByte = 0
; NumSgprs: 6
; NumVgprs: 0
; NumAgprs: 0
; TotalNumVgprs: 0
; ScratchSize: 0
; MemoryBound: 0
; FloatMode: 240
; IeeeMode: 1
; LDSByteSize: 0 bytes/workgroup (compile time only)
; SGPRBlocks: 0
; VGPRBlocks: 0
; NumSGPRsForWavesPerEU: 6
; NumVGPRsForWavesPerEU: 1
; AccumOffset: 4
; Occupancy: 8
; WaveLimiterHint : 0
; COMPUTE_PGM_RSRC2:SCRATCH_EN: 0
; COMPUTE_PGM_RSRC2:USER_SGPR: 2
; COMPUTE_PGM_RSRC2:TRAP_HANDLER: 0
; COMPUTE_PGM_RSRC2:TGID_X_EN: 1
; COMPUTE_PGM_RSRC2:TGID_Y_EN: 0
; COMPUTE_PGM_RSRC2:TGID_Z_EN: 0
; COMPUTE_PGM_RSRC2:TIDIG_COMP_CNT: 0
; COMPUTE_PGM_RSRC3_GFX90A:ACCUM_OFFSET: 0
; COMPUTE_PGM_RSRC3_GFX90A:TG_SPLIT: 0
	.section	.text._ZN7rocprim17ROCPRIM_400000_NS6detail17trampoline_kernelINS0_14default_configENS1_33run_length_encode_config_selectorImjNS0_4plusIjEEEEZZNS1_33reduce_by_key_impl_wrapped_configILNS1_25lookback_scan_determinismE0ES3_S7_PKmNS0_17constant_iteratorIjlEEPmPlSF_S6_NS0_8equal_toImEEEE10hipError_tPvRmT2_T3_mT4_T5_T6_T7_T8_P12ihipStream_tbENKUlT_T0_E_clISt17integral_constantIbLb1EESY_IbLb0EEEEDaSU_SV_EUlSU_E_NS1_11comp_targetILNS1_3genE0ELNS1_11target_archE4294967295ELNS1_3gpuE0ELNS1_3repE0EEENS1_30default_config_static_selectorELNS0_4arch9wavefront6targetE1EEEvT1_,"axG",@progbits,_ZN7rocprim17ROCPRIM_400000_NS6detail17trampoline_kernelINS0_14default_configENS1_33run_length_encode_config_selectorImjNS0_4plusIjEEEEZZNS1_33reduce_by_key_impl_wrapped_configILNS1_25lookback_scan_determinismE0ES3_S7_PKmNS0_17constant_iteratorIjlEEPmPlSF_S6_NS0_8equal_toImEEEE10hipError_tPvRmT2_T3_mT4_T5_T6_T7_T8_P12ihipStream_tbENKUlT_T0_E_clISt17integral_constantIbLb1EESY_IbLb0EEEEDaSU_SV_EUlSU_E_NS1_11comp_targetILNS1_3genE0ELNS1_11target_archE4294967295ELNS1_3gpuE0ELNS1_3repE0EEENS1_30default_config_static_selectorELNS0_4arch9wavefront6targetE1EEEvT1_,comdat
	.protected	_ZN7rocprim17ROCPRIM_400000_NS6detail17trampoline_kernelINS0_14default_configENS1_33run_length_encode_config_selectorImjNS0_4plusIjEEEEZZNS1_33reduce_by_key_impl_wrapped_configILNS1_25lookback_scan_determinismE0ES3_S7_PKmNS0_17constant_iteratorIjlEEPmPlSF_S6_NS0_8equal_toImEEEE10hipError_tPvRmT2_T3_mT4_T5_T6_T7_T8_P12ihipStream_tbENKUlT_T0_E_clISt17integral_constantIbLb1EESY_IbLb0EEEEDaSU_SV_EUlSU_E_NS1_11comp_targetILNS1_3genE0ELNS1_11target_archE4294967295ELNS1_3gpuE0ELNS1_3repE0EEENS1_30default_config_static_selectorELNS0_4arch9wavefront6targetE1EEEvT1_ ; -- Begin function _ZN7rocprim17ROCPRIM_400000_NS6detail17trampoline_kernelINS0_14default_configENS1_33run_length_encode_config_selectorImjNS0_4plusIjEEEEZZNS1_33reduce_by_key_impl_wrapped_configILNS1_25lookback_scan_determinismE0ES3_S7_PKmNS0_17constant_iteratorIjlEEPmPlSF_S6_NS0_8equal_toImEEEE10hipError_tPvRmT2_T3_mT4_T5_T6_T7_T8_P12ihipStream_tbENKUlT_T0_E_clISt17integral_constantIbLb1EESY_IbLb0EEEEDaSU_SV_EUlSU_E_NS1_11comp_targetILNS1_3genE0ELNS1_11target_archE4294967295ELNS1_3gpuE0ELNS1_3repE0EEENS1_30default_config_static_selectorELNS0_4arch9wavefront6targetE1EEEvT1_
	.globl	_ZN7rocprim17ROCPRIM_400000_NS6detail17trampoline_kernelINS0_14default_configENS1_33run_length_encode_config_selectorImjNS0_4plusIjEEEEZZNS1_33reduce_by_key_impl_wrapped_configILNS1_25lookback_scan_determinismE0ES3_S7_PKmNS0_17constant_iteratorIjlEEPmPlSF_S6_NS0_8equal_toImEEEE10hipError_tPvRmT2_T3_mT4_T5_T6_T7_T8_P12ihipStream_tbENKUlT_T0_E_clISt17integral_constantIbLb1EESY_IbLb0EEEEDaSU_SV_EUlSU_E_NS1_11comp_targetILNS1_3genE0ELNS1_11target_archE4294967295ELNS1_3gpuE0ELNS1_3repE0EEENS1_30default_config_static_selectorELNS0_4arch9wavefront6targetE1EEEvT1_
	.p2align	8
	.type	_ZN7rocprim17ROCPRIM_400000_NS6detail17trampoline_kernelINS0_14default_configENS1_33run_length_encode_config_selectorImjNS0_4plusIjEEEEZZNS1_33reduce_by_key_impl_wrapped_configILNS1_25lookback_scan_determinismE0ES3_S7_PKmNS0_17constant_iteratorIjlEEPmPlSF_S6_NS0_8equal_toImEEEE10hipError_tPvRmT2_T3_mT4_T5_T6_T7_T8_P12ihipStream_tbENKUlT_T0_E_clISt17integral_constantIbLb1EESY_IbLb0EEEEDaSU_SV_EUlSU_E_NS1_11comp_targetILNS1_3genE0ELNS1_11target_archE4294967295ELNS1_3gpuE0ELNS1_3repE0EEENS1_30default_config_static_selectorELNS0_4arch9wavefront6targetE1EEEvT1_,@function
_ZN7rocprim17ROCPRIM_400000_NS6detail17trampoline_kernelINS0_14default_configENS1_33run_length_encode_config_selectorImjNS0_4plusIjEEEEZZNS1_33reduce_by_key_impl_wrapped_configILNS1_25lookback_scan_determinismE0ES3_S7_PKmNS0_17constant_iteratorIjlEEPmPlSF_S6_NS0_8equal_toImEEEE10hipError_tPvRmT2_T3_mT4_T5_T6_T7_T8_P12ihipStream_tbENKUlT_T0_E_clISt17integral_constantIbLb1EESY_IbLb0EEEEDaSU_SV_EUlSU_E_NS1_11comp_targetILNS1_3genE0ELNS1_11target_archE4294967295ELNS1_3gpuE0ELNS1_3repE0EEENS1_30default_config_static_selectorELNS0_4arch9wavefront6targetE1EEEvT1_: ; @_ZN7rocprim17ROCPRIM_400000_NS6detail17trampoline_kernelINS0_14default_configENS1_33run_length_encode_config_selectorImjNS0_4plusIjEEEEZZNS1_33reduce_by_key_impl_wrapped_configILNS1_25lookback_scan_determinismE0ES3_S7_PKmNS0_17constant_iteratorIjlEEPmPlSF_S6_NS0_8equal_toImEEEE10hipError_tPvRmT2_T3_mT4_T5_T6_T7_T8_P12ihipStream_tbENKUlT_T0_E_clISt17integral_constantIbLb1EESY_IbLb0EEEEDaSU_SV_EUlSU_E_NS1_11comp_targetILNS1_3genE0ELNS1_11target_archE4294967295ELNS1_3gpuE0ELNS1_3repE0EEENS1_30default_config_static_selectorELNS0_4arch9wavefront6targetE1EEEvT1_
; %bb.0:
	.section	.rodata,"a",@progbits
	.p2align	6, 0x0
	.amdhsa_kernel _ZN7rocprim17ROCPRIM_400000_NS6detail17trampoline_kernelINS0_14default_configENS1_33run_length_encode_config_selectorImjNS0_4plusIjEEEEZZNS1_33reduce_by_key_impl_wrapped_configILNS1_25lookback_scan_determinismE0ES3_S7_PKmNS0_17constant_iteratorIjlEEPmPlSF_S6_NS0_8equal_toImEEEE10hipError_tPvRmT2_T3_mT4_T5_T6_T7_T8_P12ihipStream_tbENKUlT_T0_E_clISt17integral_constantIbLb1EESY_IbLb0EEEEDaSU_SV_EUlSU_E_NS1_11comp_targetILNS1_3genE0ELNS1_11target_archE4294967295ELNS1_3gpuE0ELNS1_3repE0EEENS1_30default_config_static_selectorELNS0_4arch9wavefront6targetE1EEEvT1_
		.amdhsa_group_segment_fixed_size 0
		.amdhsa_private_segment_fixed_size 0
		.amdhsa_kernarg_size 128
		.amdhsa_user_sgpr_count 2
		.amdhsa_user_sgpr_dispatch_ptr 0
		.amdhsa_user_sgpr_queue_ptr 0
		.amdhsa_user_sgpr_kernarg_segment_ptr 1
		.amdhsa_user_sgpr_dispatch_id 0
		.amdhsa_user_sgpr_kernarg_preload_length 0
		.amdhsa_user_sgpr_kernarg_preload_offset 0
		.amdhsa_user_sgpr_private_segment_size 0
		.amdhsa_uses_dynamic_stack 0
		.amdhsa_enable_private_segment 0
		.amdhsa_system_sgpr_workgroup_id_x 1
		.amdhsa_system_sgpr_workgroup_id_y 0
		.amdhsa_system_sgpr_workgroup_id_z 0
		.amdhsa_system_sgpr_workgroup_info 0
		.amdhsa_system_vgpr_workitem_id 0
		.amdhsa_next_free_vgpr 1
		.amdhsa_next_free_sgpr 0
		.amdhsa_accum_offset 4
		.amdhsa_reserve_vcc 0
		.amdhsa_float_round_mode_32 0
		.amdhsa_float_round_mode_16_64 0
		.amdhsa_float_denorm_mode_32 3
		.amdhsa_float_denorm_mode_16_64 3
		.amdhsa_dx10_clamp 1
		.amdhsa_ieee_mode 1
		.amdhsa_fp16_overflow 0
		.amdhsa_tg_split 0
		.amdhsa_exception_fp_ieee_invalid_op 0
		.amdhsa_exception_fp_denorm_src 0
		.amdhsa_exception_fp_ieee_div_zero 0
		.amdhsa_exception_fp_ieee_overflow 0
		.amdhsa_exception_fp_ieee_underflow 0
		.amdhsa_exception_fp_ieee_inexact 0
		.amdhsa_exception_int_div_zero 0
	.end_amdhsa_kernel
	.section	.text._ZN7rocprim17ROCPRIM_400000_NS6detail17trampoline_kernelINS0_14default_configENS1_33run_length_encode_config_selectorImjNS0_4plusIjEEEEZZNS1_33reduce_by_key_impl_wrapped_configILNS1_25lookback_scan_determinismE0ES3_S7_PKmNS0_17constant_iteratorIjlEEPmPlSF_S6_NS0_8equal_toImEEEE10hipError_tPvRmT2_T3_mT4_T5_T6_T7_T8_P12ihipStream_tbENKUlT_T0_E_clISt17integral_constantIbLb1EESY_IbLb0EEEEDaSU_SV_EUlSU_E_NS1_11comp_targetILNS1_3genE0ELNS1_11target_archE4294967295ELNS1_3gpuE0ELNS1_3repE0EEENS1_30default_config_static_selectorELNS0_4arch9wavefront6targetE1EEEvT1_,"axG",@progbits,_ZN7rocprim17ROCPRIM_400000_NS6detail17trampoline_kernelINS0_14default_configENS1_33run_length_encode_config_selectorImjNS0_4plusIjEEEEZZNS1_33reduce_by_key_impl_wrapped_configILNS1_25lookback_scan_determinismE0ES3_S7_PKmNS0_17constant_iteratorIjlEEPmPlSF_S6_NS0_8equal_toImEEEE10hipError_tPvRmT2_T3_mT4_T5_T6_T7_T8_P12ihipStream_tbENKUlT_T0_E_clISt17integral_constantIbLb1EESY_IbLb0EEEEDaSU_SV_EUlSU_E_NS1_11comp_targetILNS1_3genE0ELNS1_11target_archE4294967295ELNS1_3gpuE0ELNS1_3repE0EEENS1_30default_config_static_selectorELNS0_4arch9wavefront6targetE1EEEvT1_,comdat
.Lfunc_end736:
	.size	_ZN7rocprim17ROCPRIM_400000_NS6detail17trampoline_kernelINS0_14default_configENS1_33run_length_encode_config_selectorImjNS0_4plusIjEEEEZZNS1_33reduce_by_key_impl_wrapped_configILNS1_25lookback_scan_determinismE0ES3_S7_PKmNS0_17constant_iteratorIjlEEPmPlSF_S6_NS0_8equal_toImEEEE10hipError_tPvRmT2_T3_mT4_T5_T6_T7_T8_P12ihipStream_tbENKUlT_T0_E_clISt17integral_constantIbLb1EESY_IbLb0EEEEDaSU_SV_EUlSU_E_NS1_11comp_targetILNS1_3genE0ELNS1_11target_archE4294967295ELNS1_3gpuE0ELNS1_3repE0EEENS1_30default_config_static_selectorELNS0_4arch9wavefront6targetE1EEEvT1_, .Lfunc_end736-_ZN7rocprim17ROCPRIM_400000_NS6detail17trampoline_kernelINS0_14default_configENS1_33run_length_encode_config_selectorImjNS0_4plusIjEEEEZZNS1_33reduce_by_key_impl_wrapped_configILNS1_25lookback_scan_determinismE0ES3_S7_PKmNS0_17constant_iteratorIjlEEPmPlSF_S6_NS0_8equal_toImEEEE10hipError_tPvRmT2_T3_mT4_T5_T6_T7_T8_P12ihipStream_tbENKUlT_T0_E_clISt17integral_constantIbLb1EESY_IbLb0EEEEDaSU_SV_EUlSU_E_NS1_11comp_targetILNS1_3genE0ELNS1_11target_archE4294967295ELNS1_3gpuE0ELNS1_3repE0EEENS1_30default_config_static_selectorELNS0_4arch9wavefront6targetE1EEEvT1_
                                        ; -- End function
	.section	.AMDGPU.csdata,"",@progbits
; Kernel info:
; codeLenInByte = 0
; NumSgprs: 6
; NumVgprs: 0
; NumAgprs: 0
; TotalNumVgprs: 0
; ScratchSize: 0
; MemoryBound: 0
; FloatMode: 240
; IeeeMode: 1
; LDSByteSize: 0 bytes/workgroup (compile time only)
; SGPRBlocks: 0
; VGPRBlocks: 0
; NumSGPRsForWavesPerEU: 6
; NumVGPRsForWavesPerEU: 1
; AccumOffset: 4
; Occupancy: 8
; WaveLimiterHint : 0
; COMPUTE_PGM_RSRC2:SCRATCH_EN: 0
; COMPUTE_PGM_RSRC2:USER_SGPR: 2
; COMPUTE_PGM_RSRC2:TRAP_HANDLER: 0
; COMPUTE_PGM_RSRC2:TGID_X_EN: 1
; COMPUTE_PGM_RSRC2:TGID_Y_EN: 0
; COMPUTE_PGM_RSRC2:TGID_Z_EN: 0
; COMPUTE_PGM_RSRC2:TIDIG_COMP_CNT: 0
; COMPUTE_PGM_RSRC3_GFX90A:ACCUM_OFFSET: 0
; COMPUTE_PGM_RSRC3_GFX90A:TG_SPLIT: 0
	.section	.text._ZN7rocprim17ROCPRIM_400000_NS6detail17trampoline_kernelINS0_14default_configENS1_33run_length_encode_config_selectorImjNS0_4plusIjEEEEZZNS1_33reduce_by_key_impl_wrapped_configILNS1_25lookback_scan_determinismE0ES3_S7_PKmNS0_17constant_iteratorIjlEEPmPlSF_S6_NS0_8equal_toImEEEE10hipError_tPvRmT2_T3_mT4_T5_T6_T7_T8_P12ihipStream_tbENKUlT_T0_E_clISt17integral_constantIbLb1EESY_IbLb0EEEEDaSU_SV_EUlSU_E_NS1_11comp_targetILNS1_3genE5ELNS1_11target_archE942ELNS1_3gpuE9ELNS1_3repE0EEENS1_30default_config_static_selectorELNS0_4arch9wavefront6targetE1EEEvT1_,"axG",@progbits,_ZN7rocprim17ROCPRIM_400000_NS6detail17trampoline_kernelINS0_14default_configENS1_33run_length_encode_config_selectorImjNS0_4plusIjEEEEZZNS1_33reduce_by_key_impl_wrapped_configILNS1_25lookback_scan_determinismE0ES3_S7_PKmNS0_17constant_iteratorIjlEEPmPlSF_S6_NS0_8equal_toImEEEE10hipError_tPvRmT2_T3_mT4_T5_T6_T7_T8_P12ihipStream_tbENKUlT_T0_E_clISt17integral_constantIbLb1EESY_IbLb0EEEEDaSU_SV_EUlSU_E_NS1_11comp_targetILNS1_3genE5ELNS1_11target_archE942ELNS1_3gpuE9ELNS1_3repE0EEENS1_30default_config_static_selectorELNS0_4arch9wavefront6targetE1EEEvT1_,comdat
	.protected	_ZN7rocprim17ROCPRIM_400000_NS6detail17trampoline_kernelINS0_14default_configENS1_33run_length_encode_config_selectorImjNS0_4plusIjEEEEZZNS1_33reduce_by_key_impl_wrapped_configILNS1_25lookback_scan_determinismE0ES3_S7_PKmNS0_17constant_iteratorIjlEEPmPlSF_S6_NS0_8equal_toImEEEE10hipError_tPvRmT2_T3_mT4_T5_T6_T7_T8_P12ihipStream_tbENKUlT_T0_E_clISt17integral_constantIbLb1EESY_IbLb0EEEEDaSU_SV_EUlSU_E_NS1_11comp_targetILNS1_3genE5ELNS1_11target_archE942ELNS1_3gpuE9ELNS1_3repE0EEENS1_30default_config_static_selectorELNS0_4arch9wavefront6targetE1EEEvT1_ ; -- Begin function _ZN7rocprim17ROCPRIM_400000_NS6detail17trampoline_kernelINS0_14default_configENS1_33run_length_encode_config_selectorImjNS0_4plusIjEEEEZZNS1_33reduce_by_key_impl_wrapped_configILNS1_25lookback_scan_determinismE0ES3_S7_PKmNS0_17constant_iteratorIjlEEPmPlSF_S6_NS0_8equal_toImEEEE10hipError_tPvRmT2_T3_mT4_T5_T6_T7_T8_P12ihipStream_tbENKUlT_T0_E_clISt17integral_constantIbLb1EESY_IbLb0EEEEDaSU_SV_EUlSU_E_NS1_11comp_targetILNS1_3genE5ELNS1_11target_archE942ELNS1_3gpuE9ELNS1_3repE0EEENS1_30default_config_static_selectorELNS0_4arch9wavefront6targetE1EEEvT1_
	.globl	_ZN7rocprim17ROCPRIM_400000_NS6detail17trampoline_kernelINS0_14default_configENS1_33run_length_encode_config_selectorImjNS0_4plusIjEEEEZZNS1_33reduce_by_key_impl_wrapped_configILNS1_25lookback_scan_determinismE0ES3_S7_PKmNS0_17constant_iteratorIjlEEPmPlSF_S6_NS0_8equal_toImEEEE10hipError_tPvRmT2_T3_mT4_T5_T6_T7_T8_P12ihipStream_tbENKUlT_T0_E_clISt17integral_constantIbLb1EESY_IbLb0EEEEDaSU_SV_EUlSU_E_NS1_11comp_targetILNS1_3genE5ELNS1_11target_archE942ELNS1_3gpuE9ELNS1_3repE0EEENS1_30default_config_static_selectorELNS0_4arch9wavefront6targetE1EEEvT1_
	.p2align	8
	.type	_ZN7rocprim17ROCPRIM_400000_NS6detail17trampoline_kernelINS0_14default_configENS1_33run_length_encode_config_selectorImjNS0_4plusIjEEEEZZNS1_33reduce_by_key_impl_wrapped_configILNS1_25lookback_scan_determinismE0ES3_S7_PKmNS0_17constant_iteratorIjlEEPmPlSF_S6_NS0_8equal_toImEEEE10hipError_tPvRmT2_T3_mT4_T5_T6_T7_T8_P12ihipStream_tbENKUlT_T0_E_clISt17integral_constantIbLb1EESY_IbLb0EEEEDaSU_SV_EUlSU_E_NS1_11comp_targetILNS1_3genE5ELNS1_11target_archE942ELNS1_3gpuE9ELNS1_3repE0EEENS1_30default_config_static_selectorELNS0_4arch9wavefront6targetE1EEEvT1_,@function
_ZN7rocprim17ROCPRIM_400000_NS6detail17trampoline_kernelINS0_14default_configENS1_33run_length_encode_config_selectorImjNS0_4plusIjEEEEZZNS1_33reduce_by_key_impl_wrapped_configILNS1_25lookback_scan_determinismE0ES3_S7_PKmNS0_17constant_iteratorIjlEEPmPlSF_S6_NS0_8equal_toImEEEE10hipError_tPvRmT2_T3_mT4_T5_T6_T7_T8_P12ihipStream_tbENKUlT_T0_E_clISt17integral_constantIbLb1EESY_IbLb0EEEEDaSU_SV_EUlSU_E_NS1_11comp_targetILNS1_3genE5ELNS1_11target_archE942ELNS1_3gpuE9ELNS1_3repE0EEENS1_30default_config_static_selectorELNS0_4arch9wavefront6targetE1EEEvT1_: ; @_ZN7rocprim17ROCPRIM_400000_NS6detail17trampoline_kernelINS0_14default_configENS1_33run_length_encode_config_selectorImjNS0_4plusIjEEEEZZNS1_33reduce_by_key_impl_wrapped_configILNS1_25lookback_scan_determinismE0ES3_S7_PKmNS0_17constant_iteratorIjlEEPmPlSF_S6_NS0_8equal_toImEEEE10hipError_tPvRmT2_T3_mT4_T5_T6_T7_T8_P12ihipStream_tbENKUlT_T0_E_clISt17integral_constantIbLb1EESY_IbLb0EEEEDaSU_SV_EUlSU_E_NS1_11comp_targetILNS1_3genE5ELNS1_11target_archE942ELNS1_3gpuE9ELNS1_3repE0EEENS1_30default_config_static_selectorELNS0_4arch9wavefront6targetE1EEEvT1_
; %bb.0:
	s_load_dwordx8 s[36:43], s[0:1], 0x40
	s_load_dwordx4 s[4:7], s[0:1], 0x0
	s_load_dword s3, s[0:1], 0x10
	s_load_dwordx4 s[44:47], s[0:1], 0x60
	s_waitcnt lgkmcnt(0)
	s_mul_i32 s8, s40, s39
	s_mul_hi_u32 s9, s40, s38
	s_add_i32 s8, s9, s8
	s_mul_i32 s9, s41, s38
	s_add_i32 s8, s8, s9
	s_lshl_b64 s[6:7], s[6:7], 3
	s_add_u32 s6, s4, s6
	s_addc_u32 s7, s5, s7
	s_mul_i32 s4, s2, 0x1e00
	s_mov_b32 s5, 0
	s_lshl_b64 s[4:5], s[4:5], 3
	s_mul_i32 s9, s40, s38
	s_add_u32 s40, s6, s4
	s_addc_u32 s41, s7, s5
	s_add_u32 s52, s9, s2
	s_addc_u32 s53, s8, 0
	s_add_u32 s6, s42, -1
	s_addc_u32 s7, s43, -1
	s_cmp_eq_u64 s[52:53], s[6:7]
	s_cselect_b64 s[34:35], -1, 0
	s_cmp_lg_u64 s[52:53], s[6:7]
	s_mov_b64 s[8:9], -1
	s_cselect_b64 s[4:5], -1, 0
	s_mul_i32 s33, s6, 0xffffe200
	s_and_b64 vcc, exec, s[34:35]
	s_cbranch_vccnz .LBB737_2
; %bb.1:
	v_lshlrev_b32_e32 v2, 3, v0
	v_mov_b32_e32 v3, 0
	v_lshl_add_u64 v[4:5], s[40:41], 0, v[2:3]
	v_add_co_u32_e32 v8, vcc, 0x1000, v4
	global_load_dwordx2 v[6:7], v2, s[40:41]
	s_nop 0
	v_addc_co_u32_e32 v9, vcc, 0, v5, vcc
	v_add_co_u32_e32 v10, vcc, 0x2000, v4
	s_movk_i32 s6, 0x70
	s_nop 0
	v_addc_co_u32_e32 v11, vcc, 0, v5, vcc
	v_add_co_u32_e32 v12, vcc, 0x3000, v4
	v_mad_u32_u24 v1, v0, s6, v2
	s_nop 0
	v_addc_co_u32_e32 v13, vcc, 0, v5, vcc
	v_add_co_u32_e32 v14, vcc, 0x4000, v4
	s_nop 1
	v_addc_co_u32_e32 v15, vcc, 0, v5, vcc
	global_load_dwordx2 v[16:17], v[8:9], off
	global_load_dwordx2 v[18:19], v[10:11], off
	;; [unrolled: 1-line block ×4, first 2 shown]
	v_add_co_u32_e32 v8, vcc, 0x5000, v4
	s_mov_b64 s[6:7], -1
	s_nop 0
	v_addc_co_u32_e32 v9, vcc, 0, v5, vcc
	v_add_co_u32_e32 v10, vcc, 0x6000, v4
	s_nop 1
	v_addc_co_u32_e32 v11, vcc, 0, v5, vcc
	v_add_co_u32_e32 v12, vcc, 0x7000, v4
	;; [unrolled: 3-line block ×3, first 2 shown]
	s_nop 1
	v_addc_co_u32_e32 v15, vcc, 0, v5, vcc
	global_load_dwordx2 v[24:25], v[8:9], off
	global_load_dwordx2 v[26:27], v[10:11], off
	;; [unrolled: 1-line block ×4, first 2 shown]
	v_add_co_u32_e32 v8, vcc, 0x9000, v4
	s_nop 1
	v_addc_co_u32_e32 v9, vcc, 0, v5, vcc
	v_add_co_u32_e32 v10, vcc, 0xa000, v4
	s_nop 1
	v_addc_co_u32_e32 v11, vcc, 0, v5, vcc
	;; [unrolled: 3-line block ×4, first 2 shown]
	global_load_dwordx2 v[32:33], v[8:9], off
	global_load_dwordx2 v[34:35], v[10:11], off
	;; [unrolled: 1-line block ×4, first 2 shown]
	v_add_co_u32_e32 v8, vcc, 0xd000, v4
	s_nop 1
	v_addc_co_u32_e32 v9, vcc, 0, v5, vcc
	v_add_co_u32_e32 v4, vcc, 0xe000, v4
	global_load_dwordx2 v[8:9], v[8:9], off
	s_nop 0
	v_addc_co_u32_e32 v5, vcc, 0, v5, vcc
	global_load_dwordx2 v[4:5], v[4:5], off
	s_waitcnt vmcnt(13)
	ds_write2st64_b64 v2, v[6:7], v[16:17] offset1:8
	s_waitcnt vmcnt(11)
	ds_write2st64_b64 v2, v[18:19], v[20:21] offset0:16 offset1:24
	s_waitcnt vmcnt(9)
	ds_write2st64_b64 v2, v[22:23], v[24:25] offset0:32 offset1:40
	;; [unrolled: 2-line block ×6, first 2 shown]
	s_waitcnt vmcnt(0)
	ds_write_b64 v2, v[4:5] offset:57344
	s_waitcnt lgkmcnt(0)
	s_barrier
	ds_read2_b64 v[26:29], v1 offset1:1
	ds_read2_b64 v[22:25], v1 offset0:2 offset1:3
	ds_read2_b64 v[18:21], v1 offset0:4 offset1:5
	;; [unrolled: 1-line block ×6, first 2 shown]
	ds_read_b64 v[46:47], v1 offset:112
	s_waitcnt lgkmcnt(7)
	v_mov_b32_e32 v30, v26
	v_mov_b32_e32 v31, v27
	s_waitcnt lgkmcnt(6)
	v_mov_b32_e32 v32, v22
	v_mov_b32_e32 v33, v23
	;; [unrolled: 3-line block ×7, first 2 shown]
	s_add_i32 s33, s33, s44
	s_cbranch_execz .LBB737_3
	s_branch .LBB737_34
.LBB737_2:
	s_mov_b64 s[6:7], 0
                                        ; implicit-def: $vgpr46_vgpr47
                                        ; implicit-def: $vgpr6_vgpr7
                                        ; implicit-def: $vgpr2_vgpr3
                                        ; implicit-def: $vgpr10_vgpr11
                                        ; implicit-def: $vgpr14_vgpr15
                                        ; implicit-def: $vgpr18_vgpr19
                                        ; implicit-def: $vgpr22_vgpr23
                                        ; implicit-def: $vgpr26_vgpr27
                                        ; implicit-def: $vgpr38_vgpr39_vgpr40_vgpr41
                                        ; implicit-def: $vgpr34_vgpr35_vgpr36_vgpr37
                                        ; implicit-def: $vgpr30_vgpr31_vgpr32_vgpr33
                                        ; implicit-def: $vgpr42_vgpr43_vgpr44_vgpr45
	s_add_i32 s33, s33, s44
	s_andn2_b64 vcc, exec, s[8:9]
	s_cbranch_vccnz .LBB737_34
.LBB737_3:
	v_cmp_gt_u32_e32 vcc, s33, v0
                                        ; implicit-def: $vgpr2_vgpr3
	s_and_saveexec_b64 s[6:7], vcc
	s_cbranch_execz .LBB737_5
; %bb.4:
	v_lshlrev_b32_e32 v1, 3, v0
	global_load_dwordx2 v[2:3], v1, s[40:41]
.LBB737_5:
	s_or_b64 exec, exec, s[6:7]
	v_or_b32_e32 v1, 0x200, v0
	v_cmp_gt_u32_e32 vcc, s33, v1
                                        ; implicit-def: $vgpr4_vgpr5
	s_and_saveexec_b64 s[6:7], vcc
	s_cbranch_execz .LBB737_7
; %bb.6:
	v_lshlrev_b32_e32 v1, 3, v1
	global_load_dwordx2 v[4:5], v1, s[40:41]
.LBB737_7:
	s_or_b64 exec, exec, s[6:7]
	v_or_b32_e32 v1, 0x400, v0
	v_cmp_gt_u32_e32 vcc, s33, v1
                                        ; implicit-def: $vgpr6_vgpr7
	s_and_saveexec_b64 s[6:7], vcc
	s_cbranch_execz .LBB737_9
; %bb.8:
	v_lshlrev_b32_e32 v1, 3, v1
	global_load_dwordx2 v[6:7], v1, s[40:41]
.LBB737_9:
	s_or_b64 exec, exec, s[6:7]
	v_or_b32_e32 v1, 0x600, v0
	v_cmp_gt_u32_e32 vcc, s33, v1
                                        ; implicit-def: $vgpr8_vgpr9
	s_and_saveexec_b64 s[6:7], vcc
	s_cbranch_execz .LBB737_11
; %bb.10:
	v_lshlrev_b32_e32 v1, 3, v1
	global_load_dwordx2 v[8:9], v1, s[40:41]
.LBB737_11:
	s_or_b64 exec, exec, s[6:7]
	v_or_b32_e32 v1, 0x800, v0
	v_cmp_gt_u32_e32 vcc, s33, v1
                                        ; implicit-def: $vgpr10_vgpr11
	s_and_saveexec_b64 s[6:7], vcc
	s_cbranch_execz .LBB737_13
; %bb.12:
	v_lshlrev_b32_e32 v1, 3, v1
	global_load_dwordx2 v[10:11], v1, s[40:41]
.LBB737_13:
	s_or_b64 exec, exec, s[6:7]
	v_or_b32_e32 v1, 0xa00, v0
	v_cmp_gt_u32_e32 vcc, s33, v1
                                        ; implicit-def: $vgpr12_vgpr13
	s_and_saveexec_b64 s[6:7], vcc
	s_cbranch_execz .LBB737_15
; %bb.14:
	v_lshlrev_b32_e32 v1, 3, v1
	global_load_dwordx2 v[12:13], v1, s[40:41]
.LBB737_15:
	s_or_b64 exec, exec, s[6:7]
	v_or_b32_e32 v1, 0xc00, v0
	v_cmp_gt_u32_e32 vcc, s33, v1
                                        ; implicit-def: $vgpr14_vgpr15
	s_and_saveexec_b64 s[6:7], vcc
	s_cbranch_execz .LBB737_17
; %bb.16:
	v_lshlrev_b32_e32 v1, 3, v1
	global_load_dwordx2 v[14:15], v1, s[40:41]
.LBB737_17:
	s_or_b64 exec, exec, s[6:7]
	v_or_b32_e32 v1, 0xe00, v0
	v_cmp_gt_u32_e32 vcc, s33, v1
                                        ; implicit-def: $vgpr16_vgpr17
	s_and_saveexec_b64 s[6:7], vcc
	s_cbranch_execz .LBB737_19
; %bb.18:
	v_lshlrev_b32_e32 v1, 3, v1
	global_load_dwordx2 v[16:17], v1, s[40:41]
.LBB737_19:
	s_or_b64 exec, exec, s[6:7]
	v_or_b32_e32 v1, 0x1000, v0
	v_cmp_gt_u32_e32 vcc, s33, v1
                                        ; implicit-def: $vgpr18_vgpr19
	s_and_saveexec_b64 s[6:7], vcc
	s_cbranch_execz .LBB737_21
; %bb.20:
	v_lshlrev_b32_e32 v1, 3, v1
	global_load_dwordx2 v[18:19], v1, s[40:41]
.LBB737_21:
	s_or_b64 exec, exec, s[6:7]
	v_or_b32_e32 v1, 0x1200, v0
	v_cmp_gt_u32_e32 vcc, s33, v1
                                        ; implicit-def: $vgpr20_vgpr21
	s_and_saveexec_b64 s[6:7], vcc
	s_cbranch_execz .LBB737_23
; %bb.22:
	v_lshlrev_b32_e32 v1, 3, v1
	global_load_dwordx2 v[20:21], v1, s[40:41]
.LBB737_23:
	s_or_b64 exec, exec, s[6:7]
	v_or_b32_e32 v1, 0x1400, v0
	v_cmp_gt_u32_e32 vcc, s33, v1
                                        ; implicit-def: $vgpr22_vgpr23
	s_and_saveexec_b64 s[6:7], vcc
	s_cbranch_execz .LBB737_25
; %bb.24:
	v_lshlrev_b32_e32 v1, 3, v1
	global_load_dwordx2 v[22:23], v1, s[40:41]
.LBB737_25:
	s_or_b64 exec, exec, s[6:7]
	v_or_b32_e32 v1, 0x1600, v0
	v_cmp_gt_u32_e32 vcc, s33, v1
                                        ; implicit-def: $vgpr24_vgpr25
	s_and_saveexec_b64 s[6:7], vcc
	s_cbranch_execz .LBB737_27
; %bb.26:
	v_lshlrev_b32_e32 v1, 3, v1
	global_load_dwordx2 v[24:25], v1, s[40:41]
.LBB737_27:
	s_or_b64 exec, exec, s[6:7]
	v_or_b32_e32 v1, 0x1800, v0
	v_cmp_gt_u32_e32 vcc, s33, v1
                                        ; implicit-def: $vgpr26_vgpr27
	s_and_saveexec_b64 s[6:7], vcc
	s_cbranch_execz .LBB737_29
; %bb.28:
	v_lshlrev_b32_e32 v1, 3, v1
	global_load_dwordx2 v[26:27], v1, s[40:41]
.LBB737_29:
	s_or_b64 exec, exec, s[6:7]
	v_or_b32_e32 v1, 0x1a00, v0
	v_cmp_gt_u32_e32 vcc, s33, v1
                                        ; implicit-def: $vgpr28_vgpr29
	s_and_saveexec_b64 s[6:7], vcc
	s_cbranch_execz .LBB737_31
; %bb.30:
	v_lshlrev_b32_e32 v1, 3, v1
	global_load_dwordx2 v[28:29], v1, s[40:41]
.LBB737_31:
	s_or_b64 exec, exec, s[6:7]
	v_or_b32_e32 v1, 0x1c00, v0
	v_cmp_gt_u32_e32 vcc, s33, v1
                                        ; implicit-def: $vgpr30_vgpr31
	s_and_saveexec_b64 s[6:7], vcc
	s_cbranch_execz .LBB737_33
; %bb.32:
	v_lshlrev_b32_e32 v1, 3, v1
	global_load_dwordx2 v[30:31], v1, s[40:41]
.LBB737_33:
	s_or_b64 exec, exec, s[6:7]
	v_lshlrev_b32_e32 v1, 3, v0
	s_movk_i32 s6, 0x70
	s_waitcnt vmcnt(0)
	ds_write2st64_b64 v1, v[2:3], v[4:5] offset1:8
	ds_write2st64_b64 v1, v[6:7], v[8:9] offset0:16 offset1:24
	ds_write2st64_b64 v1, v[10:11], v[12:13] offset0:32 offset1:40
	;; [unrolled: 1-line block ×6, first 2 shown]
	ds_write_b64 v1, v[30:31] offset:57344
	v_mad_u32_u24 v1, v0, s6, v1
	s_waitcnt lgkmcnt(0)
	s_barrier
	ds_read2_b64 v[26:29], v1 offset1:1
	ds_read2_b64 v[22:25], v1 offset0:2 offset1:3
	ds_read2_b64 v[18:21], v1 offset0:4 offset1:5
	ds_read2_b64 v[14:17], v1 offset0:6 offset1:7
	ds_read2_b64 v[10:13], v1 offset0:8 offset1:9
	ds_read2_b64 v[2:5], v1 offset0:10 offset1:11
	ds_read2_b64 v[6:9], v1 offset0:12 offset1:13
	ds_read_b64 v[46:47], v1 offset:112
	v_mad_u32_u24 v30, v0, 15, 14
	v_cmp_gt_u32_e64 s[6:7], s33, v30
	s_waitcnt lgkmcnt(7)
	v_mov_b32_e32 v30, v26
	v_mov_b32_e32 v31, v27
	s_waitcnt lgkmcnt(6)
	v_mov_b32_e32 v32, v22
	v_mov_b32_e32 v33, v23
	s_waitcnt lgkmcnt(5)
	v_mov_b32_e32 v34, v18
	v_mov_b32_e32 v35, v19
	s_waitcnt lgkmcnt(4)
	v_mov_b32_e32 v36, v14
	v_mov_b32_e32 v37, v15
	s_waitcnt lgkmcnt(3)
	v_mov_b32_e32 v38, v10
	v_mov_b32_e32 v39, v11
	s_waitcnt lgkmcnt(2)
	v_mov_b32_e32 v40, v2
	v_mov_b32_e32 v41, v3
	s_waitcnt lgkmcnt(1)
	v_mov_b32_e32 v42, v6
	v_mov_b32_e32 v43, v7
.LBB737_34:
	v_mov_b32_e32 v68, s3
                                        ; implicit-def: $vgpr69
	s_and_saveexec_b64 s[8:9], s[6:7]
; %bb.35:
	v_mov_b32_e32 v69, s3
; %bb.36:
	s_or_b64 exec, exec, s[8:9]
	s_load_dwordx2 s[50:51], s[0:1], 0x70
	s_cmp_eq_u64 s[52:53], 0
	s_cselect_b64 s[48:49], -1, 0
	s_cmp_lg_u64 s[52:53], 0
	s_mov_b64 s[6:7], 0
	s_cselect_b64 s[42:43], -1, 0
	s_and_b64 vcc, exec, s[4:5]
	s_waitcnt lgkmcnt(0)
	s_barrier
	s_cbranch_vccz .LBB737_42
; %bb.37:
	s_and_b64 vcc, exec, s[42:43]
	s_cbranch_vccz .LBB737_43
; %bb.38:
	s_add_u32 s4, s40, -8
	s_addc_u32 s5, s41, -1
	s_load_dwordx2 s[54:55], s[4:5], 0x0
	v_lshlrev_b32_e32 v1, 3, v0
	v_cmp_ne_u64_e32 vcc, v[8:9], v[46:47]
	v_cmp_ne_u64_e64 s[28:29], v[6:7], v[8:9]
	v_cmp_ne_u64_e64 s[4:5], v[4:5], v[6:7]
	;; [unrolled: 1-line block ×13, first 2 shown]
	v_cmp_ne_u32_e64 s[30:31], 0, v0
	s_waitcnt lgkmcnt(0)
	v_mov_b64_e32 v[44:45], s[54:55]
	ds_write_b64 v1, v[46:47]
	s_waitcnt lgkmcnt(0)
	s_barrier
	s_and_saveexec_b64 s[54:55], s[30:31]
	s_cbranch_execz .LBB737_40
; %bb.39:
	v_add_u32_e32 v1, -8, v1
	ds_read_b64 v[44:45], v1
.LBB737_40:
	s_or_b64 exec, exec, s[54:55]
	v_cndmask_b32_e64 v1, 0, 1, vcc
	v_cndmask_b32_e64 v72, 0, 1, s[28:29]
	v_cndmask_b32_e64 v73, 0, 1, s[4:5]
	;; [unrolled: 1-line block ×13, first 2 shown]
	s_waitcnt lgkmcnt(0)
	v_cmp_ne_u64_e64 s[4:5], v[44:45], v[26:27]
	s_mov_b64 s[6:7], -1
.LBB737_41:
                                        ; implicit-def: $sgpr3
	s_branch .LBB737_55
.LBB737_42:
                                        ; implicit-def: $sgpr4_sgpr5
                                        ; implicit-def: $vgpr1
                                        ; implicit-def: $vgpr72
                                        ; implicit-def: $vgpr73
                                        ; implicit-def: $vgpr74
                                        ; implicit-def: $vgpr75
                                        ; implicit-def: $vgpr76
                                        ; implicit-def: $vgpr77
                                        ; implicit-def: $vgpr78
                                        ; implicit-def: $vgpr79
                                        ; implicit-def: $vgpr80
                                        ; implicit-def: $vgpr81
                                        ; implicit-def: $vgpr82
                                        ; implicit-def: $vgpr83
                                        ; implicit-def: $vgpr84
                                        ; implicit-def: $sgpr3
	s_cbranch_execnz .LBB737_47
	s_branch .LBB737_55
.LBB737_43:
                                        ; implicit-def: $sgpr4_sgpr5
                                        ; implicit-def: $vgpr1
                                        ; implicit-def: $vgpr72
                                        ; implicit-def: $vgpr73
                                        ; implicit-def: $vgpr74
                                        ; implicit-def: $vgpr75
                                        ; implicit-def: $vgpr76
                                        ; implicit-def: $vgpr77
                                        ; implicit-def: $vgpr78
                                        ; implicit-def: $vgpr79
                                        ; implicit-def: $vgpr80
                                        ; implicit-def: $vgpr81
                                        ; implicit-def: $vgpr82
                                        ; implicit-def: $vgpr83
                                        ; implicit-def: $vgpr84
	s_cbranch_execz .LBB737_41
; %bb.44:
	v_cmp_ne_u64_e32 vcc, v[28:29], v[30:31]
	v_lshlrev_b32_e32 v44, 3, v0
	ds_write_b64 v44, v[46:47]
	v_cndmask_b32_e64 v84, 0, 1, vcc
	v_cmp_ne_u64_e32 vcc, v[28:29], v[32:33]
	s_waitcnt lgkmcnt(0)
	s_barrier
	v_cndmask_b32_e64 v83, 0, 1, vcc
	v_cmp_ne_u64_e32 vcc, v[32:33], v[24:25]
	s_waitcnt lgkmcnt(0)
                                        ; implicit-def: $sgpr4_sgpr5
	s_nop 0
	v_cndmask_b32_e64 v82, 0, 1, vcc
	v_cmp_ne_u64_e32 vcc, v[34:35], v[24:25]
	s_nop 1
	v_cndmask_b32_e64 v81, 0, 1, vcc
	v_cmp_ne_u64_e32 vcc, v[20:21], v[34:35]
	s_nop 1
	v_cndmask_b32_e64 v80, 0, 1, vcc
	v_cmp_ne_u64_e32 vcc, v[20:21], v[36:37]
	s_nop 1
	v_cndmask_b32_e64 v79, 0, 1, vcc
	v_cmp_ne_u64_e32 vcc, v[36:37], v[16:17]
	s_nop 1
	v_cndmask_b32_e64 v78, 0, 1, vcc
	v_cmp_ne_u64_e32 vcc, v[38:39], v[16:17]
	s_nop 1
	v_cndmask_b32_e64 v77, 0, 1, vcc
	v_cmp_ne_u64_e32 vcc, v[12:13], v[38:39]
	s_nop 1
	v_cndmask_b32_e64 v76, 0, 1, vcc
	v_cmp_ne_u64_e32 vcc, v[12:13], v[40:41]
	s_nop 1
	v_cndmask_b32_e64 v75, 0, 1, vcc
	v_cmp_ne_u64_e32 vcc, v[40:41], v[4:5]
	s_nop 1
	v_cndmask_b32_e64 v74, 0, 1, vcc
	v_cmp_ne_u64_e32 vcc, v[42:43], v[4:5]
	s_nop 1
	v_cndmask_b32_e64 v73, 0, 1, vcc
	v_cmp_ne_u64_e32 vcc, v[8:9], v[42:43]
	s_nop 1
	v_cndmask_b32_e64 v72, 0, 1, vcc
	v_cmp_ne_u64_e32 vcc, v[8:9], v[46:47]
	s_nop 1
	v_cndmask_b32_e64 v1, 0, 1, vcc
	v_cmp_ne_u32_e32 vcc, 0, v0
	s_and_saveexec_b64 s[8:9], vcc
	s_xor_b64 s[8:9], exec, s[8:9]
	s_cbranch_execz .LBB737_46
; %bb.45:
	v_add_u32_e32 v30, -8, v44
	ds_read_b64 v[30:31], v30
	s_or_b64 s[6:7], s[6:7], exec
	s_waitcnt lgkmcnt(0)
	v_cmp_ne_u64_e32 vcc, v[30:31], v[26:27]
	s_and_b64 s[4:5], vcc, exec
.LBB737_46:
	s_or_b64 exec, exec, s[8:9]
	s_mov_b32 s3, 1
	s_branch .LBB737_55
.LBB737_47:
	s_mul_hi_u32 s4, s52, 0xffffe200
	s_mul_i32 s3, s53, 0xffffe200
	s_sub_i32 s4, s4, s52
	s_add_i32 s4, s4, s3
	s_mul_i32 s3, s52, 0xffffe200
	s_add_u32 s8, s3, s44
	s_addc_u32 s9, s4, s45
	s_and_b64 vcc, exec, s[42:43]
	s_cbranch_vccz .LBB737_52
; %bb.48:
	s_add_u32 s4, s40, -8
	s_addc_u32 s5, s41, -1
	v_mad_u32_u24 v32, v0, 15, 14
	v_mov_b32_e32 v33, 0
	s_load_dwordx2 s[42:43], s[4:5], 0x0
	v_cmp_gt_u64_e32 vcc, s[8:9], v[32:33]
	v_cmp_ne_u64_e64 s[4:5], v[8:9], v[46:47]
	v_mad_u32_u24 v32, v0, 15, 13
	s_and_b64 s[6:7], vcc, s[4:5]
	v_cmp_gt_u64_e32 vcc, s[8:9], v[32:33]
	v_cmp_ne_u64_e64 s[4:5], v[6:7], v[8:9]
	v_mad_u32_u24 v32, v0, 15, 12
	s_and_b64 s[10:11], vcc, s[4:5]
	;; [unrolled: 4-line block ×13, first 2 shown]
	v_cmp_gt_u64_e32 vcc, s[8:9], v[32:33]
	v_cmp_ne_u64_e64 s[4:5], v[26:27], v[28:29]
	v_lshlrev_b32_e32 v1, 3, v0
	v_mul_u32_u24_e32 v30, 15, v0
	s_and_b64 s[4:5], vcc, s[4:5]
	v_cmp_ne_u32_e32 vcc, 0, v0
	s_waitcnt lgkmcnt(0)
	v_mov_b64_e32 v[34:35], s[42:43]
	ds_write_b64 v1, v[46:47]
	s_waitcnt lgkmcnt(0)
	s_barrier
	s_and_saveexec_b64 s[42:43], vcc
	s_cbranch_execz .LBB737_50
; %bb.49:
	v_add_u32_e32 v1, -8, v1
	ds_read_b64 v[34:35], v1
.LBB737_50:
	s_or_b64 exec, exec, s[42:43]
	v_mov_b32_e32 v31, v33
	v_cndmask_b32_e64 v84, 0, 1, s[4:5]
	v_cmp_gt_u64_e32 vcc, s[8:9], v[30:31]
	s_waitcnt lgkmcnt(0)
	v_cmp_ne_u64_e64 s[4:5], v[34:35], v[26:27]
	v_cndmask_b32_e64 v1, 0, 1, s[6:7]
	v_cndmask_b32_e64 v72, 0, 1, s[10:11]
	;; [unrolled: 1-line block ×13, first 2 shown]
	s_and_b64 s[4:5], vcc, s[4:5]
	s_mov_b64 s[6:7], -1
.LBB737_51:
                                        ; implicit-def: $sgpr3
	v_mov_b32_e32 v85, s3
	s_and_saveexec_b64 s[8:9], s[6:7]
	s_cbranch_execnz .LBB737_56
	s_branch .LBB737_57
.LBB737_52:
                                        ; implicit-def: $sgpr4_sgpr5
                                        ; implicit-def: $vgpr1
                                        ; implicit-def: $vgpr72
                                        ; implicit-def: $vgpr73
                                        ; implicit-def: $vgpr74
                                        ; implicit-def: $vgpr75
                                        ; implicit-def: $vgpr76
                                        ; implicit-def: $vgpr77
                                        ; implicit-def: $vgpr78
                                        ; implicit-def: $vgpr79
                                        ; implicit-def: $vgpr80
                                        ; implicit-def: $vgpr81
                                        ; implicit-def: $vgpr82
                                        ; implicit-def: $vgpr83
                                        ; implicit-def: $vgpr84
	s_cbranch_execz .LBB737_51
; %bb.53:
	v_mad_u32_u24 v30, v0, 15, 14
	v_mov_b32_e32 v31, 0
	v_cmp_gt_u64_e32 vcc, s[8:9], v[30:31]
	v_cmp_ne_u64_e64 s[4:5], v[8:9], v[46:47]
	s_and_b64 s[4:5], vcc, s[4:5]
	v_mad_u32_u24 v30, v0, 15, 13
	v_cndmask_b32_e64 v1, 0, 1, s[4:5]
	v_cmp_gt_u64_e32 vcc, s[8:9], v[30:31]
	v_cmp_ne_u64_e64 s[4:5], v[6:7], v[8:9]
	s_and_b64 s[4:5], vcc, s[4:5]
	v_mad_u32_u24 v30, v0, 15, 12
	v_cndmask_b32_e64 v72, 0, 1, s[4:5]
	;; [unrolled: 5-line block ×13, first 2 shown]
	v_cmp_gt_u64_e32 vcc, s[8:9], v[30:31]
	v_cmp_ne_u64_e64 s[4:5], v[26:27], v[28:29]
	s_and_b64 s[4:5], vcc, s[4:5]
	v_lshlrev_b32_e32 v32, 3, v0
	s_mov_b32 s3, 1
	v_cndmask_b32_e64 v84, 0, 1, s[4:5]
	v_cmp_ne_u32_e32 vcc, 0, v0
	ds_write_b64 v32, v[46:47]
	s_waitcnt lgkmcnt(0)
	s_barrier
	s_waitcnt lgkmcnt(0)
                                        ; implicit-def: $sgpr4_sgpr5
	s_and_saveexec_b64 s[10:11], vcc
	s_cbranch_execz .LBB737_140
; %bb.54:
	v_add_u32_e32 v30, -8, v32
	ds_read_b64 v[32:33], v30
	v_mul_u32_u24_e32 v30, 15, v0
	v_cmp_gt_u64_e32 vcc, s[8:9], v[30:31]
	s_or_b64 s[6:7], s[6:7], exec
	s_waitcnt lgkmcnt(0)
	v_cmp_ne_u64_e64 s[4:5], v[32:33], v[26:27]
	s_and_b64 s[4:5], vcc, s[4:5]
	s_and_b64 s[4:5], s[4:5], exec
	s_or_b64 exec, exec, s[10:11]
.LBB737_55:
	v_mov_b32_e32 v85, s3
	s_and_saveexec_b64 s[8:9], s[6:7]
.LBB737_56:
	v_cndmask_b32_e64 v85, 0, 1, s[4:5]
.LBB737_57:
	s_or_b64 exec, exec, s[8:9]
	s_load_dwordx4 s[40:43], s[0:1], 0x20
	s_load_dwordx2 s[44:45], s[0:1], 0x30
	s_cmp_eq_u64 s[38:39], 0
	v_add3_u32 v30, v84, v85, v83
	s_cselect_b64 s[38:39], -1, 0
	s_cmp_lg_u32 s2, 0
	v_cmp_eq_u32_e64 s[24:25], 0, v84
	v_cmp_eq_u32_e64 s[22:23], 0, v83
	;; [unrolled: 1-line block ×3, first 2 shown]
	v_add3_u32 v87, v30, v82, v81
	v_cmp_eq_u32_e64 s[18:19], 0, v81
	v_cmp_eq_u32_e64 s[16:17], 0, v80
	;; [unrolled: 1-line block ×10, first 2 shown]
	v_cmp_eq_u32_e32 vcc, 0, v1
	v_mbcnt_lo_u32_b32 v86, -1, 0
	v_lshrrev_b32_e32 v70, 6, v0
	v_or_b32_e32 v71, 63, v0
	s_cbranch_scc0 .LBB737_88
; %bb.58:
	v_cndmask_b32_e64 v30, 0, v68, s[24:25]
	v_add_u32_e32 v30, v30, v68
	v_cndmask_b32_e64 v30, 0, v30, s[22:23]
	v_add_u32_e32 v30, v30, v68
	;; [unrolled: 2-line block ×11, first 2 shown]
	v_cndmask_b32_e64 v30, 0, v30, s[28:29]
	v_add3_u32 v31, v87, v80, v79
	v_add_u32_e32 v30, v30, v68
	v_add3_u32 v31, v31, v78, v77
	v_cndmask_b32_e64 v30, 0, v30, s[0:1]
	v_add3_u32 v31, v31, v76, v75
	v_add_u32_e32 v30, v30, v68
	v_add3_u32 v31, v31, v74, v73
	v_cndmask_b32_e32 v30, 0, v30, vcc
	v_add3_u32 v31, v31, v72, v1
	v_add_u32_e32 v30, v30, v69
	v_mbcnt_hi_u32_b32 v39, -1, v86
	v_and_b32_e32 v32, 15, v39
	v_mov_b32_dpp v34, v30 row_shr:1 row_mask:0xf bank_mask:0xf
	v_cmp_eq_u32_e32 vcc, 0, v31
	v_mov_b32_dpp v33, v31 row_shr:1 row_mask:0xf bank_mask:0xf
	v_cmp_lt_u32_e64 s[26:27], 1, v32
	v_cndmask_b32_e32 v34, 0, v34, vcc
	v_cmp_eq_u32_e32 vcc, 0, v32
	s_nop 1
	v_cndmask_b32_e64 v33, v33, 0, vcc
	v_add_u32_e32 v31, v33, v31
	v_cndmask_b32_e64 v33, v34, 0, vcc
	v_add_u32_e32 v30, v33, v30
	v_cmp_eq_u32_e32 vcc, 0, v31
	v_mov_b32_dpp v33, v31 row_shr:2 row_mask:0xf bank_mask:0xf
	v_mov_b32_dpp v34, v30 row_shr:2 row_mask:0xf bank_mask:0xf
	v_cndmask_b32_e64 v33, 0, v33, s[26:27]
	s_and_b64 vcc, s[26:27], vcc
	v_cndmask_b32_e32 v34, 0, v34, vcc
	v_add_u32_e32 v31, v31, v33
	v_add_u32_e32 v30, v34, v30
	v_cmp_eq_u32_e32 vcc, 0, v31
	v_mov_b32_dpp v33, v31 row_shr:4 row_mask:0xf bank_mask:0xf
	v_cmp_lt_u32_e64 s[26:27], 3, v32
	v_mov_b32_dpp v34, v30 row_shr:4 row_mask:0xf bank_mask:0xf
	s_and_b64 vcc, s[26:27], vcc
	v_cndmask_b32_e64 v33, 0, v33, s[26:27]
	v_cndmask_b32_e32 v34, 0, v34, vcc
	v_add_u32_e32 v31, v33, v31
	v_add_u32_e32 v30, v30, v34
	v_cmp_eq_u32_e32 vcc, 0, v31
	v_cmp_lt_u32_e64 s[26:27], 7, v32
	v_mov_b32_dpp v33, v31 row_shr:8 row_mask:0xf bank_mask:0xf
	v_mov_b32_dpp v34, v30 row_shr:8 row_mask:0xf bank_mask:0xf
	s_and_b64 vcc, s[26:27], vcc
	v_cndmask_b32_e64 v32, 0, v33, s[26:27]
	v_cndmask_b32_e32 v33, 0, v34, vcc
	v_add_u32_e32 v30, v33, v30
	v_add_u32_e32 v31, v32, v31
	v_bfe_i32 v34, v39, 4, 1
	v_mov_b32_dpp v33, v30 row_bcast:15 row_mask:0xf bank_mask:0xf
	v_mov_b32_dpp v32, v31 row_bcast:15 row_mask:0xf bank_mask:0xf
	v_cmp_eq_u32_e32 vcc, 0, v31
	v_and_b32_e32 v32, v34, v32
	v_add_u32_e32 v31, v32, v31
	v_cndmask_b32_e32 v33, 0, v33, vcc
	v_and_b32_e32 v32, v34, v33
	v_add_u32_e32 v32, v32, v30
	v_mov_b32_dpp v30, v31 row_bcast:31 row_mask:0xf bank_mask:0xf
	v_cmp_eq_u32_e32 vcc, 0, v31
	v_cmp_lt_u32_e64 s[26:27], 31, v39
	v_mov_b32_dpp v33, v32 row_bcast:31 row_mask:0xf bank_mask:0xf
	s_and_b64 vcc, s[26:27], vcc
	v_cndmask_b32_e64 v30, 0, v30, s[26:27]
	v_add_u32_e32 v30, v30, v31
	v_cndmask_b32_e32 v31, 0, v33, vcc
	v_add_u32_e32 v31, v31, v32
	v_cmp_eq_u32_e32 vcc, v71, v0
	v_lshlrev_b32_e32 v32, 3, v70
	s_and_saveexec_b64 s[26:27], vcc
	s_cbranch_execz .LBB737_60
; %bb.59:
	ds_write_b64 v32, v[30:31] offset:8208
.LBB737_60:
	s_or_b64 exec, exec, s[26:27]
	v_cmp_gt_u32_e32 vcc, 8, v0
	s_waitcnt lgkmcnt(0)
	s_barrier
	s_and_saveexec_b64 s[30:31], vcc
	s_cbranch_execz .LBB737_62
; %bb.61:
	v_lshlrev_b32_e32 v33, 3, v0
	ds_read_b64 v[34:35], v33 offset:8208
	v_and_b32_e32 v36, 7, v39
	v_cmp_lt_u32_e64 s[26:27], 1, v36
	s_waitcnt lgkmcnt(0)
	v_mov_b32_dpp v38, v35 row_shr:1 row_mask:0xf bank_mask:0xf
	v_cmp_eq_u32_e32 vcc, 0, v34
	v_mov_b32_dpp v37, v34 row_shr:1 row_mask:0xf bank_mask:0xf
	s_nop 0
	v_cndmask_b32_e32 v38, 0, v38, vcc
	v_cmp_eq_u32_e32 vcc, 0, v36
	s_nop 1
	v_cndmask_b32_e64 v37, v37, 0, vcc
	v_add_u32_e32 v34, v37, v34
	v_cndmask_b32_e64 v37, v38, 0, vcc
	v_add_u32_e32 v35, v37, v35
	v_cmp_eq_u32_e32 vcc, 0, v34
	v_mov_b32_dpp v37, v34 row_shr:2 row_mask:0xf bank_mask:0xf
	v_mov_b32_dpp v38, v35 row_shr:2 row_mask:0xf bank_mask:0xf
	v_cndmask_b32_e64 v37, 0, v37, s[26:27]
	s_and_b64 vcc, s[26:27], vcc
	v_cndmask_b32_e32 v38, 0, v38, vcc
	v_add_u32_e32 v34, v37, v34
	v_add_u32_e32 v35, v38, v35
	v_cmp_eq_u32_e32 vcc, 0, v34
	v_mov_b32_dpp v37, v34 row_shr:4 row_mask:0xf bank_mask:0xf
	v_cmp_lt_u32_e64 s[26:27], 3, v36
	v_mov_b32_dpp v38, v35 row_shr:4 row_mask:0xf bank_mask:0xf
	s_and_b64 vcc, s[26:27], vcc
	v_cndmask_b32_e64 v36, 0, v37, s[26:27]
	v_add_u32_e32 v34, v36, v34
	v_cndmask_b32_e32 v36, 0, v38, vcc
	v_add_u32_e32 v35, v36, v35
	ds_write_b64 v33, v[34:35] offset:8208
.LBB737_62:
	s_or_b64 exec, exec, s[30:31]
	v_cmp_gt_u32_e32 vcc, 64, v0
	v_cmp_lt_u32_e64 s[26:27], 63, v0
	v_mov_b32_e32 v36, 0
	v_mov_b32_e32 v37, 0
	s_waitcnt lgkmcnt(0)
	s_barrier
	s_and_saveexec_b64 s[30:31], s[26:27]
	s_cbranch_execz .LBB737_64
; %bb.63:
	ds_read_b64 v[36:37], v32 offset:8200
	v_cmp_eq_u32_e64 s[26:27], 0, v30
	s_waitcnt lgkmcnt(0)
	v_add_u32_e32 v32, v36, v30
	v_cndmask_b32_e64 v30, 0, v37, s[26:27]
	v_add_u32_e32 v31, v30, v31
	v_mov_b32_e32 v30, v32
.LBB737_64:
	s_or_b64 exec, exec, s[30:31]
	v_add_u32_e32 v32, -1, v39
	v_and_b32_e32 v33, 64, v39
	v_cmp_lt_i32_e64 s[26:27], v32, v33
	s_nop 1
	v_cndmask_b32_e64 v32, v32, v39, s[26:27]
	v_lshlrev_b32_e32 v32, 2, v32
	ds_bpermute_b32 v44, v32, v30
	ds_bpermute_b32 v45, v32, v31
	v_cmp_eq_u32_e64 s[26:27], 0, v39
	s_and_saveexec_b64 s[52:53], vcc
	s_cbranch_execz .LBB737_87
; %bb.65:
	v_mov_b32_e32 v35, 0
	ds_read_b64 v[30:31], v35 offset:8264
	s_waitcnt lgkmcnt(0)
	v_readfirstlane_b32 s3, v30
	v_readfirstlane_b32 s56, v31
	s_and_saveexec_b64 s[30:31], s[26:27]
	s_cbranch_execz .LBB737_67
; %bb.66:
	s_add_i32 s54, s2, 64
	s_mov_b32 s55, 0
	s_lshl_b64 s[58:59], s[54:55], 4
	s_add_u32 s58, s36, s58
	s_addc_u32 s59, s37, s59
	s_and_b32 s61, s56, 0xff000000
	s_mov_b32 s60, s55
	s_and_b32 s63, s56, 0xff0000
	s_mov_b32 s62, s55
	s_or_b64 s[60:61], s[62:63], s[60:61]
	s_and_b32 s63, s56, 0xff00
	s_or_b64 s[60:61], s[60:61], s[62:63]
	s_and_b32 s63, s56, 0xff
	s_or_b64 s[54:55], s[60:61], s[62:63]
	v_mov_b32_e32 v32, s3
	v_mov_b32_e32 v33, s55
	;; [unrolled: 1-line block ×3, first 2 shown]
	v_mov_b64_e32 v[30:31], s[58:59]
	;;#ASMSTART
	global_store_dwordx4 v[30:31], v[32:35] off sc1	
s_waitcnt vmcnt(0)
	;;#ASMEND
.LBB737_67:
	s_or_b64 exec, exec, s[30:31]
	v_xad_u32 v38, v39, -1, s2
	v_add_u32_e32 v34, 64, v38
	v_lshl_add_u64 v[40:41], v[34:35], 4, s[36:37]
	;;#ASMSTART
	global_load_dwordx4 v[30:33], v[40:41] off sc1	
s_waitcnt vmcnt(0)
	;;#ASMEND
	s_nop 0
	v_and_b32_e32 v33, 0xff, v31
	v_and_b32_e32 v34, 0xff00, v31
	v_or3_b32 v30, v30, 0, 0
	v_and_b32_e32 v42, 0xff000000, v31
	v_or3_b32 v33, 0, v33, v34
	;; [unrolled: 2-line block ×3, first 2 shown]
	v_or3_b32 v30, v30, 0, 0
	v_cmp_eq_u16_sdwa s[54:55], v32, v35 src0_sel:BYTE_0 src1_sel:DWORD
	s_and_saveexec_b64 s[30:31], s[54:55]
	s_cbranch_execz .LBB737_73
; %bb.68:
	s_mov_b32 s57, 1
	s_mov_b64 s[54:55], 0
	v_mov_b32_e32 v34, 0
.LBB737_69:                             ; =>This Loop Header: Depth=1
                                        ;     Child Loop BB737_70 Depth 2
	s_max_u32 s58, s57, 1
.LBB737_70:                             ;   Parent Loop BB737_69 Depth=1
                                        ; =>  This Inner Loop Header: Depth=2
	s_add_i32 s58, s58, -1
	s_cmp_eq_u32 s58, 0
	s_sleep 1
	s_cbranch_scc0 .LBB737_70
; %bb.71:                               ;   in Loop: Header=BB737_69 Depth=1
	s_cmp_lt_u32 s57, 32
	s_cselect_b64 s[58:59], -1, 0
	s_cmp_lg_u64 s[58:59], 0
	s_addc_u32 s57, s57, 0
	;;#ASMSTART
	global_load_dwordx4 v[30:33], v[40:41] off sc1	
s_waitcnt vmcnt(0)
	;;#ASMEND
	s_nop 0
	v_cmp_ne_u16_sdwa s[58:59], v32, v34 src0_sel:BYTE_0 src1_sel:DWORD
	s_or_b64 s[54:55], s[58:59], s[54:55]
	s_andn2_b64 exec, exec, s[54:55]
	s_cbranch_execnz .LBB737_69
; %bb.72:
	s_or_b64 exec, exec, s[54:55]
.LBB737_73:
	s_or_b64 exec, exec, s[30:31]
	v_mov_b32_e32 v48, 2
	v_cmp_eq_u16_sdwa s[30:31], v32, v48 src0_sel:BYTE_0 src1_sel:DWORD
	v_lshlrev_b64 v[40:41], v39, -1
	v_and_b32_e32 v49, 63, v39
	v_and_b32_e32 v33, s31, v41
	v_or_b32_e32 v33, 0x80000000, v33
	v_cmp_ne_u32_e32 vcc, 63, v49
	v_and_b32_e32 v34, s30, v40
	v_ffbl_b32_e32 v33, v33
	v_addc_co_u32_e32 v35, vcc, 0, v39, vcc
	v_add_u32_e32 v33, 32, v33
	v_ffbl_b32_e32 v34, v34
	v_lshlrev_b32_e32 v50, 2, v35
	v_min_u32_e32 v33, v34, v33
	ds_bpermute_b32 v34, v50, v31
	v_cmp_eq_u32_e32 vcc, 0, v30
	v_cmp_lt_u32_e64 s[30:31], v49, v33
	ds_bpermute_b32 v35, v50, v30
	s_and_b64 vcc, s[30:31], vcc
	s_waitcnt lgkmcnt(1)
	v_cndmask_b32_e32 v34, 0, v34, vcc
	v_cmp_gt_u32_e32 vcc, 62, v49
	v_add_u32_e32 v31, v34, v31
	s_waitcnt lgkmcnt(0)
	v_cndmask_b32_e64 v35, 0, v35, s[30:31]
	v_cndmask_b32_e64 v34, 0, 1, vcc
	v_lshlrev_b32_e32 v34, 1, v34
	v_add_lshl_u32 v51, v34, v39, 2
	ds_bpermute_b32 v34, v51, v31
	v_add_u32_e32 v30, v35, v30
	ds_bpermute_b32 v35, v51, v30
	v_add_u32_e32 v52, 2, v49
	v_cmp_eq_u32_e32 vcc, 0, v30
	v_add_u32_e32 v54, 4, v49
	v_add_u32_e32 v56, 8, v49
	s_waitcnt lgkmcnt(1)
	v_cndmask_b32_e32 v34, 0, v34, vcc
	v_cmp_gt_u32_e32 vcc, v52, v33
	v_add_u32_e32 v58, 16, v49
	v_add_u32_e32 v60, 32, v49
	v_cndmask_b32_e64 v34, v34, 0, vcc
	v_add_u32_e32 v31, v34, v31
	s_waitcnt lgkmcnt(0)
	v_cndmask_b32_e64 v34, v35, 0, vcc
	v_cmp_gt_u32_e32 vcc, 60, v49
	v_add_u32_e32 v30, v30, v34
	s_nop 0
	v_cndmask_b32_e64 v35, 0, 1, vcc
	v_lshlrev_b32_e32 v35, 2, v35
	v_add_lshl_u32 v53, v35, v39, 2
	ds_bpermute_b32 v35, v53, v31
	ds_bpermute_b32 v34, v53, v30
	v_cmp_eq_u32_e32 vcc, 0, v30
	s_waitcnt lgkmcnt(1)
	s_nop 0
	v_cndmask_b32_e32 v35, 0, v35, vcc
	v_cmp_gt_u32_e32 vcc, v54, v33
	s_nop 1
	v_cndmask_b32_e64 v35, v35, 0, vcc
	s_waitcnt lgkmcnt(0)
	v_cndmask_b32_e64 v34, v34, 0, vcc
	v_cmp_gt_u32_e32 vcc, 56, v49
	v_add_u32_e32 v31, v31, v35
	v_add_u32_e32 v30, v30, v34
	v_cndmask_b32_e64 v35, 0, 1, vcc
	v_lshlrev_b32_e32 v35, 3, v35
	v_add_lshl_u32 v55, v35, v39, 2
	ds_bpermute_b32 v35, v55, v31
	ds_bpermute_b32 v34, v55, v30
	v_cmp_eq_u32_e32 vcc, 0, v30
	s_waitcnt lgkmcnt(1)
	s_nop 0
	v_cndmask_b32_e32 v35, 0, v35, vcc
	v_cmp_gt_u32_e32 vcc, v56, v33
	s_nop 1
	v_cndmask_b32_e64 v35, v35, 0, vcc
	s_waitcnt lgkmcnt(0)
	v_cndmask_b32_e64 v34, v34, 0, vcc
	v_cmp_gt_u32_e32 vcc, 48, v49
	v_add_u32_e32 v31, v31, v35
	v_add_u32_e32 v30, v30, v34
	v_cndmask_b32_e64 v35, 0, 1, vcc
	v_lshlrev_b32_e32 v35, 4, v35
	v_add_lshl_u32 v57, v35, v39, 2
	ds_bpermute_b32 v35, v57, v31
	ds_bpermute_b32 v34, v57, v30
	v_cmp_eq_u32_e32 vcc, 0, v30
	s_waitcnt lgkmcnt(1)
	s_nop 0
	v_cndmask_b32_e32 v35, 0, v35, vcc
	v_cmp_gt_u32_e32 vcc, v58, v33
	s_nop 1
	v_cndmask_b32_e64 v35, v35, 0, vcc
	s_waitcnt lgkmcnt(0)
	v_cndmask_b32_e64 v34, v34, 0, vcc
	v_cmp_gt_u32_e32 vcc, 32, v49
	v_add_u32_e32 v31, v31, v35
	v_add_u32_e32 v30, v30, v34
	v_cndmask_b32_e64 v35, 0, 1, vcc
	v_lshlrev_b32_e32 v35, 5, v35
	v_add_lshl_u32 v59, v35, v39, 2
	ds_bpermute_b32 v35, v59, v31
	ds_bpermute_b32 v34, v59, v30
	v_cmp_eq_u32_e32 vcc, 0, v30
	v_mov_b32_e32 v39, 0
	s_waitcnt lgkmcnt(1)
	v_cndmask_b32_e32 v35, 0, v35, vcc
	v_cmp_gt_u32_e32 vcc, v60, v33
	s_nop 1
	v_cndmask_b32_e64 v33, v35, 0, vcc
	v_add_u32_e32 v31, v33, v31
	s_waitcnt lgkmcnt(0)
	v_cndmask_b32_e64 v33, v34, 0, vcc
	v_add_u32_e32 v30, v33, v30
	s_branch .LBB737_75
.LBB737_74:                             ;   in Loop: Header=BB737_75 Depth=1
	s_or_b64 exec, exec, s[30:31]
	v_cmp_eq_u16_sdwa s[30:31], v32, v48 src0_sel:BYTE_0 src1_sel:DWORD
	v_cmp_eq_u32_e32 vcc, 0, v30
	ds_bpermute_b32 v43, v50, v30
	v_and_b32_e32 v33, s31, v41
	v_or_b32_e32 v33, 0x80000000, v33
	v_and_b32_e32 v42, s30, v40
	v_ffbl_b32_e32 v33, v33
	v_add_u32_e32 v33, 32, v33
	v_ffbl_b32_e32 v42, v42
	v_min_u32_e32 v33, v42, v33
	ds_bpermute_b32 v42, v50, v31
	v_cmp_lt_u32_e64 s[30:31], v49, v33
	s_and_b64 vcc, s[30:31], vcc
	v_subrev_u32_e32 v38, 64, v38
	s_waitcnt lgkmcnt(1)
	v_cndmask_b32_e64 v43, 0, v43, s[30:31]
	s_waitcnt lgkmcnt(0)
	v_cndmask_b32_e32 v42, 0, v42, vcc
	v_add_u32_e32 v31, v42, v31
	ds_bpermute_b32 v42, v51, v31
	v_add_u32_e32 v30, v43, v30
	v_cmp_eq_u32_e32 vcc, 0, v30
	ds_bpermute_b32 v43, v51, v30
	s_waitcnt lgkmcnt(1)
	v_cndmask_b32_e32 v42, 0, v42, vcc
	v_cmp_gt_u32_e32 vcc, v52, v33
	s_nop 1
	v_cndmask_b32_e64 v42, v42, 0, vcc
	v_add_u32_e32 v31, v42, v31
	ds_bpermute_b32 v42, v53, v31
	s_waitcnt lgkmcnt(1)
	v_cndmask_b32_e64 v43, v43, 0, vcc
	v_add_u32_e32 v30, v30, v43
	v_cmp_eq_u32_e32 vcc, 0, v30
	ds_bpermute_b32 v43, v53, v30
	s_waitcnt lgkmcnt(1)
	v_cndmask_b32_e32 v42, 0, v42, vcc
	v_cmp_gt_u32_e32 vcc, v54, v33
	s_nop 1
	v_cndmask_b32_e64 v42, v42, 0, vcc
	v_add_u32_e32 v31, v31, v42
	ds_bpermute_b32 v42, v55, v31
	s_waitcnt lgkmcnt(1)
	v_cndmask_b32_e64 v43, v43, 0, vcc
	v_add_u32_e32 v30, v30, v43
	ds_bpermute_b32 v43, v55, v30
	v_cmp_eq_u32_e32 vcc, 0, v30
	s_waitcnt lgkmcnt(1)
	s_nop 0
	v_cndmask_b32_e32 v42, 0, v42, vcc
	v_cmp_gt_u32_e32 vcc, v56, v33
	s_nop 1
	v_cndmask_b32_e64 v42, v42, 0, vcc
	v_add_u32_e32 v31, v31, v42
	ds_bpermute_b32 v42, v57, v31
	s_waitcnt lgkmcnt(1)
	v_cndmask_b32_e64 v43, v43, 0, vcc
	v_add_u32_e32 v30, v30, v43
	ds_bpermute_b32 v43, v57, v30
	v_cmp_eq_u32_e32 vcc, 0, v30
	s_waitcnt lgkmcnt(1)
	s_nop 0
	;; [unrolled: 13-line block ×3, first 2 shown]
	v_cndmask_b32_e32 v42, 0, v42, vcc
	v_cmp_gt_u32_e32 vcc, v60, v33
	s_nop 1
	v_cndmask_b32_e64 v33, v42, 0, vcc
	v_add_u32_e32 v31, v33, v31
	s_waitcnt lgkmcnt(0)
	v_cndmask_b32_e64 v33, v43, 0, vcc
	v_cmp_eq_u32_e32 vcc, 0, v34
	v_add3_u32 v30, v30, v34, v33
	s_nop 0
	v_cndmask_b32_e32 v31, 0, v31, vcc
	v_add_u32_e32 v31, v31, v35
.LBB737_75:                             ; =>This Loop Header: Depth=1
                                        ;     Child Loop BB737_78 Depth 2
                                        ;       Child Loop BB737_79 Depth 3
	v_cmp_ne_u16_sdwa s[30:31], v32, v48 src0_sel:BYTE_0 src1_sel:DWORD
	v_mov_b32_e32 v35, v31
	v_mov_b32_e32 v34, v30
	v_cndmask_b32_e64 v31, 0, 1, s[30:31]
	;;#ASMSTART
	;;#ASMEND
	s_nop 0
	v_cmp_ne_u32_e32 vcc, 0, v31
	s_cmp_lg_u64 vcc, exec
	s_cbranch_scc1 .LBB737_82
; %bb.76:                               ;   in Loop: Header=BB737_75 Depth=1
	v_lshl_add_u64 v[42:43], v[38:39], 4, s[36:37]
	;;#ASMSTART
	global_load_dwordx4 v[30:33], v[42:43] off sc1	
s_waitcnt vmcnt(0)
	;;#ASMEND
	s_nop 0
	v_and_b32_e32 v33, 0xff, v31
	v_and_b32_e32 v61, 0xff00, v31
	v_or3_b32 v30, v30, 0, 0
	v_and_b32_e32 v62, 0xff000000, v31
	v_or3_b32 v33, 0, v33, v61
	;; [unrolled: 2-line block ×3, first 2 shown]
	v_or3_b32 v30, v30, 0, 0
	v_cmp_eq_u16_sdwa s[54:55], v32, v39 src0_sel:BYTE_0 src1_sel:DWORD
	s_and_saveexec_b64 s[30:31], s[54:55]
	s_cbranch_execz .LBB737_74
; %bb.77:                               ;   in Loop: Header=BB737_75 Depth=1
	s_mov_b32 s57, 1
	s_mov_b64 s[54:55], 0
.LBB737_78:                             ;   Parent Loop BB737_75 Depth=1
                                        ; =>  This Loop Header: Depth=2
                                        ;       Child Loop BB737_79 Depth 3
	s_max_u32 s58, s57, 1
.LBB737_79:                             ;   Parent Loop BB737_75 Depth=1
                                        ;     Parent Loop BB737_78 Depth=2
                                        ; =>    This Inner Loop Header: Depth=3
	s_add_i32 s58, s58, -1
	s_cmp_eq_u32 s58, 0
	s_sleep 1
	s_cbranch_scc0 .LBB737_79
; %bb.80:                               ;   in Loop: Header=BB737_78 Depth=2
	s_cmp_lt_u32 s57, 32
	s_cselect_b64 s[58:59], -1, 0
	s_cmp_lg_u64 s[58:59], 0
	s_addc_u32 s57, s57, 0
	;;#ASMSTART
	global_load_dwordx4 v[30:33], v[42:43] off sc1	
s_waitcnt vmcnt(0)
	;;#ASMEND
	s_nop 0
	v_cmp_ne_u16_sdwa s[58:59], v32, v39 src0_sel:BYTE_0 src1_sel:DWORD
	s_or_b64 s[54:55], s[58:59], s[54:55]
	s_andn2_b64 exec, exec, s[54:55]
	s_cbranch_execnz .LBB737_78
; %bb.81:                               ;   in Loop: Header=BB737_75 Depth=1
	s_or_b64 exec, exec, s[54:55]
	s_branch .LBB737_74
.LBB737_82:                             ;   in Loop: Header=BB737_75 Depth=1
                                        ; implicit-def: $vgpr31
                                        ; implicit-def: $vgpr30
                                        ; implicit-def: $vgpr32
	s_cbranch_execz .LBB737_75
; %bb.83:
	s_and_saveexec_b64 s[30:31], s[26:27]
	s_cbranch_execz .LBB737_85
; %bb.84:
	s_cmp_eq_u32 s3, 0
	s_cselect_b64 vcc, -1, 0
	s_mov_b32 s55, 0
	v_cndmask_b32_e32 v30, 0, v35, vcc
	s_add_i32 s54, s2, 64
	v_add_u32_e32 v30, s56, v30
	s_lshl_b64 s[54:55], s[54:55], 4
	s_add_u32 s54, s36, s54
	v_and_b32_e32 v31, 0xff000000, v30
	v_and_b32_e32 v32, 0xff0000, v30
	s_addc_u32 s55, s37, s55
	v_or_b32_e32 v31, v32, v31
	v_and_b32_e32 v32, 0xff00, v30
	v_and_b32_e32 v30, 0xff, v30
	v_add_u32_e32 v38, s3, v34
	v_mov_b32_e32 v41, 0
	v_or3_b32 v39, v31, v32, v30
	v_mov_b32_e32 v40, 2
	v_mov_b64_e32 v[30:31], s[54:55]
	;;#ASMSTART
	global_store_dwordx4 v[30:31], v[38:41] off sc1	
s_waitcnt vmcnt(0)
	;;#ASMEND
	v_mov_b32_e32 v32, s3
	v_mov_b32_e32 v33, s56
	ds_write_b128 v41, v[32:35] offset:8192
.LBB737_85:
	s_or_b64 exec, exec, s[30:31]
	v_cmp_eq_u32_e32 vcc, 0, v0
	s_and_b64 exec, exec, vcc
	s_cbranch_execz .LBB737_87
; %bb.86:
	v_mov_b32_e32 v30, 0
	ds_write_b64 v30, v[34:35] offset:8264
.LBB737_87:
	s_or_b64 exec, exec, s[52:53]
	v_mov_b32_e32 v32, 0
	s_waitcnt lgkmcnt(0)
	s_barrier
	ds_read_b64 v[30:31], v32 offset:8264
	v_cndmask_b32_e64 v34, v44, v36, s[26:27]
	v_cmp_eq_u32_e32 vcc, 0, v34
	v_cndmask_b32_e64 v33, v45, v37, s[26:27]
	s_waitcnt lgkmcnt(0)
	v_cndmask_b32_e32 v35, 0, v31, vcc
	v_add_u32_e32 v33, v35, v33
	v_cmp_eq_u32_e32 vcc, 0, v0
	s_barrier
	s_nop 0
	v_cndmask_b32_e32 v67, v33, v31, vcc
	v_cndmask_b32_e64 v31, v34, 0, vcc
	v_cmp_eq_u32_e32 vcc, 0, v85
	v_add_u32_e32 v66, v30, v31
	v_add_u32_e32 v64, v66, v85
	v_cndmask_b32_e32 v30, 0, v67, vcc
	v_add_u32_e32 v65, v30, v68
	v_cndmask_b32_e64 v30, 0, v65, s[24:25]
	v_add_u32_e32 v63, v30, v68
	v_cndmask_b32_e64 v30, 0, v63, s[22:23]
	;; [unrolled: 2-line block ×8, first 2 shown]
	v_add_u32_e32 v49, v30, v68
	v_add_u32_e32 v62, v64, v84
	v_cndmask_b32_e64 v30, 0, v49, s[8:9]
	v_add_u32_e32 v60, v62, v83
	v_add_u32_e32 v45, v30, v68
	v_add_u32_e32 v58, v60, v82
	v_cndmask_b32_e64 v30, 0, v45, s[6:7]
	v_add_u32_e32 v56, v58, v81
	;; [unrolled: 4-line block ×3, first 2 shown]
	v_add_u32_e32 v41, v30, v68
	ds_read_b128 v[30:33], v32 offset:8192
	v_add_u32_e32 v50, v52, v78
	v_add_u32_e32 v48, v50, v77
	;; [unrolled: 1-line block ×4, first 2 shown]
	v_cndmask_b32_e64 v34, 0, v41, s[28:29]
	v_add_u32_e32 v40, v42, v74
	v_add_u32_e32 v37, v34, v68
	s_waitcnt lgkmcnt(0)
	v_cmp_eq_u32_e32 vcc, 0, v30
	v_add_u32_e32 v36, v40, v73
	v_cndmask_b32_e64 v34, 0, v37, s[0:1]
	v_cndmask_b32_e32 v33, 0, v33, vcc
	v_add_u32_e32 v38, v36, v72
	v_add_u32_e32 v39, v34, v68
	;; [unrolled: 1-line block ×3, first 2 shown]
	s_branch .LBB737_100
.LBB737_88:
                                        ; implicit-def: $vgpr30
                                        ; implicit-def: $vgpr34
                                        ; implicit-def: $vgpr38_vgpr39
                                        ; implicit-def: $vgpr36_vgpr37
                                        ; implicit-def: $vgpr40_vgpr41
                                        ; implicit-def: $vgpr42_vgpr43
                                        ; implicit-def: $vgpr66_vgpr67
                                        ; implicit-def: $vgpr64_vgpr65
                                        ; implicit-def: $vgpr62_vgpr63
                                        ; implicit-def: $vgpr60_vgpr61
                                        ; implicit-def: $vgpr58_vgpr59
                                        ; implicit-def: $vgpr56_vgpr57
                                        ; implicit-def: $vgpr54_vgpr55
                                        ; implicit-def: $vgpr52_vgpr53
                                        ; implicit-def: $vgpr50_vgpr51
                                        ; implicit-def: $vgpr48_vgpr49
                                        ; implicit-def: $vgpr44_vgpr45
	s_cbranch_execz .LBB737_100
; %bb.89:
	s_and_b64 s[0:1], s[38:39], exec
	s_cselect_b32 s1, 0, s51
	s_cselect_b32 s0, 0, s50
	s_cmp_eq_u64 s[0:1], 0
	v_mov_b32_e32 v34, v68
	s_cbranch_scc1 .LBB737_91
; %bb.90:
	v_mov_b32_e32 v30, 0
	global_load_dword v34, v30, s[0:1]
.LBB737_91:
	v_cmp_eq_u32_e64 s[0:1], 0, v84
	v_cmp_eq_u32_e64 s[2:3], 0, v83
	v_cmp_eq_u32_e64 s[4:5], 0, v82
	v_cndmask_b32_e64 v30, 0, v68, s[0:1]
	v_add_u32_e32 v30, v30, v68
	v_cndmask_b32_e64 v30, 0, v30, s[2:3]
	v_add_u32_e32 v30, v30, v68
	v_cndmask_b32_e64 v30, 0, v30, s[4:5]
	v_add_u32_e32 v30, v30, v68
	v_cmp_eq_u32_e64 s[6:7], 0, v81
	v_cmp_eq_u32_e64 s[8:9], 0, v80
	v_cmp_eq_u32_e64 s[10:11], 0, v79
	v_cndmask_b32_e64 v30, 0, v30, s[6:7]
	v_add_u32_e32 v30, v30, v68
	v_cndmask_b32_e64 v30, 0, v30, s[8:9]
	v_add_u32_e32 v30, v30, v68
	v_cndmask_b32_e64 v30, 0, v30, s[10:11]
	v_add_u32_e32 v30, v30, v68
	;; [unrolled: 9-line block ×3, first 2 shown]
	v_cmp_eq_u32_e64 s[18:19], 0, v75
	v_cmp_eq_u32_e64 s[20:21], 0, v74
	;; [unrolled: 1-line block ×3, first 2 shown]
	v_cndmask_b32_e64 v30, 0, v30, s[18:19]
	v_add_u32_e32 v30, v30, v68
	v_cndmask_b32_e64 v30, 0, v30, s[20:21]
	v_add_u32_e32 v30, v30, v68
	v_cndmask_b32_e64 v30, 0, v30, s[22:23]
	v_add3_u32 v31, v87, v80, v79
	v_add_u32_e32 v30, v30, v68
	v_cmp_eq_u32_e32 vcc, 0, v72
	v_add3_u32 v31, v31, v78, v77
	v_add3_u32 v31, v31, v76, v75
	v_cndmask_b32_e32 v30, 0, v30, vcc
	v_add_u32_e32 v30, v30, v68
	v_cmp_eq_u32_e64 s[24:25], 0, v1
	v_add3_u32 v31, v31, v74, v73
	v_add3_u32 v31, v31, v72, v1
	v_cndmask_b32_e64 v30, 0, v30, s[24:25]
	v_add_u32_e32 v30, v30, v69
	v_mbcnt_hi_u32_b32 v35, -1, v86
	v_and_b32_e32 v32, 15, v35
	v_mov_b32_dpp v36, v30 row_shr:1 row_mask:0xf bank_mask:0xf
	v_cmp_eq_u32_e64 s[24:25], 0, v31
	v_mov_b32_dpp v33, v31 row_shr:1 row_mask:0xf bank_mask:0xf
	v_cmp_lt_u32_e64 s[26:27], 1, v32
	v_cndmask_b32_e64 v36, 0, v36, s[24:25]
	v_cmp_eq_u32_e64 s[24:25], 0, v32
	s_nop 1
	v_cndmask_b32_e64 v33, v33, 0, s[24:25]
	v_add_u32_e32 v31, v33, v31
	v_cndmask_b32_e64 v33, v36, 0, s[24:25]
	v_add_u32_e32 v30, v33, v30
	v_cmp_eq_u32_e64 s[24:25], 0, v31
	v_mov_b32_dpp v33, v31 row_shr:2 row_mask:0xf bank_mask:0xf
	v_mov_b32_dpp v36, v30 row_shr:2 row_mask:0xf bank_mask:0xf
	v_cndmask_b32_e64 v33, 0, v33, s[26:27]
	s_and_b64 s[24:25], s[26:27], s[24:25]
	v_cndmask_b32_e64 v36, 0, v36, s[24:25]
	v_add_u32_e32 v31, v31, v33
	v_add_u32_e32 v30, v36, v30
	v_cmp_eq_u32_e64 s[24:25], 0, v31
	v_mov_b32_dpp v33, v31 row_shr:4 row_mask:0xf bank_mask:0xf
	v_cmp_lt_u32_e64 s[26:27], 3, v32
	v_mov_b32_dpp v36, v30 row_shr:4 row_mask:0xf bank_mask:0xf
	s_and_b64 s[24:25], s[26:27], s[24:25]
	v_cndmask_b32_e64 v33, 0, v33, s[26:27]
	v_cndmask_b32_e64 v36, 0, v36, s[24:25]
	v_add_u32_e32 v31, v33, v31
	v_add_u32_e32 v30, v30, v36
	v_cmp_eq_u32_e64 s[24:25], 0, v31
	v_cmp_lt_u32_e64 s[26:27], 7, v32
	v_mov_b32_dpp v33, v31 row_shr:8 row_mask:0xf bank_mask:0xf
	v_mov_b32_dpp v36, v30 row_shr:8 row_mask:0xf bank_mask:0xf
	s_and_b64 s[24:25], s[26:27], s[24:25]
	v_cndmask_b32_e64 v32, 0, v33, s[26:27]
	v_cndmask_b32_e64 v33, 0, v36, s[24:25]
	v_add_u32_e32 v30, v33, v30
	v_add_u32_e32 v31, v32, v31
	v_bfe_i32 v36, v35, 4, 1
	v_mov_b32_dpp v33, v30 row_bcast:15 row_mask:0xf bank_mask:0xf
	v_mov_b32_dpp v32, v31 row_bcast:15 row_mask:0xf bank_mask:0xf
	v_cmp_eq_u32_e64 s[24:25], 0, v31
	v_and_b32_e32 v32, v36, v32
	v_add_u32_e32 v31, v32, v31
	v_cndmask_b32_e64 v33, 0, v33, s[24:25]
	v_and_b32_e32 v32, v36, v33
	v_add_u32_e32 v32, v32, v30
	v_mov_b32_dpp v30, v31 row_bcast:31 row_mask:0xf bank_mask:0xf
	v_cmp_eq_u32_e64 s[24:25], 0, v31
	v_cmp_lt_u32_e64 s[26:27], 31, v35
	v_mov_b32_dpp v33, v32 row_bcast:31 row_mask:0xf bank_mask:0xf
	s_and_b64 s[24:25], s[26:27], s[24:25]
	v_cndmask_b32_e64 v30, 0, v30, s[26:27]
	v_add_u32_e32 v30, v30, v31
	v_cndmask_b32_e64 v31, 0, v33, s[24:25]
	v_add_u32_e32 v31, v31, v32
	v_cmp_eq_u32_e64 s[24:25], v71, v0
	s_and_saveexec_b64 s[26:27], s[24:25]
	s_cbranch_execz .LBB737_93
; %bb.92:
	v_lshlrev_b32_e32 v32, 3, v70
	ds_write_b64 v32, v[30:31] offset:8208
.LBB737_93:
	s_or_b64 exec, exec, s[26:27]
	v_cmp_gt_u32_e64 s[24:25], 8, v0
	s_waitcnt lgkmcnt(0)
	s_barrier
	s_and_saveexec_b64 s[28:29], s[24:25]
	s_cbranch_execz .LBB737_95
; %bb.94:
	v_lshlrev_b32_e32 v36, 3, v0
	ds_read_b64 v[32:33], v36 offset:8208
	v_and_b32_e32 v37, 7, v35
	v_cmp_lt_u32_e64 s[26:27], 1, v37
	s_waitcnt lgkmcnt(0)
	v_mov_b32_dpp v39, v33 row_shr:1 row_mask:0xf bank_mask:0xf
	v_cmp_eq_u32_e64 s[24:25], 0, v32
	v_mov_b32_dpp v38, v32 row_shr:1 row_mask:0xf bank_mask:0xf
	s_nop 0
	v_cndmask_b32_e64 v39, 0, v39, s[24:25]
	v_cmp_eq_u32_e64 s[24:25], 0, v37
	s_nop 1
	v_cndmask_b32_e64 v38, v38, 0, s[24:25]
	v_add_u32_e32 v32, v38, v32
	v_cndmask_b32_e64 v38, v39, 0, s[24:25]
	v_add_u32_e32 v33, v38, v33
	v_cmp_eq_u32_e64 s[24:25], 0, v32
	v_mov_b32_dpp v38, v32 row_shr:2 row_mask:0xf bank_mask:0xf
	v_mov_b32_dpp v39, v33 row_shr:2 row_mask:0xf bank_mask:0xf
	v_cndmask_b32_e64 v38, 0, v38, s[26:27]
	s_and_b64 s[24:25], s[26:27], s[24:25]
	v_cndmask_b32_e64 v39, 0, v39, s[24:25]
	v_add_u32_e32 v32, v38, v32
	v_add_u32_e32 v33, v39, v33
	v_cmp_eq_u32_e64 s[24:25], 0, v32
	v_mov_b32_dpp v38, v32 row_shr:4 row_mask:0xf bank_mask:0xf
	v_cmp_lt_u32_e64 s[26:27], 3, v37
	v_mov_b32_dpp v39, v33 row_shr:4 row_mask:0xf bank_mask:0xf
	s_and_b64 s[24:25], s[26:27], s[24:25]
	v_cndmask_b32_e64 v37, 0, v38, s[26:27]
	v_add_u32_e32 v32, v37, v32
	v_cndmask_b32_e64 v37, 0, v39, s[24:25]
	v_add_u32_e32 v33, v37, v33
	ds_write_b64 v36, v[32:33] offset:8208
.LBB737_95:
	s_or_b64 exec, exec, s[28:29]
	v_cmp_lt_u32_e64 s[24:25], 63, v0
	v_mov_b32_e32 v37, 0
	v_mov_b32_e32 v32, 0
	s_waitcnt vmcnt(0)
	v_mov_b32_e32 v33, v34
	s_waitcnt lgkmcnt(0)
	s_barrier
	s_and_saveexec_b64 s[26:27], s[24:25]
	s_cbranch_execz .LBB737_97
; %bb.96:
	v_lshlrev_b32_e32 v32, 3, v70
	ds_read_b64 v[32:33], v32 offset:8200
	s_waitcnt lgkmcnt(0)
	v_cmp_eq_u32_e64 s[24:25], 0, v32
	s_nop 1
	v_cndmask_b32_e64 v36, 0, v34, s[24:25]
	v_add_u32_e32 v33, v36, v33
.LBB737_97:
	s_or_b64 exec, exec, s[26:27]
	v_cmp_eq_u32_e64 s[24:25], 0, v30
	v_add_u32_e32 v36, v32, v30
	v_and_b32_e32 v38, 64, v35
	v_cndmask_b32_e64 v30, 0, v33, s[24:25]
	v_add_u32_e32 v30, v30, v31
	v_add_u32_e32 v31, -1, v35
	v_cmp_lt_i32_e64 s[24:25], v31, v38
	v_cmp_eq_u32_e64 s[26:27], 0, v85
	s_nop 0
	v_cndmask_b32_e64 v31, v31, v35, s[24:25]
	v_lshlrev_b32_e32 v31, 2, v31
	ds_bpermute_b32 v36, v31, v36
	ds_bpermute_b32 v30, v31, v30
	v_cmp_eq_u32_e64 s[24:25], 0, v35
	s_waitcnt lgkmcnt(1)
	s_nop 0
	v_cndmask_b32_e64 v31, v36, v32, s[24:25]
	s_waitcnt lgkmcnt(0)
	v_cndmask_b32_e64 v30, v30, v33, s[24:25]
	v_cmp_eq_u32_e64 s[24:25], 0, v0
	s_nop 1
	v_cndmask_b32_e64 v67, v30, v34, s[24:25]
	v_cndmask_b32_e64 v30, 0, v67, s[26:27]
	v_add_u32_e32 v65, v30, v68
	v_cndmask_b32_e64 v30, 0, v65, s[0:1]
	v_add_u32_e32 v63, v30, v68
	;; [unrolled: 2-line block ×8, first 2 shown]
	v_cndmask_b32_e64 v66, v31, 0, s[24:25]
	v_cndmask_b32_e64 v30, 0, v51, s[14:15]
	v_add_u32_e32 v64, v66, v85
	v_add_u32_e32 v49, v30, v68
	v_add_u32_e32 v62, v64, v84
	v_cndmask_b32_e64 v30, 0, v49, s[16:17]
	v_add_u32_e32 v60, v62, v83
	v_add_u32_e32 v45, v30, v68
	v_add_u32_e32 v58, v60, v82
	;; [unrolled: 4-line block ×3, first 2 shown]
	v_cndmask_b32_e64 v30, 0, v43, s[20:21]
	v_add_u32_e32 v52, v54, v79
	v_add_u32_e32 v41, v30, v68
	ds_read_b64 v[30:31], v37 offset:8264
	v_add_u32_e32 v50, v52, v78
	v_add_u32_e32 v48, v50, v77
	;; [unrolled: 1-line block ×3, first 2 shown]
	v_cndmask_b32_e64 v32, 0, v41, s[22:23]
	v_add_u32_e32 v42, v44, v75
	v_add_u32_e32 v37, v32, v68
	;; [unrolled: 1-line block ×3, first 2 shown]
	v_cndmask_b32_e32 v32, 0, v37, vcc
	s_waitcnt lgkmcnt(0)
	v_cmp_eq_u32_e32 vcc, 0, v30
	v_add_u32_e32 v36, v40, v73
	v_add_u32_e32 v39, v32, v68
	v_cndmask_b32_e32 v32, 0, v34, vcc
	v_add_u32_e32 v38, v36, v72
	v_add_u32_e32 v34, v32, v31
	s_and_saveexec_b64 s[0:1], s[24:25]
	s_cbranch_execz .LBB737_99
; %bb.98:
	s_add_u32 s2, s36, 0x400
	v_and_b32_e32 v31, 0xff000000, v34
	v_and_b32_e32 v32, 0xff0000, v34
	s_addc_u32 s3, s37, 0
	v_or_b32_e32 v31, v32, v31
	v_and_b32_e32 v32, 0xff00, v34
	v_and_b32_e32 v35, 0xff, v34
	v_mov_b32_e32 v33, 0
	v_or3_b32 v31, v31, v32, v35
	v_mov_b32_e32 v32, 2
	v_mov_b64_e32 v[68:69], s[2:3]
	;;#ASMSTART
	global_store_dwordx4 v[68:69], v[30:33] off sc1	
s_waitcnt vmcnt(0)
	;;#ASMEND
.LBB737_99:
	s_or_b64 exec, exec, s[0:1]
	v_mov_b32_e32 v32, 0
.LBB737_100:
	s_and_b64 s[0:1], s[38:39], exec
	s_cselect_b32 s1, 0, s47
	s_cselect_b32 s0, 0, s46
	s_cmp_eq_u64 s[0:1], 0
	v_mov_b64_e32 v[68:69], 0
	s_waitcnt lgkmcnt(0)
	s_barrier
	s_cbranch_scc1 .LBB737_102
; %bb.101:
	v_mov_b32_e32 v31, 0
	global_load_dwordx2 v[68:69], v31, s[0:1]
.LBB737_102:
	v_cmp_eq_u32_e32 vcc, 0, v85
	s_movk_i32 s30, 0x200
	v_mov_b32_e32 v33, 0
	v_cndmask_b32_e64 v31, 1, 2, vcc
	v_cmp_eq_u32_e32 vcc, 0, v84
	v_cmp_ne_u32_e64 s[28:29], 0, v85
	v_cmp_ne_u32_e64 s[26:27], 0, v84
	v_cndmask_b32_e64 v35, 1, 2, vcc
	v_cmp_eq_u32_e32 vcc, 0, v83
	v_and_b32_e32 v31, v35, v31
	v_cmp_ne_u32_e64 s[24:25], 0, v83
	v_cndmask_b32_e64 v35, 1, 2, vcc
	v_cmp_eq_u32_e32 vcc, 0, v82
	v_and_b32_e32 v31, v31, v35
	;; [unrolled: 4-line block ×13, first 2 shown]
	v_cmp_ne_u32_e64 s[0:1], 0, v1
	v_cndmask_b32_e64 v35, 1, 2, vcc
	v_and_b32_e32 v31, v31, v35
	v_cmp_gt_u32_e32 vcc, s30, v30
	s_mov_b64 s[36:37], -1
	v_cmp_gt_i16_e64 s[30:31], 2, v31
	s_cbranch_vccz .LBB737_109
; %bb.103:
	s_and_saveexec_b64 s[36:37], s[30:31]
	s_cbranch_execz .LBB737_108
; %bb.104:
	s_waitcnt vmcnt(0)
	v_lshlrev_b64 v[70:71], 3, v[68:69]
	v_lshl_add_u64 v[70:71], s[40:41], 0, v[70:71]
	v_lshlrev_b64 v[86:87], 3, v[32:33]
	v_lshl_add_u64 v[70:71], v[70:71], 0, v[86:87]
	v_cmp_ne_u16_e32 vcc, 1, v31
	s_mov_b64 s[38:39], 0
	s_and_saveexec_b64 s[30:31], vcc
	s_xor_b64 s[30:31], exec, s[30:31]
	s_cbranch_execnz .LBB737_141
; %bb.105:
	s_andn2_saveexec_b64 s[30:31], s[30:31]
	s_cbranch_execnz .LBB737_157
.LBB737_106:
	s_or_b64 exec, exec, s[30:31]
	s_and_b64 exec, exec, s[38:39]
	s_cbranch_execz .LBB737_108
.LBB737_107:
	v_sub_u32_e32 v86, v38, v32
	v_mov_b32_e32 v87, 0
	v_lshl_add_u64 v[70:71], v[86:87], 3, v[70:71]
	global_store_dwordx2 v[70:71], v[46:47], off
.LBB737_108:
	s_or_b64 exec, exec, s[36:37]
	s_mov_b64 s[36:37], 0
.LBB737_109:
	s_and_b64 vcc, exec, s[36:37]
	s_cbranch_vccz .LBB737_119
; %bb.110:
	v_cmp_gt_i16_e32 vcc, 2, v31
	s_and_saveexec_b64 s[30:31], vcc
	s_cbranch_execz .LBB737_115
; %bb.111:
	v_cmp_ne_u16_e32 vcc, 1, v31
	s_mov_b64 s[38:39], 0
	s_and_saveexec_b64 s[36:37], vcc
	s_xor_b64 s[36:37], exec, s[36:37]
	s_cbranch_execnz .LBB737_158
; %bb.112:
	s_andn2_saveexec_b64 s[0:1], s[36:37]
	s_cbranch_execnz .LBB737_174
.LBB737_113:
	s_or_b64 exec, exec, s[0:1]
	s_and_b64 exec, exec, s[38:39]
	s_cbranch_execz .LBB737_115
.LBB737_114:
	v_sub_u32_e32 v2, v38, v32
	v_lshlrev_b32_e32 v2, 3, v2
	ds_write_b64 v2, v[46:47]
.LBB737_115:
	s_or_b64 exec, exec, s[30:31]
	v_cmp_lt_u32_e32 vcc, v0, v30
	s_waitcnt lgkmcnt(0)
	s_barrier
	s_and_saveexec_b64 s[0:1], vcc
	s_cbranch_execz .LBB737_118
; %bb.116:
	s_waitcnt vmcnt(0)
	v_lshlrev_b64 v[4:5], 3, v[68:69]
	v_lshlrev_b64 v[6:7], 3, v[32:33]
	v_lshl_add_u64 v[4:5], v[4:5], 0, v[6:7]
	v_lshlrev_b32_e32 v2, 3, v0
	v_mov_b32_e32 v3, 0
	v_lshl_add_u64 v[4:5], s[40:41], 0, v[4:5]
	v_lshl_add_u64 v[4:5], v[4:5], 0, v[2:3]
	s_mov_b64 s[2:3], 0
	s_mov_b64 s[4:5], 0x1000
	v_mov_b32_e32 v3, v0
.LBB737_117:                            ; =>This Inner Loop Header: Depth=1
	ds_read_b64 v[6:7], v2
	v_add_u32_e32 v3, 0x200, v3
	v_cmp_ge_u32_e32 vcc, v3, v30
	v_add_u32_e32 v2, 0x1000, v2
	s_or_b64 s[2:3], vcc, s[2:3]
	s_waitcnt lgkmcnt(0)
	global_store_dwordx2 v[4:5], v[6:7], off
	v_lshl_add_u64 v[4:5], v[4:5], 0, s[4:5]
	s_andn2_b64 exec, exec, s[2:3]
	s_cbranch_execnz .LBB737_117
.LBB737_118:
	s_or_b64 exec, exec, s[0:1]
.LBB737_119:
	s_cmpk_lg_i32 s33, 0x1e00
	s_cselect_b64 s[0:1], -1, 0
	v_cndmask_b32_e64 v10, 0, 1, s[48:49]
	s_and_b64 s[0:1], s[34:35], s[0:1]
	v_cmp_eq_u32_e32 vcc, 0, v0
	v_sub_u32_e32 v2, v30, v10
	v_cndmask_b32_e64 v3, 0, 1, s[0:1]
	s_and_b64 s[0:1], vcc, s[48:49]
	v_add_u32_e32 v12, v2, v3
	v_cndmask_b32_e64 v2, v85, 0, s[0:1]
	s_mul_hi_u32 s0, s33, 0x88888889
	s_lshr_b32 s0, s0, 3
	v_mad_i32_i24 v3, v0, -15, s33
	v_cmp_eq_u32_e32 vcc, s0, v0
	v_cmp_ne_u32_e64 s[0:1], 0, v3
	s_and_b64 vcc, s[34:35], vcc
	s_mov_b32 s2, 0
	v_cndmask_b32_e64 v4, 1, v2, s[0:1]
	v_cmp_ne_u32_e64 s[0:1], 1, v3
	v_cndmask_b32_e32 v27, v2, v4, vcc
	s_movk_i32 s30, 0x200
	v_cndmask_b32_e64 v5, 1, v84, s[0:1]
	v_cmp_ne_u32_e64 s[0:1], 2, v3
	v_cndmask_b32_e32 v26, v84, v5, vcc
	s_waitcnt vmcnt(0)
	v_lshlrev_b64 v[4:5], 3, v[68:69]
	v_cndmask_b32_e64 v6, 1, v83, s[0:1]
	v_cmp_ne_u32_e64 s[0:1], 3, v3
	v_cndmask_b32_e32 v25, v83, v6, vcc
	s_mov_b64 s[36:37], -1
	v_cndmask_b32_e64 v7, 1, v82, s[0:1]
	v_cmp_ne_u32_e64 s[0:1], 4, v3
	v_cndmask_b32_e32 v24, v82, v7, vcc
	v_lshlrev_b64 v[6:7], 3, v[32:33]
	v_cndmask_b32_e64 v8, 1, v81, s[0:1]
	v_cmp_ne_u32_e64 s[0:1], 5, v3
	v_cndmask_b32_e32 v23, v81, v8, vcc
	v_cmp_ne_u32_e64 s[28:29], 0, v27
	v_cndmask_b32_e64 v9, 1, v80, s[0:1]
	v_cmp_ne_u32_e64 s[0:1], 6, v3
	v_cndmask_b32_e32 v22, v80, v9, vcc
	v_cmp_ne_u32_e64 s[26:27], 0, v26
	v_cndmask_b32_e64 v11, 1, v79, s[0:1]
	v_cmp_ne_u32_e64 s[0:1], 7, v3
	v_cndmask_b32_e32 v21, v79, v11, vcc
	v_mov_b32_e32 v11, s2
	v_cndmask_b32_e64 v13, 1, v78, s[0:1]
	v_cmp_ne_u32_e64 s[0:1], 8, v3
	v_cndmask_b32_e32 v13, v78, v13, vcc
	v_lshl_add_u64 v[8:9], v[10:11], 0, -1
	v_cndmask_b32_e64 v14, 1, v77, s[0:1]
	v_cmp_ne_u32_e64 s[0:1], 9, v3
	v_cndmask_b32_e32 v14, v77, v14, vcc
	v_cmp_ne_u32_e64 s[14:15], 0, v13
	v_cndmask_b32_e64 v15, 1, v76, s[0:1]
	v_cmp_ne_u32_e64 s[0:1], 10, v3
	v_cndmask_b32_e32 v15, v76, v15, vcc
	v_cmp_ne_u32_e64 s[24:25], 0, v25
	;; [unrolled: 4-line block ×6, first 2 shown]
	v_cndmask_b32_e64 v3, 1, v1, s[0:1]
	v_cndmask_b32_e32 v20, v1, v3, vcc
	v_cmp_eq_u32_e32 vcc, 0, v27
	v_add_u32_e32 v1, v32, v10
	v_lshl_add_u64 v[2:3], s[42:43], 0, v[4:5]
	v_cndmask_b32_e64 v10, 1, 2, vcc
	v_cmp_eq_u32_e32 vcc, 0, v26
	v_lshl_add_u64 v[2:3], v[2:3], 0, v[6:7]
	v_cmp_ne_u32_e64 s[12:13], 0, v14
	v_cndmask_b32_e64 v11, 1, 2, vcc
	v_cmp_eq_u32_e32 vcc, 0, v25
	v_and_b32_e32 v10, v11, v10
	v_cmp_ne_u32_e64 s[10:11], 0, v15
	v_cndmask_b32_e64 v11, 1, 2, vcc
	v_cmp_eq_u32_e32 vcc, 0, v24
	v_and_b32_e32 v10, v10, v11
	v_cmp_ne_u32_e64 s[8:9], 0, v16
	v_cndmask_b32_e64 v11, 1, 2, vcc
	v_cmp_eq_u32_e32 vcc, 0, v23
	v_and_b32_e32 v10, v10, v11
	v_cmp_ne_u32_e64 s[6:7], 0, v17
	v_cndmask_b32_e64 v11, 1, 2, vcc
	v_cmp_eq_u32_e32 vcc, 0, v22
	v_and_b32_e32 v10, v10, v11
	v_cmp_ne_u32_e64 s[4:5], 0, v18
	v_cndmask_b32_e64 v11, 1, 2, vcc
	v_cmp_eq_u32_e32 vcc, 0, v21
	v_and_b32_e32 v10, v10, v11
	v_cmp_ne_u32_e64 s[2:3], 0, v19
	v_cndmask_b32_e64 v11, 1, 2, vcc
	v_cmp_eq_u32_e32 vcc, 0, v13
	v_and_b32_e32 v10, v10, v11
	v_cmp_ne_u32_e64 s[0:1], 0, v20
	v_cndmask_b32_e64 v11, 1, 2, vcc
	v_cmp_eq_u32_e32 vcc, 0, v14
	v_and_b32_e32 v10, v10, v11
	s_nop 0
	v_cndmask_b32_e64 v11, 1, 2, vcc
	v_cmp_eq_u32_e32 vcc, 0, v15
	v_and_b32_e32 v10, v10, v11
	s_barrier
	v_cndmask_b32_e64 v11, 1, 2, vcc
	v_cmp_eq_u32_e32 vcc, 0, v16
	v_and_b32_e32 v10, v10, v11
	s_nop 0
	v_cndmask_b32_e64 v11, 1, 2, vcc
	v_cmp_eq_u32_e32 vcc, 0, v17
	v_and_b32_e32 v10, v10, v11
	s_nop 0
	;; [unrolled: 4-line block ×5, first 2 shown]
	v_cndmask_b32_e64 v11, 1, 2, vcc
	v_and_b32_e32 v13, v10, v11
	v_cmp_gt_u32_e32 vcc, s30, v12
	v_cmp_gt_i16_e64 s[30:31], 2, v13
	s_cbranch_vccz .LBB737_126
; %bb.120:
	s_and_saveexec_b64 s[36:37], s[30:31]
	s_cbranch_execz .LBB737_125
; %bb.121:
	v_lshlrev_b64 v[10:11], 3, v[8:9]
	v_lshl_add_u64 v[10:11], v[2:3], 0, v[10:11]
	v_cmp_ne_u16_e32 vcc, 1, v13
	s_mov_b64 s[38:39], 0
	s_and_saveexec_b64 s[30:31], vcc
	s_xor_b64 s[30:31], exec, s[30:31]
	s_cbranch_execnz .LBB737_175
; %bb.122:
	s_andn2_saveexec_b64 s[30:31], s[30:31]
	s_cbranch_execnz .LBB737_191
.LBB737_123:
	s_or_b64 exec, exec, s[30:31]
	s_and_b64 exec, exec, s[38:39]
	s_cbranch_execz .LBB737_125
.LBB737_124:
	v_mov_b32_e32 v15, 0
	v_sub_u32_e32 v16, v38, v1
	v_mov_b32_e32 v17, v15
	v_mov_b32_e32 v14, v39
	v_lshl_add_u64 v[10:11], v[16:17], 3, v[10:11]
	global_store_dwordx2 v[10:11], v[14:15], off
.LBB737_125:
	s_or_b64 exec, exec, s[36:37]
	s_mov_b64 s[36:37], 0
.LBB737_126:
	s_and_b64 vcc, exec, s[36:37]
	s_cbranch_vccz .LBB737_136
; %bb.127:
	v_cmp_gt_i16_e32 vcc, 2, v13
	s_and_saveexec_b64 s[30:31], vcc
	s_cbranch_execz .LBB737_132
; %bb.128:
	v_cmp_ne_u16_e32 vcc, 1, v13
	s_mov_b64 s[38:39], 0
	s_and_saveexec_b64 s[36:37], vcc
	s_xor_b64 s[36:37], exec, s[36:37]
	s_cbranch_execnz .LBB737_192
; %bb.129:
	s_andn2_saveexec_b64 s[0:1], s[36:37]
	s_cbranch_execnz .LBB737_208
.LBB737_130:
	s_or_b64 exec, exec, s[0:1]
	s_and_b64 exec, exec, s[38:39]
	s_cbranch_execz .LBB737_132
.LBB737_131:
	v_sub_u32_e32 v1, v38, v1
	v_lshlrev_b32_e32 v1, 2, v1
	ds_write_b32 v1, v39
.LBB737_132:
	s_or_b64 exec, exec, s[30:31]
	v_cmp_lt_u32_e32 vcc, v0, v12
	s_waitcnt lgkmcnt(0)
	s_barrier
	s_and_saveexec_b64 s[0:1], vcc
	s_cbranch_execz .LBB737_135
; %bb.133:
	v_lshlrev_b64 v[8:9], 3, v[8:9]
	v_lshl_add_u64 v[4:5], v[4:5], 0, v[8:9]
	v_lshl_add_u64 v[6:7], v[4:5], 0, v[6:7]
	v_lshlrev_b32_e32 v4, 3, v0
	v_mov_b32_e32 v5, 0
	v_lshl_add_u64 v[6:7], s[42:43], 0, v[6:7]
	v_lshlrev_b32_e32 v1, 2, v0
	v_lshl_add_u64 v[6:7], v[6:7], 0, v[4:5]
	s_mov_b64 s[2:3], 0
	s_mov_b64 s[4:5], 0x1000
	v_mov_b32_e32 v8, v0
.LBB737_134:                            ; =>This Inner Loop Header: Depth=1
	ds_read_b32 v4, v1
	v_add_u32_e32 v8, 0x200, v8
	v_cmp_ge_u32_e32 vcc, v8, v12
	v_add_u32_e32 v1, 0x800, v1
	s_or_b64 s[2:3], vcc, s[2:3]
	s_waitcnt lgkmcnt(0)
	global_store_dwordx2 v[6:7], v[4:5], off
	v_lshl_add_u64 v[6:7], v[6:7], 0, s[4:5]
	s_andn2_b64 exec, exec, s[2:3]
	s_cbranch_execnz .LBB737_134
.LBB737_135:
	s_or_b64 exec, exec, s[0:1]
.LBB737_136:
	s_movk_i32 s0, 0x1ff
	v_cmp_eq_u32_e32 vcc, s0, v0
	s_and_b64 s[0:1], vcc, s[34:35]
	s_and_saveexec_b64 s[2:3], s[0:1]
	s_cbranch_execz .LBB737_139
; %bb.137:
	v_mov_b32_e32 v31, 0
	v_lshl_add_u64 v[0:1], v[30:31], 0, v[32:33]
	v_lshl_add_u64 v[0:1], v[0:1], 0, v[68:69]
	s_cmpk_lg_i32 s33, 0x1e00
	global_store_dwordx2 v31, v[0:1], s[44:45]
	s_cbranch_scc1 .LBB737_139
; %bb.138:
	v_lshlrev_b64 v[0:1], 3, v[30:31]
	v_mov_b32_e32 v35, v31
	v_lshl_add_u64 v[0:1], v[2:3], 0, v[0:1]
	global_store_dwordx2 v[0:1], v[34:35], off offset:-8
.LBB737_139:
	s_endpgm
.LBB737_140:
	s_or_b64 exec, exec, s[10:11]
	v_mov_b32_e32 v85, s3
	s_and_saveexec_b64 s[8:9], s[6:7]
	s_cbranch_execnz .LBB737_56
	s_branch .LBB737_57
.LBB737_141:
	s_and_saveexec_b64 s[38:39], s[28:29]
	s_cbranch_execnz .LBB737_209
; %bb.142:
	s_or_b64 exec, exec, s[38:39]
	s_and_saveexec_b64 s[38:39], s[26:27]
	s_cbranch_execnz .LBB737_210
.LBB737_143:
	s_or_b64 exec, exec, s[38:39]
	s_and_saveexec_b64 s[38:39], s[24:25]
	s_cbranch_execnz .LBB737_211
.LBB737_144:
	s_or_b64 exec, exec, s[38:39]
	s_and_saveexec_b64 s[38:39], s[22:23]
	s_cbranch_execnz .LBB737_212
.LBB737_145:
	s_or_b64 exec, exec, s[38:39]
	s_and_saveexec_b64 s[38:39], s[20:21]
	s_cbranch_execnz .LBB737_213
.LBB737_146:
	s_or_b64 exec, exec, s[38:39]
	s_and_saveexec_b64 s[38:39], s[18:19]
	s_cbranch_execnz .LBB737_214
.LBB737_147:
	s_or_b64 exec, exec, s[38:39]
	s_and_saveexec_b64 s[38:39], s[16:17]
	s_cbranch_execnz .LBB737_215
.LBB737_148:
	s_or_b64 exec, exec, s[38:39]
	s_and_saveexec_b64 s[38:39], s[14:15]
	s_cbranch_execnz .LBB737_216
.LBB737_149:
	s_or_b64 exec, exec, s[38:39]
	s_and_saveexec_b64 s[38:39], s[12:13]
	s_cbranch_execnz .LBB737_217
.LBB737_150:
	s_or_b64 exec, exec, s[38:39]
	s_and_saveexec_b64 s[38:39], s[10:11]
	s_cbranch_execnz .LBB737_218
.LBB737_151:
	s_or_b64 exec, exec, s[38:39]
	s_and_saveexec_b64 s[38:39], s[8:9]
	s_cbranch_execnz .LBB737_219
.LBB737_152:
	s_or_b64 exec, exec, s[38:39]
	s_and_saveexec_b64 s[38:39], s[6:7]
	s_cbranch_execnz .LBB737_220
.LBB737_153:
	s_or_b64 exec, exec, s[38:39]
	s_and_saveexec_b64 s[38:39], s[4:5]
	s_cbranch_execnz .LBB737_221
.LBB737_154:
	s_or_b64 exec, exec, s[38:39]
	s_and_saveexec_b64 s[38:39], s[2:3]
	s_cbranch_execz .LBB737_156
.LBB737_155:
	v_sub_u32_e32 v86, v36, v32
	v_mov_b32_e32 v87, 0
	v_lshl_add_u64 v[86:87], v[86:87], 3, v[70:71]
	global_store_dwordx2 v[86:87], v[8:9], off
.LBB737_156:
	s_or_b64 exec, exec, s[38:39]
	s_and_b64 s[38:39], s[0:1], exec
	s_andn2_saveexec_b64 s[30:31], s[30:31]
	s_cbranch_execz .LBB737_106
.LBB737_157:
	v_sub_u32_e32 v86, v66, v32
	v_mov_b32_e32 v87, 0
	v_lshl_add_u64 v[88:89], v[86:87], 3, v[70:71]
	v_sub_u32_e32 v86, v64, v32
	global_store_dwordx2 v[88:89], v[26:27], off
	v_lshl_add_u64 v[88:89], v[86:87], 3, v[70:71]
	v_sub_u32_e32 v86, v62, v32
	global_store_dwordx2 v[88:89], v[28:29], off
	;; [unrolled: 3-line block ×12, first 2 shown]
	v_lshl_add_u64 v[88:89], v[86:87], 3, v[70:71]
	v_sub_u32_e32 v86, v36, v32
	v_lshl_add_u64 v[86:87], v[86:87], 3, v[70:71]
	s_or_b64 s[38:39], s[38:39], exec
	global_store_dwordx2 v[88:89], v[6:7], off
	global_store_dwordx2 v[86:87], v[8:9], off
	s_or_b64 exec, exec, s[30:31]
	s_and_b64 exec, exec, s[38:39]
	s_cbranch_execnz .LBB737_107
	s_branch .LBB737_108
.LBB737_158:
	s_and_saveexec_b64 s[38:39], s[28:29]
	s_cbranch_execnz .LBB737_222
; %bb.159:
	s_or_b64 exec, exec, s[38:39]
	s_and_saveexec_b64 s[28:29], s[26:27]
	s_cbranch_execnz .LBB737_223
.LBB737_160:
	s_or_b64 exec, exec, s[28:29]
	s_and_saveexec_b64 s[26:27], s[24:25]
	s_cbranch_execnz .LBB737_224
.LBB737_161:
	s_or_b64 exec, exec, s[26:27]
	s_and_saveexec_b64 s[24:25], s[22:23]
	s_cbranch_execnz .LBB737_225
.LBB737_162:
	s_or_b64 exec, exec, s[24:25]
	s_and_saveexec_b64 s[22:23], s[20:21]
	s_cbranch_execnz .LBB737_226
.LBB737_163:
	s_or_b64 exec, exec, s[22:23]
	s_and_saveexec_b64 s[20:21], s[18:19]
	s_cbranch_execnz .LBB737_227
.LBB737_164:
	s_or_b64 exec, exec, s[20:21]
	s_and_saveexec_b64 s[18:19], s[16:17]
	s_cbranch_execnz .LBB737_228
.LBB737_165:
	s_or_b64 exec, exec, s[18:19]
	s_and_saveexec_b64 s[16:17], s[14:15]
	s_cbranch_execnz .LBB737_229
.LBB737_166:
	s_or_b64 exec, exec, s[16:17]
	s_and_saveexec_b64 s[14:15], s[12:13]
	s_cbranch_execnz .LBB737_230
.LBB737_167:
	s_or_b64 exec, exec, s[14:15]
	s_and_saveexec_b64 s[12:13], s[10:11]
	s_cbranch_execnz .LBB737_231
.LBB737_168:
	s_or_b64 exec, exec, s[12:13]
	s_and_saveexec_b64 s[10:11], s[8:9]
	s_cbranch_execnz .LBB737_232
.LBB737_169:
	s_or_b64 exec, exec, s[10:11]
	s_and_saveexec_b64 s[8:9], s[6:7]
	s_cbranch_execnz .LBB737_233
.LBB737_170:
	s_or_b64 exec, exec, s[8:9]
	s_and_saveexec_b64 s[6:7], s[4:5]
	s_cbranch_execnz .LBB737_234
.LBB737_171:
	s_or_b64 exec, exec, s[6:7]
	s_and_saveexec_b64 s[4:5], s[2:3]
	s_cbranch_execz .LBB737_173
.LBB737_172:
	v_sub_u32_e32 v2, v36, v32
	v_lshlrev_b32_e32 v2, 3, v2
	ds_write_b64 v2, v[8:9]
.LBB737_173:
	s_or_b64 exec, exec, s[4:5]
	s_and_b64 s[38:39], s[0:1], exec
                                        ; implicit-def: $vgpr8_vgpr9
                                        ; implicit-def: $vgpr4_vgpr5
                                        ; implicit-def: $vgpr12_vgpr13
                                        ; implicit-def: $vgpr16_vgpr17
                                        ; implicit-def: $vgpr20_vgpr21
                                        ; implicit-def: $vgpr24_vgpr25
                                        ; implicit-def: $vgpr28_vgpr29
	s_andn2_saveexec_b64 s[0:1], s[36:37]
	s_cbranch_execz .LBB737_113
.LBB737_174:
	v_sub_u32_e32 v31, v66, v32
	v_lshlrev_b32_e32 v31, 3, v31
	ds_write_b64 v31, v[26:27]
	v_sub_u32_e32 v26, v64, v32
	v_lshlrev_b32_e32 v26, 3, v26
	ds_write_b64 v26, v[28:29]
	;; [unrolled: 3-line block ×13, first 2 shown]
	v_sub_u32_e32 v2, v36, v32
	v_lshlrev_b32_e32 v2, 3, v2
	s_or_b64 s[38:39], s[38:39], exec
	ds_write_b64 v2, v[8:9]
	s_or_b64 exec, exec, s[0:1]
	s_and_b64 exec, exec, s[38:39]
	s_cbranch_execnz .LBB737_114
	s_branch .LBB737_115
.LBB737_175:
	s_and_saveexec_b64 s[38:39], s[28:29]
	s_cbranch_execnz .LBB737_235
; %bb.176:
	s_or_b64 exec, exec, s[38:39]
	s_and_saveexec_b64 s[38:39], s[26:27]
	s_cbranch_execnz .LBB737_236
.LBB737_177:
	s_or_b64 exec, exec, s[38:39]
	s_and_saveexec_b64 s[38:39], s[24:25]
	s_cbranch_execnz .LBB737_237
.LBB737_178:
	s_or_b64 exec, exec, s[38:39]
	s_and_saveexec_b64 s[38:39], s[22:23]
	s_cbranch_execnz .LBB737_238
.LBB737_179:
	s_or_b64 exec, exec, s[38:39]
	s_and_saveexec_b64 s[38:39], s[20:21]
	s_cbranch_execnz .LBB737_239
.LBB737_180:
	s_or_b64 exec, exec, s[38:39]
	s_and_saveexec_b64 s[38:39], s[18:19]
	s_cbranch_execnz .LBB737_240
.LBB737_181:
	s_or_b64 exec, exec, s[38:39]
	s_and_saveexec_b64 s[38:39], s[16:17]
	s_cbranch_execnz .LBB737_241
.LBB737_182:
	s_or_b64 exec, exec, s[38:39]
	s_and_saveexec_b64 s[38:39], s[14:15]
	s_cbranch_execnz .LBB737_242
.LBB737_183:
	s_or_b64 exec, exec, s[38:39]
	s_and_saveexec_b64 s[38:39], s[12:13]
	s_cbranch_execnz .LBB737_243
.LBB737_184:
	s_or_b64 exec, exec, s[38:39]
	s_and_saveexec_b64 s[38:39], s[10:11]
	s_cbranch_execnz .LBB737_244
.LBB737_185:
	s_or_b64 exec, exec, s[38:39]
	s_and_saveexec_b64 s[38:39], s[8:9]
	s_cbranch_execnz .LBB737_245
.LBB737_186:
	s_or_b64 exec, exec, s[38:39]
	s_and_saveexec_b64 s[38:39], s[6:7]
	s_cbranch_execnz .LBB737_246
.LBB737_187:
	s_or_b64 exec, exec, s[38:39]
	s_and_saveexec_b64 s[38:39], s[4:5]
	s_cbranch_execnz .LBB737_247
.LBB737_188:
	s_or_b64 exec, exec, s[38:39]
	s_and_saveexec_b64 s[38:39], s[2:3]
	s_cbranch_execz .LBB737_190
.LBB737_189:
	v_sub_u32_e32 v14, v36, v1
	v_mov_b32_e32 v15, 0
	v_lshl_add_u64 v[16:17], v[14:15], 3, v[10:11]
	v_mov_b32_e32 v14, v37
	global_store_dwordx2 v[16:17], v[14:15], off
.LBB737_190:
	s_or_b64 exec, exec, s[38:39]
	s_and_b64 s[38:39], s[0:1], exec
	s_andn2_saveexec_b64 s[30:31], s[30:31]
	s_cbranch_execz .LBB737_123
.LBB737_191:
	v_mov_b32_e32 v15, 0
	v_sub_u32_e32 v16, v66, v1
	v_mov_b32_e32 v17, v15
	v_mov_b32_e32 v14, v67
	v_lshl_add_u64 v[16:17], v[16:17], 3, v[10:11]
	global_store_dwordx2 v[16:17], v[14:15], off
	v_sub_u32_e32 v16, v64, v1
	v_mov_b32_e32 v17, v15
	v_mov_b32_e32 v14, v65
	v_lshl_add_u64 v[16:17], v[16:17], 3, v[10:11]
	global_store_dwordx2 v[16:17], v[14:15], off
	;; [unrolled: 5-line block ×13, first 2 shown]
	v_sub_u32_e32 v16, v36, v1
	v_mov_b32_e32 v17, v15
	v_mov_b32_e32 v14, v37
	v_lshl_add_u64 v[16:17], v[16:17], 3, v[10:11]
	s_or_b64 s[38:39], s[38:39], exec
	global_store_dwordx2 v[16:17], v[14:15], off
	s_or_b64 exec, exec, s[30:31]
	s_and_b64 exec, exec, s[38:39]
	s_cbranch_execnz .LBB737_124
	s_branch .LBB737_125
.LBB737_192:
	s_and_saveexec_b64 s[38:39], s[28:29]
	s_cbranch_execnz .LBB737_248
; %bb.193:
	s_or_b64 exec, exec, s[38:39]
	s_and_saveexec_b64 s[28:29], s[26:27]
	s_cbranch_execnz .LBB737_249
.LBB737_194:
	s_or_b64 exec, exec, s[28:29]
	s_and_saveexec_b64 s[26:27], s[24:25]
	s_cbranch_execnz .LBB737_250
.LBB737_195:
	s_or_b64 exec, exec, s[26:27]
	s_and_saveexec_b64 s[24:25], s[22:23]
	s_cbranch_execnz .LBB737_251
.LBB737_196:
	s_or_b64 exec, exec, s[24:25]
	s_and_saveexec_b64 s[22:23], s[20:21]
	s_cbranch_execnz .LBB737_252
.LBB737_197:
	s_or_b64 exec, exec, s[22:23]
	s_and_saveexec_b64 s[20:21], s[18:19]
	s_cbranch_execnz .LBB737_253
.LBB737_198:
	s_or_b64 exec, exec, s[20:21]
	s_and_saveexec_b64 s[18:19], s[16:17]
	s_cbranch_execnz .LBB737_254
.LBB737_199:
	s_or_b64 exec, exec, s[18:19]
	s_and_saveexec_b64 s[16:17], s[14:15]
	s_cbranch_execnz .LBB737_255
.LBB737_200:
	s_or_b64 exec, exec, s[16:17]
	s_and_saveexec_b64 s[14:15], s[12:13]
	s_cbranch_execnz .LBB737_256
.LBB737_201:
	s_or_b64 exec, exec, s[14:15]
	s_and_saveexec_b64 s[12:13], s[10:11]
	s_cbranch_execnz .LBB737_257
.LBB737_202:
	s_or_b64 exec, exec, s[12:13]
	s_and_saveexec_b64 s[10:11], s[8:9]
	s_cbranch_execnz .LBB737_258
.LBB737_203:
	s_or_b64 exec, exec, s[10:11]
	s_and_saveexec_b64 s[8:9], s[6:7]
	s_cbranch_execnz .LBB737_259
.LBB737_204:
	s_or_b64 exec, exec, s[8:9]
	s_and_saveexec_b64 s[6:7], s[4:5]
	s_cbranch_execnz .LBB737_260
.LBB737_205:
	s_or_b64 exec, exec, s[6:7]
	s_and_saveexec_b64 s[4:5], s[2:3]
	s_cbranch_execz .LBB737_207
.LBB737_206:
	v_sub_u32_e32 v10, v36, v1
	v_lshlrev_b32_e32 v10, 2, v10
	ds_write_b32 v10, v37
.LBB737_207:
	s_or_b64 exec, exec, s[4:5]
	s_and_b64 s[38:39], s[0:1], exec
                                        ; implicit-def: $vgpr36_vgpr37
                                        ; implicit-def: $vgpr40_vgpr41
                                        ; implicit-def: $vgpr42_vgpr43
                                        ; implicit-def: $vgpr66_vgpr67
                                        ; implicit-def: $vgpr64_vgpr65
                                        ; implicit-def: $vgpr62_vgpr63
                                        ; implicit-def: $vgpr60_vgpr61
                                        ; implicit-def: $vgpr58_vgpr59
                                        ; implicit-def: $vgpr56_vgpr57
                                        ; implicit-def: $vgpr54_vgpr55
                                        ; implicit-def: $vgpr52_vgpr53
                                        ; implicit-def: $vgpr50_vgpr51
                                        ; implicit-def: $vgpr48_vgpr49
                                        ; implicit-def: $vgpr44_vgpr45
	s_andn2_saveexec_b64 s[0:1], s[36:37]
	s_cbranch_execz .LBB737_130
.LBB737_208:
	v_sub_u32_e32 v10, v66, v1
	v_lshlrev_b32_e32 v10, 2, v10
	ds_write_b32 v10, v67
	v_sub_u32_e32 v10, v64, v1
	v_lshlrev_b32_e32 v10, 2, v10
	ds_write_b32 v10, v65
	;; [unrolled: 3-line block ×13, first 2 shown]
	v_sub_u32_e32 v10, v36, v1
	v_lshlrev_b32_e32 v10, 2, v10
	s_or_b64 s[38:39], s[38:39], exec
	ds_write_b32 v10, v37
	s_or_b64 exec, exec, s[0:1]
	s_and_b64 exec, exec, s[38:39]
	s_cbranch_execnz .LBB737_131
	s_branch .LBB737_132
.LBB737_209:
	v_sub_u32_e32 v86, v66, v32
	v_mov_b32_e32 v87, 0
	v_lshl_add_u64 v[86:87], v[86:87], 3, v[70:71]
	global_store_dwordx2 v[86:87], v[26:27], off
	s_or_b64 exec, exec, s[38:39]
	s_and_saveexec_b64 s[38:39], s[26:27]
	s_cbranch_execz .LBB737_143
.LBB737_210:
	v_sub_u32_e32 v86, v64, v32
	v_mov_b32_e32 v87, 0
	v_lshl_add_u64 v[86:87], v[86:87], 3, v[70:71]
	global_store_dwordx2 v[86:87], v[28:29], off
	s_or_b64 exec, exec, s[38:39]
	s_and_saveexec_b64 s[38:39], s[24:25]
	s_cbranch_execz .LBB737_144
.LBB737_211:
	v_sub_u32_e32 v86, v62, v32
	v_mov_b32_e32 v87, 0
	v_lshl_add_u64 v[86:87], v[86:87], 3, v[70:71]
	global_store_dwordx2 v[86:87], v[22:23], off
	s_or_b64 exec, exec, s[38:39]
	s_and_saveexec_b64 s[38:39], s[22:23]
	s_cbranch_execz .LBB737_145
.LBB737_212:
	v_sub_u32_e32 v86, v60, v32
	v_mov_b32_e32 v87, 0
	v_lshl_add_u64 v[86:87], v[86:87], 3, v[70:71]
	global_store_dwordx2 v[86:87], v[24:25], off
	s_or_b64 exec, exec, s[38:39]
	s_and_saveexec_b64 s[38:39], s[20:21]
	s_cbranch_execz .LBB737_146
.LBB737_213:
	v_sub_u32_e32 v86, v58, v32
	v_mov_b32_e32 v87, 0
	v_lshl_add_u64 v[86:87], v[86:87], 3, v[70:71]
	global_store_dwordx2 v[86:87], v[18:19], off
	s_or_b64 exec, exec, s[38:39]
	s_and_saveexec_b64 s[38:39], s[18:19]
	s_cbranch_execz .LBB737_147
.LBB737_214:
	v_sub_u32_e32 v86, v56, v32
	v_mov_b32_e32 v87, 0
	v_lshl_add_u64 v[86:87], v[86:87], 3, v[70:71]
	global_store_dwordx2 v[86:87], v[20:21], off
	s_or_b64 exec, exec, s[38:39]
	s_and_saveexec_b64 s[38:39], s[16:17]
	s_cbranch_execz .LBB737_148
.LBB737_215:
	v_sub_u32_e32 v86, v54, v32
	v_mov_b32_e32 v87, 0
	v_lshl_add_u64 v[86:87], v[86:87], 3, v[70:71]
	global_store_dwordx2 v[86:87], v[14:15], off
	s_or_b64 exec, exec, s[38:39]
	s_and_saveexec_b64 s[38:39], s[14:15]
	s_cbranch_execz .LBB737_149
.LBB737_216:
	v_sub_u32_e32 v86, v52, v32
	v_mov_b32_e32 v87, 0
	v_lshl_add_u64 v[86:87], v[86:87], 3, v[70:71]
	global_store_dwordx2 v[86:87], v[16:17], off
	s_or_b64 exec, exec, s[38:39]
	s_and_saveexec_b64 s[38:39], s[12:13]
	s_cbranch_execz .LBB737_150
.LBB737_217:
	v_sub_u32_e32 v86, v50, v32
	v_mov_b32_e32 v87, 0
	v_lshl_add_u64 v[86:87], v[86:87], 3, v[70:71]
	global_store_dwordx2 v[86:87], v[10:11], off
	s_or_b64 exec, exec, s[38:39]
	s_and_saveexec_b64 s[38:39], s[10:11]
	s_cbranch_execz .LBB737_151
.LBB737_218:
	v_sub_u32_e32 v86, v48, v32
	v_mov_b32_e32 v87, 0
	v_lshl_add_u64 v[86:87], v[86:87], 3, v[70:71]
	global_store_dwordx2 v[86:87], v[12:13], off
	s_or_b64 exec, exec, s[38:39]
	s_and_saveexec_b64 s[38:39], s[8:9]
	s_cbranch_execz .LBB737_152
.LBB737_219:
	v_sub_u32_e32 v86, v44, v32
	v_mov_b32_e32 v87, 0
	v_lshl_add_u64 v[86:87], v[86:87], 3, v[70:71]
	global_store_dwordx2 v[86:87], v[2:3], off
	s_or_b64 exec, exec, s[38:39]
	s_and_saveexec_b64 s[38:39], s[6:7]
	s_cbranch_execz .LBB737_153
.LBB737_220:
	v_sub_u32_e32 v86, v42, v32
	v_mov_b32_e32 v87, 0
	v_lshl_add_u64 v[86:87], v[86:87], 3, v[70:71]
	global_store_dwordx2 v[86:87], v[4:5], off
	s_or_b64 exec, exec, s[38:39]
	s_and_saveexec_b64 s[38:39], s[4:5]
	s_cbranch_execz .LBB737_154
.LBB737_221:
	v_sub_u32_e32 v86, v40, v32
	v_mov_b32_e32 v87, 0
	v_lshl_add_u64 v[86:87], v[86:87], 3, v[70:71]
	global_store_dwordx2 v[86:87], v[6:7], off
	s_or_b64 exec, exec, s[38:39]
	s_and_saveexec_b64 s[38:39], s[2:3]
	s_cbranch_execnz .LBB737_155
	s_branch .LBB737_156
.LBB737_222:
	v_sub_u32_e32 v31, v66, v32
	v_lshlrev_b32_e32 v31, 3, v31
	ds_write_b64 v31, v[26:27]
	s_or_b64 exec, exec, s[38:39]
	s_and_saveexec_b64 s[28:29], s[26:27]
	s_cbranch_execz .LBB737_160
.LBB737_223:
	v_sub_u32_e32 v26, v64, v32
	v_lshlrev_b32_e32 v26, 3, v26
	ds_write_b64 v26, v[28:29]
	s_or_b64 exec, exec, s[28:29]
	s_and_saveexec_b64 s[26:27], s[24:25]
	s_cbranch_execz .LBB737_161
.LBB737_224:
	v_sub_u32_e32 v26, v62, v32
	v_lshlrev_b32_e32 v26, 3, v26
	ds_write_b64 v26, v[22:23]
	s_or_b64 exec, exec, s[26:27]
	s_and_saveexec_b64 s[24:25], s[22:23]
	s_cbranch_execz .LBB737_162
.LBB737_225:
	v_sub_u32_e32 v22, v60, v32
	v_lshlrev_b32_e32 v22, 3, v22
	ds_write_b64 v22, v[24:25]
	s_or_b64 exec, exec, s[24:25]
	s_and_saveexec_b64 s[22:23], s[20:21]
	s_cbranch_execz .LBB737_163
.LBB737_226:
	v_sub_u32_e32 v22, v58, v32
	v_lshlrev_b32_e32 v22, 3, v22
	ds_write_b64 v22, v[18:19]
	s_or_b64 exec, exec, s[22:23]
	s_and_saveexec_b64 s[20:21], s[18:19]
	s_cbranch_execz .LBB737_164
.LBB737_227:
	v_sub_u32_e32 v18, v56, v32
	v_lshlrev_b32_e32 v18, 3, v18
	ds_write_b64 v18, v[20:21]
	s_or_b64 exec, exec, s[20:21]
	s_and_saveexec_b64 s[18:19], s[16:17]
	s_cbranch_execz .LBB737_165
.LBB737_228:
	v_sub_u32_e32 v18, v54, v32
	v_lshlrev_b32_e32 v18, 3, v18
	ds_write_b64 v18, v[14:15]
	s_or_b64 exec, exec, s[18:19]
	s_and_saveexec_b64 s[16:17], s[14:15]
	s_cbranch_execz .LBB737_166
.LBB737_229:
	v_sub_u32_e32 v14, v52, v32
	v_lshlrev_b32_e32 v14, 3, v14
	ds_write_b64 v14, v[16:17]
	s_or_b64 exec, exec, s[16:17]
	s_and_saveexec_b64 s[14:15], s[12:13]
	s_cbranch_execz .LBB737_167
.LBB737_230:
	v_sub_u32_e32 v14, v50, v32
	v_lshlrev_b32_e32 v14, 3, v14
	ds_write_b64 v14, v[10:11]
	s_or_b64 exec, exec, s[14:15]
	s_and_saveexec_b64 s[12:13], s[10:11]
	s_cbranch_execz .LBB737_168
.LBB737_231:
	v_sub_u32_e32 v10, v48, v32
	v_lshlrev_b32_e32 v10, 3, v10
	ds_write_b64 v10, v[12:13]
	s_or_b64 exec, exec, s[12:13]
	s_and_saveexec_b64 s[10:11], s[8:9]
	s_cbranch_execz .LBB737_169
.LBB737_232:
	v_sub_u32_e32 v10, v44, v32
	v_lshlrev_b32_e32 v10, 3, v10
	ds_write_b64 v10, v[2:3]
	s_or_b64 exec, exec, s[10:11]
	s_and_saveexec_b64 s[8:9], s[6:7]
	s_cbranch_execz .LBB737_170
.LBB737_233:
	v_sub_u32_e32 v2, v42, v32
	v_lshlrev_b32_e32 v2, 3, v2
	ds_write_b64 v2, v[4:5]
	s_or_b64 exec, exec, s[8:9]
	s_and_saveexec_b64 s[6:7], s[4:5]
	s_cbranch_execz .LBB737_171
.LBB737_234:
	v_sub_u32_e32 v2, v40, v32
	v_lshlrev_b32_e32 v2, 3, v2
	ds_write_b64 v2, v[6:7]
	s_or_b64 exec, exec, s[6:7]
	s_and_saveexec_b64 s[4:5], s[2:3]
	s_cbranch_execnz .LBB737_172
	s_branch .LBB737_173
.LBB737_235:
	v_sub_u32_e32 v14, v66, v1
	v_mov_b32_e32 v15, 0
	v_lshl_add_u64 v[16:17], v[14:15], 3, v[10:11]
	v_mov_b32_e32 v14, v67
	global_store_dwordx2 v[16:17], v[14:15], off
	s_or_b64 exec, exec, s[38:39]
	s_and_saveexec_b64 s[38:39], s[26:27]
	s_cbranch_execz .LBB737_177
.LBB737_236:
	v_sub_u32_e32 v14, v64, v1
	v_mov_b32_e32 v15, 0
	v_lshl_add_u64 v[16:17], v[14:15], 3, v[10:11]
	v_mov_b32_e32 v14, v65
	global_store_dwordx2 v[16:17], v[14:15], off
	s_or_b64 exec, exec, s[38:39]
	s_and_saveexec_b64 s[38:39], s[24:25]
	s_cbranch_execz .LBB737_178
.LBB737_237:
	v_sub_u32_e32 v14, v62, v1
	v_mov_b32_e32 v15, 0
	v_lshl_add_u64 v[16:17], v[14:15], 3, v[10:11]
	v_mov_b32_e32 v14, v63
	global_store_dwordx2 v[16:17], v[14:15], off
	s_or_b64 exec, exec, s[38:39]
	s_and_saveexec_b64 s[38:39], s[22:23]
	s_cbranch_execz .LBB737_179
.LBB737_238:
	v_sub_u32_e32 v14, v60, v1
	v_mov_b32_e32 v15, 0
	v_lshl_add_u64 v[16:17], v[14:15], 3, v[10:11]
	v_mov_b32_e32 v14, v61
	global_store_dwordx2 v[16:17], v[14:15], off
	s_or_b64 exec, exec, s[38:39]
	s_and_saveexec_b64 s[38:39], s[20:21]
	s_cbranch_execz .LBB737_180
.LBB737_239:
	v_sub_u32_e32 v14, v58, v1
	v_mov_b32_e32 v15, 0
	v_lshl_add_u64 v[16:17], v[14:15], 3, v[10:11]
	v_mov_b32_e32 v14, v59
	global_store_dwordx2 v[16:17], v[14:15], off
	s_or_b64 exec, exec, s[38:39]
	s_and_saveexec_b64 s[38:39], s[18:19]
	s_cbranch_execz .LBB737_181
.LBB737_240:
	v_sub_u32_e32 v14, v56, v1
	v_mov_b32_e32 v15, 0
	v_lshl_add_u64 v[16:17], v[14:15], 3, v[10:11]
	v_mov_b32_e32 v14, v57
	global_store_dwordx2 v[16:17], v[14:15], off
	s_or_b64 exec, exec, s[38:39]
	s_and_saveexec_b64 s[38:39], s[16:17]
	s_cbranch_execz .LBB737_182
.LBB737_241:
	v_sub_u32_e32 v14, v54, v1
	v_mov_b32_e32 v15, 0
	v_lshl_add_u64 v[16:17], v[14:15], 3, v[10:11]
	v_mov_b32_e32 v14, v55
	global_store_dwordx2 v[16:17], v[14:15], off
	s_or_b64 exec, exec, s[38:39]
	s_and_saveexec_b64 s[38:39], s[14:15]
	s_cbranch_execz .LBB737_183
.LBB737_242:
	v_sub_u32_e32 v14, v52, v1
	v_mov_b32_e32 v15, 0
	v_lshl_add_u64 v[16:17], v[14:15], 3, v[10:11]
	v_mov_b32_e32 v14, v53
	global_store_dwordx2 v[16:17], v[14:15], off
	s_or_b64 exec, exec, s[38:39]
	s_and_saveexec_b64 s[38:39], s[12:13]
	s_cbranch_execz .LBB737_184
.LBB737_243:
	v_sub_u32_e32 v14, v50, v1
	v_mov_b32_e32 v15, 0
	v_lshl_add_u64 v[16:17], v[14:15], 3, v[10:11]
	v_mov_b32_e32 v14, v51
	global_store_dwordx2 v[16:17], v[14:15], off
	s_or_b64 exec, exec, s[38:39]
	s_and_saveexec_b64 s[38:39], s[10:11]
	s_cbranch_execz .LBB737_185
.LBB737_244:
	v_sub_u32_e32 v14, v48, v1
	v_mov_b32_e32 v15, 0
	v_lshl_add_u64 v[16:17], v[14:15], 3, v[10:11]
	v_mov_b32_e32 v14, v49
	global_store_dwordx2 v[16:17], v[14:15], off
	s_or_b64 exec, exec, s[38:39]
	s_and_saveexec_b64 s[38:39], s[8:9]
	s_cbranch_execz .LBB737_186
.LBB737_245:
	v_sub_u32_e32 v14, v44, v1
	v_mov_b32_e32 v15, 0
	v_lshl_add_u64 v[16:17], v[14:15], 3, v[10:11]
	v_mov_b32_e32 v14, v45
	global_store_dwordx2 v[16:17], v[14:15], off
	s_or_b64 exec, exec, s[38:39]
	s_and_saveexec_b64 s[38:39], s[6:7]
	s_cbranch_execz .LBB737_187
.LBB737_246:
	v_sub_u32_e32 v14, v42, v1
	v_mov_b32_e32 v15, 0
	v_lshl_add_u64 v[16:17], v[14:15], 3, v[10:11]
	v_mov_b32_e32 v14, v43
	global_store_dwordx2 v[16:17], v[14:15], off
	s_or_b64 exec, exec, s[38:39]
	s_and_saveexec_b64 s[38:39], s[4:5]
	s_cbranch_execz .LBB737_188
.LBB737_247:
	v_sub_u32_e32 v14, v40, v1
	v_mov_b32_e32 v15, 0
	v_lshl_add_u64 v[16:17], v[14:15], 3, v[10:11]
	v_mov_b32_e32 v14, v41
	global_store_dwordx2 v[16:17], v[14:15], off
	s_or_b64 exec, exec, s[38:39]
	s_and_saveexec_b64 s[38:39], s[2:3]
	s_cbranch_execnz .LBB737_189
	s_branch .LBB737_190
.LBB737_248:
	v_sub_u32_e32 v10, v66, v1
	v_lshlrev_b32_e32 v10, 2, v10
	ds_write_b32 v10, v67
	s_or_b64 exec, exec, s[38:39]
	s_and_saveexec_b64 s[28:29], s[26:27]
	s_cbranch_execz .LBB737_194
.LBB737_249:
	v_sub_u32_e32 v10, v64, v1
	v_lshlrev_b32_e32 v10, 2, v10
	ds_write_b32 v10, v65
	s_or_b64 exec, exec, s[28:29]
	s_and_saveexec_b64 s[26:27], s[24:25]
	s_cbranch_execz .LBB737_195
.LBB737_250:
	v_sub_u32_e32 v10, v62, v1
	v_lshlrev_b32_e32 v10, 2, v10
	ds_write_b32 v10, v63
	s_or_b64 exec, exec, s[26:27]
	s_and_saveexec_b64 s[24:25], s[22:23]
	s_cbranch_execz .LBB737_196
.LBB737_251:
	v_sub_u32_e32 v10, v60, v1
	v_lshlrev_b32_e32 v10, 2, v10
	ds_write_b32 v10, v61
	s_or_b64 exec, exec, s[24:25]
	s_and_saveexec_b64 s[22:23], s[20:21]
	s_cbranch_execz .LBB737_197
.LBB737_252:
	v_sub_u32_e32 v10, v58, v1
	v_lshlrev_b32_e32 v10, 2, v10
	ds_write_b32 v10, v59
	s_or_b64 exec, exec, s[22:23]
	s_and_saveexec_b64 s[20:21], s[18:19]
	s_cbranch_execz .LBB737_198
.LBB737_253:
	v_sub_u32_e32 v10, v56, v1
	v_lshlrev_b32_e32 v10, 2, v10
	ds_write_b32 v10, v57
	s_or_b64 exec, exec, s[20:21]
	s_and_saveexec_b64 s[18:19], s[16:17]
	s_cbranch_execz .LBB737_199
.LBB737_254:
	v_sub_u32_e32 v10, v54, v1
	v_lshlrev_b32_e32 v10, 2, v10
	ds_write_b32 v10, v55
	s_or_b64 exec, exec, s[18:19]
	s_and_saveexec_b64 s[16:17], s[14:15]
	s_cbranch_execz .LBB737_200
.LBB737_255:
	v_sub_u32_e32 v10, v52, v1
	v_lshlrev_b32_e32 v10, 2, v10
	ds_write_b32 v10, v53
	s_or_b64 exec, exec, s[16:17]
	s_and_saveexec_b64 s[14:15], s[12:13]
	s_cbranch_execz .LBB737_201
.LBB737_256:
	v_sub_u32_e32 v10, v50, v1
	v_lshlrev_b32_e32 v10, 2, v10
	ds_write_b32 v10, v51
	s_or_b64 exec, exec, s[14:15]
	s_and_saveexec_b64 s[12:13], s[10:11]
	s_cbranch_execz .LBB737_202
.LBB737_257:
	v_sub_u32_e32 v10, v48, v1
	v_lshlrev_b32_e32 v10, 2, v10
	ds_write_b32 v10, v49
	s_or_b64 exec, exec, s[12:13]
	s_and_saveexec_b64 s[10:11], s[8:9]
	s_cbranch_execz .LBB737_203
.LBB737_258:
	v_sub_u32_e32 v10, v44, v1
	v_lshlrev_b32_e32 v10, 2, v10
	ds_write_b32 v10, v45
	s_or_b64 exec, exec, s[10:11]
	s_and_saveexec_b64 s[8:9], s[6:7]
	s_cbranch_execz .LBB737_204
.LBB737_259:
	v_sub_u32_e32 v10, v42, v1
	v_lshlrev_b32_e32 v10, 2, v10
	ds_write_b32 v10, v43
	s_or_b64 exec, exec, s[8:9]
	s_and_saveexec_b64 s[6:7], s[4:5]
	s_cbranch_execz .LBB737_205
.LBB737_260:
	v_sub_u32_e32 v10, v40, v1
	v_lshlrev_b32_e32 v10, 2, v10
	ds_write_b32 v10, v41
	s_or_b64 exec, exec, s[6:7]
	s_and_saveexec_b64 s[4:5], s[2:3]
	s_cbranch_execnz .LBB737_206
	s_branch .LBB737_207
	.section	.rodata,"a",@progbits
	.p2align	6, 0x0
	.amdhsa_kernel _ZN7rocprim17ROCPRIM_400000_NS6detail17trampoline_kernelINS0_14default_configENS1_33run_length_encode_config_selectorImjNS0_4plusIjEEEEZZNS1_33reduce_by_key_impl_wrapped_configILNS1_25lookback_scan_determinismE0ES3_S7_PKmNS0_17constant_iteratorIjlEEPmPlSF_S6_NS0_8equal_toImEEEE10hipError_tPvRmT2_T3_mT4_T5_T6_T7_T8_P12ihipStream_tbENKUlT_T0_E_clISt17integral_constantIbLb1EESY_IbLb0EEEEDaSU_SV_EUlSU_E_NS1_11comp_targetILNS1_3genE5ELNS1_11target_archE942ELNS1_3gpuE9ELNS1_3repE0EEENS1_30default_config_static_selectorELNS0_4arch9wavefront6targetE1EEEvT1_
		.amdhsa_group_segment_fixed_size 61440
		.amdhsa_private_segment_fixed_size 0
		.amdhsa_kernarg_size 128
		.amdhsa_user_sgpr_count 2
		.amdhsa_user_sgpr_dispatch_ptr 0
		.amdhsa_user_sgpr_queue_ptr 0
		.amdhsa_user_sgpr_kernarg_segment_ptr 1
		.amdhsa_user_sgpr_dispatch_id 0
		.amdhsa_user_sgpr_kernarg_preload_length 0
		.amdhsa_user_sgpr_kernarg_preload_offset 0
		.amdhsa_user_sgpr_private_segment_size 0
		.amdhsa_uses_dynamic_stack 0
		.amdhsa_enable_private_segment 0
		.amdhsa_system_sgpr_workgroup_id_x 1
		.amdhsa_system_sgpr_workgroup_id_y 0
		.amdhsa_system_sgpr_workgroup_id_z 0
		.amdhsa_system_sgpr_workgroup_info 0
		.amdhsa_system_vgpr_workitem_id 0
		.amdhsa_next_free_vgpr 90
		.amdhsa_next_free_sgpr 64
		.amdhsa_accum_offset 92
		.amdhsa_reserve_vcc 1
		.amdhsa_float_round_mode_32 0
		.amdhsa_float_round_mode_16_64 0
		.amdhsa_float_denorm_mode_32 3
		.amdhsa_float_denorm_mode_16_64 3
		.amdhsa_dx10_clamp 1
		.amdhsa_ieee_mode 1
		.amdhsa_fp16_overflow 0
		.amdhsa_tg_split 0
		.amdhsa_exception_fp_ieee_invalid_op 0
		.amdhsa_exception_fp_denorm_src 0
		.amdhsa_exception_fp_ieee_div_zero 0
		.amdhsa_exception_fp_ieee_overflow 0
		.amdhsa_exception_fp_ieee_underflow 0
		.amdhsa_exception_fp_ieee_inexact 0
		.amdhsa_exception_int_div_zero 0
	.end_amdhsa_kernel
	.section	.text._ZN7rocprim17ROCPRIM_400000_NS6detail17trampoline_kernelINS0_14default_configENS1_33run_length_encode_config_selectorImjNS0_4plusIjEEEEZZNS1_33reduce_by_key_impl_wrapped_configILNS1_25lookback_scan_determinismE0ES3_S7_PKmNS0_17constant_iteratorIjlEEPmPlSF_S6_NS0_8equal_toImEEEE10hipError_tPvRmT2_T3_mT4_T5_T6_T7_T8_P12ihipStream_tbENKUlT_T0_E_clISt17integral_constantIbLb1EESY_IbLb0EEEEDaSU_SV_EUlSU_E_NS1_11comp_targetILNS1_3genE5ELNS1_11target_archE942ELNS1_3gpuE9ELNS1_3repE0EEENS1_30default_config_static_selectorELNS0_4arch9wavefront6targetE1EEEvT1_,"axG",@progbits,_ZN7rocprim17ROCPRIM_400000_NS6detail17trampoline_kernelINS0_14default_configENS1_33run_length_encode_config_selectorImjNS0_4plusIjEEEEZZNS1_33reduce_by_key_impl_wrapped_configILNS1_25lookback_scan_determinismE0ES3_S7_PKmNS0_17constant_iteratorIjlEEPmPlSF_S6_NS0_8equal_toImEEEE10hipError_tPvRmT2_T3_mT4_T5_T6_T7_T8_P12ihipStream_tbENKUlT_T0_E_clISt17integral_constantIbLb1EESY_IbLb0EEEEDaSU_SV_EUlSU_E_NS1_11comp_targetILNS1_3genE5ELNS1_11target_archE942ELNS1_3gpuE9ELNS1_3repE0EEENS1_30default_config_static_selectorELNS0_4arch9wavefront6targetE1EEEvT1_,comdat
.Lfunc_end737:
	.size	_ZN7rocprim17ROCPRIM_400000_NS6detail17trampoline_kernelINS0_14default_configENS1_33run_length_encode_config_selectorImjNS0_4plusIjEEEEZZNS1_33reduce_by_key_impl_wrapped_configILNS1_25lookback_scan_determinismE0ES3_S7_PKmNS0_17constant_iteratorIjlEEPmPlSF_S6_NS0_8equal_toImEEEE10hipError_tPvRmT2_T3_mT4_T5_T6_T7_T8_P12ihipStream_tbENKUlT_T0_E_clISt17integral_constantIbLb1EESY_IbLb0EEEEDaSU_SV_EUlSU_E_NS1_11comp_targetILNS1_3genE5ELNS1_11target_archE942ELNS1_3gpuE9ELNS1_3repE0EEENS1_30default_config_static_selectorELNS0_4arch9wavefront6targetE1EEEvT1_, .Lfunc_end737-_ZN7rocprim17ROCPRIM_400000_NS6detail17trampoline_kernelINS0_14default_configENS1_33run_length_encode_config_selectorImjNS0_4plusIjEEEEZZNS1_33reduce_by_key_impl_wrapped_configILNS1_25lookback_scan_determinismE0ES3_S7_PKmNS0_17constant_iteratorIjlEEPmPlSF_S6_NS0_8equal_toImEEEE10hipError_tPvRmT2_T3_mT4_T5_T6_T7_T8_P12ihipStream_tbENKUlT_T0_E_clISt17integral_constantIbLb1EESY_IbLb0EEEEDaSU_SV_EUlSU_E_NS1_11comp_targetILNS1_3genE5ELNS1_11target_archE942ELNS1_3gpuE9ELNS1_3repE0EEENS1_30default_config_static_selectorELNS0_4arch9wavefront6targetE1EEEvT1_
                                        ; -- End function
	.section	.AMDGPU.csdata,"",@progbits
; Kernel info:
; codeLenInByte = 14112
; NumSgprs: 70
; NumVgprs: 90
; NumAgprs: 0
; TotalNumVgprs: 90
; ScratchSize: 0
; MemoryBound: 0
; FloatMode: 240
; IeeeMode: 1
; LDSByteSize: 61440 bytes/workgroup (compile time only)
; SGPRBlocks: 8
; VGPRBlocks: 11
; NumSGPRsForWavesPerEU: 70
; NumVGPRsForWavesPerEU: 90
; AccumOffset: 92
; Occupancy: 2
; WaveLimiterHint : 1
; COMPUTE_PGM_RSRC2:SCRATCH_EN: 0
; COMPUTE_PGM_RSRC2:USER_SGPR: 2
; COMPUTE_PGM_RSRC2:TRAP_HANDLER: 0
; COMPUTE_PGM_RSRC2:TGID_X_EN: 1
; COMPUTE_PGM_RSRC2:TGID_Y_EN: 0
; COMPUTE_PGM_RSRC2:TGID_Z_EN: 0
; COMPUTE_PGM_RSRC2:TIDIG_COMP_CNT: 0
; COMPUTE_PGM_RSRC3_GFX90A:ACCUM_OFFSET: 22
; COMPUTE_PGM_RSRC3_GFX90A:TG_SPLIT: 0
	.section	.text._ZN7rocprim17ROCPRIM_400000_NS6detail17trampoline_kernelINS0_14default_configENS1_33run_length_encode_config_selectorImjNS0_4plusIjEEEEZZNS1_33reduce_by_key_impl_wrapped_configILNS1_25lookback_scan_determinismE0ES3_S7_PKmNS0_17constant_iteratorIjlEEPmPlSF_S6_NS0_8equal_toImEEEE10hipError_tPvRmT2_T3_mT4_T5_T6_T7_T8_P12ihipStream_tbENKUlT_T0_E_clISt17integral_constantIbLb1EESY_IbLb0EEEEDaSU_SV_EUlSU_E_NS1_11comp_targetILNS1_3genE4ELNS1_11target_archE910ELNS1_3gpuE8ELNS1_3repE0EEENS1_30default_config_static_selectorELNS0_4arch9wavefront6targetE1EEEvT1_,"axG",@progbits,_ZN7rocprim17ROCPRIM_400000_NS6detail17trampoline_kernelINS0_14default_configENS1_33run_length_encode_config_selectorImjNS0_4plusIjEEEEZZNS1_33reduce_by_key_impl_wrapped_configILNS1_25lookback_scan_determinismE0ES3_S7_PKmNS0_17constant_iteratorIjlEEPmPlSF_S6_NS0_8equal_toImEEEE10hipError_tPvRmT2_T3_mT4_T5_T6_T7_T8_P12ihipStream_tbENKUlT_T0_E_clISt17integral_constantIbLb1EESY_IbLb0EEEEDaSU_SV_EUlSU_E_NS1_11comp_targetILNS1_3genE4ELNS1_11target_archE910ELNS1_3gpuE8ELNS1_3repE0EEENS1_30default_config_static_selectorELNS0_4arch9wavefront6targetE1EEEvT1_,comdat
	.protected	_ZN7rocprim17ROCPRIM_400000_NS6detail17trampoline_kernelINS0_14default_configENS1_33run_length_encode_config_selectorImjNS0_4plusIjEEEEZZNS1_33reduce_by_key_impl_wrapped_configILNS1_25lookback_scan_determinismE0ES3_S7_PKmNS0_17constant_iteratorIjlEEPmPlSF_S6_NS0_8equal_toImEEEE10hipError_tPvRmT2_T3_mT4_T5_T6_T7_T8_P12ihipStream_tbENKUlT_T0_E_clISt17integral_constantIbLb1EESY_IbLb0EEEEDaSU_SV_EUlSU_E_NS1_11comp_targetILNS1_3genE4ELNS1_11target_archE910ELNS1_3gpuE8ELNS1_3repE0EEENS1_30default_config_static_selectorELNS0_4arch9wavefront6targetE1EEEvT1_ ; -- Begin function _ZN7rocprim17ROCPRIM_400000_NS6detail17trampoline_kernelINS0_14default_configENS1_33run_length_encode_config_selectorImjNS0_4plusIjEEEEZZNS1_33reduce_by_key_impl_wrapped_configILNS1_25lookback_scan_determinismE0ES3_S7_PKmNS0_17constant_iteratorIjlEEPmPlSF_S6_NS0_8equal_toImEEEE10hipError_tPvRmT2_T3_mT4_T5_T6_T7_T8_P12ihipStream_tbENKUlT_T0_E_clISt17integral_constantIbLb1EESY_IbLb0EEEEDaSU_SV_EUlSU_E_NS1_11comp_targetILNS1_3genE4ELNS1_11target_archE910ELNS1_3gpuE8ELNS1_3repE0EEENS1_30default_config_static_selectorELNS0_4arch9wavefront6targetE1EEEvT1_
	.globl	_ZN7rocprim17ROCPRIM_400000_NS6detail17trampoline_kernelINS0_14default_configENS1_33run_length_encode_config_selectorImjNS0_4plusIjEEEEZZNS1_33reduce_by_key_impl_wrapped_configILNS1_25lookback_scan_determinismE0ES3_S7_PKmNS0_17constant_iteratorIjlEEPmPlSF_S6_NS0_8equal_toImEEEE10hipError_tPvRmT2_T3_mT4_T5_T6_T7_T8_P12ihipStream_tbENKUlT_T0_E_clISt17integral_constantIbLb1EESY_IbLb0EEEEDaSU_SV_EUlSU_E_NS1_11comp_targetILNS1_3genE4ELNS1_11target_archE910ELNS1_3gpuE8ELNS1_3repE0EEENS1_30default_config_static_selectorELNS0_4arch9wavefront6targetE1EEEvT1_
	.p2align	8
	.type	_ZN7rocprim17ROCPRIM_400000_NS6detail17trampoline_kernelINS0_14default_configENS1_33run_length_encode_config_selectorImjNS0_4plusIjEEEEZZNS1_33reduce_by_key_impl_wrapped_configILNS1_25lookback_scan_determinismE0ES3_S7_PKmNS0_17constant_iteratorIjlEEPmPlSF_S6_NS0_8equal_toImEEEE10hipError_tPvRmT2_T3_mT4_T5_T6_T7_T8_P12ihipStream_tbENKUlT_T0_E_clISt17integral_constantIbLb1EESY_IbLb0EEEEDaSU_SV_EUlSU_E_NS1_11comp_targetILNS1_3genE4ELNS1_11target_archE910ELNS1_3gpuE8ELNS1_3repE0EEENS1_30default_config_static_selectorELNS0_4arch9wavefront6targetE1EEEvT1_,@function
_ZN7rocprim17ROCPRIM_400000_NS6detail17trampoline_kernelINS0_14default_configENS1_33run_length_encode_config_selectorImjNS0_4plusIjEEEEZZNS1_33reduce_by_key_impl_wrapped_configILNS1_25lookback_scan_determinismE0ES3_S7_PKmNS0_17constant_iteratorIjlEEPmPlSF_S6_NS0_8equal_toImEEEE10hipError_tPvRmT2_T3_mT4_T5_T6_T7_T8_P12ihipStream_tbENKUlT_T0_E_clISt17integral_constantIbLb1EESY_IbLb0EEEEDaSU_SV_EUlSU_E_NS1_11comp_targetILNS1_3genE4ELNS1_11target_archE910ELNS1_3gpuE8ELNS1_3repE0EEENS1_30default_config_static_selectorELNS0_4arch9wavefront6targetE1EEEvT1_: ; @_ZN7rocprim17ROCPRIM_400000_NS6detail17trampoline_kernelINS0_14default_configENS1_33run_length_encode_config_selectorImjNS0_4plusIjEEEEZZNS1_33reduce_by_key_impl_wrapped_configILNS1_25lookback_scan_determinismE0ES3_S7_PKmNS0_17constant_iteratorIjlEEPmPlSF_S6_NS0_8equal_toImEEEE10hipError_tPvRmT2_T3_mT4_T5_T6_T7_T8_P12ihipStream_tbENKUlT_T0_E_clISt17integral_constantIbLb1EESY_IbLb0EEEEDaSU_SV_EUlSU_E_NS1_11comp_targetILNS1_3genE4ELNS1_11target_archE910ELNS1_3gpuE8ELNS1_3repE0EEENS1_30default_config_static_selectorELNS0_4arch9wavefront6targetE1EEEvT1_
; %bb.0:
	.section	.rodata,"a",@progbits
	.p2align	6, 0x0
	.amdhsa_kernel _ZN7rocprim17ROCPRIM_400000_NS6detail17trampoline_kernelINS0_14default_configENS1_33run_length_encode_config_selectorImjNS0_4plusIjEEEEZZNS1_33reduce_by_key_impl_wrapped_configILNS1_25lookback_scan_determinismE0ES3_S7_PKmNS0_17constant_iteratorIjlEEPmPlSF_S6_NS0_8equal_toImEEEE10hipError_tPvRmT2_T3_mT4_T5_T6_T7_T8_P12ihipStream_tbENKUlT_T0_E_clISt17integral_constantIbLb1EESY_IbLb0EEEEDaSU_SV_EUlSU_E_NS1_11comp_targetILNS1_3genE4ELNS1_11target_archE910ELNS1_3gpuE8ELNS1_3repE0EEENS1_30default_config_static_selectorELNS0_4arch9wavefront6targetE1EEEvT1_
		.amdhsa_group_segment_fixed_size 0
		.amdhsa_private_segment_fixed_size 0
		.amdhsa_kernarg_size 128
		.amdhsa_user_sgpr_count 2
		.amdhsa_user_sgpr_dispatch_ptr 0
		.amdhsa_user_sgpr_queue_ptr 0
		.amdhsa_user_sgpr_kernarg_segment_ptr 1
		.amdhsa_user_sgpr_dispatch_id 0
		.amdhsa_user_sgpr_kernarg_preload_length 0
		.amdhsa_user_sgpr_kernarg_preload_offset 0
		.amdhsa_user_sgpr_private_segment_size 0
		.amdhsa_uses_dynamic_stack 0
		.amdhsa_enable_private_segment 0
		.amdhsa_system_sgpr_workgroup_id_x 1
		.amdhsa_system_sgpr_workgroup_id_y 0
		.amdhsa_system_sgpr_workgroup_id_z 0
		.amdhsa_system_sgpr_workgroup_info 0
		.amdhsa_system_vgpr_workitem_id 0
		.amdhsa_next_free_vgpr 1
		.amdhsa_next_free_sgpr 0
		.amdhsa_accum_offset 4
		.amdhsa_reserve_vcc 0
		.amdhsa_float_round_mode_32 0
		.amdhsa_float_round_mode_16_64 0
		.amdhsa_float_denorm_mode_32 3
		.amdhsa_float_denorm_mode_16_64 3
		.amdhsa_dx10_clamp 1
		.amdhsa_ieee_mode 1
		.amdhsa_fp16_overflow 0
		.amdhsa_tg_split 0
		.amdhsa_exception_fp_ieee_invalid_op 0
		.amdhsa_exception_fp_denorm_src 0
		.amdhsa_exception_fp_ieee_div_zero 0
		.amdhsa_exception_fp_ieee_overflow 0
		.amdhsa_exception_fp_ieee_underflow 0
		.amdhsa_exception_fp_ieee_inexact 0
		.amdhsa_exception_int_div_zero 0
	.end_amdhsa_kernel
	.section	.text._ZN7rocprim17ROCPRIM_400000_NS6detail17trampoline_kernelINS0_14default_configENS1_33run_length_encode_config_selectorImjNS0_4plusIjEEEEZZNS1_33reduce_by_key_impl_wrapped_configILNS1_25lookback_scan_determinismE0ES3_S7_PKmNS0_17constant_iteratorIjlEEPmPlSF_S6_NS0_8equal_toImEEEE10hipError_tPvRmT2_T3_mT4_T5_T6_T7_T8_P12ihipStream_tbENKUlT_T0_E_clISt17integral_constantIbLb1EESY_IbLb0EEEEDaSU_SV_EUlSU_E_NS1_11comp_targetILNS1_3genE4ELNS1_11target_archE910ELNS1_3gpuE8ELNS1_3repE0EEENS1_30default_config_static_selectorELNS0_4arch9wavefront6targetE1EEEvT1_,"axG",@progbits,_ZN7rocprim17ROCPRIM_400000_NS6detail17trampoline_kernelINS0_14default_configENS1_33run_length_encode_config_selectorImjNS0_4plusIjEEEEZZNS1_33reduce_by_key_impl_wrapped_configILNS1_25lookback_scan_determinismE0ES3_S7_PKmNS0_17constant_iteratorIjlEEPmPlSF_S6_NS0_8equal_toImEEEE10hipError_tPvRmT2_T3_mT4_T5_T6_T7_T8_P12ihipStream_tbENKUlT_T0_E_clISt17integral_constantIbLb1EESY_IbLb0EEEEDaSU_SV_EUlSU_E_NS1_11comp_targetILNS1_3genE4ELNS1_11target_archE910ELNS1_3gpuE8ELNS1_3repE0EEENS1_30default_config_static_selectorELNS0_4arch9wavefront6targetE1EEEvT1_,comdat
.Lfunc_end738:
	.size	_ZN7rocprim17ROCPRIM_400000_NS6detail17trampoline_kernelINS0_14default_configENS1_33run_length_encode_config_selectorImjNS0_4plusIjEEEEZZNS1_33reduce_by_key_impl_wrapped_configILNS1_25lookback_scan_determinismE0ES3_S7_PKmNS0_17constant_iteratorIjlEEPmPlSF_S6_NS0_8equal_toImEEEE10hipError_tPvRmT2_T3_mT4_T5_T6_T7_T8_P12ihipStream_tbENKUlT_T0_E_clISt17integral_constantIbLb1EESY_IbLb0EEEEDaSU_SV_EUlSU_E_NS1_11comp_targetILNS1_3genE4ELNS1_11target_archE910ELNS1_3gpuE8ELNS1_3repE0EEENS1_30default_config_static_selectorELNS0_4arch9wavefront6targetE1EEEvT1_, .Lfunc_end738-_ZN7rocprim17ROCPRIM_400000_NS6detail17trampoline_kernelINS0_14default_configENS1_33run_length_encode_config_selectorImjNS0_4plusIjEEEEZZNS1_33reduce_by_key_impl_wrapped_configILNS1_25lookback_scan_determinismE0ES3_S7_PKmNS0_17constant_iteratorIjlEEPmPlSF_S6_NS0_8equal_toImEEEE10hipError_tPvRmT2_T3_mT4_T5_T6_T7_T8_P12ihipStream_tbENKUlT_T0_E_clISt17integral_constantIbLb1EESY_IbLb0EEEEDaSU_SV_EUlSU_E_NS1_11comp_targetILNS1_3genE4ELNS1_11target_archE910ELNS1_3gpuE8ELNS1_3repE0EEENS1_30default_config_static_selectorELNS0_4arch9wavefront6targetE1EEEvT1_
                                        ; -- End function
	.section	.AMDGPU.csdata,"",@progbits
; Kernel info:
; codeLenInByte = 0
; NumSgprs: 6
; NumVgprs: 0
; NumAgprs: 0
; TotalNumVgprs: 0
; ScratchSize: 0
; MemoryBound: 0
; FloatMode: 240
; IeeeMode: 1
; LDSByteSize: 0 bytes/workgroup (compile time only)
; SGPRBlocks: 0
; VGPRBlocks: 0
; NumSGPRsForWavesPerEU: 6
; NumVGPRsForWavesPerEU: 1
; AccumOffset: 4
; Occupancy: 8
; WaveLimiterHint : 0
; COMPUTE_PGM_RSRC2:SCRATCH_EN: 0
; COMPUTE_PGM_RSRC2:USER_SGPR: 2
; COMPUTE_PGM_RSRC2:TRAP_HANDLER: 0
; COMPUTE_PGM_RSRC2:TGID_X_EN: 1
; COMPUTE_PGM_RSRC2:TGID_Y_EN: 0
; COMPUTE_PGM_RSRC2:TGID_Z_EN: 0
; COMPUTE_PGM_RSRC2:TIDIG_COMP_CNT: 0
; COMPUTE_PGM_RSRC3_GFX90A:ACCUM_OFFSET: 0
; COMPUTE_PGM_RSRC3_GFX90A:TG_SPLIT: 0
	.section	.text._ZN7rocprim17ROCPRIM_400000_NS6detail17trampoline_kernelINS0_14default_configENS1_33run_length_encode_config_selectorImjNS0_4plusIjEEEEZZNS1_33reduce_by_key_impl_wrapped_configILNS1_25lookback_scan_determinismE0ES3_S7_PKmNS0_17constant_iteratorIjlEEPmPlSF_S6_NS0_8equal_toImEEEE10hipError_tPvRmT2_T3_mT4_T5_T6_T7_T8_P12ihipStream_tbENKUlT_T0_E_clISt17integral_constantIbLb1EESY_IbLb0EEEEDaSU_SV_EUlSU_E_NS1_11comp_targetILNS1_3genE3ELNS1_11target_archE908ELNS1_3gpuE7ELNS1_3repE0EEENS1_30default_config_static_selectorELNS0_4arch9wavefront6targetE1EEEvT1_,"axG",@progbits,_ZN7rocprim17ROCPRIM_400000_NS6detail17trampoline_kernelINS0_14default_configENS1_33run_length_encode_config_selectorImjNS0_4plusIjEEEEZZNS1_33reduce_by_key_impl_wrapped_configILNS1_25lookback_scan_determinismE0ES3_S7_PKmNS0_17constant_iteratorIjlEEPmPlSF_S6_NS0_8equal_toImEEEE10hipError_tPvRmT2_T3_mT4_T5_T6_T7_T8_P12ihipStream_tbENKUlT_T0_E_clISt17integral_constantIbLb1EESY_IbLb0EEEEDaSU_SV_EUlSU_E_NS1_11comp_targetILNS1_3genE3ELNS1_11target_archE908ELNS1_3gpuE7ELNS1_3repE0EEENS1_30default_config_static_selectorELNS0_4arch9wavefront6targetE1EEEvT1_,comdat
	.protected	_ZN7rocprim17ROCPRIM_400000_NS6detail17trampoline_kernelINS0_14default_configENS1_33run_length_encode_config_selectorImjNS0_4plusIjEEEEZZNS1_33reduce_by_key_impl_wrapped_configILNS1_25lookback_scan_determinismE0ES3_S7_PKmNS0_17constant_iteratorIjlEEPmPlSF_S6_NS0_8equal_toImEEEE10hipError_tPvRmT2_T3_mT4_T5_T6_T7_T8_P12ihipStream_tbENKUlT_T0_E_clISt17integral_constantIbLb1EESY_IbLb0EEEEDaSU_SV_EUlSU_E_NS1_11comp_targetILNS1_3genE3ELNS1_11target_archE908ELNS1_3gpuE7ELNS1_3repE0EEENS1_30default_config_static_selectorELNS0_4arch9wavefront6targetE1EEEvT1_ ; -- Begin function _ZN7rocprim17ROCPRIM_400000_NS6detail17trampoline_kernelINS0_14default_configENS1_33run_length_encode_config_selectorImjNS0_4plusIjEEEEZZNS1_33reduce_by_key_impl_wrapped_configILNS1_25lookback_scan_determinismE0ES3_S7_PKmNS0_17constant_iteratorIjlEEPmPlSF_S6_NS0_8equal_toImEEEE10hipError_tPvRmT2_T3_mT4_T5_T6_T7_T8_P12ihipStream_tbENKUlT_T0_E_clISt17integral_constantIbLb1EESY_IbLb0EEEEDaSU_SV_EUlSU_E_NS1_11comp_targetILNS1_3genE3ELNS1_11target_archE908ELNS1_3gpuE7ELNS1_3repE0EEENS1_30default_config_static_selectorELNS0_4arch9wavefront6targetE1EEEvT1_
	.globl	_ZN7rocprim17ROCPRIM_400000_NS6detail17trampoline_kernelINS0_14default_configENS1_33run_length_encode_config_selectorImjNS0_4plusIjEEEEZZNS1_33reduce_by_key_impl_wrapped_configILNS1_25lookback_scan_determinismE0ES3_S7_PKmNS0_17constant_iteratorIjlEEPmPlSF_S6_NS0_8equal_toImEEEE10hipError_tPvRmT2_T3_mT4_T5_T6_T7_T8_P12ihipStream_tbENKUlT_T0_E_clISt17integral_constantIbLb1EESY_IbLb0EEEEDaSU_SV_EUlSU_E_NS1_11comp_targetILNS1_3genE3ELNS1_11target_archE908ELNS1_3gpuE7ELNS1_3repE0EEENS1_30default_config_static_selectorELNS0_4arch9wavefront6targetE1EEEvT1_
	.p2align	8
	.type	_ZN7rocprim17ROCPRIM_400000_NS6detail17trampoline_kernelINS0_14default_configENS1_33run_length_encode_config_selectorImjNS0_4plusIjEEEEZZNS1_33reduce_by_key_impl_wrapped_configILNS1_25lookback_scan_determinismE0ES3_S7_PKmNS0_17constant_iteratorIjlEEPmPlSF_S6_NS0_8equal_toImEEEE10hipError_tPvRmT2_T3_mT4_T5_T6_T7_T8_P12ihipStream_tbENKUlT_T0_E_clISt17integral_constantIbLb1EESY_IbLb0EEEEDaSU_SV_EUlSU_E_NS1_11comp_targetILNS1_3genE3ELNS1_11target_archE908ELNS1_3gpuE7ELNS1_3repE0EEENS1_30default_config_static_selectorELNS0_4arch9wavefront6targetE1EEEvT1_,@function
_ZN7rocprim17ROCPRIM_400000_NS6detail17trampoline_kernelINS0_14default_configENS1_33run_length_encode_config_selectorImjNS0_4plusIjEEEEZZNS1_33reduce_by_key_impl_wrapped_configILNS1_25lookback_scan_determinismE0ES3_S7_PKmNS0_17constant_iteratorIjlEEPmPlSF_S6_NS0_8equal_toImEEEE10hipError_tPvRmT2_T3_mT4_T5_T6_T7_T8_P12ihipStream_tbENKUlT_T0_E_clISt17integral_constantIbLb1EESY_IbLb0EEEEDaSU_SV_EUlSU_E_NS1_11comp_targetILNS1_3genE3ELNS1_11target_archE908ELNS1_3gpuE7ELNS1_3repE0EEENS1_30default_config_static_selectorELNS0_4arch9wavefront6targetE1EEEvT1_: ; @_ZN7rocprim17ROCPRIM_400000_NS6detail17trampoline_kernelINS0_14default_configENS1_33run_length_encode_config_selectorImjNS0_4plusIjEEEEZZNS1_33reduce_by_key_impl_wrapped_configILNS1_25lookback_scan_determinismE0ES3_S7_PKmNS0_17constant_iteratorIjlEEPmPlSF_S6_NS0_8equal_toImEEEE10hipError_tPvRmT2_T3_mT4_T5_T6_T7_T8_P12ihipStream_tbENKUlT_T0_E_clISt17integral_constantIbLb1EESY_IbLb0EEEEDaSU_SV_EUlSU_E_NS1_11comp_targetILNS1_3genE3ELNS1_11target_archE908ELNS1_3gpuE7ELNS1_3repE0EEENS1_30default_config_static_selectorELNS0_4arch9wavefront6targetE1EEEvT1_
; %bb.0:
	.section	.rodata,"a",@progbits
	.p2align	6, 0x0
	.amdhsa_kernel _ZN7rocprim17ROCPRIM_400000_NS6detail17trampoline_kernelINS0_14default_configENS1_33run_length_encode_config_selectorImjNS0_4plusIjEEEEZZNS1_33reduce_by_key_impl_wrapped_configILNS1_25lookback_scan_determinismE0ES3_S7_PKmNS0_17constant_iteratorIjlEEPmPlSF_S6_NS0_8equal_toImEEEE10hipError_tPvRmT2_T3_mT4_T5_T6_T7_T8_P12ihipStream_tbENKUlT_T0_E_clISt17integral_constantIbLb1EESY_IbLb0EEEEDaSU_SV_EUlSU_E_NS1_11comp_targetILNS1_3genE3ELNS1_11target_archE908ELNS1_3gpuE7ELNS1_3repE0EEENS1_30default_config_static_selectorELNS0_4arch9wavefront6targetE1EEEvT1_
		.amdhsa_group_segment_fixed_size 0
		.amdhsa_private_segment_fixed_size 0
		.amdhsa_kernarg_size 128
		.amdhsa_user_sgpr_count 2
		.amdhsa_user_sgpr_dispatch_ptr 0
		.amdhsa_user_sgpr_queue_ptr 0
		.amdhsa_user_sgpr_kernarg_segment_ptr 1
		.amdhsa_user_sgpr_dispatch_id 0
		.amdhsa_user_sgpr_kernarg_preload_length 0
		.amdhsa_user_sgpr_kernarg_preload_offset 0
		.amdhsa_user_sgpr_private_segment_size 0
		.amdhsa_uses_dynamic_stack 0
		.amdhsa_enable_private_segment 0
		.amdhsa_system_sgpr_workgroup_id_x 1
		.amdhsa_system_sgpr_workgroup_id_y 0
		.amdhsa_system_sgpr_workgroup_id_z 0
		.amdhsa_system_sgpr_workgroup_info 0
		.amdhsa_system_vgpr_workitem_id 0
		.amdhsa_next_free_vgpr 1
		.amdhsa_next_free_sgpr 0
		.amdhsa_accum_offset 4
		.amdhsa_reserve_vcc 0
		.amdhsa_float_round_mode_32 0
		.amdhsa_float_round_mode_16_64 0
		.amdhsa_float_denorm_mode_32 3
		.amdhsa_float_denorm_mode_16_64 3
		.amdhsa_dx10_clamp 1
		.amdhsa_ieee_mode 1
		.amdhsa_fp16_overflow 0
		.amdhsa_tg_split 0
		.amdhsa_exception_fp_ieee_invalid_op 0
		.amdhsa_exception_fp_denorm_src 0
		.amdhsa_exception_fp_ieee_div_zero 0
		.amdhsa_exception_fp_ieee_overflow 0
		.amdhsa_exception_fp_ieee_underflow 0
		.amdhsa_exception_fp_ieee_inexact 0
		.amdhsa_exception_int_div_zero 0
	.end_amdhsa_kernel
	.section	.text._ZN7rocprim17ROCPRIM_400000_NS6detail17trampoline_kernelINS0_14default_configENS1_33run_length_encode_config_selectorImjNS0_4plusIjEEEEZZNS1_33reduce_by_key_impl_wrapped_configILNS1_25lookback_scan_determinismE0ES3_S7_PKmNS0_17constant_iteratorIjlEEPmPlSF_S6_NS0_8equal_toImEEEE10hipError_tPvRmT2_T3_mT4_T5_T6_T7_T8_P12ihipStream_tbENKUlT_T0_E_clISt17integral_constantIbLb1EESY_IbLb0EEEEDaSU_SV_EUlSU_E_NS1_11comp_targetILNS1_3genE3ELNS1_11target_archE908ELNS1_3gpuE7ELNS1_3repE0EEENS1_30default_config_static_selectorELNS0_4arch9wavefront6targetE1EEEvT1_,"axG",@progbits,_ZN7rocprim17ROCPRIM_400000_NS6detail17trampoline_kernelINS0_14default_configENS1_33run_length_encode_config_selectorImjNS0_4plusIjEEEEZZNS1_33reduce_by_key_impl_wrapped_configILNS1_25lookback_scan_determinismE0ES3_S7_PKmNS0_17constant_iteratorIjlEEPmPlSF_S6_NS0_8equal_toImEEEE10hipError_tPvRmT2_T3_mT4_T5_T6_T7_T8_P12ihipStream_tbENKUlT_T0_E_clISt17integral_constantIbLb1EESY_IbLb0EEEEDaSU_SV_EUlSU_E_NS1_11comp_targetILNS1_3genE3ELNS1_11target_archE908ELNS1_3gpuE7ELNS1_3repE0EEENS1_30default_config_static_selectorELNS0_4arch9wavefront6targetE1EEEvT1_,comdat
.Lfunc_end739:
	.size	_ZN7rocprim17ROCPRIM_400000_NS6detail17trampoline_kernelINS0_14default_configENS1_33run_length_encode_config_selectorImjNS0_4plusIjEEEEZZNS1_33reduce_by_key_impl_wrapped_configILNS1_25lookback_scan_determinismE0ES3_S7_PKmNS0_17constant_iteratorIjlEEPmPlSF_S6_NS0_8equal_toImEEEE10hipError_tPvRmT2_T3_mT4_T5_T6_T7_T8_P12ihipStream_tbENKUlT_T0_E_clISt17integral_constantIbLb1EESY_IbLb0EEEEDaSU_SV_EUlSU_E_NS1_11comp_targetILNS1_3genE3ELNS1_11target_archE908ELNS1_3gpuE7ELNS1_3repE0EEENS1_30default_config_static_selectorELNS0_4arch9wavefront6targetE1EEEvT1_, .Lfunc_end739-_ZN7rocprim17ROCPRIM_400000_NS6detail17trampoline_kernelINS0_14default_configENS1_33run_length_encode_config_selectorImjNS0_4plusIjEEEEZZNS1_33reduce_by_key_impl_wrapped_configILNS1_25lookback_scan_determinismE0ES3_S7_PKmNS0_17constant_iteratorIjlEEPmPlSF_S6_NS0_8equal_toImEEEE10hipError_tPvRmT2_T3_mT4_T5_T6_T7_T8_P12ihipStream_tbENKUlT_T0_E_clISt17integral_constantIbLb1EESY_IbLb0EEEEDaSU_SV_EUlSU_E_NS1_11comp_targetILNS1_3genE3ELNS1_11target_archE908ELNS1_3gpuE7ELNS1_3repE0EEENS1_30default_config_static_selectorELNS0_4arch9wavefront6targetE1EEEvT1_
                                        ; -- End function
	.section	.AMDGPU.csdata,"",@progbits
; Kernel info:
; codeLenInByte = 0
; NumSgprs: 6
; NumVgprs: 0
; NumAgprs: 0
; TotalNumVgprs: 0
; ScratchSize: 0
; MemoryBound: 0
; FloatMode: 240
; IeeeMode: 1
; LDSByteSize: 0 bytes/workgroup (compile time only)
; SGPRBlocks: 0
; VGPRBlocks: 0
; NumSGPRsForWavesPerEU: 6
; NumVGPRsForWavesPerEU: 1
; AccumOffset: 4
; Occupancy: 8
; WaveLimiterHint : 0
; COMPUTE_PGM_RSRC2:SCRATCH_EN: 0
; COMPUTE_PGM_RSRC2:USER_SGPR: 2
; COMPUTE_PGM_RSRC2:TRAP_HANDLER: 0
; COMPUTE_PGM_RSRC2:TGID_X_EN: 1
; COMPUTE_PGM_RSRC2:TGID_Y_EN: 0
; COMPUTE_PGM_RSRC2:TGID_Z_EN: 0
; COMPUTE_PGM_RSRC2:TIDIG_COMP_CNT: 0
; COMPUTE_PGM_RSRC3_GFX90A:ACCUM_OFFSET: 0
; COMPUTE_PGM_RSRC3_GFX90A:TG_SPLIT: 0
	.section	.text._ZN7rocprim17ROCPRIM_400000_NS6detail17trampoline_kernelINS0_14default_configENS1_33run_length_encode_config_selectorImjNS0_4plusIjEEEEZZNS1_33reduce_by_key_impl_wrapped_configILNS1_25lookback_scan_determinismE0ES3_S7_PKmNS0_17constant_iteratorIjlEEPmPlSF_S6_NS0_8equal_toImEEEE10hipError_tPvRmT2_T3_mT4_T5_T6_T7_T8_P12ihipStream_tbENKUlT_T0_E_clISt17integral_constantIbLb1EESY_IbLb0EEEEDaSU_SV_EUlSU_E_NS1_11comp_targetILNS1_3genE2ELNS1_11target_archE906ELNS1_3gpuE6ELNS1_3repE0EEENS1_30default_config_static_selectorELNS0_4arch9wavefront6targetE1EEEvT1_,"axG",@progbits,_ZN7rocprim17ROCPRIM_400000_NS6detail17trampoline_kernelINS0_14default_configENS1_33run_length_encode_config_selectorImjNS0_4plusIjEEEEZZNS1_33reduce_by_key_impl_wrapped_configILNS1_25lookback_scan_determinismE0ES3_S7_PKmNS0_17constant_iteratorIjlEEPmPlSF_S6_NS0_8equal_toImEEEE10hipError_tPvRmT2_T3_mT4_T5_T6_T7_T8_P12ihipStream_tbENKUlT_T0_E_clISt17integral_constantIbLb1EESY_IbLb0EEEEDaSU_SV_EUlSU_E_NS1_11comp_targetILNS1_3genE2ELNS1_11target_archE906ELNS1_3gpuE6ELNS1_3repE0EEENS1_30default_config_static_selectorELNS0_4arch9wavefront6targetE1EEEvT1_,comdat
	.protected	_ZN7rocprim17ROCPRIM_400000_NS6detail17trampoline_kernelINS0_14default_configENS1_33run_length_encode_config_selectorImjNS0_4plusIjEEEEZZNS1_33reduce_by_key_impl_wrapped_configILNS1_25lookback_scan_determinismE0ES3_S7_PKmNS0_17constant_iteratorIjlEEPmPlSF_S6_NS0_8equal_toImEEEE10hipError_tPvRmT2_T3_mT4_T5_T6_T7_T8_P12ihipStream_tbENKUlT_T0_E_clISt17integral_constantIbLb1EESY_IbLb0EEEEDaSU_SV_EUlSU_E_NS1_11comp_targetILNS1_3genE2ELNS1_11target_archE906ELNS1_3gpuE6ELNS1_3repE0EEENS1_30default_config_static_selectorELNS0_4arch9wavefront6targetE1EEEvT1_ ; -- Begin function _ZN7rocprim17ROCPRIM_400000_NS6detail17trampoline_kernelINS0_14default_configENS1_33run_length_encode_config_selectorImjNS0_4plusIjEEEEZZNS1_33reduce_by_key_impl_wrapped_configILNS1_25lookback_scan_determinismE0ES3_S7_PKmNS0_17constant_iteratorIjlEEPmPlSF_S6_NS0_8equal_toImEEEE10hipError_tPvRmT2_T3_mT4_T5_T6_T7_T8_P12ihipStream_tbENKUlT_T0_E_clISt17integral_constantIbLb1EESY_IbLb0EEEEDaSU_SV_EUlSU_E_NS1_11comp_targetILNS1_3genE2ELNS1_11target_archE906ELNS1_3gpuE6ELNS1_3repE0EEENS1_30default_config_static_selectorELNS0_4arch9wavefront6targetE1EEEvT1_
	.globl	_ZN7rocprim17ROCPRIM_400000_NS6detail17trampoline_kernelINS0_14default_configENS1_33run_length_encode_config_selectorImjNS0_4plusIjEEEEZZNS1_33reduce_by_key_impl_wrapped_configILNS1_25lookback_scan_determinismE0ES3_S7_PKmNS0_17constant_iteratorIjlEEPmPlSF_S6_NS0_8equal_toImEEEE10hipError_tPvRmT2_T3_mT4_T5_T6_T7_T8_P12ihipStream_tbENKUlT_T0_E_clISt17integral_constantIbLb1EESY_IbLb0EEEEDaSU_SV_EUlSU_E_NS1_11comp_targetILNS1_3genE2ELNS1_11target_archE906ELNS1_3gpuE6ELNS1_3repE0EEENS1_30default_config_static_selectorELNS0_4arch9wavefront6targetE1EEEvT1_
	.p2align	8
	.type	_ZN7rocprim17ROCPRIM_400000_NS6detail17trampoline_kernelINS0_14default_configENS1_33run_length_encode_config_selectorImjNS0_4plusIjEEEEZZNS1_33reduce_by_key_impl_wrapped_configILNS1_25lookback_scan_determinismE0ES3_S7_PKmNS0_17constant_iteratorIjlEEPmPlSF_S6_NS0_8equal_toImEEEE10hipError_tPvRmT2_T3_mT4_T5_T6_T7_T8_P12ihipStream_tbENKUlT_T0_E_clISt17integral_constantIbLb1EESY_IbLb0EEEEDaSU_SV_EUlSU_E_NS1_11comp_targetILNS1_3genE2ELNS1_11target_archE906ELNS1_3gpuE6ELNS1_3repE0EEENS1_30default_config_static_selectorELNS0_4arch9wavefront6targetE1EEEvT1_,@function
_ZN7rocprim17ROCPRIM_400000_NS6detail17trampoline_kernelINS0_14default_configENS1_33run_length_encode_config_selectorImjNS0_4plusIjEEEEZZNS1_33reduce_by_key_impl_wrapped_configILNS1_25lookback_scan_determinismE0ES3_S7_PKmNS0_17constant_iteratorIjlEEPmPlSF_S6_NS0_8equal_toImEEEE10hipError_tPvRmT2_T3_mT4_T5_T6_T7_T8_P12ihipStream_tbENKUlT_T0_E_clISt17integral_constantIbLb1EESY_IbLb0EEEEDaSU_SV_EUlSU_E_NS1_11comp_targetILNS1_3genE2ELNS1_11target_archE906ELNS1_3gpuE6ELNS1_3repE0EEENS1_30default_config_static_selectorELNS0_4arch9wavefront6targetE1EEEvT1_: ; @_ZN7rocprim17ROCPRIM_400000_NS6detail17trampoline_kernelINS0_14default_configENS1_33run_length_encode_config_selectorImjNS0_4plusIjEEEEZZNS1_33reduce_by_key_impl_wrapped_configILNS1_25lookback_scan_determinismE0ES3_S7_PKmNS0_17constant_iteratorIjlEEPmPlSF_S6_NS0_8equal_toImEEEE10hipError_tPvRmT2_T3_mT4_T5_T6_T7_T8_P12ihipStream_tbENKUlT_T0_E_clISt17integral_constantIbLb1EESY_IbLb0EEEEDaSU_SV_EUlSU_E_NS1_11comp_targetILNS1_3genE2ELNS1_11target_archE906ELNS1_3gpuE6ELNS1_3repE0EEENS1_30default_config_static_selectorELNS0_4arch9wavefront6targetE1EEEvT1_
; %bb.0:
	.section	.rodata,"a",@progbits
	.p2align	6, 0x0
	.amdhsa_kernel _ZN7rocprim17ROCPRIM_400000_NS6detail17trampoline_kernelINS0_14default_configENS1_33run_length_encode_config_selectorImjNS0_4plusIjEEEEZZNS1_33reduce_by_key_impl_wrapped_configILNS1_25lookback_scan_determinismE0ES3_S7_PKmNS0_17constant_iteratorIjlEEPmPlSF_S6_NS0_8equal_toImEEEE10hipError_tPvRmT2_T3_mT4_T5_T6_T7_T8_P12ihipStream_tbENKUlT_T0_E_clISt17integral_constantIbLb1EESY_IbLb0EEEEDaSU_SV_EUlSU_E_NS1_11comp_targetILNS1_3genE2ELNS1_11target_archE906ELNS1_3gpuE6ELNS1_3repE0EEENS1_30default_config_static_selectorELNS0_4arch9wavefront6targetE1EEEvT1_
		.amdhsa_group_segment_fixed_size 0
		.amdhsa_private_segment_fixed_size 0
		.amdhsa_kernarg_size 128
		.amdhsa_user_sgpr_count 2
		.amdhsa_user_sgpr_dispatch_ptr 0
		.amdhsa_user_sgpr_queue_ptr 0
		.amdhsa_user_sgpr_kernarg_segment_ptr 1
		.amdhsa_user_sgpr_dispatch_id 0
		.amdhsa_user_sgpr_kernarg_preload_length 0
		.amdhsa_user_sgpr_kernarg_preload_offset 0
		.amdhsa_user_sgpr_private_segment_size 0
		.amdhsa_uses_dynamic_stack 0
		.amdhsa_enable_private_segment 0
		.amdhsa_system_sgpr_workgroup_id_x 1
		.amdhsa_system_sgpr_workgroup_id_y 0
		.amdhsa_system_sgpr_workgroup_id_z 0
		.amdhsa_system_sgpr_workgroup_info 0
		.amdhsa_system_vgpr_workitem_id 0
		.amdhsa_next_free_vgpr 1
		.amdhsa_next_free_sgpr 0
		.amdhsa_accum_offset 4
		.amdhsa_reserve_vcc 0
		.amdhsa_float_round_mode_32 0
		.amdhsa_float_round_mode_16_64 0
		.amdhsa_float_denorm_mode_32 3
		.amdhsa_float_denorm_mode_16_64 3
		.amdhsa_dx10_clamp 1
		.amdhsa_ieee_mode 1
		.amdhsa_fp16_overflow 0
		.amdhsa_tg_split 0
		.amdhsa_exception_fp_ieee_invalid_op 0
		.amdhsa_exception_fp_denorm_src 0
		.amdhsa_exception_fp_ieee_div_zero 0
		.amdhsa_exception_fp_ieee_overflow 0
		.amdhsa_exception_fp_ieee_underflow 0
		.amdhsa_exception_fp_ieee_inexact 0
		.amdhsa_exception_int_div_zero 0
	.end_amdhsa_kernel
	.section	.text._ZN7rocprim17ROCPRIM_400000_NS6detail17trampoline_kernelINS0_14default_configENS1_33run_length_encode_config_selectorImjNS0_4plusIjEEEEZZNS1_33reduce_by_key_impl_wrapped_configILNS1_25lookback_scan_determinismE0ES3_S7_PKmNS0_17constant_iteratorIjlEEPmPlSF_S6_NS0_8equal_toImEEEE10hipError_tPvRmT2_T3_mT4_T5_T6_T7_T8_P12ihipStream_tbENKUlT_T0_E_clISt17integral_constantIbLb1EESY_IbLb0EEEEDaSU_SV_EUlSU_E_NS1_11comp_targetILNS1_3genE2ELNS1_11target_archE906ELNS1_3gpuE6ELNS1_3repE0EEENS1_30default_config_static_selectorELNS0_4arch9wavefront6targetE1EEEvT1_,"axG",@progbits,_ZN7rocprim17ROCPRIM_400000_NS6detail17trampoline_kernelINS0_14default_configENS1_33run_length_encode_config_selectorImjNS0_4plusIjEEEEZZNS1_33reduce_by_key_impl_wrapped_configILNS1_25lookback_scan_determinismE0ES3_S7_PKmNS0_17constant_iteratorIjlEEPmPlSF_S6_NS0_8equal_toImEEEE10hipError_tPvRmT2_T3_mT4_T5_T6_T7_T8_P12ihipStream_tbENKUlT_T0_E_clISt17integral_constantIbLb1EESY_IbLb0EEEEDaSU_SV_EUlSU_E_NS1_11comp_targetILNS1_3genE2ELNS1_11target_archE906ELNS1_3gpuE6ELNS1_3repE0EEENS1_30default_config_static_selectorELNS0_4arch9wavefront6targetE1EEEvT1_,comdat
.Lfunc_end740:
	.size	_ZN7rocprim17ROCPRIM_400000_NS6detail17trampoline_kernelINS0_14default_configENS1_33run_length_encode_config_selectorImjNS0_4plusIjEEEEZZNS1_33reduce_by_key_impl_wrapped_configILNS1_25lookback_scan_determinismE0ES3_S7_PKmNS0_17constant_iteratorIjlEEPmPlSF_S6_NS0_8equal_toImEEEE10hipError_tPvRmT2_T3_mT4_T5_T6_T7_T8_P12ihipStream_tbENKUlT_T0_E_clISt17integral_constantIbLb1EESY_IbLb0EEEEDaSU_SV_EUlSU_E_NS1_11comp_targetILNS1_3genE2ELNS1_11target_archE906ELNS1_3gpuE6ELNS1_3repE0EEENS1_30default_config_static_selectorELNS0_4arch9wavefront6targetE1EEEvT1_, .Lfunc_end740-_ZN7rocprim17ROCPRIM_400000_NS6detail17trampoline_kernelINS0_14default_configENS1_33run_length_encode_config_selectorImjNS0_4plusIjEEEEZZNS1_33reduce_by_key_impl_wrapped_configILNS1_25lookback_scan_determinismE0ES3_S7_PKmNS0_17constant_iteratorIjlEEPmPlSF_S6_NS0_8equal_toImEEEE10hipError_tPvRmT2_T3_mT4_T5_T6_T7_T8_P12ihipStream_tbENKUlT_T0_E_clISt17integral_constantIbLb1EESY_IbLb0EEEEDaSU_SV_EUlSU_E_NS1_11comp_targetILNS1_3genE2ELNS1_11target_archE906ELNS1_3gpuE6ELNS1_3repE0EEENS1_30default_config_static_selectorELNS0_4arch9wavefront6targetE1EEEvT1_
                                        ; -- End function
	.section	.AMDGPU.csdata,"",@progbits
; Kernel info:
; codeLenInByte = 0
; NumSgprs: 6
; NumVgprs: 0
; NumAgprs: 0
; TotalNumVgprs: 0
; ScratchSize: 0
; MemoryBound: 0
; FloatMode: 240
; IeeeMode: 1
; LDSByteSize: 0 bytes/workgroup (compile time only)
; SGPRBlocks: 0
; VGPRBlocks: 0
; NumSGPRsForWavesPerEU: 6
; NumVGPRsForWavesPerEU: 1
; AccumOffset: 4
; Occupancy: 8
; WaveLimiterHint : 0
; COMPUTE_PGM_RSRC2:SCRATCH_EN: 0
; COMPUTE_PGM_RSRC2:USER_SGPR: 2
; COMPUTE_PGM_RSRC2:TRAP_HANDLER: 0
; COMPUTE_PGM_RSRC2:TGID_X_EN: 1
; COMPUTE_PGM_RSRC2:TGID_Y_EN: 0
; COMPUTE_PGM_RSRC2:TGID_Z_EN: 0
; COMPUTE_PGM_RSRC2:TIDIG_COMP_CNT: 0
; COMPUTE_PGM_RSRC3_GFX90A:ACCUM_OFFSET: 0
; COMPUTE_PGM_RSRC3_GFX90A:TG_SPLIT: 0
	.section	.text._ZN7rocprim17ROCPRIM_400000_NS6detail17trampoline_kernelINS0_14default_configENS1_33run_length_encode_config_selectorImjNS0_4plusIjEEEEZZNS1_33reduce_by_key_impl_wrapped_configILNS1_25lookback_scan_determinismE0ES3_S7_PKmNS0_17constant_iteratorIjlEEPmPlSF_S6_NS0_8equal_toImEEEE10hipError_tPvRmT2_T3_mT4_T5_T6_T7_T8_P12ihipStream_tbENKUlT_T0_E_clISt17integral_constantIbLb1EESY_IbLb0EEEEDaSU_SV_EUlSU_E_NS1_11comp_targetILNS1_3genE10ELNS1_11target_archE1201ELNS1_3gpuE5ELNS1_3repE0EEENS1_30default_config_static_selectorELNS0_4arch9wavefront6targetE1EEEvT1_,"axG",@progbits,_ZN7rocprim17ROCPRIM_400000_NS6detail17trampoline_kernelINS0_14default_configENS1_33run_length_encode_config_selectorImjNS0_4plusIjEEEEZZNS1_33reduce_by_key_impl_wrapped_configILNS1_25lookback_scan_determinismE0ES3_S7_PKmNS0_17constant_iteratorIjlEEPmPlSF_S6_NS0_8equal_toImEEEE10hipError_tPvRmT2_T3_mT4_T5_T6_T7_T8_P12ihipStream_tbENKUlT_T0_E_clISt17integral_constantIbLb1EESY_IbLb0EEEEDaSU_SV_EUlSU_E_NS1_11comp_targetILNS1_3genE10ELNS1_11target_archE1201ELNS1_3gpuE5ELNS1_3repE0EEENS1_30default_config_static_selectorELNS0_4arch9wavefront6targetE1EEEvT1_,comdat
	.protected	_ZN7rocprim17ROCPRIM_400000_NS6detail17trampoline_kernelINS0_14default_configENS1_33run_length_encode_config_selectorImjNS0_4plusIjEEEEZZNS1_33reduce_by_key_impl_wrapped_configILNS1_25lookback_scan_determinismE0ES3_S7_PKmNS0_17constant_iteratorIjlEEPmPlSF_S6_NS0_8equal_toImEEEE10hipError_tPvRmT2_T3_mT4_T5_T6_T7_T8_P12ihipStream_tbENKUlT_T0_E_clISt17integral_constantIbLb1EESY_IbLb0EEEEDaSU_SV_EUlSU_E_NS1_11comp_targetILNS1_3genE10ELNS1_11target_archE1201ELNS1_3gpuE5ELNS1_3repE0EEENS1_30default_config_static_selectorELNS0_4arch9wavefront6targetE1EEEvT1_ ; -- Begin function _ZN7rocprim17ROCPRIM_400000_NS6detail17trampoline_kernelINS0_14default_configENS1_33run_length_encode_config_selectorImjNS0_4plusIjEEEEZZNS1_33reduce_by_key_impl_wrapped_configILNS1_25lookback_scan_determinismE0ES3_S7_PKmNS0_17constant_iteratorIjlEEPmPlSF_S6_NS0_8equal_toImEEEE10hipError_tPvRmT2_T3_mT4_T5_T6_T7_T8_P12ihipStream_tbENKUlT_T0_E_clISt17integral_constantIbLb1EESY_IbLb0EEEEDaSU_SV_EUlSU_E_NS1_11comp_targetILNS1_3genE10ELNS1_11target_archE1201ELNS1_3gpuE5ELNS1_3repE0EEENS1_30default_config_static_selectorELNS0_4arch9wavefront6targetE1EEEvT1_
	.globl	_ZN7rocprim17ROCPRIM_400000_NS6detail17trampoline_kernelINS0_14default_configENS1_33run_length_encode_config_selectorImjNS0_4plusIjEEEEZZNS1_33reduce_by_key_impl_wrapped_configILNS1_25lookback_scan_determinismE0ES3_S7_PKmNS0_17constant_iteratorIjlEEPmPlSF_S6_NS0_8equal_toImEEEE10hipError_tPvRmT2_T3_mT4_T5_T6_T7_T8_P12ihipStream_tbENKUlT_T0_E_clISt17integral_constantIbLb1EESY_IbLb0EEEEDaSU_SV_EUlSU_E_NS1_11comp_targetILNS1_3genE10ELNS1_11target_archE1201ELNS1_3gpuE5ELNS1_3repE0EEENS1_30default_config_static_selectorELNS0_4arch9wavefront6targetE1EEEvT1_
	.p2align	8
	.type	_ZN7rocprim17ROCPRIM_400000_NS6detail17trampoline_kernelINS0_14default_configENS1_33run_length_encode_config_selectorImjNS0_4plusIjEEEEZZNS1_33reduce_by_key_impl_wrapped_configILNS1_25lookback_scan_determinismE0ES3_S7_PKmNS0_17constant_iteratorIjlEEPmPlSF_S6_NS0_8equal_toImEEEE10hipError_tPvRmT2_T3_mT4_T5_T6_T7_T8_P12ihipStream_tbENKUlT_T0_E_clISt17integral_constantIbLb1EESY_IbLb0EEEEDaSU_SV_EUlSU_E_NS1_11comp_targetILNS1_3genE10ELNS1_11target_archE1201ELNS1_3gpuE5ELNS1_3repE0EEENS1_30default_config_static_selectorELNS0_4arch9wavefront6targetE1EEEvT1_,@function
_ZN7rocprim17ROCPRIM_400000_NS6detail17trampoline_kernelINS0_14default_configENS1_33run_length_encode_config_selectorImjNS0_4plusIjEEEEZZNS1_33reduce_by_key_impl_wrapped_configILNS1_25lookback_scan_determinismE0ES3_S7_PKmNS0_17constant_iteratorIjlEEPmPlSF_S6_NS0_8equal_toImEEEE10hipError_tPvRmT2_T3_mT4_T5_T6_T7_T8_P12ihipStream_tbENKUlT_T0_E_clISt17integral_constantIbLb1EESY_IbLb0EEEEDaSU_SV_EUlSU_E_NS1_11comp_targetILNS1_3genE10ELNS1_11target_archE1201ELNS1_3gpuE5ELNS1_3repE0EEENS1_30default_config_static_selectorELNS0_4arch9wavefront6targetE1EEEvT1_: ; @_ZN7rocprim17ROCPRIM_400000_NS6detail17trampoline_kernelINS0_14default_configENS1_33run_length_encode_config_selectorImjNS0_4plusIjEEEEZZNS1_33reduce_by_key_impl_wrapped_configILNS1_25lookback_scan_determinismE0ES3_S7_PKmNS0_17constant_iteratorIjlEEPmPlSF_S6_NS0_8equal_toImEEEE10hipError_tPvRmT2_T3_mT4_T5_T6_T7_T8_P12ihipStream_tbENKUlT_T0_E_clISt17integral_constantIbLb1EESY_IbLb0EEEEDaSU_SV_EUlSU_E_NS1_11comp_targetILNS1_3genE10ELNS1_11target_archE1201ELNS1_3gpuE5ELNS1_3repE0EEENS1_30default_config_static_selectorELNS0_4arch9wavefront6targetE1EEEvT1_
; %bb.0:
	.section	.rodata,"a",@progbits
	.p2align	6, 0x0
	.amdhsa_kernel _ZN7rocprim17ROCPRIM_400000_NS6detail17trampoline_kernelINS0_14default_configENS1_33run_length_encode_config_selectorImjNS0_4plusIjEEEEZZNS1_33reduce_by_key_impl_wrapped_configILNS1_25lookback_scan_determinismE0ES3_S7_PKmNS0_17constant_iteratorIjlEEPmPlSF_S6_NS0_8equal_toImEEEE10hipError_tPvRmT2_T3_mT4_T5_T6_T7_T8_P12ihipStream_tbENKUlT_T0_E_clISt17integral_constantIbLb1EESY_IbLb0EEEEDaSU_SV_EUlSU_E_NS1_11comp_targetILNS1_3genE10ELNS1_11target_archE1201ELNS1_3gpuE5ELNS1_3repE0EEENS1_30default_config_static_selectorELNS0_4arch9wavefront6targetE1EEEvT1_
		.amdhsa_group_segment_fixed_size 0
		.amdhsa_private_segment_fixed_size 0
		.amdhsa_kernarg_size 128
		.amdhsa_user_sgpr_count 2
		.amdhsa_user_sgpr_dispatch_ptr 0
		.amdhsa_user_sgpr_queue_ptr 0
		.amdhsa_user_sgpr_kernarg_segment_ptr 1
		.amdhsa_user_sgpr_dispatch_id 0
		.amdhsa_user_sgpr_kernarg_preload_length 0
		.amdhsa_user_sgpr_kernarg_preload_offset 0
		.amdhsa_user_sgpr_private_segment_size 0
		.amdhsa_uses_dynamic_stack 0
		.amdhsa_enable_private_segment 0
		.amdhsa_system_sgpr_workgroup_id_x 1
		.amdhsa_system_sgpr_workgroup_id_y 0
		.amdhsa_system_sgpr_workgroup_id_z 0
		.amdhsa_system_sgpr_workgroup_info 0
		.amdhsa_system_vgpr_workitem_id 0
		.amdhsa_next_free_vgpr 1
		.amdhsa_next_free_sgpr 0
		.amdhsa_accum_offset 4
		.amdhsa_reserve_vcc 0
		.amdhsa_float_round_mode_32 0
		.amdhsa_float_round_mode_16_64 0
		.amdhsa_float_denorm_mode_32 3
		.amdhsa_float_denorm_mode_16_64 3
		.amdhsa_dx10_clamp 1
		.amdhsa_ieee_mode 1
		.amdhsa_fp16_overflow 0
		.amdhsa_tg_split 0
		.amdhsa_exception_fp_ieee_invalid_op 0
		.amdhsa_exception_fp_denorm_src 0
		.amdhsa_exception_fp_ieee_div_zero 0
		.amdhsa_exception_fp_ieee_overflow 0
		.amdhsa_exception_fp_ieee_underflow 0
		.amdhsa_exception_fp_ieee_inexact 0
		.amdhsa_exception_int_div_zero 0
	.end_amdhsa_kernel
	.section	.text._ZN7rocprim17ROCPRIM_400000_NS6detail17trampoline_kernelINS0_14default_configENS1_33run_length_encode_config_selectorImjNS0_4plusIjEEEEZZNS1_33reduce_by_key_impl_wrapped_configILNS1_25lookback_scan_determinismE0ES3_S7_PKmNS0_17constant_iteratorIjlEEPmPlSF_S6_NS0_8equal_toImEEEE10hipError_tPvRmT2_T3_mT4_T5_T6_T7_T8_P12ihipStream_tbENKUlT_T0_E_clISt17integral_constantIbLb1EESY_IbLb0EEEEDaSU_SV_EUlSU_E_NS1_11comp_targetILNS1_3genE10ELNS1_11target_archE1201ELNS1_3gpuE5ELNS1_3repE0EEENS1_30default_config_static_selectorELNS0_4arch9wavefront6targetE1EEEvT1_,"axG",@progbits,_ZN7rocprim17ROCPRIM_400000_NS6detail17trampoline_kernelINS0_14default_configENS1_33run_length_encode_config_selectorImjNS0_4plusIjEEEEZZNS1_33reduce_by_key_impl_wrapped_configILNS1_25lookback_scan_determinismE0ES3_S7_PKmNS0_17constant_iteratorIjlEEPmPlSF_S6_NS0_8equal_toImEEEE10hipError_tPvRmT2_T3_mT4_T5_T6_T7_T8_P12ihipStream_tbENKUlT_T0_E_clISt17integral_constantIbLb1EESY_IbLb0EEEEDaSU_SV_EUlSU_E_NS1_11comp_targetILNS1_3genE10ELNS1_11target_archE1201ELNS1_3gpuE5ELNS1_3repE0EEENS1_30default_config_static_selectorELNS0_4arch9wavefront6targetE1EEEvT1_,comdat
.Lfunc_end741:
	.size	_ZN7rocprim17ROCPRIM_400000_NS6detail17trampoline_kernelINS0_14default_configENS1_33run_length_encode_config_selectorImjNS0_4plusIjEEEEZZNS1_33reduce_by_key_impl_wrapped_configILNS1_25lookback_scan_determinismE0ES3_S7_PKmNS0_17constant_iteratorIjlEEPmPlSF_S6_NS0_8equal_toImEEEE10hipError_tPvRmT2_T3_mT4_T5_T6_T7_T8_P12ihipStream_tbENKUlT_T0_E_clISt17integral_constantIbLb1EESY_IbLb0EEEEDaSU_SV_EUlSU_E_NS1_11comp_targetILNS1_3genE10ELNS1_11target_archE1201ELNS1_3gpuE5ELNS1_3repE0EEENS1_30default_config_static_selectorELNS0_4arch9wavefront6targetE1EEEvT1_, .Lfunc_end741-_ZN7rocprim17ROCPRIM_400000_NS6detail17trampoline_kernelINS0_14default_configENS1_33run_length_encode_config_selectorImjNS0_4plusIjEEEEZZNS1_33reduce_by_key_impl_wrapped_configILNS1_25lookback_scan_determinismE0ES3_S7_PKmNS0_17constant_iteratorIjlEEPmPlSF_S6_NS0_8equal_toImEEEE10hipError_tPvRmT2_T3_mT4_T5_T6_T7_T8_P12ihipStream_tbENKUlT_T0_E_clISt17integral_constantIbLb1EESY_IbLb0EEEEDaSU_SV_EUlSU_E_NS1_11comp_targetILNS1_3genE10ELNS1_11target_archE1201ELNS1_3gpuE5ELNS1_3repE0EEENS1_30default_config_static_selectorELNS0_4arch9wavefront6targetE1EEEvT1_
                                        ; -- End function
	.section	.AMDGPU.csdata,"",@progbits
; Kernel info:
; codeLenInByte = 0
; NumSgprs: 6
; NumVgprs: 0
; NumAgprs: 0
; TotalNumVgprs: 0
; ScratchSize: 0
; MemoryBound: 0
; FloatMode: 240
; IeeeMode: 1
; LDSByteSize: 0 bytes/workgroup (compile time only)
; SGPRBlocks: 0
; VGPRBlocks: 0
; NumSGPRsForWavesPerEU: 6
; NumVGPRsForWavesPerEU: 1
; AccumOffset: 4
; Occupancy: 8
; WaveLimiterHint : 0
; COMPUTE_PGM_RSRC2:SCRATCH_EN: 0
; COMPUTE_PGM_RSRC2:USER_SGPR: 2
; COMPUTE_PGM_RSRC2:TRAP_HANDLER: 0
; COMPUTE_PGM_RSRC2:TGID_X_EN: 1
; COMPUTE_PGM_RSRC2:TGID_Y_EN: 0
; COMPUTE_PGM_RSRC2:TGID_Z_EN: 0
; COMPUTE_PGM_RSRC2:TIDIG_COMP_CNT: 0
; COMPUTE_PGM_RSRC3_GFX90A:ACCUM_OFFSET: 0
; COMPUTE_PGM_RSRC3_GFX90A:TG_SPLIT: 0
	.section	.text._ZN7rocprim17ROCPRIM_400000_NS6detail17trampoline_kernelINS0_14default_configENS1_33run_length_encode_config_selectorImjNS0_4plusIjEEEEZZNS1_33reduce_by_key_impl_wrapped_configILNS1_25lookback_scan_determinismE0ES3_S7_PKmNS0_17constant_iteratorIjlEEPmPlSF_S6_NS0_8equal_toImEEEE10hipError_tPvRmT2_T3_mT4_T5_T6_T7_T8_P12ihipStream_tbENKUlT_T0_E_clISt17integral_constantIbLb1EESY_IbLb0EEEEDaSU_SV_EUlSU_E_NS1_11comp_targetILNS1_3genE10ELNS1_11target_archE1200ELNS1_3gpuE4ELNS1_3repE0EEENS1_30default_config_static_selectorELNS0_4arch9wavefront6targetE1EEEvT1_,"axG",@progbits,_ZN7rocprim17ROCPRIM_400000_NS6detail17trampoline_kernelINS0_14default_configENS1_33run_length_encode_config_selectorImjNS0_4plusIjEEEEZZNS1_33reduce_by_key_impl_wrapped_configILNS1_25lookback_scan_determinismE0ES3_S7_PKmNS0_17constant_iteratorIjlEEPmPlSF_S6_NS0_8equal_toImEEEE10hipError_tPvRmT2_T3_mT4_T5_T6_T7_T8_P12ihipStream_tbENKUlT_T0_E_clISt17integral_constantIbLb1EESY_IbLb0EEEEDaSU_SV_EUlSU_E_NS1_11comp_targetILNS1_3genE10ELNS1_11target_archE1200ELNS1_3gpuE4ELNS1_3repE0EEENS1_30default_config_static_selectorELNS0_4arch9wavefront6targetE1EEEvT1_,comdat
	.protected	_ZN7rocprim17ROCPRIM_400000_NS6detail17trampoline_kernelINS0_14default_configENS1_33run_length_encode_config_selectorImjNS0_4plusIjEEEEZZNS1_33reduce_by_key_impl_wrapped_configILNS1_25lookback_scan_determinismE0ES3_S7_PKmNS0_17constant_iteratorIjlEEPmPlSF_S6_NS0_8equal_toImEEEE10hipError_tPvRmT2_T3_mT4_T5_T6_T7_T8_P12ihipStream_tbENKUlT_T0_E_clISt17integral_constantIbLb1EESY_IbLb0EEEEDaSU_SV_EUlSU_E_NS1_11comp_targetILNS1_3genE10ELNS1_11target_archE1200ELNS1_3gpuE4ELNS1_3repE0EEENS1_30default_config_static_selectorELNS0_4arch9wavefront6targetE1EEEvT1_ ; -- Begin function _ZN7rocprim17ROCPRIM_400000_NS6detail17trampoline_kernelINS0_14default_configENS1_33run_length_encode_config_selectorImjNS0_4plusIjEEEEZZNS1_33reduce_by_key_impl_wrapped_configILNS1_25lookback_scan_determinismE0ES3_S7_PKmNS0_17constant_iteratorIjlEEPmPlSF_S6_NS0_8equal_toImEEEE10hipError_tPvRmT2_T3_mT4_T5_T6_T7_T8_P12ihipStream_tbENKUlT_T0_E_clISt17integral_constantIbLb1EESY_IbLb0EEEEDaSU_SV_EUlSU_E_NS1_11comp_targetILNS1_3genE10ELNS1_11target_archE1200ELNS1_3gpuE4ELNS1_3repE0EEENS1_30default_config_static_selectorELNS0_4arch9wavefront6targetE1EEEvT1_
	.globl	_ZN7rocprim17ROCPRIM_400000_NS6detail17trampoline_kernelINS0_14default_configENS1_33run_length_encode_config_selectorImjNS0_4plusIjEEEEZZNS1_33reduce_by_key_impl_wrapped_configILNS1_25lookback_scan_determinismE0ES3_S7_PKmNS0_17constant_iteratorIjlEEPmPlSF_S6_NS0_8equal_toImEEEE10hipError_tPvRmT2_T3_mT4_T5_T6_T7_T8_P12ihipStream_tbENKUlT_T0_E_clISt17integral_constantIbLb1EESY_IbLb0EEEEDaSU_SV_EUlSU_E_NS1_11comp_targetILNS1_3genE10ELNS1_11target_archE1200ELNS1_3gpuE4ELNS1_3repE0EEENS1_30default_config_static_selectorELNS0_4arch9wavefront6targetE1EEEvT1_
	.p2align	8
	.type	_ZN7rocprim17ROCPRIM_400000_NS6detail17trampoline_kernelINS0_14default_configENS1_33run_length_encode_config_selectorImjNS0_4plusIjEEEEZZNS1_33reduce_by_key_impl_wrapped_configILNS1_25lookback_scan_determinismE0ES3_S7_PKmNS0_17constant_iteratorIjlEEPmPlSF_S6_NS0_8equal_toImEEEE10hipError_tPvRmT2_T3_mT4_T5_T6_T7_T8_P12ihipStream_tbENKUlT_T0_E_clISt17integral_constantIbLb1EESY_IbLb0EEEEDaSU_SV_EUlSU_E_NS1_11comp_targetILNS1_3genE10ELNS1_11target_archE1200ELNS1_3gpuE4ELNS1_3repE0EEENS1_30default_config_static_selectorELNS0_4arch9wavefront6targetE1EEEvT1_,@function
_ZN7rocprim17ROCPRIM_400000_NS6detail17trampoline_kernelINS0_14default_configENS1_33run_length_encode_config_selectorImjNS0_4plusIjEEEEZZNS1_33reduce_by_key_impl_wrapped_configILNS1_25lookback_scan_determinismE0ES3_S7_PKmNS0_17constant_iteratorIjlEEPmPlSF_S6_NS0_8equal_toImEEEE10hipError_tPvRmT2_T3_mT4_T5_T6_T7_T8_P12ihipStream_tbENKUlT_T0_E_clISt17integral_constantIbLb1EESY_IbLb0EEEEDaSU_SV_EUlSU_E_NS1_11comp_targetILNS1_3genE10ELNS1_11target_archE1200ELNS1_3gpuE4ELNS1_3repE0EEENS1_30default_config_static_selectorELNS0_4arch9wavefront6targetE1EEEvT1_: ; @_ZN7rocprim17ROCPRIM_400000_NS6detail17trampoline_kernelINS0_14default_configENS1_33run_length_encode_config_selectorImjNS0_4plusIjEEEEZZNS1_33reduce_by_key_impl_wrapped_configILNS1_25lookback_scan_determinismE0ES3_S7_PKmNS0_17constant_iteratorIjlEEPmPlSF_S6_NS0_8equal_toImEEEE10hipError_tPvRmT2_T3_mT4_T5_T6_T7_T8_P12ihipStream_tbENKUlT_T0_E_clISt17integral_constantIbLb1EESY_IbLb0EEEEDaSU_SV_EUlSU_E_NS1_11comp_targetILNS1_3genE10ELNS1_11target_archE1200ELNS1_3gpuE4ELNS1_3repE0EEENS1_30default_config_static_selectorELNS0_4arch9wavefront6targetE1EEEvT1_
; %bb.0:
	.section	.rodata,"a",@progbits
	.p2align	6, 0x0
	.amdhsa_kernel _ZN7rocprim17ROCPRIM_400000_NS6detail17trampoline_kernelINS0_14default_configENS1_33run_length_encode_config_selectorImjNS0_4plusIjEEEEZZNS1_33reduce_by_key_impl_wrapped_configILNS1_25lookback_scan_determinismE0ES3_S7_PKmNS0_17constant_iteratorIjlEEPmPlSF_S6_NS0_8equal_toImEEEE10hipError_tPvRmT2_T3_mT4_T5_T6_T7_T8_P12ihipStream_tbENKUlT_T0_E_clISt17integral_constantIbLb1EESY_IbLb0EEEEDaSU_SV_EUlSU_E_NS1_11comp_targetILNS1_3genE10ELNS1_11target_archE1200ELNS1_3gpuE4ELNS1_3repE0EEENS1_30default_config_static_selectorELNS0_4arch9wavefront6targetE1EEEvT1_
		.amdhsa_group_segment_fixed_size 0
		.amdhsa_private_segment_fixed_size 0
		.amdhsa_kernarg_size 128
		.amdhsa_user_sgpr_count 2
		.amdhsa_user_sgpr_dispatch_ptr 0
		.amdhsa_user_sgpr_queue_ptr 0
		.amdhsa_user_sgpr_kernarg_segment_ptr 1
		.amdhsa_user_sgpr_dispatch_id 0
		.amdhsa_user_sgpr_kernarg_preload_length 0
		.amdhsa_user_sgpr_kernarg_preload_offset 0
		.amdhsa_user_sgpr_private_segment_size 0
		.amdhsa_uses_dynamic_stack 0
		.amdhsa_enable_private_segment 0
		.amdhsa_system_sgpr_workgroup_id_x 1
		.amdhsa_system_sgpr_workgroup_id_y 0
		.amdhsa_system_sgpr_workgroup_id_z 0
		.amdhsa_system_sgpr_workgroup_info 0
		.amdhsa_system_vgpr_workitem_id 0
		.amdhsa_next_free_vgpr 1
		.amdhsa_next_free_sgpr 0
		.amdhsa_accum_offset 4
		.amdhsa_reserve_vcc 0
		.amdhsa_float_round_mode_32 0
		.amdhsa_float_round_mode_16_64 0
		.amdhsa_float_denorm_mode_32 3
		.amdhsa_float_denorm_mode_16_64 3
		.amdhsa_dx10_clamp 1
		.amdhsa_ieee_mode 1
		.amdhsa_fp16_overflow 0
		.amdhsa_tg_split 0
		.amdhsa_exception_fp_ieee_invalid_op 0
		.amdhsa_exception_fp_denorm_src 0
		.amdhsa_exception_fp_ieee_div_zero 0
		.amdhsa_exception_fp_ieee_overflow 0
		.amdhsa_exception_fp_ieee_underflow 0
		.amdhsa_exception_fp_ieee_inexact 0
		.amdhsa_exception_int_div_zero 0
	.end_amdhsa_kernel
	.section	.text._ZN7rocprim17ROCPRIM_400000_NS6detail17trampoline_kernelINS0_14default_configENS1_33run_length_encode_config_selectorImjNS0_4plusIjEEEEZZNS1_33reduce_by_key_impl_wrapped_configILNS1_25lookback_scan_determinismE0ES3_S7_PKmNS0_17constant_iteratorIjlEEPmPlSF_S6_NS0_8equal_toImEEEE10hipError_tPvRmT2_T3_mT4_T5_T6_T7_T8_P12ihipStream_tbENKUlT_T0_E_clISt17integral_constantIbLb1EESY_IbLb0EEEEDaSU_SV_EUlSU_E_NS1_11comp_targetILNS1_3genE10ELNS1_11target_archE1200ELNS1_3gpuE4ELNS1_3repE0EEENS1_30default_config_static_selectorELNS0_4arch9wavefront6targetE1EEEvT1_,"axG",@progbits,_ZN7rocprim17ROCPRIM_400000_NS6detail17trampoline_kernelINS0_14default_configENS1_33run_length_encode_config_selectorImjNS0_4plusIjEEEEZZNS1_33reduce_by_key_impl_wrapped_configILNS1_25lookback_scan_determinismE0ES3_S7_PKmNS0_17constant_iteratorIjlEEPmPlSF_S6_NS0_8equal_toImEEEE10hipError_tPvRmT2_T3_mT4_T5_T6_T7_T8_P12ihipStream_tbENKUlT_T0_E_clISt17integral_constantIbLb1EESY_IbLb0EEEEDaSU_SV_EUlSU_E_NS1_11comp_targetILNS1_3genE10ELNS1_11target_archE1200ELNS1_3gpuE4ELNS1_3repE0EEENS1_30default_config_static_selectorELNS0_4arch9wavefront6targetE1EEEvT1_,comdat
.Lfunc_end742:
	.size	_ZN7rocprim17ROCPRIM_400000_NS6detail17trampoline_kernelINS0_14default_configENS1_33run_length_encode_config_selectorImjNS0_4plusIjEEEEZZNS1_33reduce_by_key_impl_wrapped_configILNS1_25lookback_scan_determinismE0ES3_S7_PKmNS0_17constant_iteratorIjlEEPmPlSF_S6_NS0_8equal_toImEEEE10hipError_tPvRmT2_T3_mT4_T5_T6_T7_T8_P12ihipStream_tbENKUlT_T0_E_clISt17integral_constantIbLb1EESY_IbLb0EEEEDaSU_SV_EUlSU_E_NS1_11comp_targetILNS1_3genE10ELNS1_11target_archE1200ELNS1_3gpuE4ELNS1_3repE0EEENS1_30default_config_static_selectorELNS0_4arch9wavefront6targetE1EEEvT1_, .Lfunc_end742-_ZN7rocprim17ROCPRIM_400000_NS6detail17trampoline_kernelINS0_14default_configENS1_33run_length_encode_config_selectorImjNS0_4plusIjEEEEZZNS1_33reduce_by_key_impl_wrapped_configILNS1_25lookback_scan_determinismE0ES3_S7_PKmNS0_17constant_iteratorIjlEEPmPlSF_S6_NS0_8equal_toImEEEE10hipError_tPvRmT2_T3_mT4_T5_T6_T7_T8_P12ihipStream_tbENKUlT_T0_E_clISt17integral_constantIbLb1EESY_IbLb0EEEEDaSU_SV_EUlSU_E_NS1_11comp_targetILNS1_3genE10ELNS1_11target_archE1200ELNS1_3gpuE4ELNS1_3repE0EEENS1_30default_config_static_selectorELNS0_4arch9wavefront6targetE1EEEvT1_
                                        ; -- End function
	.section	.AMDGPU.csdata,"",@progbits
; Kernel info:
; codeLenInByte = 0
; NumSgprs: 6
; NumVgprs: 0
; NumAgprs: 0
; TotalNumVgprs: 0
; ScratchSize: 0
; MemoryBound: 0
; FloatMode: 240
; IeeeMode: 1
; LDSByteSize: 0 bytes/workgroup (compile time only)
; SGPRBlocks: 0
; VGPRBlocks: 0
; NumSGPRsForWavesPerEU: 6
; NumVGPRsForWavesPerEU: 1
; AccumOffset: 4
; Occupancy: 8
; WaveLimiterHint : 0
; COMPUTE_PGM_RSRC2:SCRATCH_EN: 0
; COMPUTE_PGM_RSRC2:USER_SGPR: 2
; COMPUTE_PGM_RSRC2:TRAP_HANDLER: 0
; COMPUTE_PGM_RSRC2:TGID_X_EN: 1
; COMPUTE_PGM_RSRC2:TGID_Y_EN: 0
; COMPUTE_PGM_RSRC2:TGID_Z_EN: 0
; COMPUTE_PGM_RSRC2:TIDIG_COMP_CNT: 0
; COMPUTE_PGM_RSRC3_GFX90A:ACCUM_OFFSET: 0
; COMPUTE_PGM_RSRC3_GFX90A:TG_SPLIT: 0
	.section	.text._ZN7rocprim17ROCPRIM_400000_NS6detail17trampoline_kernelINS0_14default_configENS1_33run_length_encode_config_selectorImjNS0_4plusIjEEEEZZNS1_33reduce_by_key_impl_wrapped_configILNS1_25lookback_scan_determinismE0ES3_S7_PKmNS0_17constant_iteratorIjlEEPmPlSF_S6_NS0_8equal_toImEEEE10hipError_tPvRmT2_T3_mT4_T5_T6_T7_T8_P12ihipStream_tbENKUlT_T0_E_clISt17integral_constantIbLb1EESY_IbLb0EEEEDaSU_SV_EUlSU_E_NS1_11comp_targetILNS1_3genE9ELNS1_11target_archE1100ELNS1_3gpuE3ELNS1_3repE0EEENS1_30default_config_static_selectorELNS0_4arch9wavefront6targetE1EEEvT1_,"axG",@progbits,_ZN7rocprim17ROCPRIM_400000_NS6detail17trampoline_kernelINS0_14default_configENS1_33run_length_encode_config_selectorImjNS0_4plusIjEEEEZZNS1_33reduce_by_key_impl_wrapped_configILNS1_25lookback_scan_determinismE0ES3_S7_PKmNS0_17constant_iteratorIjlEEPmPlSF_S6_NS0_8equal_toImEEEE10hipError_tPvRmT2_T3_mT4_T5_T6_T7_T8_P12ihipStream_tbENKUlT_T0_E_clISt17integral_constantIbLb1EESY_IbLb0EEEEDaSU_SV_EUlSU_E_NS1_11comp_targetILNS1_3genE9ELNS1_11target_archE1100ELNS1_3gpuE3ELNS1_3repE0EEENS1_30default_config_static_selectorELNS0_4arch9wavefront6targetE1EEEvT1_,comdat
	.protected	_ZN7rocprim17ROCPRIM_400000_NS6detail17trampoline_kernelINS0_14default_configENS1_33run_length_encode_config_selectorImjNS0_4plusIjEEEEZZNS1_33reduce_by_key_impl_wrapped_configILNS1_25lookback_scan_determinismE0ES3_S7_PKmNS0_17constant_iteratorIjlEEPmPlSF_S6_NS0_8equal_toImEEEE10hipError_tPvRmT2_T3_mT4_T5_T6_T7_T8_P12ihipStream_tbENKUlT_T0_E_clISt17integral_constantIbLb1EESY_IbLb0EEEEDaSU_SV_EUlSU_E_NS1_11comp_targetILNS1_3genE9ELNS1_11target_archE1100ELNS1_3gpuE3ELNS1_3repE0EEENS1_30default_config_static_selectorELNS0_4arch9wavefront6targetE1EEEvT1_ ; -- Begin function _ZN7rocprim17ROCPRIM_400000_NS6detail17trampoline_kernelINS0_14default_configENS1_33run_length_encode_config_selectorImjNS0_4plusIjEEEEZZNS1_33reduce_by_key_impl_wrapped_configILNS1_25lookback_scan_determinismE0ES3_S7_PKmNS0_17constant_iteratorIjlEEPmPlSF_S6_NS0_8equal_toImEEEE10hipError_tPvRmT2_T3_mT4_T5_T6_T7_T8_P12ihipStream_tbENKUlT_T0_E_clISt17integral_constantIbLb1EESY_IbLb0EEEEDaSU_SV_EUlSU_E_NS1_11comp_targetILNS1_3genE9ELNS1_11target_archE1100ELNS1_3gpuE3ELNS1_3repE0EEENS1_30default_config_static_selectorELNS0_4arch9wavefront6targetE1EEEvT1_
	.globl	_ZN7rocprim17ROCPRIM_400000_NS6detail17trampoline_kernelINS0_14default_configENS1_33run_length_encode_config_selectorImjNS0_4plusIjEEEEZZNS1_33reduce_by_key_impl_wrapped_configILNS1_25lookback_scan_determinismE0ES3_S7_PKmNS0_17constant_iteratorIjlEEPmPlSF_S6_NS0_8equal_toImEEEE10hipError_tPvRmT2_T3_mT4_T5_T6_T7_T8_P12ihipStream_tbENKUlT_T0_E_clISt17integral_constantIbLb1EESY_IbLb0EEEEDaSU_SV_EUlSU_E_NS1_11comp_targetILNS1_3genE9ELNS1_11target_archE1100ELNS1_3gpuE3ELNS1_3repE0EEENS1_30default_config_static_selectorELNS0_4arch9wavefront6targetE1EEEvT1_
	.p2align	8
	.type	_ZN7rocprim17ROCPRIM_400000_NS6detail17trampoline_kernelINS0_14default_configENS1_33run_length_encode_config_selectorImjNS0_4plusIjEEEEZZNS1_33reduce_by_key_impl_wrapped_configILNS1_25lookback_scan_determinismE0ES3_S7_PKmNS0_17constant_iteratorIjlEEPmPlSF_S6_NS0_8equal_toImEEEE10hipError_tPvRmT2_T3_mT4_T5_T6_T7_T8_P12ihipStream_tbENKUlT_T0_E_clISt17integral_constantIbLb1EESY_IbLb0EEEEDaSU_SV_EUlSU_E_NS1_11comp_targetILNS1_3genE9ELNS1_11target_archE1100ELNS1_3gpuE3ELNS1_3repE0EEENS1_30default_config_static_selectorELNS0_4arch9wavefront6targetE1EEEvT1_,@function
_ZN7rocprim17ROCPRIM_400000_NS6detail17trampoline_kernelINS0_14default_configENS1_33run_length_encode_config_selectorImjNS0_4plusIjEEEEZZNS1_33reduce_by_key_impl_wrapped_configILNS1_25lookback_scan_determinismE0ES3_S7_PKmNS0_17constant_iteratorIjlEEPmPlSF_S6_NS0_8equal_toImEEEE10hipError_tPvRmT2_T3_mT4_T5_T6_T7_T8_P12ihipStream_tbENKUlT_T0_E_clISt17integral_constantIbLb1EESY_IbLb0EEEEDaSU_SV_EUlSU_E_NS1_11comp_targetILNS1_3genE9ELNS1_11target_archE1100ELNS1_3gpuE3ELNS1_3repE0EEENS1_30default_config_static_selectorELNS0_4arch9wavefront6targetE1EEEvT1_: ; @_ZN7rocprim17ROCPRIM_400000_NS6detail17trampoline_kernelINS0_14default_configENS1_33run_length_encode_config_selectorImjNS0_4plusIjEEEEZZNS1_33reduce_by_key_impl_wrapped_configILNS1_25lookback_scan_determinismE0ES3_S7_PKmNS0_17constant_iteratorIjlEEPmPlSF_S6_NS0_8equal_toImEEEE10hipError_tPvRmT2_T3_mT4_T5_T6_T7_T8_P12ihipStream_tbENKUlT_T0_E_clISt17integral_constantIbLb1EESY_IbLb0EEEEDaSU_SV_EUlSU_E_NS1_11comp_targetILNS1_3genE9ELNS1_11target_archE1100ELNS1_3gpuE3ELNS1_3repE0EEENS1_30default_config_static_selectorELNS0_4arch9wavefront6targetE1EEEvT1_
; %bb.0:
	.section	.rodata,"a",@progbits
	.p2align	6, 0x0
	.amdhsa_kernel _ZN7rocprim17ROCPRIM_400000_NS6detail17trampoline_kernelINS0_14default_configENS1_33run_length_encode_config_selectorImjNS0_4plusIjEEEEZZNS1_33reduce_by_key_impl_wrapped_configILNS1_25lookback_scan_determinismE0ES3_S7_PKmNS0_17constant_iteratorIjlEEPmPlSF_S6_NS0_8equal_toImEEEE10hipError_tPvRmT2_T3_mT4_T5_T6_T7_T8_P12ihipStream_tbENKUlT_T0_E_clISt17integral_constantIbLb1EESY_IbLb0EEEEDaSU_SV_EUlSU_E_NS1_11comp_targetILNS1_3genE9ELNS1_11target_archE1100ELNS1_3gpuE3ELNS1_3repE0EEENS1_30default_config_static_selectorELNS0_4arch9wavefront6targetE1EEEvT1_
		.amdhsa_group_segment_fixed_size 0
		.amdhsa_private_segment_fixed_size 0
		.amdhsa_kernarg_size 128
		.amdhsa_user_sgpr_count 2
		.amdhsa_user_sgpr_dispatch_ptr 0
		.amdhsa_user_sgpr_queue_ptr 0
		.amdhsa_user_sgpr_kernarg_segment_ptr 1
		.amdhsa_user_sgpr_dispatch_id 0
		.amdhsa_user_sgpr_kernarg_preload_length 0
		.amdhsa_user_sgpr_kernarg_preload_offset 0
		.amdhsa_user_sgpr_private_segment_size 0
		.amdhsa_uses_dynamic_stack 0
		.amdhsa_enable_private_segment 0
		.amdhsa_system_sgpr_workgroup_id_x 1
		.amdhsa_system_sgpr_workgroup_id_y 0
		.amdhsa_system_sgpr_workgroup_id_z 0
		.amdhsa_system_sgpr_workgroup_info 0
		.amdhsa_system_vgpr_workitem_id 0
		.amdhsa_next_free_vgpr 1
		.amdhsa_next_free_sgpr 0
		.amdhsa_accum_offset 4
		.amdhsa_reserve_vcc 0
		.amdhsa_float_round_mode_32 0
		.amdhsa_float_round_mode_16_64 0
		.amdhsa_float_denorm_mode_32 3
		.amdhsa_float_denorm_mode_16_64 3
		.amdhsa_dx10_clamp 1
		.amdhsa_ieee_mode 1
		.amdhsa_fp16_overflow 0
		.amdhsa_tg_split 0
		.amdhsa_exception_fp_ieee_invalid_op 0
		.amdhsa_exception_fp_denorm_src 0
		.amdhsa_exception_fp_ieee_div_zero 0
		.amdhsa_exception_fp_ieee_overflow 0
		.amdhsa_exception_fp_ieee_underflow 0
		.amdhsa_exception_fp_ieee_inexact 0
		.amdhsa_exception_int_div_zero 0
	.end_amdhsa_kernel
	.section	.text._ZN7rocprim17ROCPRIM_400000_NS6detail17trampoline_kernelINS0_14default_configENS1_33run_length_encode_config_selectorImjNS0_4plusIjEEEEZZNS1_33reduce_by_key_impl_wrapped_configILNS1_25lookback_scan_determinismE0ES3_S7_PKmNS0_17constant_iteratorIjlEEPmPlSF_S6_NS0_8equal_toImEEEE10hipError_tPvRmT2_T3_mT4_T5_T6_T7_T8_P12ihipStream_tbENKUlT_T0_E_clISt17integral_constantIbLb1EESY_IbLb0EEEEDaSU_SV_EUlSU_E_NS1_11comp_targetILNS1_3genE9ELNS1_11target_archE1100ELNS1_3gpuE3ELNS1_3repE0EEENS1_30default_config_static_selectorELNS0_4arch9wavefront6targetE1EEEvT1_,"axG",@progbits,_ZN7rocprim17ROCPRIM_400000_NS6detail17trampoline_kernelINS0_14default_configENS1_33run_length_encode_config_selectorImjNS0_4plusIjEEEEZZNS1_33reduce_by_key_impl_wrapped_configILNS1_25lookback_scan_determinismE0ES3_S7_PKmNS0_17constant_iteratorIjlEEPmPlSF_S6_NS0_8equal_toImEEEE10hipError_tPvRmT2_T3_mT4_T5_T6_T7_T8_P12ihipStream_tbENKUlT_T0_E_clISt17integral_constantIbLb1EESY_IbLb0EEEEDaSU_SV_EUlSU_E_NS1_11comp_targetILNS1_3genE9ELNS1_11target_archE1100ELNS1_3gpuE3ELNS1_3repE0EEENS1_30default_config_static_selectorELNS0_4arch9wavefront6targetE1EEEvT1_,comdat
.Lfunc_end743:
	.size	_ZN7rocprim17ROCPRIM_400000_NS6detail17trampoline_kernelINS0_14default_configENS1_33run_length_encode_config_selectorImjNS0_4plusIjEEEEZZNS1_33reduce_by_key_impl_wrapped_configILNS1_25lookback_scan_determinismE0ES3_S7_PKmNS0_17constant_iteratorIjlEEPmPlSF_S6_NS0_8equal_toImEEEE10hipError_tPvRmT2_T3_mT4_T5_T6_T7_T8_P12ihipStream_tbENKUlT_T0_E_clISt17integral_constantIbLb1EESY_IbLb0EEEEDaSU_SV_EUlSU_E_NS1_11comp_targetILNS1_3genE9ELNS1_11target_archE1100ELNS1_3gpuE3ELNS1_3repE0EEENS1_30default_config_static_selectorELNS0_4arch9wavefront6targetE1EEEvT1_, .Lfunc_end743-_ZN7rocprim17ROCPRIM_400000_NS6detail17trampoline_kernelINS0_14default_configENS1_33run_length_encode_config_selectorImjNS0_4plusIjEEEEZZNS1_33reduce_by_key_impl_wrapped_configILNS1_25lookback_scan_determinismE0ES3_S7_PKmNS0_17constant_iteratorIjlEEPmPlSF_S6_NS0_8equal_toImEEEE10hipError_tPvRmT2_T3_mT4_T5_T6_T7_T8_P12ihipStream_tbENKUlT_T0_E_clISt17integral_constantIbLb1EESY_IbLb0EEEEDaSU_SV_EUlSU_E_NS1_11comp_targetILNS1_3genE9ELNS1_11target_archE1100ELNS1_3gpuE3ELNS1_3repE0EEENS1_30default_config_static_selectorELNS0_4arch9wavefront6targetE1EEEvT1_
                                        ; -- End function
	.section	.AMDGPU.csdata,"",@progbits
; Kernel info:
; codeLenInByte = 0
; NumSgprs: 6
; NumVgprs: 0
; NumAgprs: 0
; TotalNumVgprs: 0
; ScratchSize: 0
; MemoryBound: 0
; FloatMode: 240
; IeeeMode: 1
; LDSByteSize: 0 bytes/workgroup (compile time only)
; SGPRBlocks: 0
; VGPRBlocks: 0
; NumSGPRsForWavesPerEU: 6
; NumVGPRsForWavesPerEU: 1
; AccumOffset: 4
; Occupancy: 8
; WaveLimiterHint : 0
; COMPUTE_PGM_RSRC2:SCRATCH_EN: 0
; COMPUTE_PGM_RSRC2:USER_SGPR: 2
; COMPUTE_PGM_RSRC2:TRAP_HANDLER: 0
; COMPUTE_PGM_RSRC2:TGID_X_EN: 1
; COMPUTE_PGM_RSRC2:TGID_Y_EN: 0
; COMPUTE_PGM_RSRC2:TGID_Z_EN: 0
; COMPUTE_PGM_RSRC2:TIDIG_COMP_CNT: 0
; COMPUTE_PGM_RSRC3_GFX90A:ACCUM_OFFSET: 0
; COMPUTE_PGM_RSRC3_GFX90A:TG_SPLIT: 0
	.section	.text._ZN7rocprim17ROCPRIM_400000_NS6detail17trampoline_kernelINS0_14default_configENS1_33run_length_encode_config_selectorImjNS0_4plusIjEEEEZZNS1_33reduce_by_key_impl_wrapped_configILNS1_25lookback_scan_determinismE0ES3_S7_PKmNS0_17constant_iteratorIjlEEPmPlSF_S6_NS0_8equal_toImEEEE10hipError_tPvRmT2_T3_mT4_T5_T6_T7_T8_P12ihipStream_tbENKUlT_T0_E_clISt17integral_constantIbLb1EESY_IbLb0EEEEDaSU_SV_EUlSU_E_NS1_11comp_targetILNS1_3genE8ELNS1_11target_archE1030ELNS1_3gpuE2ELNS1_3repE0EEENS1_30default_config_static_selectorELNS0_4arch9wavefront6targetE1EEEvT1_,"axG",@progbits,_ZN7rocprim17ROCPRIM_400000_NS6detail17trampoline_kernelINS0_14default_configENS1_33run_length_encode_config_selectorImjNS0_4plusIjEEEEZZNS1_33reduce_by_key_impl_wrapped_configILNS1_25lookback_scan_determinismE0ES3_S7_PKmNS0_17constant_iteratorIjlEEPmPlSF_S6_NS0_8equal_toImEEEE10hipError_tPvRmT2_T3_mT4_T5_T6_T7_T8_P12ihipStream_tbENKUlT_T0_E_clISt17integral_constantIbLb1EESY_IbLb0EEEEDaSU_SV_EUlSU_E_NS1_11comp_targetILNS1_3genE8ELNS1_11target_archE1030ELNS1_3gpuE2ELNS1_3repE0EEENS1_30default_config_static_selectorELNS0_4arch9wavefront6targetE1EEEvT1_,comdat
	.protected	_ZN7rocprim17ROCPRIM_400000_NS6detail17trampoline_kernelINS0_14default_configENS1_33run_length_encode_config_selectorImjNS0_4plusIjEEEEZZNS1_33reduce_by_key_impl_wrapped_configILNS1_25lookback_scan_determinismE0ES3_S7_PKmNS0_17constant_iteratorIjlEEPmPlSF_S6_NS0_8equal_toImEEEE10hipError_tPvRmT2_T3_mT4_T5_T6_T7_T8_P12ihipStream_tbENKUlT_T0_E_clISt17integral_constantIbLb1EESY_IbLb0EEEEDaSU_SV_EUlSU_E_NS1_11comp_targetILNS1_3genE8ELNS1_11target_archE1030ELNS1_3gpuE2ELNS1_3repE0EEENS1_30default_config_static_selectorELNS0_4arch9wavefront6targetE1EEEvT1_ ; -- Begin function _ZN7rocprim17ROCPRIM_400000_NS6detail17trampoline_kernelINS0_14default_configENS1_33run_length_encode_config_selectorImjNS0_4plusIjEEEEZZNS1_33reduce_by_key_impl_wrapped_configILNS1_25lookback_scan_determinismE0ES3_S7_PKmNS0_17constant_iteratorIjlEEPmPlSF_S6_NS0_8equal_toImEEEE10hipError_tPvRmT2_T3_mT4_T5_T6_T7_T8_P12ihipStream_tbENKUlT_T0_E_clISt17integral_constantIbLb1EESY_IbLb0EEEEDaSU_SV_EUlSU_E_NS1_11comp_targetILNS1_3genE8ELNS1_11target_archE1030ELNS1_3gpuE2ELNS1_3repE0EEENS1_30default_config_static_selectorELNS0_4arch9wavefront6targetE1EEEvT1_
	.globl	_ZN7rocprim17ROCPRIM_400000_NS6detail17trampoline_kernelINS0_14default_configENS1_33run_length_encode_config_selectorImjNS0_4plusIjEEEEZZNS1_33reduce_by_key_impl_wrapped_configILNS1_25lookback_scan_determinismE0ES3_S7_PKmNS0_17constant_iteratorIjlEEPmPlSF_S6_NS0_8equal_toImEEEE10hipError_tPvRmT2_T3_mT4_T5_T6_T7_T8_P12ihipStream_tbENKUlT_T0_E_clISt17integral_constantIbLb1EESY_IbLb0EEEEDaSU_SV_EUlSU_E_NS1_11comp_targetILNS1_3genE8ELNS1_11target_archE1030ELNS1_3gpuE2ELNS1_3repE0EEENS1_30default_config_static_selectorELNS0_4arch9wavefront6targetE1EEEvT1_
	.p2align	8
	.type	_ZN7rocprim17ROCPRIM_400000_NS6detail17trampoline_kernelINS0_14default_configENS1_33run_length_encode_config_selectorImjNS0_4plusIjEEEEZZNS1_33reduce_by_key_impl_wrapped_configILNS1_25lookback_scan_determinismE0ES3_S7_PKmNS0_17constant_iteratorIjlEEPmPlSF_S6_NS0_8equal_toImEEEE10hipError_tPvRmT2_T3_mT4_T5_T6_T7_T8_P12ihipStream_tbENKUlT_T0_E_clISt17integral_constantIbLb1EESY_IbLb0EEEEDaSU_SV_EUlSU_E_NS1_11comp_targetILNS1_3genE8ELNS1_11target_archE1030ELNS1_3gpuE2ELNS1_3repE0EEENS1_30default_config_static_selectorELNS0_4arch9wavefront6targetE1EEEvT1_,@function
_ZN7rocprim17ROCPRIM_400000_NS6detail17trampoline_kernelINS0_14default_configENS1_33run_length_encode_config_selectorImjNS0_4plusIjEEEEZZNS1_33reduce_by_key_impl_wrapped_configILNS1_25lookback_scan_determinismE0ES3_S7_PKmNS0_17constant_iteratorIjlEEPmPlSF_S6_NS0_8equal_toImEEEE10hipError_tPvRmT2_T3_mT4_T5_T6_T7_T8_P12ihipStream_tbENKUlT_T0_E_clISt17integral_constantIbLb1EESY_IbLb0EEEEDaSU_SV_EUlSU_E_NS1_11comp_targetILNS1_3genE8ELNS1_11target_archE1030ELNS1_3gpuE2ELNS1_3repE0EEENS1_30default_config_static_selectorELNS0_4arch9wavefront6targetE1EEEvT1_: ; @_ZN7rocprim17ROCPRIM_400000_NS6detail17trampoline_kernelINS0_14default_configENS1_33run_length_encode_config_selectorImjNS0_4plusIjEEEEZZNS1_33reduce_by_key_impl_wrapped_configILNS1_25lookback_scan_determinismE0ES3_S7_PKmNS0_17constant_iteratorIjlEEPmPlSF_S6_NS0_8equal_toImEEEE10hipError_tPvRmT2_T3_mT4_T5_T6_T7_T8_P12ihipStream_tbENKUlT_T0_E_clISt17integral_constantIbLb1EESY_IbLb0EEEEDaSU_SV_EUlSU_E_NS1_11comp_targetILNS1_3genE8ELNS1_11target_archE1030ELNS1_3gpuE2ELNS1_3repE0EEENS1_30default_config_static_selectorELNS0_4arch9wavefront6targetE1EEEvT1_
; %bb.0:
	.section	.rodata,"a",@progbits
	.p2align	6, 0x0
	.amdhsa_kernel _ZN7rocprim17ROCPRIM_400000_NS6detail17trampoline_kernelINS0_14default_configENS1_33run_length_encode_config_selectorImjNS0_4plusIjEEEEZZNS1_33reduce_by_key_impl_wrapped_configILNS1_25lookback_scan_determinismE0ES3_S7_PKmNS0_17constant_iteratorIjlEEPmPlSF_S6_NS0_8equal_toImEEEE10hipError_tPvRmT2_T3_mT4_T5_T6_T7_T8_P12ihipStream_tbENKUlT_T0_E_clISt17integral_constantIbLb1EESY_IbLb0EEEEDaSU_SV_EUlSU_E_NS1_11comp_targetILNS1_3genE8ELNS1_11target_archE1030ELNS1_3gpuE2ELNS1_3repE0EEENS1_30default_config_static_selectorELNS0_4arch9wavefront6targetE1EEEvT1_
		.amdhsa_group_segment_fixed_size 0
		.amdhsa_private_segment_fixed_size 0
		.amdhsa_kernarg_size 128
		.amdhsa_user_sgpr_count 2
		.amdhsa_user_sgpr_dispatch_ptr 0
		.amdhsa_user_sgpr_queue_ptr 0
		.amdhsa_user_sgpr_kernarg_segment_ptr 1
		.amdhsa_user_sgpr_dispatch_id 0
		.amdhsa_user_sgpr_kernarg_preload_length 0
		.amdhsa_user_sgpr_kernarg_preload_offset 0
		.amdhsa_user_sgpr_private_segment_size 0
		.amdhsa_uses_dynamic_stack 0
		.amdhsa_enable_private_segment 0
		.amdhsa_system_sgpr_workgroup_id_x 1
		.amdhsa_system_sgpr_workgroup_id_y 0
		.amdhsa_system_sgpr_workgroup_id_z 0
		.amdhsa_system_sgpr_workgroup_info 0
		.amdhsa_system_vgpr_workitem_id 0
		.amdhsa_next_free_vgpr 1
		.amdhsa_next_free_sgpr 0
		.amdhsa_accum_offset 4
		.amdhsa_reserve_vcc 0
		.amdhsa_float_round_mode_32 0
		.amdhsa_float_round_mode_16_64 0
		.amdhsa_float_denorm_mode_32 3
		.amdhsa_float_denorm_mode_16_64 3
		.amdhsa_dx10_clamp 1
		.amdhsa_ieee_mode 1
		.amdhsa_fp16_overflow 0
		.amdhsa_tg_split 0
		.amdhsa_exception_fp_ieee_invalid_op 0
		.amdhsa_exception_fp_denorm_src 0
		.amdhsa_exception_fp_ieee_div_zero 0
		.amdhsa_exception_fp_ieee_overflow 0
		.amdhsa_exception_fp_ieee_underflow 0
		.amdhsa_exception_fp_ieee_inexact 0
		.amdhsa_exception_int_div_zero 0
	.end_amdhsa_kernel
	.section	.text._ZN7rocprim17ROCPRIM_400000_NS6detail17trampoline_kernelINS0_14default_configENS1_33run_length_encode_config_selectorImjNS0_4plusIjEEEEZZNS1_33reduce_by_key_impl_wrapped_configILNS1_25lookback_scan_determinismE0ES3_S7_PKmNS0_17constant_iteratorIjlEEPmPlSF_S6_NS0_8equal_toImEEEE10hipError_tPvRmT2_T3_mT4_T5_T6_T7_T8_P12ihipStream_tbENKUlT_T0_E_clISt17integral_constantIbLb1EESY_IbLb0EEEEDaSU_SV_EUlSU_E_NS1_11comp_targetILNS1_3genE8ELNS1_11target_archE1030ELNS1_3gpuE2ELNS1_3repE0EEENS1_30default_config_static_selectorELNS0_4arch9wavefront6targetE1EEEvT1_,"axG",@progbits,_ZN7rocprim17ROCPRIM_400000_NS6detail17trampoline_kernelINS0_14default_configENS1_33run_length_encode_config_selectorImjNS0_4plusIjEEEEZZNS1_33reduce_by_key_impl_wrapped_configILNS1_25lookback_scan_determinismE0ES3_S7_PKmNS0_17constant_iteratorIjlEEPmPlSF_S6_NS0_8equal_toImEEEE10hipError_tPvRmT2_T3_mT4_T5_T6_T7_T8_P12ihipStream_tbENKUlT_T0_E_clISt17integral_constantIbLb1EESY_IbLb0EEEEDaSU_SV_EUlSU_E_NS1_11comp_targetILNS1_3genE8ELNS1_11target_archE1030ELNS1_3gpuE2ELNS1_3repE0EEENS1_30default_config_static_selectorELNS0_4arch9wavefront6targetE1EEEvT1_,comdat
.Lfunc_end744:
	.size	_ZN7rocprim17ROCPRIM_400000_NS6detail17trampoline_kernelINS0_14default_configENS1_33run_length_encode_config_selectorImjNS0_4plusIjEEEEZZNS1_33reduce_by_key_impl_wrapped_configILNS1_25lookback_scan_determinismE0ES3_S7_PKmNS0_17constant_iteratorIjlEEPmPlSF_S6_NS0_8equal_toImEEEE10hipError_tPvRmT2_T3_mT4_T5_T6_T7_T8_P12ihipStream_tbENKUlT_T0_E_clISt17integral_constantIbLb1EESY_IbLb0EEEEDaSU_SV_EUlSU_E_NS1_11comp_targetILNS1_3genE8ELNS1_11target_archE1030ELNS1_3gpuE2ELNS1_3repE0EEENS1_30default_config_static_selectorELNS0_4arch9wavefront6targetE1EEEvT1_, .Lfunc_end744-_ZN7rocprim17ROCPRIM_400000_NS6detail17trampoline_kernelINS0_14default_configENS1_33run_length_encode_config_selectorImjNS0_4plusIjEEEEZZNS1_33reduce_by_key_impl_wrapped_configILNS1_25lookback_scan_determinismE0ES3_S7_PKmNS0_17constant_iteratorIjlEEPmPlSF_S6_NS0_8equal_toImEEEE10hipError_tPvRmT2_T3_mT4_T5_T6_T7_T8_P12ihipStream_tbENKUlT_T0_E_clISt17integral_constantIbLb1EESY_IbLb0EEEEDaSU_SV_EUlSU_E_NS1_11comp_targetILNS1_3genE8ELNS1_11target_archE1030ELNS1_3gpuE2ELNS1_3repE0EEENS1_30default_config_static_selectorELNS0_4arch9wavefront6targetE1EEEvT1_
                                        ; -- End function
	.section	.AMDGPU.csdata,"",@progbits
; Kernel info:
; codeLenInByte = 0
; NumSgprs: 6
; NumVgprs: 0
; NumAgprs: 0
; TotalNumVgprs: 0
; ScratchSize: 0
; MemoryBound: 0
; FloatMode: 240
; IeeeMode: 1
; LDSByteSize: 0 bytes/workgroup (compile time only)
; SGPRBlocks: 0
; VGPRBlocks: 0
; NumSGPRsForWavesPerEU: 6
; NumVGPRsForWavesPerEU: 1
; AccumOffset: 4
; Occupancy: 8
; WaveLimiterHint : 0
; COMPUTE_PGM_RSRC2:SCRATCH_EN: 0
; COMPUTE_PGM_RSRC2:USER_SGPR: 2
; COMPUTE_PGM_RSRC2:TRAP_HANDLER: 0
; COMPUTE_PGM_RSRC2:TGID_X_EN: 1
; COMPUTE_PGM_RSRC2:TGID_Y_EN: 0
; COMPUTE_PGM_RSRC2:TGID_Z_EN: 0
; COMPUTE_PGM_RSRC2:TIDIG_COMP_CNT: 0
; COMPUTE_PGM_RSRC3_GFX90A:ACCUM_OFFSET: 0
; COMPUTE_PGM_RSRC3_GFX90A:TG_SPLIT: 0
	.section	.text._ZN7rocprim17ROCPRIM_400000_NS6detail17trampoline_kernelINS0_14default_configENS1_33run_length_encode_config_selectorImjNS0_4plusIjEEEEZZNS1_33reduce_by_key_impl_wrapped_configILNS1_25lookback_scan_determinismE0ES3_S7_PKmNS0_17constant_iteratorIjlEEPmPlSF_S6_NS0_8equal_toImEEEE10hipError_tPvRmT2_T3_mT4_T5_T6_T7_T8_P12ihipStream_tbENKUlT_T0_E_clISt17integral_constantIbLb0EESY_IbLb1EEEEDaSU_SV_EUlSU_E_NS1_11comp_targetILNS1_3genE0ELNS1_11target_archE4294967295ELNS1_3gpuE0ELNS1_3repE0EEENS1_30default_config_static_selectorELNS0_4arch9wavefront6targetE1EEEvT1_,"axG",@progbits,_ZN7rocprim17ROCPRIM_400000_NS6detail17trampoline_kernelINS0_14default_configENS1_33run_length_encode_config_selectorImjNS0_4plusIjEEEEZZNS1_33reduce_by_key_impl_wrapped_configILNS1_25lookback_scan_determinismE0ES3_S7_PKmNS0_17constant_iteratorIjlEEPmPlSF_S6_NS0_8equal_toImEEEE10hipError_tPvRmT2_T3_mT4_T5_T6_T7_T8_P12ihipStream_tbENKUlT_T0_E_clISt17integral_constantIbLb0EESY_IbLb1EEEEDaSU_SV_EUlSU_E_NS1_11comp_targetILNS1_3genE0ELNS1_11target_archE4294967295ELNS1_3gpuE0ELNS1_3repE0EEENS1_30default_config_static_selectorELNS0_4arch9wavefront6targetE1EEEvT1_,comdat
	.protected	_ZN7rocprim17ROCPRIM_400000_NS6detail17trampoline_kernelINS0_14default_configENS1_33run_length_encode_config_selectorImjNS0_4plusIjEEEEZZNS1_33reduce_by_key_impl_wrapped_configILNS1_25lookback_scan_determinismE0ES3_S7_PKmNS0_17constant_iteratorIjlEEPmPlSF_S6_NS0_8equal_toImEEEE10hipError_tPvRmT2_T3_mT4_T5_T6_T7_T8_P12ihipStream_tbENKUlT_T0_E_clISt17integral_constantIbLb0EESY_IbLb1EEEEDaSU_SV_EUlSU_E_NS1_11comp_targetILNS1_3genE0ELNS1_11target_archE4294967295ELNS1_3gpuE0ELNS1_3repE0EEENS1_30default_config_static_selectorELNS0_4arch9wavefront6targetE1EEEvT1_ ; -- Begin function _ZN7rocprim17ROCPRIM_400000_NS6detail17trampoline_kernelINS0_14default_configENS1_33run_length_encode_config_selectorImjNS0_4plusIjEEEEZZNS1_33reduce_by_key_impl_wrapped_configILNS1_25lookback_scan_determinismE0ES3_S7_PKmNS0_17constant_iteratorIjlEEPmPlSF_S6_NS0_8equal_toImEEEE10hipError_tPvRmT2_T3_mT4_T5_T6_T7_T8_P12ihipStream_tbENKUlT_T0_E_clISt17integral_constantIbLb0EESY_IbLb1EEEEDaSU_SV_EUlSU_E_NS1_11comp_targetILNS1_3genE0ELNS1_11target_archE4294967295ELNS1_3gpuE0ELNS1_3repE0EEENS1_30default_config_static_selectorELNS0_4arch9wavefront6targetE1EEEvT1_
	.globl	_ZN7rocprim17ROCPRIM_400000_NS6detail17trampoline_kernelINS0_14default_configENS1_33run_length_encode_config_selectorImjNS0_4plusIjEEEEZZNS1_33reduce_by_key_impl_wrapped_configILNS1_25lookback_scan_determinismE0ES3_S7_PKmNS0_17constant_iteratorIjlEEPmPlSF_S6_NS0_8equal_toImEEEE10hipError_tPvRmT2_T3_mT4_T5_T6_T7_T8_P12ihipStream_tbENKUlT_T0_E_clISt17integral_constantIbLb0EESY_IbLb1EEEEDaSU_SV_EUlSU_E_NS1_11comp_targetILNS1_3genE0ELNS1_11target_archE4294967295ELNS1_3gpuE0ELNS1_3repE0EEENS1_30default_config_static_selectorELNS0_4arch9wavefront6targetE1EEEvT1_
	.p2align	8
	.type	_ZN7rocprim17ROCPRIM_400000_NS6detail17trampoline_kernelINS0_14default_configENS1_33run_length_encode_config_selectorImjNS0_4plusIjEEEEZZNS1_33reduce_by_key_impl_wrapped_configILNS1_25lookback_scan_determinismE0ES3_S7_PKmNS0_17constant_iteratorIjlEEPmPlSF_S6_NS0_8equal_toImEEEE10hipError_tPvRmT2_T3_mT4_T5_T6_T7_T8_P12ihipStream_tbENKUlT_T0_E_clISt17integral_constantIbLb0EESY_IbLb1EEEEDaSU_SV_EUlSU_E_NS1_11comp_targetILNS1_3genE0ELNS1_11target_archE4294967295ELNS1_3gpuE0ELNS1_3repE0EEENS1_30default_config_static_selectorELNS0_4arch9wavefront6targetE1EEEvT1_,@function
_ZN7rocprim17ROCPRIM_400000_NS6detail17trampoline_kernelINS0_14default_configENS1_33run_length_encode_config_selectorImjNS0_4plusIjEEEEZZNS1_33reduce_by_key_impl_wrapped_configILNS1_25lookback_scan_determinismE0ES3_S7_PKmNS0_17constant_iteratorIjlEEPmPlSF_S6_NS0_8equal_toImEEEE10hipError_tPvRmT2_T3_mT4_T5_T6_T7_T8_P12ihipStream_tbENKUlT_T0_E_clISt17integral_constantIbLb0EESY_IbLb1EEEEDaSU_SV_EUlSU_E_NS1_11comp_targetILNS1_3genE0ELNS1_11target_archE4294967295ELNS1_3gpuE0ELNS1_3repE0EEENS1_30default_config_static_selectorELNS0_4arch9wavefront6targetE1EEEvT1_: ; @_ZN7rocprim17ROCPRIM_400000_NS6detail17trampoline_kernelINS0_14default_configENS1_33run_length_encode_config_selectorImjNS0_4plusIjEEEEZZNS1_33reduce_by_key_impl_wrapped_configILNS1_25lookback_scan_determinismE0ES3_S7_PKmNS0_17constant_iteratorIjlEEPmPlSF_S6_NS0_8equal_toImEEEE10hipError_tPvRmT2_T3_mT4_T5_T6_T7_T8_P12ihipStream_tbENKUlT_T0_E_clISt17integral_constantIbLb0EESY_IbLb1EEEEDaSU_SV_EUlSU_E_NS1_11comp_targetILNS1_3genE0ELNS1_11target_archE4294967295ELNS1_3gpuE0ELNS1_3repE0EEENS1_30default_config_static_selectorELNS0_4arch9wavefront6targetE1EEEvT1_
; %bb.0:
	.section	.rodata,"a",@progbits
	.p2align	6, 0x0
	.amdhsa_kernel _ZN7rocprim17ROCPRIM_400000_NS6detail17trampoline_kernelINS0_14default_configENS1_33run_length_encode_config_selectorImjNS0_4plusIjEEEEZZNS1_33reduce_by_key_impl_wrapped_configILNS1_25lookback_scan_determinismE0ES3_S7_PKmNS0_17constant_iteratorIjlEEPmPlSF_S6_NS0_8equal_toImEEEE10hipError_tPvRmT2_T3_mT4_T5_T6_T7_T8_P12ihipStream_tbENKUlT_T0_E_clISt17integral_constantIbLb0EESY_IbLb1EEEEDaSU_SV_EUlSU_E_NS1_11comp_targetILNS1_3genE0ELNS1_11target_archE4294967295ELNS1_3gpuE0ELNS1_3repE0EEENS1_30default_config_static_selectorELNS0_4arch9wavefront6targetE1EEEvT1_
		.amdhsa_group_segment_fixed_size 0
		.amdhsa_private_segment_fixed_size 0
		.amdhsa_kernarg_size 128
		.amdhsa_user_sgpr_count 2
		.amdhsa_user_sgpr_dispatch_ptr 0
		.amdhsa_user_sgpr_queue_ptr 0
		.amdhsa_user_sgpr_kernarg_segment_ptr 1
		.amdhsa_user_sgpr_dispatch_id 0
		.amdhsa_user_sgpr_kernarg_preload_length 0
		.amdhsa_user_sgpr_kernarg_preload_offset 0
		.amdhsa_user_sgpr_private_segment_size 0
		.amdhsa_uses_dynamic_stack 0
		.amdhsa_enable_private_segment 0
		.amdhsa_system_sgpr_workgroup_id_x 1
		.amdhsa_system_sgpr_workgroup_id_y 0
		.amdhsa_system_sgpr_workgroup_id_z 0
		.amdhsa_system_sgpr_workgroup_info 0
		.amdhsa_system_vgpr_workitem_id 0
		.amdhsa_next_free_vgpr 1
		.amdhsa_next_free_sgpr 0
		.amdhsa_accum_offset 4
		.amdhsa_reserve_vcc 0
		.amdhsa_float_round_mode_32 0
		.amdhsa_float_round_mode_16_64 0
		.amdhsa_float_denorm_mode_32 3
		.amdhsa_float_denorm_mode_16_64 3
		.amdhsa_dx10_clamp 1
		.amdhsa_ieee_mode 1
		.amdhsa_fp16_overflow 0
		.amdhsa_tg_split 0
		.amdhsa_exception_fp_ieee_invalid_op 0
		.amdhsa_exception_fp_denorm_src 0
		.amdhsa_exception_fp_ieee_div_zero 0
		.amdhsa_exception_fp_ieee_overflow 0
		.amdhsa_exception_fp_ieee_underflow 0
		.amdhsa_exception_fp_ieee_inexact 0
		.amdhsa_exception_int_div_zero 0
	.end_amdhsa_kernel
	.section	.text._ZN7rocprim17ROCPRIM_400000_NS6detail17trampoline_kernelINS0_14default_configENS1_33run_length_encode_config_selectorImjNS0_4plusIjEEEEZZNS1_33reduce_by_key_impl_wrapped_configILNS1_25lookback_scan_determinismE0ES3_S7_PKmNS0_17constant_iteratorIjlEEPmPlSF_S6_NS0_8equal_toImEEEE10hipError_tPvRmT2_T3_mT4_T5_T6_T7_T8_P12ihipStream_tbENKUlT_T0_E_clISt17integral_constantIbLb0EESY_IbLb1EEEEDaSU_SV_EUlSU_E_NS1_11comp_targetILNS1_3genE0ELNS1_11target_archE4294967295ELNS1_3gpuE0ELNS1_3repE0EEENS1_30default_config_static_selectorELNS0_4arch9wavefront6targetE1EEEvT1_,"axG",@progbits,_ZN7rocprim17ROCPRIM_400000_NS6detail17trampoline_kernelINS0_14default_configENS1_33run_length_encode_config_selectorImjNS0_4plusIjEEEEZZNS1_33reduce_by_key_impl_wrapped_configILNS1_25lookback_scan_determinismE0ES3_S7_PKmNS0_17constant_iteratorIjlEEPmPlSF_S6_NS0_8equal_toImEEEE10hipError_tPvRmT2_T3_mT4_T5_T6_T7_T8_P12ihipStream_tbENKUlT_T0_E_clISt17integral_constantIbLb0EESY_IbLb1EEEEDaSU_SV_EUlSU_E_NS1_11comp_targetILNS1_3genE0ELNS1_11target_archE4294967295ELNS1_3gpuE0ELNS1_3repE0EEENS1_30default_config_static_selectorELNS0_4arch9wavefront6targetE1EEEvT1_,comdat
.Lfunc_end745:
	.size	_ZN7rocprim17ROCPRIM_400000_NS6detail17trampoline_kernelINS0_14default_configENS1_33run_length_encode_config_selectorImjNS0_4plusIjEEEEZZNS1_33reduce_by_key_impl_wrapped_configILNS1_25lookback_scan_determinismE0ES3_S7_PKmNS0_17constant_iteratorIjlEEPmPlSF_S6_NS0_8equal_toImEEEE10hipError_tPvRmT2_T3_mT4_T5_T6_T7_T8_P12ihipStream_tbENKUlT_T0_E_clISt17integral_constantIbLb0EESY_IbLb1EEEEDaSU_SV_EUlSU_E_NS1_11comp_targetILNS1_3genE0ELNS1_11target_archE4294967295ELNS1_3gpuE0ELNS1_3repE0EEENS1_30default_config_static_selectorELNS0_4arch9wavefront6targetE1EEEvT1_, .Lfunc_end745-_ZN7rocprim17ROCPRIM_400000_NS6detail17trampoline_kernelINS0_14default_configENS1_33run_length_encode_config_selectorImjNS0_4plusIjEEEEZZNS1_33reduce_by_key_impl_wrapped_configILNS1_25lookback_scan_determinismE0ES3_S7_PKmNS0_17constant_iteratorIjlEEPmPlSF_S6_NS0_8equal_toImEEEE10hipError_tPvRmT2_T3_mT4_T5_T6_T7_T8_P12ihipStream_tbENKUlT_T0_E_clISt17integral_constantIbLb0EESY_IbLb1EEEEDaSU_SV_EUlSU_E_NS1_11comp_targetILNS1_3genE0ELNS1_11target_archE4294967295ELNS1_3gpuE0ELNS1_3repE0EEENS1_30default_config_static_selectorELNS0_4arch9wavefront6targetE1EEEvT1_
                                        ; -- End function
	.section	.AMDGPU.csdata,"",@progbits
; Kernel info:
; codeLenInByte = 0
; NumSgprs: 6
; NumVgprs: 0
; NumAgprs: 0
; TotalNumVgprs: 0
; ScratchSize: 0
; MemoryBound: 0
; FloatMode: 240
; IeeeMode: 1
; LDSByteSize: 0 bytes/workgroup (compile time only)
; SGPRBlocks: 0
; VGPRBlocks: 0
; NumSGPRsForWavesPerEU: 6
; NumVGPRsForWavesPerEU: 1
; AccumOffset: 4
; Occupancy: 8
; WaveLimiterHint : 0
; COMPUTE_PGM_RSRC2:SCRATCH_EN: 0
; COMPUTE_PGM_RSRC2:USER_SGPR: 2
; COMPUTE_PGM_RSRC2:TRAP_HANDLER: 0
; COMPUTE_PGM_RSRC2:TGID_X_EN: 1
; COMPUTE_PGM_RSRC2:TGID_Y_EN: 0
; COMPUTE_PGM_RSRC2:TGID_Z_EN: 0
; COMPUTE_PGM_RSRC2:TIDIG_COMP_CNT: 0
; COMPUTE_PGM_RSRC3_GFX90A:ACCUM_OFFSET: 0
; COMPUTE_PGM_RSRC3_GFX90A:TG_SPLIT: 0
	.section	.text._ZN7rocprim17ROCPRIM_400000_NS6detail17trampoline_kernelINS0_14default_configENS1_33run_length_encode_config_selectorImjNS0_4plusIjEEEEZZNS1_33reduce_by_key_impl_wrapped_configILNS1_25lookback_scan_determinismE0ES3_S7_PKmNS0_17constant_iteratorIjlEEPmPlSF_S6_NS0_8equal_toImEEEE10hipError_tPvRmT2_T3_mT4_T5_T6_T7_T8_P12ihipStream_tbENKUlT_T0_E_clISt17integral_constantIbLb0EESY_IbLb1EEEEDaSU_SV_EUlSU_E_NS1_11comp_targetILNS1_3genE5ELNS1_11target_archE942ELNS1_3gpuE9ELNS1_3repE0EEENS1_30default_config_static_selectorELNS0_4arch9wavefront6targetE1EEEvT1_,"axG",@progbits,_ZN7rocprim17ROCPRIM_400000_NS6detail17trampoline_kernelINS0_14default_configENS1_33run_length_encode_config_selectorImjNS0_4plusIjEEEEZZNS1_33reduce_by_key_impl_wrapped_configILNS1_25lookback_scan_determinismE0ES3_S7_PKmNS0_17constant_iteratorIjlEEPmPlSF_S6_NS0_8equal_toImEEEE10hipError_tPvRmT2_T3_mT4_T5_T6_T7_T8_P12ihipStream_tbENKUlT_T0_E_clISt17integral_constantIbLb0EESY_IbLb1EEEEDaSU_SV_EUlSU_E_NS1_11comp_targetILNS1_3genE5ELNS1_11target_archE942ELNS1_3gpuE9ELNS1_3repE0EEENS1_30default_config_static_selectorELNS0_4arch9wavefront6targetE1EEEvT1_,comdat
	.protected	_ZN7rocprim17ROCPRIM_400000_NS6detail17trampoline_kernelINS0_14default_configENS1_33run_length_encode_config_selectorImjNS0_4plusIjEEEEZZNS1_33reduce_by_key_impl_wrapped_configILNS1_25lookback_scan_determinismE0ES3_S7_PKmNS0_17constant_iteratorIjlEEPmPlSF_S6_NS0_8equal_toImEEEE10hipError_tPvRmT2_T3_mT4_T5_T6_T7_T8_P12ihipStream_tbENKUlT_T0_E_clISt17integral_constantIbLb0EESY_IbLb1EEEEDaSU_SV_EUlSU_E_NS1_11comp_targetILNS1_3genE5ELNS1_11target_archE942ELNS1_3gpuE9ELNS1_3repE0EEENS1_30default_config_static_selectorELNS0_4arch9wavefront6targetE1EEEvT1_ ; -- Begin function _ZN7rocprim17ROCPRIM_400000_NS6detail17trampoline_kernelINS0_14default_configENS1_33run_length_encode_config_selectorImjNS0_4plusIjEEEEZZNS1_33reduce_by_key_impl_wrapped_configILNS1_25lookback_scan_determinismE0ES3_S7_PKmNS0_17constant_iteratorIjlEEPmPlSF_S6_NS0_8equal_toImEEEE10hipError_tPvRmT2_T3_mT4_T5_T6_T7_T8_P12ihipStream_tbENKUlT_T0_E_clISt17integral_constantIbLb0EESY_IbLb1EEEEDaSU_SV_EUlSU_E_NS1_11comp_targetILNS1_3genE5ELNS1_11target_archE942ELNS1_3gpuE9ELNS1_3repE0EEENS1_30default_config_static_selectorELNS0_4arch9wavefront6targetE1EEEvT1_
	.globl	_ZN7rocprim17ROCPRIM_400000_NS6detail17trampoline_kernelINS0_14default_configENS1_33run_length_encode_config_selectorImjNS0_4plusIjEEEEZZNS1_33reduce_by_key_impl_wrapped_configILNS1_25lookback_scan_determinismE0ES3_S7_PKmNS0_17constant_iteratorIjlEEPmPlSF_S6_NS0_8equal_toImEEEE10hipError_tPvRmT2_T3_mT4_T5_T6_T7_T8_P12ihipStream_tbENKUlT_T0_E_clISt17integral_constantIbLb0EESY_IbLb1EEEEDaSU_SV_EUlSU_E_NS1_11comp_targetILNS1_3genE5ELNS1_11target_archE942ELNS1_3gpuE9ELNS1_3repE0EEENS1_30default_config_static_selectorELNS0_4arch9wavefront6targetE1EEEvT1_
	.p2align	8
	.type	_ZN7rocprim17ROCPRIM_400000_NS6detail17trampoline_kernelINS0_14default_configENS1_33run_length_encode_config_selectorImjNS0_4plusIjEEEEZZNS1_33reduce_by_key_impl_wrapped_configILNS1_25lookback_scan_determinismE0ES3_S7_PKmNS0_17constant_iteratorIjlEEPmPlSF_S6_NS0_8equal_toImEEEE10hipError_tPvRmT2_T3_mT4_T5_T6_T7_T8_P12ihipStream_tbENKUlT_T0_E_clISt17integral_constantIbLb0EESY_IbLb1EEEEDaSU_SV_EUlSU_E_NS1_11comp_targetILNS1_3genE5ELNS1_11target_archE942ELNS1_3gpuE9ELNS1_3repE0EEENS1_30default_config_static_selectorELNS0_4arch9wavefront6targetE1EEEvT1_,@function
_ZN7rocprim17ROCPRIM_400000_NS6detail17trampoline_kernelINS0_14default_configENS1_33run_length_encode_config_selectorImjNS0_4plusIjEEEEZZNS1_33reduce_by_key_impl_wrapped_configILNS1_25lookback_scan_determinismE0ES3_S7_PKmNS0_17constant_iteratorIjlEEPmPlSF_S6_NS0_8equal_toImEEEE10hipError_tPvRmT2_T3_mT4_T5_T6_T7_T8_P12ihipStream_tbENKUlT_T0_E_clISt17integral_constantIbLb0EESY_IbLb1EEEEDaSU_SV_EUlSU_E_NS1_11comp_targetILNS1_3genE5ELNS1_11target_archE942ELNS1_3gpuE9ELNS1_3repE0EEENS1_30default_config_static_selectorELNS0_4arch9wavefront6targetE1EEEvT1_: ; @_ZN7rocprim17ROCPRIM_400000_NS6detail17trampoline_kernelINS0_14default_configENS1_33run_length_encode_config_selectorImjNS0_4plusIjEEEEZZNS1_33reduce_by_key_impl_wrapped_configILNS1_25lookback_scan_determinismE0ES3_S7_PKmNS0_17constant_iteratorIjlEEPmPlSF_S6_NS0_8equal_toImEEEE10hipError_tPvRmT2_T3_mT4_T5_T6_T7_T8_P12ihipStream_tbENKUlT_T0_E_clISt17integral_constantIbLb0EESY_IbLb1EEEEDaSU_SV_EUlSU_E_NS1_11comp_targetILNS1_3genE5ELNS1_11target_archE942ELNS1_3gpuE9ELNS1_3repE0EEENS1_30default_config_static_selectorELNS0_4arch9wavefront6targetE1EEEvT1_
; %bb.0:
	s_load_dword s10, s[0:1], 0x10
	s_load_dwordx4 s[44:47], s[0:1], 0x20
	s_load_dwordx2 s[48:49], s[0:1], 0x30
	s_load_dwordx2 s[50:51], s[0:1], 0x70
	s_load_dwordx4 s[28:31], s[0:1], 0x60
	s_load_dwordx8 s[36:43], s[0:1], 0x40
	v_cmp_ne_u32_e64 s[2:3], 0, v0
	v_cmp_eq_u32_e64 s[34:35], 0, v0
	s_and_saveexec_b64 s[4:5], s[34:35]
	s_cbranch_execz .LBB746_4
; %bb.1:
	s_mov_b64 s[8:9], exec
	v_mbcnt_lo_u32_b32 v1, s8, 0
	v_mbcnt_hi_u32_b32 v1, s9, v1
	v_cmp_eq_u32_e32 vcc, 0, v1
                                        ; implicit-def: $vgpr2
	s_and_saveexec_b64 s[6:7], vcc
	s_cbranch_execz .LBB746_3
; %bb.2:
	s_load_dwordx2 s[12:13], s[0:1], 0x78
	s_bcnt1_i32_b64 s8, s[8:9]
	v_mov_b32_e32 v2, 0
	v_mov_b32_e32 v3, s8
	s_waitcnt lgkmcnt(0)
	global_atomic_add v2, v2, v3, s[12:13] sc0
.LBB746_3:
	s_or_b64 exec, exec, s[6:7]
	s_waitcnt vmcnt(0)
	v_readfirstlane_b32 s6, v2
	v_mov_b32_e32 v2, 0
	s_nop 0
	v_add_u32_e32 v1, s6, v1
	ds_write_b32 v2, v1
.LBB746_4:
	s_or_b64 exec, exec, s[4:5]
	s_load_dwordx4 s[4:7], s[0:1], 0x0
	v_mov_b32_e32 v3, 0
	s_waitcnt lgkmcnt(0)
	s_barrier
	ds_read_b32 v1, v3
	s_mul_i32 s0, s40, s39
	s_mul_hi_u32 s1, s40, s38
	s_add_i32 s0, s1, s0
	s_mul_i32 s1, s41, s38
	s_add_i32 s8, s0, s1
	s_lshl_b64 s[0:1], s[6:7], 3
	s_add_u32 s0, s4, s0
	s_mul_i32 s9, s40, s38
	s_addc_u32 s1, s5, s1
	s_waitcnt lgkmcnt(0)
	v_readfirstlane_b32 s58, v1
	s_add_u32 s52, s9, s58
	s_movk_i32 s4, 0x1e00
	s_addc_u32 s53, s8, 0
	v_mul_lo_u32 v2, v1, s4
	s_add_u32 s4, s42, -1
	s_addc_u32 s5, s43, -1
	s_cmp_eq_u64 s[52:53], s[4:5]
	v_lshlrev_b64 v[4:5], 3, v[2:3]
	s_cselect_b64 s[40:41], -1, 0
	s_cmp_lg_u64 s[52:53], s[4:5]
	v_lshl_add_u64 v[48:49], s[0:1], 0, v[4:5]
	s_mov_b64 s[6:7], -1
	s_cselect_b64 s[0:1], -1, 0
	s_mul_i32 s33, s4, 0xffffe200
	s_and_b64 vcc, exec, s[40:41]
	s_barrier
	s_cbranch_vccnz .LBB746_6
; %bb.5:
	v_lshlrev_b32_e32 v2, 3, v0
	v_lshl_add_u64 v[4:5], v[48:49], 0, v[2:3]
	v_add_co_u32_e32 v8, vcc, 0x1000, v4
	v_readfirstlane_b32 s4, v48
	s_nop 0
	v_addc_co_u32_e32 v9, vcc, 0, v5, vcc
	v_add_co_u32_e32 v10, vcc, 0x2000, v4
	v_readfirstlane_b32 s5, v49
	s_nop 0
	v_addc_co_u32_e32 v11, vcc, 0, v5, vcc
	v_add_co_u32_e32 v12, vcc, 0x3000, v4
	s_nop 1
	v_addc_co_u32_e32 v13, vcc, 0, v5, vcc
	v_add_co_u32_e32 v14, vcc, 0x4000, v4
	global_load_dwordx2 v[6:7], v2, s[4:5]
	s_nop 0
	v_addc_co_u32_e32 v15, vcc, 0, v5, vcc
	global_load_dwordx2 v[16:17], v[8:9], off
	global_load_dwordx2 v[18:19], v[10:11], off
	;; [unrolled: 1-line block ×4, first 2 shown]
	v_add_co_u32_e32 v8, vcc, 0x5000, v4
	s_movk_i32 s4, 0x70
	s_nop 0
	v_addc_co_u32_e32 v9, vcc, 0, v5, vcc
	v_add_co_u32_e32 v10, vcc, 0x6000, v4
	v_mad_u32_u24 v1, v0, s4, v2
	s_nop 0
	v_addc_co_u32_e32 v11, vcc, 0, v5, vcc
	v_add_co_u32_e32 v12, vcc, 0x7000, v4
	s_mov_b64 s[4:5], -1
	s_nop 0
	v_addc_co_u32_e32 v13, vcc, 0, v5, vcc
	v_add_co_u32_e32 v14, vcc, 0x8000, v4
	s_nop 1
	v_addc_co_u32_e32 v15, vcc, 0, v5, vcc
	global_load_dwordx2 v[24:25], v[8:9], off
	global_load_dwordx2 v[26:27], v[10:11], off
	;; [unrolled: 1-line block ×4, first 2 shown]
	v_add_co_u32_e32 v8, vcc, 0x9000, v4
	s_nop 1
	v_addc_co_u32_e32 v9, vcc, 0, v5, vcc
	v_add_co_u32_e32 v10, vcc, 0xa000, v4
	s_nop 1
	v_addc_co_u32_e32 v11, vcc, 0, v5, vcc
	;; [unrolled: 3-line block ×4, first 2 shown]
	global_load_dwordx2 v[32:33], v[8:9], off
	global_load_dwordx2 v[34:35], v[10:11], off
	;; [unrolled: 1-line block ×4, first 2 shown]
	v_add_co_u32_e32 v8, vcc, 0xd000, v4
	s_nop 1
	v_addc_co_u32_e32 v9, vcc, 0, v5, vcc
	v_add_co_u32_e32 v4, vcc, 0xe000, v4
	global_load_dwordx2 v[8:9], v[8:9], off
	s_nop 0
	v_addc_co_u32_e32 v5, vcc, 0, v5, vcc
	global_load_dwordx2 v[4:5], v[4:5], off
	s_waitcnt vmcnt(13)
	ds_write2st64_b64 v2, v[6:7], v[16:17] offset1:8
	s_waitcnt vmcnt(11)
	ds_write2st64_b64 v2, v[18:19], v[20:21] offset0:16 offset1:24
	s_waitcnt vmcnt(9)
	ds_write2st64_b64 v2, v[22:23], v[24:25] offset0:32 offset1:40
	;; [unrolled: 2-line block ×6, first 2 shown]
	s_waitcnt vmcnt(0)
	ds_write_b64 v2, v[4:5] offset:57344
	s_waitcnt lgkmcnt(0)
	s_barrier
	ds_read2_b64 v[26:29], v1 offset1:1
	ds_read2_b64 v[22:25], v1 offset0:2 offset1:3
	ds_read2_b64 v[18:21], v1 offset0:4 offset1:5
	;; [unrolled: 1-line block ×6, first 2 shown]
	ds_read_b64 v[46:47], v1 offset:112
	s_waitcnt lgkmcnt(7)
	v_mov_b32_e32 v30, v26
	v_mov_b32_e32 v31, v27
	s_waitcnt lgkmcnt(6)
	v_mov_b32_e32 v32, v22
	v_mov_b32_e32 v33, v23
	;; [unrolled: 3-line block ×7, first 2 shown]
	s_add_i32 s33, s33, s28
	s_cbranch_execz .LBB746_7
	s_branch .LBB746_38
.LBB746_6:
	s_mov_b64 s[4:5], 0
                                        ; implicit-def: $vgpr46_vgpr47
                                        ; implicit-def: $vgpr6_vgpr7
                                        ; implicit-def: $vgpr2_vgpr3
                                        ; implicit-def: $vgpr10_vgpr11
                                        ; implicit-def: $vgpr14_vgpr15
                                        ; implicit-def: $vgpr18_vgpr19
                                        ; implicit-def: $vgpr22_vgpr23
                                        ; implicit-def: $vgpr26_vgpr27
                                        ; implicit-def: $vgpr38_vgpr39_vgpr40_vgpr41
                                        ; implicit-def: $vgpr34_vgpr35_vgpr36_vgpr37
                                        ; implicit-def: $vgpr30_vgpr31_vgpr32_vgpr33
                                        ; implicit-def: $vgpr42_vgpr43_vgpr44_vgpr45
	s_add_i32 s33, s33, s28
	s_andn2_b64 vcc, exec, s[6:7]
	s_cbranch_vccnz .LBB746_38
.LBB746_7:
	v_cmp_gt_u32_e32 vcc, s33, v0
                                        ; implicit-def: $vgpr2_vgpr3
	s_and_saveexec_b64 s[4:5], vcc
	s_cbranch_execz .LBB746_9
; %bb.8:
	v_lshlrev_b32_e32 v1, 3, v0
	v_readfirstlane_b32 s6, v48
	v_readfirstlane_b32 s7, v49
	s_nop 4
	global_load_dwordx2 v[2:3], v1, s[6:7]
.LBB746_9:
	s_or_b64 exec, exec, s[4:5]
	v_or_b32_e32 v1, 0x200, v0
	v_cmp_gt_u32_e32 vcc, s33, v1
                                        ; implicit-def: $vgpr4_vgpr5
	s_and_saveexec_b64 s[4:5], vcc
	s_cbranch_execz .LBB746_11
; %bb.10:
	v_lshlrev_b32_e32 v1, 3, v1
	v_readfirstlane_b32 s6, v48
	v_readfirstlane_b32 s7, v49
	s_nop 4
	global_load_dwordx2 v[4:5], v1, s[6:7]
.LBB746_11:
	s_or_b64 exec, exec, s[4:5]
	v_or_b32_e32 v1, 0x400, v0
	v_cmp_gt_u32_e32 vcc, s33, v1
                                        ; implicit-def: $vgpr6_vgpr7
	s_and_saveexec_b64 s[4:5], vcc
	s_cbranch_execz .LBB746_13
; %bb.12:
	v_lshlrev_b32_e32 v1, 3, v1
	v_readfirstlane_b32 s6, v48
	v_readfirstlane_b32 s7, v49
	s_nop 4
	global_load_dwordx2 v[6:7], v1, s[6:7]
.LBB746_13:
	s_or_b64 exec, exec, s[4:5]
	v_or_b32_e32 v1, 0x600, v0
	v_cmp_gt_u32_e32 vcc, s33, v1
                                        ; implicit-def: $vgpr8_vgpr9
	s_and_saveexec_b64 s[4:5], vcc
	s_cbranch_execz .LBB746_15
; %bb.14:
	v_lshlrev_b32_e32 v1, 3, v1
	v_readfirstlane_b32 s6, v48
	v_readfirstlane_b32 s7, v49
	s_nop 4
	global_load_dwordx2 v[8:9], v1, s[6:7]
.LBB746_15:
	s_or_b64 exec, exec, s[4:5]
	v_or_b32_e32 v1, 0x800, v0
	v_cmp_gt_u32_e32 vcc, s33, v1
                                        ; implicit-def: $vgpr10_vgpr11
	s_and_saveexec_b64 s[4:5], vcc
	s_cbranch_execz .LBB746_17
; %bb.16:
	v_lshlrev_b32_e32 v1, 3, v1
	v_readfirstlane_b32 s6, v48
	v_readfirstlane_b32 s7, v49
	s_nop 4
	global_load_dwordx2 v[10:11], v1, s[6:7]
.LBB746_17:
	s_or_b64 exec, exec, s[4:5]
	v_or_b32_e32 v1, 0xa00, v0
	v_cmp_gt_u32_e32 vcc, s33, v1
                                        ; implicit-def: $vgpr12_vgpr13
	s_and_saveexec_b64 s[4:5], vcc
	s_cbranch_execz .LBB746_19
; %bb.18:
	v_lshlrev_b32_e32 v1, 3, v1
	v_readfirstlane_b32 s6, v48
	v_readfirstlane_b32 s7, v49
	s_nop 4
	global_load_dwordx2 v[12:13], v1, s[6:7]
.LBB746_19:
	s_or_b64 exec, exec, s[4:5]
	v_or_b32_e32 v1, 0xc00, v0
	v_cmp_gt_u32_e32 vcc, s33, v1
                                        ; implicit-def: $vgpr14_vgpr15
	s_and_saveexec_b64 s[4:5], vcc
	s_cbranch_execz .LBB746_21
; %bb.20:
	v_lshlrev_b32_e32 v1, 3, v1
	v_readfirstlane_b32 s6, v48
	v_readfirstlane_b32 s7, v49
	s_nop 4
	global_load_dwordx2 v[14:15], v1, s[6:7]
.LBB746_21:
	s_or_b64 exec, exec, s[4:5]
	v_or_b32_e32 v1, 0xe00, v0
	v_cmp_gt_u32_e32 vcc, s33, v1
                                        ; implicit-def: $vgpr16_vgpr17
	s_and_saveexec_b64 s[4:5], vcc
	s_cbranch_execz .LBB746_23
; %bb.22:
	v_lshlrev_b32_e32 v1, 3, v1
	v_readfirstlane_b32 s6, v48
	v_readfirstlane_b32 s7, v49
	s_nop 4
	global_load_dwordx2 v[16:17], v1, s[6:7]
.LBB746_23:
	s_or_b64 exec, exec, s[4:5]
	v_or_b32_e32 v1, 0x1000, v0
	v_cmp_gt_u32_e32 vcc, s33, v1
                                        ; implicit-def: $vgpr18_vgpr19
	s_and_saveexec_b64 s[4:5], vcc
	s_cbranch_execz .LBB746_25
; %bb.24:
	v_lshlrev_b32_e32 v1, 3, v1
	v_readfirstlane_b32 s6, v48
	v_readfirstlane_b32 s7, v49
	s_nop 4
	global_load_dwordx2 v[18:19], v1, s[6:7]
.LBB746_25:
	s_or_b64 exec, exec, s[4:5]
	v_or_b32_e32 v1, 0x1200, v0
	v_cmp_gt_u32_e32 vcc, s33, v1
                                        ; implicit-def: $vgpr20_vgpr21
	s_and_saveexec_b64 s[4:5], vcc
	s_cbranch_execz .LBB746_27
; %bb.26:
	v_lshlrev_b32_e32 v1, 3, v1
	v_readfirstlane_b32 s6, v48
	v_readfirstlane_b32 s7, v49
	s_nop 4
	global_load_dwordx2 v[20:21], v1, s[6:7]
.LBB746_27:
	s_or_b64 exec, exec, s[4:5]
	v_or_b32_e32 v1, 0x1400, v0
	v_cmp_gt_u32_e32 vcc, s33, v1
                                        ; implicit-def: $vgpr22_vgpr23
	s_and_saveexec_b64 s[4:5], vcc
	s_cbranch_execz .LBB746_29
; %bb.28:
	v_lshlrev_b32_e32 v1, 3, v1
	v_readfirstlane_b32 s6, v48
	v_readfirstlane_b32 s7, v49
	s_nop 4
	global_load_dwordx2 v[22:23], v1, s[6:7]
.LBB746_29:
	s_or_b64 exec, exec, s[4:5]
	v_or_b32_e32 v1, 0x1600, v0
	v_cmp_gt_u32_e32 vcc, s33, v1
                                        ; implicit-def: $vgpr24_vgpr25
	s_and_saveexec_b64 s[4:5], vcc
	s_cbranch_execz .LBB746_31
; %bb.30:
	v_lshlrev_b32_e32 v1, 3, v1
	v_readfirstlane_b32 s6, v48
	v_readfirstlane_b32 s7, v49
	s_nop 4
	global_load_dwordx2 v[24:25], v1, s[6:7]
.LBB746_31:
	s_or_b64 exec, exec, s[4:5]
	v_or_b32_e32 v1, 0x1800, v0
	v_cmp_gt_u32_e32 vcc, s33, v1
                                        ; implicit-def: $vgpr26_vgpr27
	s_and_saveexec_b64 s[4:5], vcc
	s_cbranch_execz .LBB746_33
; %bb.32:
	v_lshlrev_b32_e32 v1, 3, v1
	v_readfirstlane_b32 s6, v48
	v_readfirstlane_b32 s7, v49
	s_nop 4
	global_load_dwordx2 v[26:27], v1, s[6:7]
.LBB746_33:
	s_or_b64 exec, exec, s[4:5]
	v_or_b32_e32 v1, 0x1a00, v0
	v_cmp_gt_u32_e32 vcc, s33, v1
                                        ; implicit-def: $vgpr28_vgpr29
	s_and_saveexec_b64 s[4:5], vcc
	s_cbranch_execz .LBB746_35
; %bb.34:
	v_lshlrev_b32_e32 v1, 3, v1
	v_readfirstlane_b32 s6, v48
	v_readfirstlane_b32 s7, v49
	s_nop 4
	global_load_dwordx2 v[28:29], v1, s[6:7]
.LBB746_35:
	s_or_b64 exec, exec, s[4:5]
	v_or_b32_e32 v1, 0x1c00, v0
	v_cmp_gt_u32_e32 vcc, s33, v1
                                        ; implicit-def: $vgpr30_vgpr31
	s_and_saveexec_b64 s[4:5], vcc
	s_cbranch_execz .LBB746_37
; %bb.36:
	v_lshlrev_b32_e32 v1, 3, v1
	v_readfirstlane_b32 s6, v48
	v_readfirstlane_b32 s7, v49
	s_nop 4
	global_load_dwordx2 v[30:31], v1, s[6:7]
.LBB746_37:
	s_or_b64 exec, exec, s[4:5]
	v_lshlrev_b32_e32 v1, 3, v0
	s_movk_i32 s4, 0x70
	s_waitcnt vmcnt(0)
	ds_write2st64_b64 v1, v[2:3], v[4:5] offset1:8
	ds_write2st64_b64 v1, v[6:7], v[8:9] offset0:16 offset1:24
	ds_write2st64_b64 v1, v[10:11], v[12:13] offset0:32 offset1:40
	;; [unrolled: 1-line block ×6, first 2 shown]
	ds_write_b64 v1, v[30:31] offset:57344
	v_mad_u32_u24 v1, v0, s4, v1
	s_waitcnt lgkmcnt(0)
	s_barrier
	ds_read2_b64 v[26:29], v1 offset1:1
	ds_read2_b64 v[22:25], v1 offset0:2 offset1:3
	ds_read2_b64 v[18:21], v1 offset0:4 offset1:5
	;; [unrolled: 1-line block ×6, first 2 shown]
	ds_read_b64 v[46:47], v1 offset:112
	v_mad_u32_u24 v30, v0, 15, 14
	v_cmp_gt_u32_e64 s[4:5], s33, v30
	s_waitcnt lgkmcnt(7)
	v_mov_b32_e32 v30, v26
	v_mov_b32_e32 v31, v27
	s_waitcnt lgkmcnt(6)
	v_mov_b32_e32 v32, v22
	v_mov_b32_e32 v33, v23
	;; [unrolled: 3-line block ×7, first 2 shown]
.LBB746_38:
	v_mov_b32_e32 v68, s10
                                        ; implicit-def: $vgpr69
	s_and_saveexec_b64 s[6:7], s[4:5]
; %bb.39:
	v_mov_b32_e32 v69, s10
; %bb.40:
	s_or_b64 exec, exec, s[6:7]
	s_cmp_eq_u64 s[52:53], 0
	s_cselect_b64 s[42:43], -1, 0
	s_cmp_lg_u64 s[52:53], 0
	s_mov_b64 s[54:55], 0
	s_cselect_b64 s[56:57], -1, 0
	s_and_b64 vcc, exec, s[0:1]
	s_waitcnt lgkmcnt(0)
	s_barrier
	s_cbranch_vccz .LBB746_46
; %bb.41:
	s_and_b64 vcc, exec, s[56:57]
	s_cbranch_vccz .LBB746_47
; %bb.42:
	global_load_dwordx2 v[44:45], v[48:49], off offset:-8
	v_lshlrev_b32_e32 v1, 3, v0
	v_cmp_ne_u64_e32 vcc, v[8:9], v[46:47]
	v_cmp_ne_u64_e64 s[0:1], v[6:7], v[8:9]
	v_cmp_ne_u64_e64 s[4:5], v[4:5], v[6:7]
	;; [unrolled: 1-line block ×13, first 2 shown]
	ds_write_b64 v1, v[46:47]
	s_waitcnt lgkmcnt(0)
	s_barrier
	s_and_saveexec_b64 s[54:55], s[2:3]
	s_cbranch_execz .LBB746_44
; %bb.43:
	v_add_u32_e32 v1, -8, v1
	s_waitcnt vmcnt(0)
	ds_read_b64 v[44:45], v1
.LBB746_44:
	s_or_b64 exec, exec, s[54:55]
	v_cndmask_b32_e64 v1, 0, 1, vcc
	v_cndmask_b32_e64 v72, 0, 1, s[0:1]
	v_cndmask_b32_e64 v73, 0, 1, s[4:5]
	;; [unrolled: 1-line block ×13, first 2 shown]
	s_waitcnt vmcnt(0) lgkmcnt(0)
	v_cmp_ne_u64_e64 s[0:1], v[44:45], v[26:27]
	s_mov_b64 s[54:55], -1
.LBB746_45:
                                        ; implicit-def: $sgpr6
	s_branch .LBB746_59
.LBB746_46:
                                        ; implicit-def: $sgpr0_sgpr1
                                        ; implicit-def: $vgpr1
                                        ; implicit-def: $vgpr72
                                        ; implicit-def: $vgpr73
                                        ; implicit-def: $vgpr74
                                        ; implicit-def: $vgpr75
                                        ; implicit-def: $vgpr76
                                        ; implicit-def: $vgpr77
                                        ; implicit-def: $vgpr78
                                        ; implicit-def: $vgpr79
                                        ; implicit-def: $vgpr80
                                        ; implicit-def: $vgpr81
                                        ; implicit-def: $vgpr82
                                        ; implicit-def: $vgpr83
                                        ; implicit-def: $vgpr84
                                        ; implicit-def: $sgpr6
	s_cbranch_execnz .LBB746_51
	s_branch .LBB746_59
.LBB746_47:
                                        ; implicit-def: $sgpr0_sgpr1
                                        ; implicit-def: $vgpr1
                                        ; implicit-def: $vgpr72
                                        ; implicit-def: $vgpr73
                                        ; implicit-def: $vgpr74
                                        ; implicit-def: $vgpr75
                                        ; implicit-def: $vgpr76
                                        ; implicit-def: $vgpr77
                                        ; implicit-def: $vgpr78
                                        ; implicit-def: $vgpr79
                                        ; implicit-def: $vgpr80
                                        ; implicit-def: $vgpr81
                                        ; implicit-def: $vgpr82
                                        ; implicit-def: $vgpr83
                                        ; implicit-def: $vgpr84
	s_cbranch_execz .LBB746_45
; %bb.48:
	v_cmp_ne_u64_e32 vcc, v[28:29], v[30:31]
	v_lshlrev_b32_e32 v44, 3, v0
	ds_write_b64 v44, v[46:47]
	v_cndmask_b32_e64 v84, 0, 1, vcc
	v_cmp_ne_u64_e32 vcc, v[28:29], v[32:33]
	s_waitcnt lgkmcnt(0)
	s_barrier
	v_cndmask_b32_e64 v83, 0, 1, vcc
	v_cmp_ne_u64_e32 vcc, v[32:33], v[24:25]
	s_waitcnt lgkmcnt(0)
                                        ; implicit-def: $sgpr0_sgpr1
	s_nop 0
	v_cndmask_b32_e64 v82, 0, 1, vcc
	v_cmp_ne_u64_e32 vcc, v[34:35], v[24:25]
	s_nop 1
	v_cndmask_b32_e64 v81, 0, 1, vcc
	v_cmp_ne_u64_e32 vcc, v[20:21], v[34:35]
	s_nop 1
	v_cndmask_b32_e64 v80, 0, 1, vcc
	v_cmp_ne_u64_e32 vcc, v[20:21], v[36:37]
	s_nop 1
	v_cndmask_b32_e64 v79, 0, 1, vcc
	v_cmp_ne_u64_e32 vcc, v[36:37], v[16:17]
	s_nop 1
	v_cndmask_b32_e64 v78, 0, 1, vcc
	v_cmp_ne_u64_e32 vcc, v[38:39], v[16:17]
	s_nop 1
	v_cndmask_b32_e64 v77, 0, 1, vcc
	v_cmp_ne_u64_e32 vcc, v[12:13], v[38:39]
	s_nop 1
	v_cndmask_b32_e64 v76, 0, 1, vcc
	v_cmp_ne_u64_e32 vcc, v[12:13], v[40:41]
	s_nop 1
	v_cndmask_b32_e64 v75, 0, 1, vcc
	v_cmp_ne_u64_e32 vcc, v[40:41], v[4:5]
	s_nop 1
	v_cndmask_b32_e64 v74, 0, 1, vcc
	v_cmp_ne_u64_e32 vcc, v[42:43], v[4:5]
	s_nop 1
	v_cndmask_b32_e64 v73, 0, 1, vcc
	v_cmp_ne_u64_e32 vcc, v[8:9], v[42:43]
	s_nop 1
	v_cndmask_b32_e64 v72, 0, 1, vcc
	v_cmp_ne_u64_e32 vcc, v[8:9], v[46:47]
	s_nop 1
	v_cndmask_b32_e64 v1, 0, 1, vcc
	s_and_saveexec_b64 s[4:5], s[2:3]
	s_xor_b64 s[4:5], exec, s[4:5]
	s_cbranch_execz .LBB746_50
; %bb.49:
	v_add_u32_e32 v30, -8, v44
	ds_read_b64 v[30:31], v30
	s_or_b64 s[54:55], s[54:55], exec
	s_waitcnt lgkmcnt(0)
	v_cmp_ne_u64_e32 vcc, v[30:31], v[26:27]
	s_and_b64 s[0:1], vcc, exec
.LBB746_50:
	s_or_b64 exec, exec, s[4:5]
	s_mov_b32 s6, 1
	s_branch .LBB746_59
.LBB746_51:
	s_mul_hi_u32 s1, s52, 0xffffe200
	s_mul_i32 s0, s53, 0xffffe200
	s_sub_i32 s1, s1, s52
	s_add_i32 s1, s1, s0
	s_mul_i32 s0, s52, 0xffffe200
	s_add_u32 s52, s0, s28
	s_addc_u32 s53, s1, s29
	s_and_b64 vcc, exec, s[56:57]
	v_cmp_ne_u64_e64 s[28:29], v[8:9], v[46:47]
	v_cmp_ne_u64_e64 s[0:1], v[6:7], v[8:9]
	;; [unrolled: 1-line block ×14, first 2 shown]
	v_mad_u32_u24 v30, v0, 15, 14
	v_mad_u32_u24 v60, v0, 15, 13
	;; [unrolled: 1-line block ×14, first 2 shown]
	s_cbranch_vccz .LBB746_56
; %bb.52:
	global_load_dwordx2 v[48:49], v[48:49], off offset:-8
	v_mov_b32_e32 v31, 0
	v_cmp_gt_u64_e32 vcc, s[52:53], v[30:31]
	v_mov_b32_e32 v61, v31
	s_and_b64 s[28:29], vcc, s[28:29]
	v_cmp_gt_u64_e32 vcc, s[52:53], v[60:61]
	v_mov_b32_e32 v59, v31
	s_and_b64 s[0:1], vcc, s[0:1]
	;; [unrolled: 3-line block ×13, first 2 shown]
	v_cmp_gt_u64_e32 vcc, s[52:53], v[32:33]
	v_lshlrev_b32_e32 v1, 3, v0
	v_mul_u32_u24_e32 v62, 15, v0
	s_and_b64 s[4:5], vcc, s[4:5]
	ds_write_b64 v1, v[46:47]
	s_waitcnt lgkmcnt(0)
	s_barrier
	s_and_saveexec_b64 s[54:55], s[2:3]
	s_cbranch_execz .LBB746_54
; %bb.53:
	v_add_u32_e32 v1, -8, v1
	s_waitcnt vmcnt(0)
	ds_read_b64 v[48:49], v1
.LBB746_54:
	s_or_b64 exec, exec, s[54:55]
	v_mov_b32_e32 v63, v31
	v_cndmask_b32_e64 v72, 0, 1, s[0:1]
	v_cmp_gt_u64_e32 vcc, s[52:53], v[62:63]
	s_waitcnt vmcnt(0) lgkmcnt(0)
	v_cmp_ne_u64_e64 s[0:1], v[48:49], v[26:27]
	v_cndmask_b32_e64 v1, 0, 1, s[28:29]
	v_cndmask_b32_e64 v73, 0, 1, s[26:27]
	;; [unrolled: 1-line block ×13, first 2 shown]
	s_and_b64 s[0:1], vcc, s[0:1]
	s_mov_b64 s[54:55], -1
.LBB746_55:
                                        ; implicit-def: $sgpr6
	v_mov_b32_e32 v85, s6
	s_and_saveexec_b64 s[2:3], s[54:55]
	s_cbranch_execnz .LBB746_60
	s_branch .LBB746_61
.LBB746_56:
                                        ; implicit-def: $sgpr0_sgpr1
                                        ; implicit-def: $vgpr1
                                        ; implicit-def: $vgpr72
                                        ; implicit-def: $vgpr73
                                        ; implicit-def: $vgpr74
                                        ; implicit-def: $vgpr75
                                        ; implicit-def: $vgpr76
                                        ; implicit-def: $vgpr77
                                        ; implicit-def: $vgpr78
                                        ; implicit-def: $vgpr79
                                        ; implicit-def: $vgpr80
                                        ; implicit-def: $vgpr81
                                        ; implicit-def: $vgpr82
                                        ; implicit-def: $vgpr83
                                        ; implicit-def: $vgpr84
	s_cbranch_execz .LBB746_55
; %bb.57:
	v_mov_b32_e32 v31, 0
	v_cmp_gt_u64_e32 vcc, s[52:53], v[30:31]
	v_cmp_ne_u64_e64 s[0:1], v[8:9], v[46:47]
	s_and_b64 s[0:1], vcc, s[0:1]
	v_mov_b32_e32 v61, v31
	v_cndmask_b32_e64 v1, 0, 1, s[0:1]
	v_cmp_gt_u64_e32 vcc, s[52:53], v[60:61]
	v_cmp_ne_u64_e64 s[0:1], v[6:7], v[8:9]
	s_and_b64 s[0:1], vcc, s[0:1]
	v_mov_b32_e32 v59, v31
	v_cndmask_b32_e64 v72, 0, 1, s[0:1]
	;; [unrolled: 5-line block ×13, first 2 shown]
	v_cmp_gt_u64_e32 vcc, s[52:53], v[32:33]
	v_cmp_ne_u64_e64 s[0:1], v[26:27], v[28:29]
	s_and_b64 s[0:1], vcc, s[0:1]
	v_lshlrev_b32_e32 v48, 3, v0
	s_mov_b32 s6, 1
	v_cndmask_b32_e64 v84, 0, 1, s[0:1]
	ds_write_b64 v48, v[46:47]
	s_waitcnt lgkmcnt(0)
	s_barrier
	s_waitcnt lgkmcnt(0)
                                        ; implicit-def: $sgpr0_sgpr1
	s_and_saveexec_b64 s[4:5], s[2:3]
	s_cbranch_execz .LBB746_140
; %bb.58:
	v_add_u32_e32 v30, -8, v48
	ds_read_b64 v[32:33], v30
	v_mul_u32_u24_e32 v30, 15, v0
	v_cmp_gt_u64_e32 vcc, s[52:53], v[30:31]
	s_or_b64 s[54:55], s[54:55], exec
	s_waitcnt lgkmcnt(0)
	v_cmp_ne_u64_e64 s[0:1], v[32:33], v[26:27]
	s_and_b64 s[0:1], vcc, s[0:1]
	s_and_b64 s[0:1], s[0:1], exec
	s_or_b64 exec, exec, s[4:5]
.LBB746_59:
	v_mov_b32_e32 v85, s6
	s_and_saveexec_b64 s[2:3], s[54:55]
.LBB746_60:
	v_cndmask_b32_e64 v85, 0, 1, s[0:1]
.LBB746_61:
	s_or_b64 exec, exec, s[2:3]
	s_cmp_eq_u64 s[38:39], 0
	v_add3_u32 v30, v84, v85, v83
	s_cselect_b64 s[38:39], -1, 0
	s_cmp_lg_u32 s58, 0
	v_cmp_eq_u32_e64 s[26:27], 0, v84
	v_cmp_eq_u32_e64 s[24:25], 0, v83
	;; [unrolled: 1-line block ×3, first 2 shown]
	v_add3_u32 v87, v30, v82, v81
	v_cmp_eq_u32_e64 s[20:21], 0, v81
	v_cmp_eq_u32_e64 s[18:19], 0, v80
	;; [unrolled: 1-line block ×10, first 2 shown]
	v_cmp_eq_u32_e32 vcc, 0, v1
	v_mbcnt_lo_u32_b32 v86, -1, 0
	v_lshrrev_b32_e32 v70, 6, v0
	v_or_b32_e32 v71, 63, v0
	s_cbranch_scc0 .LBB746_88
; %bb.62:
	v_cndmask_b32_e64 v30, 0, v68, s[26:27]
	v_add_u32_e32 v30, v30, v68
	v_cndmask_b32_e64 v30, 0, v30, s[24:25]
	v_add_u32_e32 v30, v30, v68
	;; [unrolled: 2-line block ×11, first 2 shown]
	v_cndmask_b32_e64 v30, 0, v30, s[4:5]
	v_add3_u32 v31, v87, v80, v79
	v_add_u32_e32 v30, v30, v68
	v_add3_u32 v31, v31, v78, v77
	v_cndmask_b32_e64 v30, 0, v30, s[2:3]
	v_add3_u32 v31, v31, v76, v75
	v_add_u32_e32 v30, v30, v68
	v_add3_u32 v31, v31, v74, v73
	v_cndmask_b32_e32 v30, 0, v30, vcc
	v_add3_u32 v31, v31, v72, v1
	v_add_u32_e32 v30, v30, v69
	v_mbcnt_hi_u32_b32 v39, -1, v86
	v_and_b32_e32 v32, 15, v39
	v_mov_b32_dpp v34, v30 row_shr:1 row_mask:0xf bank_mask:0xf
	v_cmp_eq_u32_e32 vcc, 0, v31
	v_mov_b32_dpp v33, v31 row_shr:1 row_mask:0xf bank_mask:0xf
	v_cmp_lt_u32_e64 s[0:1], 1, v32
	v_cndmask_b32_e32 v34, 0, v34, vcc
	v_cmp_eq_u32_e32 vcc, 0, v32
	s_nop 1
	v_cndmask_b32_e64 v33, v33, 0, vcc
	v_add_u32_e32 v31, v33, v31
	v_cndmask_b32_e64 v33, v34, 0, vcc
	v_add_u32_e32 v30, v33, v30
	v_cmp_eq_u32_e32 vcc, 0, v31
	v_mov_b32_dpp v33, v31 row_shr:2 row_mask:0xf bank_mask:0xf
	v_mov_b32_dpp v34, v30 row_shr:2 row_mask:0xf bank_mask:0xf
	v_cndmask_b32_e64 v33, 0, v33, s[0:1]
	s_and_b64 vcc, s[0:1], vcc
	v_cndmask_b32_e32 v34, 0, v34, vcc
	v_add_u32_e32 v31, v31, v33
	v_add_u32_e32 v30, v34, v30
	v_cmp_eq_u32_e32 vcc, 0, v31
	v_mov_b32_dpp v33, v31 row_shr:4 row_mask:0xf bank_mask:0xf
	v_cmp_lt_u32_e64 s[0:1], 3, v32
	v_mov_b32_dpp v34, v30 row_shr:4 row_mask:0xf bank_mask:0xf
	s_and_b64 vcc, s[0:1], vcc
	v_cndmask_b32_e64 v33, 0, v33, s[0:1]
	v_cndmask_b32_e32 v34, 0, v34, vcc
	v_add_u32_e32 v31, v33, v31
	v_add_u32_e32 v30, v30, v34
	v_cmp_eq_u32_e32 vcc, 0, v31
	v_cmp_lt_u32_e64 s[0:1], 7, v32
	v_mov_b32_dpp v33, v31 row_shr:8 row_mask:0xf bank_mask:0xf
	v_mov_b32_dpp v34, v30 row_shr:8 row_mask:0xf bank_mask:0xf
	s_and_b64 vcc, s[0:1], vcc
	v_cndmask_b32_e64 v32, 0, v33, s[0:1]
	v_cndmask_b32_e32 v33, 0, v34, vcc
	v_add_u32_e32 v30, v33, v30
	v_add_u32_e32 v31, v32, v31
	v_bfe_i32 v34, v39, 4, 1
	v_mov_b32_dpp v33, v30 row_bcast:15 row_mask:0xf bank_mask:0xf
	v_mov_b32_dpp v32, v31 row_bcast:15 row_mask:0xf bank_mask:0xf
	v_cmp_eq_u32_e32 vcc, 0, v31
	v_and_b32_e32 v32, v34, v32
	v_add_u32_e32 v31, v32, v31
	v_cndmask_b32_e32 v33, 0, v33, vcc
	v_and_b32_e32 v32, v34, v33
	v_add_u32_e32 v32, v32, v30
	v_mov_b32_dpp v30, v31 row_bcast:31 row_mask:0xf bank_mask:0xf
	v_cmp_eq_u32_e32 vcc, 0, v31
	v_cmp_lt_u32_e64 s[0:1], 31, v39
	v_mov_b32_dpp v33, v32 row_bcast:31 row_mask:0xf bank_mask:0xf
	s_and_b64 vcc, s[0:1], vcc
	v_cndmask_b32_e64 v30, 0, v30, s[0:1]
	v_add_u32_e32 v30, v30, v31
	v_cndmask_b32_e32 v31, 0, v33, vcc
	v_add_u32_e32 v31, v31, v32
	v_cmp_eq_u32_e32 vcc, v71, v0
	v_lshlrev_b32_e32 v32, 3, v70
	s_and_saveexec_b64 s[0:1], vcc
	s_cbranch_execz .LBB746_64
; %bb.63:
	ds_write_b64 v32, v[30:31] offset:8208
.LBB746_64:
	s_or_b64 exec, exec, s[0:1]
	v_cmp_gt_u32_e32 vcc, 8, v0
	s_waitcnt lgkmcnt(0)
	s_barrier
	s_and_saveexec_b64 s[28:29], vcc
	s_cbranch_execz .LBB746_66
; %bb.65:
	v_lshlrev_b32_e32 v33, 3, v0
	ds_read_b64 v[34:35], v33 offset:8208
	v_and_b32_e32 v36, 7, v39
	v_cmp_lt_u32_e64 s[0:1], 1, v36
	s_waitcnt lgkmcnt(0)
	v_mov_b32_dpp v38, v35 row_shr:1 row_mask:0xf bank_mask:0xf
	v_cmp_eq_u32_e32 vcc, 0, v34
	v_mov_b32_dpp v37, v34 row_shr:1 row_mask:0xf bank_mask:0xf
	s_nop 0
	v_cndmask_b32_e32 v38, 0, v38, vcc
	v_cmp_eq_u32_e32 vcc, 0, v36
	s_nop 1
	v_cndmask_b32_e64 v37, v37, 0, vcc
	v_add_u32_e32 v34, v37, v34
	v_cndmask_b32_e64 v37, v38, 0, vcc
	v_add_u32_e32 v35, v37, v35
	v_cmp_eq_u32_e32 vcc, 0, v34
	v_mov_b32_dpp v37, v34 row_shr:2 row_mask:0xf bank_mask:0xf
	v_mov_b32_dpp v38, v35 row_shr:2 row_mask:0xf bank_mask:0xf
	v_cndmask_b32_e64 v37, 0, v37, s[0:1]
	s_and_b64 vcc, s[0:1], vcc
	v_cndmask_b32_e32 v38, 0, v38, vcc
	v_add_u32_e32 v34, v37, v34
	v_add_u32_e32 v35, v38, v35
	v_cmp_eq_u32_e32 vcc, 0, v34
	v_mov_b32_dpp v37, v34 row_shr:4 row_mask:0xf bank_mask:0xf
	v_cmp_lt_u32_e64 s[0:1], 3, v36
	v_mov_b32_dpp v38, v35 row_shr:4 row_mask:0xf bank_mask:0xf
	s_and_b64 vcc, s[0:1], vcc
	v_cndmask_b32_e64 v36, 0, v37, s[0:1]
	v_add_u32_e32 v34, v36, v34
	v_cndmask_b32_e32 v36, 0, v38, vcc
	v_add_u32_e32 v35, v36, v35
	ds_write_b64 v33, v[34:35] offset:8208
.LBB746_66:
	s_or_b64 exec, exec, s[28:29]
	v_cmp_gt_u32_e32 vcc, 64, v0
	v_cmp_lt_u32_e64 s[0:1], 63, v0
	v_mov_b32_e32 v36, 0
	v_mov_b32_e32 v37, 0
	s_waitcnt lgkmcnt(0)
	s_barrier
	s_and_saveexec_b64 s[28:29], s[0:1]
	s_cbranch_execz .LBB746_68
; %bb.67:
	ds_read_b64 v[36:37], v32 offset:8200
	v_cmp_eq_u32_e64 s[0:1], 0, v30
	s_waitcnt lgkmcnt(0)
	v_add_u32_e32 v32, v36, v30
	v_cndmask_b32_e64 v30, 0, v37, s[0:1]
	v_add_u32_e32 v31, v30, v31
	v_mov_b32_e32 v30, v32
.LBB746_68:
	s_or_b64 exec, exec, s[28:29]
	v_add_u32_e32 v32, -1, v39
	v_and_b32_e32 v33, 64, v39
	v_cmp_lt_i32_e64 s[0:1], v32, v33
	v_cmp_eq_u32_e64 s[28:29], 0, v39
	s_nop 0
	v_cndmask_b32_e64 v32, v32, v39, s[0:1]
	v_lshlrev_b32_e32 v32, 2, v32
	ds_bpermute_b32 v44, v32, v30
	ds_bpermute_b32 v45, v32, v31
	s_and_saveexec_b64 s[52:53], vcc
	s_cbranch_execz .LBB746_87
; %bb.69:
	v_mov_b32_e32 v35, 0
	ds_read_b64 v[30:31], v35 offset:8264
	s_waitcnt lgkmcnt(0)
	v_readfirstlane_b32 s56, v30
	v_readfirstlane_b32 s57, v31
	s_and_saveexec_b64 s[0:1], s[28:29]
	s_cbranch_execz .LBB746_71
; %bb.70:
	s_add_i32 s54, s58, 64
	s_mov_b32 s55, 0
	s_lshl_b64 s[60:61], s[54:55], 4
	s_add_u32 s60, s36, s60
	s_addc_u32 s61, s37, s61
	s_and_b32 s63, s57, 0xff000000
	s_mov_b32 s62, s55
	s_and_b32 s65, s57, 0xff0000
	s_mov_b32 s64, s55
	s_or_b64 s[62:63], s[64:65], s[62:63]
	s_and_b32 s65, s57, 0xff00
	s_or_b64 s[62:63], s[62:63], s[64:65]
	s_and_b32 s65, s57, 0xff
	s_or_b64 s[54:55], s[62:63], s[64:65]
	v_mov_b32_e32 v32, s56
	v_mov_b32_e32 v33, s55
	;; [unrolled: 1-line block ×3, first 2 shown]
	v_mov_b64_e32 v[30:31], s[60:61]
	;;#ASMSTART
	global_store_dwordx4 v[30:31], v[32:35] off sc1	
s_waitcnt vmcnt(0)
	;;#ASMEND
.LBB746_71:
	s_or_b64 exec, exec, s[0:1]
	v_xad_u32 v38, v39, -1, s58
	v_add_u32_e32 v34, 64, v38
	v_lshl_add_u64 v[40:41], v[34:35], 4, s[36:37]
	;;#ASMSTART
	global_load_dwordx4 v[30:33], v[40:41] off sc1	
s_waitcnt vmcnt(0)
	;;#ASMEND
	s_nop 0
	v_and_b32_e32 v33, 0xff, v31
	v_and_b32_e32 v34, 0xff00, v31
	v_or3_b32 v30, v30, 0, 0
	v_and_b32_e32 v42, 0xff000000, v31
	v_or3_b32 v33, 0, v33, v34
	;; [unrolled: 2-line block ×3, first 2 shown]
	v_or3_b32 v30, v30, 0, 0
	v_cmp_eq_u16_sdwa s[54:55], v32, v35 src0_sel:BYTE_0 src1_sel:DWORD
	s_and_saveexec_b64 s[0:1], s[54:55]
	s_cbranch_execz .LBB746_75
; %bb.72:
	s_mov_b64 s[54:55], 0
	v_mov_b32_e32 v34, 0
.LBB746_73:                             ; =>This Inner Loop Header: Depth=1
	;;#ASMSTART
	global_load_dwordx4 v[30:33], v[40:41] off sc1	
s_waitcnt vmcnt(0)
	;;#ASMEND
	s_nop 0
	v_cmp_ne_u16_sdwa s[60:61], v32, v34 src0_sel:BYTE_0 src1_sel:DWORD
	s_or_b64 s[54:55], s[60:61], s[54:55]
	s_andn2_b64 exec, exec, s[54:55]
	s_cbranch_execnz .LBB746_73
; %bb.74:
	s_or_b64 exec, exec, s[54:55]
.LBB746_75:
	s_or_b64 exec, exec, s[0:1]
	v_mov_b32_e32 v48, 2
	v_cmp_eq_u16_sdwa s[0:1], v32, v48 src0_sel:BYTE_0 src1_sel:DWORD
	v_lshlrev_b64 v[40:41], v39, -1
	v_and_b32_e32 v49, 63, v39
	v_and_b32_e32 v33, s1, v41
	v_or_b32_e32 v33, 0x80000000, v33
	v_cmp_ne_u32_e32 vcc, 63, v49
	v_and_b32_e32 v34, s0, v40
	v_ffbl_b32_e32 v33, v33
	v_addc_co_u32_e32 v35, vcc, 0, v39, vcc
	v_add_u32_e32 v33, 32, v33
	v_ffbl_b32_e32 v34, v34
	v_lshlrev_b32_e32 v50, 2, v35
	v_min_u32_e32 v33, v34, v33
	ds_bpermute_b32 v34, v50, v31
	v_cmp_eq_u32_e32 vcc, 0, v30
	v_cmp_lt_u32_e64 s[0:1], v49, v33
	ds_bpermute_b32 v35, v50, v30
	s_and_b64 vcc, s[0:1], vcc
	s_waitcnt lgkmcnt(1)
	v_cndmask_b32_e32 v34, 0, v34, vcc
	v_cmp_gt_u32_e32 vcc, 62, v49
	v_add_u32_e32 v31, v34, v31
	s_waitcnt lgkmcnt(0)
	v_cndmask_b32_e64 v35, 0, v35, s[0:1]
	v_cndmask_b32_e64 v34, 0, 1, vcc
	v_lshlrev_b32_e32 v34, 1, v34
	v_add_lshl_u32 v51, v34, v39, 2
	ds_bpermute_b32 v34, v51, v31
	v_add_u32_e32 v30, v35, v30
	ds_bpermute_b32 v35, v51, v30
	v_add_u32_e32 v52, 2, v49
	v_cmp_eq_u32_e32 vcc, 0, v30
	v_add_u32_e32 v54, 4, v49
	v_add_u32_e32 v56, 8, v49
	s_waitcnt lgkmcnt(1)
	v_cndmask_b32_e32 v34, 0, v34, vcc
	v_cmp_gt_u32_e32 vcc, v52, v33
	v_add_u32_e32 v58, 16, v49
	v_add_u32_e32 v60, 32, v49
	v_cndmask_b32_e64 v34, v34, 0, vcc
	v_add_u32_e32 v31, v34, v31
	s_waitcnt lgkmcnt(0)
	v_cndmask_b32_e64 v34, v35, 0, vcc
	v_cmp_gt_u32_e32 vcc, 60, v49
	v_add_u32_e32 v30, v30, v34
	s_nop 0
	v_cndmask_b32_e64 v35, 0, 1, vcc
	v_lshlrev_b32_e32 v35, 2, v35
	v_add_lshl_u32 v53, v35, v39, 2
	ds_bpermute_b32 v35, v53, v31
	ds_bpermute_b32 v34, v53, v30
	v_cmp_eq_u32_e32 vcc, 0, v30
	s_waitcnt lgkmcnt(1)
	s_nop 0
	v_cndmask_b32_e32 v35, 0, v35, vcc
	v_cmp_gt_u32_e32 vcc, v54, v33
	s_nop 1
	v_cndmask_b32_e64 v35, v35, 0, vcc
	s_waitcnt lgkmcnt(0)
	v_cndmask_b32_e64 v34, v34, 0, vcc
	v_cmp_gt_u32_e32 vcc, 56, v49
	v_add_u32_e32 v31, v31, v35
	v_add_u32_e32 v30, v30, v34
	v_cndmask_b32_e64 v35, 0, 1, vcc
	v_lshlrev_b32_e32 v35, 3, v35
	v_add_lshl_u32 v55, v35, v39, 2
	ds_bpermute_b32 v35, v55, v31
	ds_bpermute_b32 v34, v55, v30
	v_cmp_eq_u32_e32 vcc, 0, v30
	s_waitcnt lgkmcnt(1)
	s_nop 0
	v_cndmask_b32_e32 v35, 0, v35, vcc
	v_cmp_gt_u32_e32 vcc, v56, v33
	s_nop 1
	v_cndmask_b32_e64 v35, v35, 0, vcc
	s_waitcnt lgkmcnt(0)
	v_cndmask_b32_e64 v34, v34, 0, vcc
	v_cmp_gt_u32_e32 vcc, 48, v49
	v_add_u32_e32 v31, v31, v35
	v_add_u32_e32 v30, v30, v34
	;; [unrolled: 17-line block ×3, first 2 shown]
	v_cndmask_b32_e64 v35, 0, 1, vcc
	v_lshlrev_b32_e32 v35, 5, v35
	v_add_lshl_u32 v59, v35, v39, 2
	ds_bpermute_b32 v35, v59, v31
	ds_bpermute_b32 v34, v59, v30
	v_cmp_eq_u32_e32 vcc, 0, v30
	v_mov_b32_e32 v39, 0
	s_waitcnt lgkmcnt(1)
	v_cndmask_b32_e32 v35, 0, v35, vcc
	v_cmp_gt_u32_e32 vcc, v60, v33
	s_nop 1
	v_cndmask_b32_e64 v33, v35, 0, vcc
	v_add_u32_e32 v31, v33, v31
	s_waitcnt lgkmcnt(0)
	v_cndmask_b32_e64 v33, v34, 0, vcc
	v_add_u32_e32 v30, v33, v30
	s_branch .LBB746_77
.LBB746_76:                             ;   in Loop: Header=BB746_77 Depth=1
	s_or_b64 exec, exec, s[0:1]
	v_cmp_eq_u16_sdwa s[0:1], v32, v48 src0_sel:BYTE_0 src1_sel:DWORD
	v_cmp_eq_u32_e32 vcc, 0, v30
	ds_bpermute_b32 v43, v50, v30
	v_and_b32_e32 v33, s1, v41
	v_or_b32_e32 v33, 0x80000000, v33
	v_and_b32_e32 v42, s0, v40
	v_ffbl_b32_e32 v33, v33
	v_add_u32_e32 v33, 32, v33
	v_ffbl_b32_e32 v42, v42
	v_min_u32_e32 v33, v42, v33
	ds_bpermute_b32 v42, v50, v31
	v_cmp_lt_u32_e64 s[0:1], v49, v33
	s_and_b64 vcc, s[0:1], vcc
	v_subrev_u32_e32 v38, 64, v38
	s_waitcnt lgkmcnt(1)
	v_cndmask_b32_e64 v43, 0, v43, s[0:1]
	s_waitcnt lgkmcnt(0)
	v_cndmask_b32_e32 v42, 0, v42, vcc
	v_add_u32_e32 v31, v42, v31
	ds_bpermute_b32 v42, v51, v31
	v_add_u32_e32 v30, v43, v30
	v_cmp_eq_u32_e32 vcc, 0, v30
	ds_bpermute_b32 v43, v51, v30
	s_waitcnt lgkmcnt(1)
	v_cndmask_b32_e32 v42, 0, v42, vcc
	v_cmp_gt_u32_e32 vcc, v52, v33
	s_nop 1
	v_cndmask_b32_e64 v42, v42, 0, vcc
	v_add_u32_e32 v31, v42, v31
	ds_bpermute_b32 v42, v53, v31
	s_waitcnt lgkmcnt(1)
	v_cndmask_b32_e64 v43, v43, 0, vcc
	v_add_u32_e32 v30, v30, v43
	v_cmp_eq_u32_e32 vcc, 0, v30
	ds_bpermute_b32 v43, v53, v30
	s_waitcnt lgkmcnt(1)
	v_cndmask_b32_e32 v42, 0, v42, vcc
	v_cmp_gt_u32_e32 vcc, v54, v33
	s_nop 1
	v_cndmask_b32_e64 v42, v42, 0, vcc
	v_add_u32_e32 v31, v31, v42
	ds_bpermute_b32 v42, v55, v31
	s_waitcnt lgkmcnt(1)
	v_cndmask_b32_e64 v43, v43, 0, vcc
	v_add_u32_e32 v30, v30, v43
	ds_bpermute_b32 v43, v55, v30
	v_cmp_eq_u32_e32 vcc, 0, v30
	s_waitcnt lgkmcnt(1)
	s_nop 0
	v_cndmask_b32_e32 v42, 0, v42, vcc
	v_cmp_gt_u32_e32 vcc, v56, v33
	s_nop 1
	v_cndmask_b32_e64 v42, v42, 0, vcc
	v_add_u32_e32 v31, v31, v42
	ds_bpermute_b32 v42, v57, v31
	s_waitcnt lgkmcnt(1)
	v_cndmask_b32_e64 v43, v43, 0, vcc
	v_add_u32_e32 v30, v30, v43
	ds_bpermute_b32 v43, v57, v30
	v_cmp_eq_u32_e32 vcc, 0, v30
	s_waitcnt lgkmcnt(1)
	s_nop 0
	;; [unrolled: 13-line block ×3, first 2 shown]
	v_cndmask_b32_e32 v42, 0, v42, vcc
	v_cmp_gt_u32_e32 vcc, v60, v33
	s_nop 1
	v_cndmask_b32_e64 v33, v42, 0, vcc
	v_add_u32_e32 v31, v33, v31
	s_waitcnt lgkmcnt(0)
	v_cndmask_b32_e64 v33, v43, 0, vcc
	v_cmp_eq_u32_e32 vcc, 0, v34
	v_add3_u32 v30, v30, v34, v33
	s_nop 0
	v_cndmask_b32_e32 v31, 0, v31, vcc
	v_add_u32_e32 v31, v31, v35
.LBB746_77:                             ; =>This Loop Header: Depth=1
                                        ;     Child Loop BB746_80 Depth 2
	v_cmp_ne_u16_sdwa s[0:1], v32, v48 src0_sel:BYTE_0 src1_sel:DWORD
	v_mov_b32_e32 v35, v31
	v_mov_b32_e32 v34, v30
	v_cndmask_b32_e64 v31, 0, 1, s[0:1]
	;;#ASMSTART
	;;#ASMEND
	s_nop 0
	v_cmp_ne_u32_e32 vcc, 0, v31
	s_cmp_lg_u64 vcc, exec
	s_cbranch_scc1 .LBB746_82
; %bb.78:                               ;   in Loop: Header=BB746_77 Depth=1
	v_lshl_add_u64 v[42:43], v[38:39], 4, s[36:37]
	;;#ASMSTART
	global_load_dwordx4 v[30:33], v[42:43] off sc1	
s_waitcnt vmcnt(0)
	;;#ASMEND
	s_nop 0
	v_and_b32_e32 v33, 0xff, v31
	v_and_b32_e32 v61, 0xff00, v31
	v_or3_b32 v30, v30, 0, 0
	v_and_b32_e32 v62, 0xff000000, v31
	v_or3_b32 v33, 0, v33, v61
	;; [unrolled: 2-line block ×3, first 2 shown]
	v_or3_b32 v30, v30, 0, 0
	v_cmp_eq_u16_sdwa s[54:55], v32, v39 src0_sel:BYTE_0 src1_sel:DWORD
	s_and_saveexec_b64 s[0:1], s[54:55]
	s_cbranch_execz .LBB746_76
; %bb.79:                               ;   in Loop: Header=BB746_77 Depth=1
	s_mov_b64 s[54:55], 0
.LBB746_80:                             ;   Parent Loop BB746_77 Depth=1
                                        ; =>  This Inner Loop Header: Depth=2
	;;#ASMSTART
	global_load_dwordx4 v[30:33], v[42:43] off sc1	
s_waitcnt vmcnt(0)
	;;#ASMEND
	s_nop 0
	v_cmp_ne_u16_sdwa s[60:61], v32, v39 src0_sel:BYTE_0 src1_sel:DWORD
	s_or_b64 s[54:55], s[60:61], s[54:55]
	s_andn2_b64 exec, exec, s[54:55]
	s_cbranch_execnz .LBB746_80
; %bb.81:                               ;   in Loop: Header=BB746_77 Depth=1
	s_or_b64 exec, exec, s[54:55]
	s_branch .LBB746_76
.LBB746_82:                             ;   in Loop: Header=BB746_77 Depth=1
                                        ; implicit-def: $vgpr31
                                        ; implicit-def: $vgpr30
                                        ; implicit-def: $vgpr32
	s_cbranch_execz .LBB746_77
; %bb.83:
	s_and_saveexec_b64 s[0:1], s[28:29]
	s_cbranch_execz .LBB746_85
; %bb.84:
	s_cmp_eq_u32 s56, 0
	s_cselect_b64 vcc, -1, 0
	s_mov_b32 s55, 0
	v_cndmask_b32_e32 v30, 0, v35, vcc
	s_add_i32 s54, s58, 64
	v_add_u32_e32 v30, s57, v30
	s_lshl_b64 s[54:55], s[54:55], 4
	s_add_u32 s54, s36, s54
	v_and_b32_e32 v31, 0xff000000, v30
	v_and_b32_e32 v32, 0xff0000, v30
	s_addc_u32 s55, s37, s55
	v_or_b32_e32 v31, v32, v31
	v_and_b32_e32 v32, 0xff00, v30
	v_and_b32_e32 v30, 0xff, v30
	v_add_u32_e32 v38, s56, v34
	v_mov_b32_e32 v41, 0
	v_or3_b32 v39, v31, v32, v30
	v_mov_b32_e32 v40, 2
	v_mov_b64_e32 v[30:31], s[54:55]
	;;#ASMSTART
	global_store_dwordx4 v[30:31], v[38:41] off sc1	
s_waitcnt vmcnt(0)
	;;#ASMEND
	v_mov_b32_e32 v32, s56
	v_mov_b32_e32 v33, s57
	ds_write_b128 v41, v[32:35] offset:8192
.LBB746_85:
	s_or_b64 exec, exec, s[0:1]
	s_and_b64 exec, exec, s[34:35]
	s_cbranch_execz .LBB746_87
; %bb.86:
	v_mov_b32_e32 v30, 0
	ds_write_b64 v30, v[34:35] offset:8264
.LBB746_87:
	s_or_b64 exec, exec, s[52:53]
	v_mov_b32_e32 v32, 0
	s_waitcnt lgkmcnt(0)
	s_barrier
	ds_read_b64 v[30:31], v32 offset:8264
	v_cndmask_b32_e64 v34, v44, v36, s[28:29]
	v_cmp_eq_u32_e32 vcc, 0, v34
	v_cndmask_b32_e64 v33, v45, v37, s[28:29]
	s_waitcnt lgkmcnt(0)
	v_cndmask_b32_e32 v35, 0, v31, vcc
	v_add_u32_e32 v33, v35, v33
	v_cndmask_b32_e64 v67, v33, v31, s[34:35]
	v_cndmask_b32_e64 v31, v34, 0, s[34:35]
	v_cmp_eq_u32_e32 vcc, 0, v85
	v_add_u32_e32 v66, v30, v31
	v_add_u32_e32 v64, v66, v85
	v_cndmask_b32_e32 v30, 0, v67, vcc
	v_add_u32_e32 v65, v30, v68
	v_cndmask_b32_e64 v30, 0, v65, s[26:27]
	v_add_u32_e32 v63, v30, v68
	v_cndmask_b32_e64 v30, 0, v63, s[24:25]
	;; [unrolled: 2-line block ×8, first 2 shown]
	v_add_u32_e32 v49, v30, v68
	v_add_u32_e32 v62, v64, v84
	v_cndmask_b32_e64 v30, 0, v49, s[10:11]
	v_add_u32_e32 v60, v62, v83
	v_add_u32_e32 v45, v30, v68
	v_add_u32_e32 v58, v60, v82
	v_cndmask_b32_e64 v30, 0, v45, s[8:9]
	v_add_u32_e32 v56, v58, v81
	v_add_u32_e32 v43, v30, v68
	v_add_u32_e32 v54, v56, v80
	v_cndmask_b32_e64 v30, 0, v43, s[6:7]
	v_add_u32_e32 v52, v54, v79
	v_add_u32_e32 v41, v30, v68
	s_barrier
	ds_read_b128 v[30:33], v32 offset:8192
	v_add_u32_e32 v50, v52, v78
	v_add_u32_e32 v48, v50, v77
	;; [unrolled: 1-line block ×4, first 2 shown]
	v_cndmask_b32_e64 v34, 0, v41, s[4:5]
	v_add_u32_e32 v40, v42, v74
	v_add_u32_e32 v37, v34, v68
	s_waitcnt lgkmcnt(0)
	v_cmp_eq_u32_e32 vcc, 0, v30
	v_add_u32_e32 v36, v40, v73
	v_cndmask_b32_e64 v34, 0, v37, s[2:3]
	v_cndmask_b32_e32 v33, 0, v33, vcc
	v_add_u32_e32 v38, v36, v72
	v_add_u32_e32 v39, v34, v68
	;; [unrolled: 1-line block ×3, first 2 shown]
	s_branch .LBB746_100
.LBB746_88:
                                        ; implicit-def: $vgpr30
                                        ; implicit-def: $vgpr34
                                        ; implicit-def: $vgpr38_vgpr39
                                        ; implicit-def: $vgpr36_vgpr37
                                        ; implicit-def: $vgpr40_vgpr41
                                        ; implicit-def: $vgpr42_vgpr43
                                        ; implicit-def: $vgpr66_vgpr67
                                        ; implicit-def: $vgpr64_vgpr65
                                        ; implicit-def: $vgpr62_vgpr63
                                        ; implicit-def: $vgpr60_vgpr61
                                        ; implicit-def: $vgpr58_vgpr59
                                        ; implicit-def: $vgpr56_vgpr57
                                        ; implicit-def: $vgpr54_vgpr55
                                        ; implicit-def: $vgpr52_vgpr53
                                        ; implicit-def: $vgpr50_vgpr51
                                        ; implicit-def: $vgpr48_vgpr49
                                        ; implicit-def: $vgpr44_vgpr45
	s_cbranch_execz .LBB746_100
; %bb.89:
	s_and_b64 s[0:1], s[38:39], exec
	s_cselect_b32 s1, 0, s51
	s_cselect_b32 s0, 0, s50
	s_cmp_eq_u64 s[0:1], 0
	v_mov_b32_e32 v34, v68
	s_cbranch_scc1 .LBB746_91
; %bb.90:
	v_mov_b32_e32 v30, 0
	global_load_dword v34, v30, s[0:1]
.LBB746_91:
	v_cmp_eq_u32_e64 s[2:3], 0, v84
	v_cmp_eq_u32_e64 s[4:5], 0, v83
	v_cmp_eq_u32_e64 s[6:7], 0, v82
	v_cndmask_b32_e64 v30, 0, v68, s[2:3]
	v_add_u32_e32 v30, v30, v68
	v_cndmask_b32_e64 v30, 0, v30, s[4:5]
	v_add_u32_e32 v30, v30, v68
	v_cndmask_b32_e64 v30, 0, v30, s[6:7]
	v_add_u32_e32 v30, v30, v68
	v_cmp_eq_u32_e64 s[8:9], 0, v81
	v_cmp_eq_u32_e64 s[10:11], 0, v80
	v_cmp_eq_u32_e64 s[12:13], 0, v79
	v_cndmask_b32_e64 v30, 0, v30, s[8:9]
	v_add_u32_e32 v30, v30, v68
	v_cndmask_b32_e64 v30, 0, v30, s[10:11]
	v_add_u32_e32 v30, v30, v68
	v_cndmask_b32_e64 v30, 0, v30, s[12:13]
	v_add_u32_e32 v30, v30, v68
	v_cmp_eq_u32_e64 s[14:15], 0, v78
	v_cmp_eq_u32_e64 s[16:17], 0, v77
	v_cmp_eq_u32_e64 s[18:19], 0, v76
	v_cndmask_b32_e64 v30, 0, v30, s[14:15]
	v_add_u32_e32 v30, v30, v68
	v_cndmask_b32_e64 v30, 0, v30, s[16:17]
	v_add_u32_e32 v30, v30, v68
	v_cndmask_b32_e64 v30, 0, v30, s[18:19]
	v_add_u32_e32 v30, v30, v68
	v_cmp_eq_u32_e64 s[20:21], 0, v75
	v_cmp_eq_u32_e64 s[22:23], 0, v74
	;; [unrolled: 1-line block ×3, first 2 shown]
	v_cndmask_b32_e64 v30, 0, v30, s[20:21]
	v_add_u32_e32 v30, v30, v68
	v_cndmask_b32_e64 v30, 0, v30, s[22:23]
	v_add_u32_e32 v30, v30, v68
	v_cndmask_b32_e64 v30, 0, v30, s[24:25]
	v_add3_u32 v31, v87, v80, v79
	v_add_u32_e32 v30, v30, v68
	v_cmp_eq_u32_e32 vcc, 0, v72
	v_add3_u32 v31, v31, v78, v77
	v_add3_u32 v31, v31, v76, v75
	v_cndmask_b32_e32 v30, 0, v30, vcc
	v_add_u32_e32 v30, v30, v68
	v_cmp_eq_u32_e64 s[0:1], 0, v1
	v_add3_u32 v31, v31, v74, v73
	v_add3_u32 v31, v31, v72, v1
	v_cndmask_b32_e64 v30, 0, v30, s[0:1]
	v_add_u32_e32 v30, v30, v69
	v_mbcnt_hi_u32_b32 v35, -1, v86
	v_and_b32_e32 v32, 15, v35
	v_mov_b32_dpp v36, v30 row_shr:1 row_mask:0xf bank_mask:0xf
	v_cmp_eq_u32_e64 s[0:1], 0, v31
	v_mov_b32_dpp v33, v31 row_shr:1 row_mask:0xf bank_mask:0xf
	v_cmp_lt_u32_e64 s[26:27], 1, v32
	v_cndmask_b32_e64 v36, 0, v36, s[0:1]
	v_cmp_eq_u32_e64 s[0:1], 0, v32
	s_nop 1
	v_cndmask_b32_e64 v33, v33, 0, s[0:1]
	v_add_u32_e32 v31, v33, v31
	v_cndmask_b32_e64 v33, v36, 0, s[0:1]
	v_add_u32_e32 v30, v33, v30
	v_cmp_eq_u32_e64 s[0:1], 0, v31
	v_mov_b32_dpp v33, v31 row_shr:2 row_mask:0xf bank_mask:0xf
	v_mov_b32_dpp v36, v30 row_shr:2 row_mask:0xf bank_mask:0xf
	v_cndmask_b32_e64 v33, 0, v33, s[26:27]
	s_and_b64 s[0:1], s[26:27], s[0:1]
	v_cndmask_b32_e64 v36, 0, v36, s[0:1]
	v_add_u32_e32 v31, v31, v33
	v_add_u32_e32 v30, v36, v30
	v_cmp_eq_u32_e64 s[0:1], 0, v31
	v_mov_b32_dpp v33, v31 row_shr:4 row_mask:0xf bank_mask:0xf
	v_cmp_lt_u32_e64 s[26:27], 3, v32
	v_mov_b32_dpp v36, v30 row_shr:4 row_mask:0xf bank_mask:0xf
	s_and_b64 s[0:1], s[26:27], s[0:1]
	v_cndmask_b32_e64 v33, 0, v33, s[26:27]
	v_cndmask_b32_e64 v36, 0, v36, s[0:1]
	v_add_u32_e32 v31, v33, v31
	v_add_u32_e32 v30, v30, v36
	v_cmp_eq_u32_e64 s[0:1], 0, v31
	v_cmp_lt_u32_e64 s[26:27], 7, v32
	v_mov_b32_dpp v33, v31 row_shr:8 row_mask:0xf bank_mask:0xf
	v_mov_b32_dpp v36, v30 row_shr:8 row_mask:0xf bank_mask:0xf
	s_and_b64 s[0:1], s[26:27], s[0:1]
	v_cndmask_b32_e64 v32, 0, v33, s[26:27]
	v_cndmask_b32_e64 v33, 0, v36, s[0:1]
	v_add_u32_e32 v30, v33, v30
	v_add_u32_e32 v31, v32, v31
	v_bfe_i32 v36, v35, 4, 1
	v_mov_b32_dpp v33, v30 row_bcast:15 row_mask:0xf bank_mask:0xf
	v_mov_b32_dpp v32, v31 row_bcast:15 row_mask:0xf bank_mask:0xf
	v_cmp_eq_u32_e64 s[0:1], 0, v31
	v_and_b32_e32 v32, v36, v32
	v_add_u32_e32 v31, v32, v31
	v_cndmask_b32_e64 v33, 0, v33, s[0:1]
	v_and_b32_e32 v32, v36, v33
	v_add_u32_e32 v32, v32, v30
	v_mov_b32_dpp v30, v31 row_bcast:31 row_mask:0xf bank_mask:0xf
	v_cmp_eq_u32_e64 s[0:1], 0, v31
	v_cmp_lt_u32_e64 s[26:27], 31, v35
	v_mov_b32_dpp v33, v32 row_bcast:31 row_mask:0xf bank_mask:0xf
	s_and_b64 s[0:1], s[26:27], s[0:1]
	v_cndmask_b32_e64 v30, 0, v30, s[26:27]
	v_add_u32_e32 v30, v30, v31
	v_cndmask_b32_e64 v31, 0, v33, s[0:1]
	v_add_u32_e32 v31, v31, v32
	v_cmp_eq_u32_e64 s[0:1], v71, v0
	v_lshlrev_b32_e32 v33, 3, v70
	s_and_saveexec_b64 s[26:27], s[0:1]
	s_cbranch_execz .LBB746_93
; %bb.92:
	ds_write_b64 v33, v[30:31] offset:8208
.LBB746_93:
	s_or_b64 exec, exec, s[26:27]
	v_cmp_gt_u32_e64 s[0:1], 8, v0
	s_waitcnt lgkmcnt(0)
	s_barrier
	s_and_saveexec_b64 s[28:29], s[0:1]
	s_cbranch_execz .LBB746_95
; %bb.94:
	v_lshlrev_b32_e32 v32, 3, v0
	ds_read_b64 v[36:37], v32 offset:8208
	v_and_b32_e32 v38, 7, v35
	v_cmp_lt_u32_e64 s[26:27], 1, v38
	s_waitcnt lgkmcnt(0)
	v_mov_b32_dpp v40, v37 row_shr:1 row_mask:0xf bank_mask:0xf
	v_cmp_eq_u32_e64 s[0:1], 0, v36
	v_mov_b32_dpp v39, v36 row_shr:1 row_mask:0xf bank_mask:0xf
	s_nop 0
	v_cndmask_b32_e64 v40, 0, v40, s[0:1]
	v_cmp_eq_u32_e64 s[0:1], 0, v38
	s_nop 1
	v_cndmask_b32_e64 v39, v39, 0, s[0:1]
	v_add_u32_e32 v36, v39, v36
	v_cndmask_b32_e64 v39, v40, 0, s[0:1]
	v_add_u32_e32 v37, v39, v37
	v_cmp_eq_u32_e64 s[0:1], 0, v36
	v_mov_b32_dpp v39, v36 row_shr:2 row_mask:0xf bank_mask:0xf
	v_mov_b32_dpp v40, v37 row_shr:2 row_mask:0xf bank_mask:0xf
	v_cndmask_b32_e64 v39, 0, v39, s[26:27]
	s_and_b64 s[0:1], s[26:27], s[0:1]
	v_cndmask_b32_e64 v40, 0, v40, s[0:1]
	v_add_u32_e32 v36, v39, v36
	v_add_u32_e32 v37, v40, v37
	v_cmp_eq_u32_e64 s[0:1], 0, v36
	v_mov_b32_dpp v39, v36 row_shr:4 row_mask:0xf bank_mask:0xf
	v_cmp_lt_u32_e64 s[26:27], 3, v38
	v_mov_b32_dpp v40, v37 row_shr:4 row_mask:0xf bank_mask:0xf
	s_and_b64 s[0:1], s[26:27], s[0:1]
	v_cndmask_b32_e64 v38, 0, v39, s[26:27]
	v_add_u32_e32 v36, v38, v36
	v_cndmask_b32_e64 v38, 0, v40, s[0:1]
	v_add_u32_e32 v37, v38, v37
	ds_write_b64 v32, v[36:37] offset:8208
.LBB746_95:
	s_or_b64 exec, exec, s[28:29]
	v_cmp_lt_u32_e64 s[0:1], 63, v0
	v_mov_b32_e32 v37, 0
	v_mov_b32_e32 v32, 0
	s_waitcnt vmcnt(0)
	v_mov_b32_e32 v36, v34
	s_waitcnt lgkmcnt(0)
	s_barrier
	s_and_saveexec_b64 s[26:27], s[0:1]
	s_cbranch_execz .LBB746_97
; %bb.96:
	ds_read_b64 v[32:33], v33 offset:8200
	s_waitcnt lgkmcnt(0)
	v_cmp_eq_u32_e64 s[0:1], 0, v32
	s_nop 1
	v_cndmask_b32_e64 v36, 0, v34, s[0:1]
	v_add_u32_e32 v36, v36, v33
.LBB746_97:
	s_or_b64 exec, exec, s[26:27]
	v_cmp_eq_u32_e64 s[0:1], 0, v30
	v_add_u32_e32 v33, v32, v30
	v_and_b32_e32 v38, 64, v35
	v_cndmask_b32_e64 v30, 0, v36, s[0:1]
	v_add_u32_e32 v30, v30, v31
	v_add_u32_e32 v31, -1, v35
	v_cmp_lt_i32_e64 s[0:1], v31, v38
	s_nop 1
	v_cndmask_b32_e64 v31, v31, v35, s[0:1]
	v_lshlrev_b32_e32 v31, 2, v31
	ds_bpermute_b32 v30, v31, v30
	ds_bpermute_b32 v33, v31, v33
	v_cmp_eq_u32_e64 s[0:1], 0, v35
	s_waitcnt lgkmcnt(1)
	s_nop 0
	v_cndmask_b32_e64 v30, v30, v36, s[0:1]
	s_waitcnt lgkmcnt(0)
	v_cndmask_b32_e64 v31, v33, v32, s[0:1]
	v_cndmask_b32_e64 v67, v30, v34, s[34:35]
	v_cmp_eq_u32_e64 s[0:1], 0, v85
	v_cndmask_b32_e64 v66, v31, 0, s[34:35]
	v_add_u32_e32 v64, v66, v85
	v_cndmask_b32_e64 v30, 0, v67, s[0:1]
	v_add_u32_e32 v65, v30, v68
	;; [unrolled: 2-line block ×10, first 2 shown]
	v_add_u32_e32 v62, v64, v84
	v_cndmask_b32_e64 v30, 0, v49, s[18:19]
	v_add_u32_e32 v60, v62, v83
	v_add_u32_e32 v45, v30, v68
	v_add_u32_e32 v58, v60, v82
	v_cndmask_b32_e64 v30, 0, v45, s[20:21]
	v_add_u32_e32 v56, v58, v81
	v_add_u32_e32 v43, v30, v68
	;; [unrolled: 4-line block ×3, first 2 shown]
	ds_read_b64 v[30:31], v37 offset:8264
	v_add_u32_e32 v50, v52, v78
	v_add_u32_e32 v48, v50, v77
	;; [unrolled: 1-line block ×3, first 2 shown]
	v_cndmask_b32_e64 v32, 0, v41, s[24:25]
	v_add_u32_e32 v42, v44, v75
	v_add_u32_e32 v37, v32, v68
	;; [unrolled: 1-line block ×3, first 2 shown]
	v_cndmask_b32_e32 v32, 0, v37, vcc
	s_waitcnt lgkmcnt(0)
	v_cmp_eq_u32_e32 vcc, 0, v30
	v_add_u32_e32 v36, v40, v73
	v_add_u32_e32 v39, v32, v68
	v_cndmask_b32_e32 v32, 0, v34, vcc
	v_add_u32_e32 v38, v36, v72
	v_add_u32_e32 v34, v32, v31
	s_and_saveexec_b64 s[0:1], s[34:35]
	s_cbranch_execz .LBB746_99
; %bb.98:
	s_add_u32 s2, s36, 0x400
	v_and_b32_e32 v31, 0xff000000, v34
	v_and_b32_e32 v32, 0xff0000, v34
	s_addc_u32 s3, s37, 0
	v_or_b32_e32 v31, v32, v31
	v_and_b32_e32 v32, 0xff00, v34
	v_and_b32_e32 v35, 0xff, v34
	v_mov_b32_e32 v33, 0
	v_or3_b32 v31, v31, v32, v35
	v_mov_b32_e32 v32, 2
	v_mov_b64_e32 v[68:69], s[2:3]
	;;#ASMSTART
	global_store_dwordx4 v[68:69], v[30:33] off sc1	
s_waitcnt vmcnt(0)
	;;#ASMEND
.LBB746_99:
	s_or_b64 exec, exec, s[0:1]
	v_mov_b32_e32 v32, 0
.LBB746_100:
	s_and_b64 s[0:1], s[38:39], exec
	s_cselect_b32 s1, 0, s31
	s_cselect_b32 s0, 0, s30
	s_cmp_eq_u64 s[0:1], 0
	v_mov_b64_e32 v[68:69], 0
	s_barrier
	s_cbranch_scc1 .LBB746_102
; %bb.101:
	v_mov_b32_e32 v31, 0
	global_load_dwordx2 v[68:69], v31, s[0:1]
.LBB746_102:
	v_cmp_eq_u32_e32 vcc, 0, v85
	s_movk_i32 s0, 0x200
	v_mov_b32_e32 v33, 0
	v_cndmask_b32_e64 v31, 1, 2, vcc
	v_cmp_eq_u32_e32 vcc, 0, v84
	v_cmp_ne_u32_e64 s[30:31], 0, v85
	v_cmp_ne_u32_e64 s[28:29], 0, v84
	v_cndmask_b32_e64 v35, 1, 2, vcc
	v_cmp_eq_u32_e32 vcc, 0, v83
	v_and_b32_e32 v31, v35, v31
	v_cmp_ne_u32_e64 s[26:27], 0, v83
	v_cndmask_b32_e64 v35, 1, 2, vcc
	v_cmp_eq_u32_e32 vcc, 0, v82
	v_and_b32_e32 v31, v31, v35
	;; [unrolled: 4-line block ×13, first 2 shown]
	v_cmp_ne_u32_e64 s[2:3], 0, v1
	v_cndmask_b32_e64 v35, 1, 2, vcc
	v_and_b32_e32 v31, v31, v35
	v_cmp_gt_u32_e32 vcc, s0, v30
	s_mov_b64 s[36:37], -1
	v_cmp_gt_i16_e64 s[0:1], 2, v31
	s_cbranch_vccz .LBB746_109
; %bb.103:
	s_and_saveexec_b64 s[36:37], s[0:1]
	s_cbranch_execz .LBB746_108
; %bb.104:
	s_waitcnt vmcnt(0)
	v_lshlrev_b64 v[70:71], 3, v[68:69]
	v_lshl_add_u64 v[70:71], s[44:45], 0, v[70:71]
	v_lshlrev_b64 v[86:87], 3, v[32:33]
	v_lshl_add_u64 v[70:71], v[70:71], 0, v[86:87]
	v_cmp_ne_u16_e32 vcc, 1, v31
	s_mov_b64 s[38:39], 0
	s_and_saveexec_b64 s[0:1], vcc
	s_xor_b64 s[0:1], exec, s[0:1]
	s_cbranch_execnz .LBB746_141
; %bb.105:
	s_andn2_saveexec_b64 s[0:1], s[0:1]
	s_cbranch_execnz .LBB746_157
.LBB746_106:
	s_or_b64 exec, exec, s[0:1]
	s_and_b64 exec, exec, s[38:39]
	s_cbranch_execz .LBB746_108
.LBB746_107:
	v_sub_u32_e32 v86, v38, v32
	v_mov_b32_e32 v87, 0
	v_lshl_add_u64 v[70:71], v[86:87], 3, v[70:71]
	global_store_dwordx2 v[70:71], v[46:47], off
.LBB746_108:
	s_or_b64 exec, exec, s[36:37]
	s_mov_b64 s[36:37], 0
.LBB746_109:
	s_and_b64 vcc, exec, s[36:37]
	s_cbranch_vccz .LBB746_119
; %bb.110:
	v_cmp_gt_i16_e32 vcc, 2, v31
	s_and_saveexec_b64 s[0:1], vcc
	s_cbranch_execz .LBB746_115
; %bb.111:
	v_cmp_ne_u16_e32 vcc, 1, v31
	s_mov_b64 s[38:39], 0
	s_and_saveexec_b64 s[36:37], vcc
	s_xor_b64 s[36:37], exec, s[36:37]
	s_cbranch_execnz .LBB746_158
; %bb.112:
	s_andn2_saveexec_b64 s[2:3], s[36:37]
	s_cbranch_execnz .LBB746_174
.LBB746_113:
	s_or_b64 exec, exec, s[2:3]
	s_and_b64 exec, exec, s[38:39]
	s_cbranch_execz .LBB746_115
.LBB746_114:
	v_sub_u32_e32 v2, v38, v32
	v_lshlrev_b32_e32 v2, 3, v2
	ds_write_b64 v2, v[46:47]
.LBB746_115:
	s_or_b64 exec, exec, s[0:1]
	v_cmp_lt_u32_e32 vcc, v0, v30
	s_waitcnt lgkmcnt(0)
	s_barrier
	s_and_saveexec_b64 s[0:1], vcc
	s_cbranch_execz .LBB746_118
; %bb.116:
	s_waitcnt vmcnt(0)
	v_lshlrev_b64 v[4:5], 3, v[68:69]
	v_lshlrev_b64 v[6:7], 3, v[32:33]
	v_lshl_add_u64 v[4:5], v[4:5], 0, v[6:7]
	v_lshlrev_b32_e32 v2, 3, v0
	v_mov_b32_e32 v3, 0
	v_lshl_add_u64 v[4:5], s[44:45], 0, v[4:5]
	v_lshl_add_u64 v[4:5], v[4:5], 0, v[2:3]
	s_mov_b64 s[2:3], 0
	s_mov_b64 s[4:5], 0x1000
	v_mov_b32_e32 v3, v0
.LBB746_117:                            ; =>This Inner Loop Header: Depth=1
	ds_read_b64 v[6:7], v2
	v_add_u32_e32 v3, 0x200, v3
	v_cmp_ge_u32_e32 vcc, v3, v30
	v_add_u32_e32 v2, 0x1000, v2
	s_or_b64 s[2:3], vcc, s[2:3]
	s_waitcnt lgkmcnt(0)
	global_store_dwordx2 v[4:5], v[6:7], off
	v_lshl_add_u64 v[4:5], v[4:5], 0, s[4:5]
	s_andn2_b64 exec, exec, s[2:3]
	s_cbranch_execnz .LBB746_117
.LBB746_118:
	s_or_b64 exec, exec, s[0:1]
.LBB746_119:
	s_cmpk_lg_i32 s33, 0x1e00
	s_cselect_b64 s[0:1], -1, 0
	v_cndmask_b32_e64 v10, 0, 1, s[42:43]
	s_and_b64 s[0:1], s[0:1], s[40:41]
	v_sub_u32_e32 v2, v30, v10
	v_cndmask_b32_e64 v3, 0, 1, s[0:1]
	s_and_b64 s[0:1], s[34:35], s[42:43]
	v_add_u32_e32 v12, v2, v3
	v_cndmask_b32_e64 v2, v85, 0, s[0:1]
	s_mul_hi_u32 s0, s33, 0x88888889
	s_lshr_b32 s0, s0, 3
	v_mad_i32_i24 v3, v0, -15, s33
	v_cmp_eq_u32_e32 vcc, s0, v0
	v_cmp_ne_u32_e64 s[0:1], 0, v3
	s_and_b64 vcc, vcc, s[40:41]
	s_mov_b32 s2, 0
	v_cndmask_b32_e64 v4, 1, v2, s[0:1]
	v_cmp_ne_u32_e64 s[0:1], 1, v3
	v_cndmask_b32_e32 v27, v2, v4, vcc
	s_movk_i32 s30, 0x200
	v_cndmask_b32_e64 v5, 1, v84, s[0:1]
	v_cmp_ne_u32_e64 s[0:1], 2, v3
	v_cndmask_b32_e32 v26, v84, v5, vcc
	s_waitcnt vmcnt(0)
	v_lshlrev_b64 v[4:5], 3, v[68:69]
	v_cndmask_b32_e64 v6, 1, v83, s[0:1]
	v_cmp_ne_u32_e64 s[0:1], 3, v3
	v_cndmask_b32_e32 v25, v83, v6, vcc
	s_mov_b64 s[34:35], -1
	v_cndmask_b32_e64 v7, 1, v82, s[0:1]
	v_cmp_ne_u32_e64 s[0:1], 4, v3
	v_cndmask_b32_e32 v24, v82, v7, vcc
	v_lshlrev_b64 v[6:7], 3, v[32:33]
	v_cndmask_b32_e64 v8, 1, v81, s[0:1]
	v_cmp_ne_u32_e64 s[0:1], 5, v3
	v_cndmask_b32_e32 v23, v81, v8, vcc
	v_cmp_ne_u32_e64 s[28:29], 0, v27
	v_cndmask_b32_e64 v9, 1, v80, s[0:1]
	v_cmp_ne_u32_e64 s[0:1], 6, v3
	v_cndmask_b32_e32 v22, v80, v9, vcc
	v_cmp_ne_u32_e64 s[26:27], 0, v26
	v_cndmask_b32_e64 v11, 1, v79, s[0:1]
	v_cmp_ne_u32_e64 s[0:1], 7, v3
	v_cndmask_b32_e32 v21, v79, v11, vcc
	v_mov_b32_e32 v11, s2
	v_cndmask_b32_e64 v13, 1, v78, s[0:1]
	v_cmp_ne_u32_e64 s[0:1], 8, v3
	v_cndmask_b32_e32 v13, v78, v13, vcc
	v_lshl_add_u64 v[8:9], v[10:11], 0, -1
	v_cndmask_b32_e64 v14, 1, v77, s[0:1]
	v_cmp_ne_u32_e64 s[0:1], 9, v3
	v_cndmask_b32_e32 v14, v77, v14, vcc
	v_cmp_ne_u32_e64 s[14:15], 0, v13
	v_cndmask_b32_e64 v15, 1, v76, s[0:1]
	v_cmp_ne_u32_e64 s[0:1], 10, v3
	v_cndmask_b32_e32 v15, v76, v15, vcc
	v_cmp_ne_u32_e64 s[24:25], 0, v25
	;; [unrolled: 4-line block ×6, first 2 shown]
	v_cndmask_b32_e64 v3, 1, v1, s[0:1]
	v_cndmask_b32_e32 v20, v1, v3, vcc
	v_cmp_eq_u32_e32 vcc, 0, v27
	v_add_u32_e32 v1, v32, v10
	v_lshl_add_u64 v[2:3], s[46:47], 0, v[4:5]
	v_cndmask_b32_e64 v10, 1, 2, vcc
	v_cmp_eq_u32_e32 vcc, 0, v26
	v_lshl_add_u64 v[2:3], v[2:3], 0, v[6:7]
	v_cmp_ne_u32_e64 s[12:13], 0, v14
	v_cndmask_b32_e64 v11, 1, 2, vcc
	v_cmp_eq_u32_e32 vcc, 0, v25
	v_and_b32_e32 v10, v11, v10
	v_cmp_ne_u32_e64 s[10:11], 0, v15
	v_cndmask_b32_e64 v11, 1, 2, vcc
	v_cmp_eq_u32_e32 vcc, 0, v24
	v_and_b32_e32 v10, v10, v11
	;; [unrolled: 4-line block ×7, first 2 shown]
	s_nop 0
	v_cndmask_b32_e64 v11, 1, 2, vcc
	v_cmp_eq_u32_e32 vcc, 0, v15
	v_and_b32_e32 v10, v10, v11
	s_barrier
	v_cndmask_b32_e64 v11, 1, 2, vcc
	v_cmp_eq_u32_e32 vcc, 0, v16
	v_and_b32_e32 v10, v10, v11
	s_nop 0
	v_cndmask_b32_e64 v11, 1, 2, vcc
	v_cmp_eq_u32_e32 vcc, 0, v17
	v_and_b32_e32 v10, v10, v11
	s_nop 0
	;; [unrolled: 4-line block ×5, first 2 shown]
	v_cndmask_b32_e64 v11, 1, 2, vcc
	v_and_b32_e32 v13, v10, v11
	v_cmp_gt_u32_e32 vcc, s30, v12
	v_cmp_gt_i16_e64 s[30:31], 2, v13
	s_cbranch_vccz .LBB746_126
; %bb.120:
	s_and_saveexec_b64 s[34:35], s[30:31]
	s_cbranch_execz .LBB746_125
; %bb.121:
	v_lshlrev_b64 v[10:11], 3, v[8:9]
	v_lshl_add_u64 v[10:11], v[2:3], 0, v[10:11]
	v_cmp_ne_u16_e32 vcc, 1, v13
	s_mov_b64 s[36:37], 0
	s_and_saveexec_b64 s[30:31], vcc
	s_xor_b64 s[30:31], exec, s[30:31]
	s_cbranch_execnz .LBB746_175
; %bb.122:
	s_andn2_saveexec_b64 s[30:31], s[30:31]
	s_cbranch_execnz .LBB746_191
.LBB746_123:
	s_or_b64 exec, exec, s[30:31]
	s_and_b64 exec, exec, s[36:37]
	s_cbranch_execz .LBB746_125
.LBB746_124:
	v_mov_b32_e32 v15, 0
	v_sub_u32_e32 v16, v38, v1
	v_mov_b32_e32 v17, v15
	v_mov_b32_e32 v14, v39
	v_lshl_add_u64 v[10:11], v[16:17], 3, v[10:11]
	global_store_dwordx2 v[10:11], v[14:15], off
.LBB746_125:
	s_or_b64 exec, exec, s[34:35]
	s_mov_b64 s[34:35], 0
.LBB746_126:
	s_and_b64 vcc, exec, s[34:35]
	s_cbranch_vccz .LBB746_136
; %bb.127:
	v_cmp_gt_i16_e32 vcc, 2, v13
	s_and_saveexec_b64 s[30:31], vcc
	s_cbranch_execz .LBB746_132
; %bb.128:
	v_cmp_ne_u16_e32 vcc, 1, v13
	s_mov_b64 s[36:37], 0
	s_and_saveexec_b64 s[34:35], vcc
	s_xor_b64 s[34:35], exec, s[34:35]
	s_cbranch_execnz .LBB746_192
; %bb.129:
	s_andn2_saveexec_b64 s[0:1], s[34:35]
	s_cbranch_execnz .LBB746_208
.LBB746_130:
	s_or_b64 exec, exec, s[0:1]
	s_and_b64 exec, exec, s[36:37]
	s_cbranch_execz .LBB746_132
.LBB746_131:
	v_sub_u32_e32 v1, v38, v1
	v_lshlrev_b32_e32 v1, 2, v1
	ds_write_b32 v1, v39
.LBB746_132:
	s_or_b64 exec, exec, s[30:31]
	v_cmp_lt_u32_e32 vcc, v0, v12
	s_waitcnt lgkmcnt(0)
	s_barrier
	s_and_saveexec_b64 s[0:1], vcc
	s_cbranch_execz .LBB746_135
; %bb.133:
	v_lshlrev_b64 v[8:9], 3, v[8:9]
	v_lshl_add_u64 v[4:5], v[4:5], 0, v[8:9]
	v_lshl_add_u64 v[6:7], v[4:5], 0, v[6:7]
	v_lshlrev_b32_e32 v4, 3, v0
	v_mov_b32_e32 v5, 0
	v_lshl_add_u64 v[6:7], s[46:47], 0, v[6:7]
	v_lshlrev_b32_e32 v1, 2, v0
	v_lshl_add_u64 v[6:7], v[6:7], 0, v[4:5]
	s_mov_b64 s[2:3], 0
	s_mov_b64 s[4:5], 0x1000
	v_mov_b32_e32 v8, v0
.LBB746_134:                            ; =>This Inner Loop Header: Depth=1
	ds_read_b32 v4, v1
	v_add_u32_e32 v8, 0x200, v8
	v_cmp_ge_u32_e32 vcc, v8, v12
	v_add_u32_e32 v1, 0x800, v1
	s_or_b64 s[2:3], vcc, s[2:3]
	s_waitcnt lgkmcnt(0)
	global_store_dwordx2 v[6:7], v[4:5], off
	v_lshl_add_u64 v[6:7], v[6:7], 0, s[4:5]
	s_andn2_b64 exec, exec, s[2:3]
	s_cbranch_execnz .LBB746_134
.LBB746_135:
	s_or_b64 exec, exec, s[0:1]
.LBB746_136:
	s_movk_i32 s0, 0x1ff
	v_cmp_eq_u32_e32 vcc, s0, v0
	s_and_b64 s[0:1], vcc, s[40:41]
	s_and_saveexec_b64 s[2:3], s[0:1]
	s_cbranch_execz .LBB746_139
; %bb.137:
	v_mov_b32_e32 v31, 0
	v_lshl_add_u64 v[0:1], v[30:31], 0, v[32:33]
	v_lshl_add_u64 v[0:1], v[0:1], 0, v[68:69]
	s_cmpk_lg_i32 s33, 0x1e00
	global_store_dwordx2 v31, v[0:1], s[48:49]
	s_cbranch_scc1 .LBB746_139
; %bb.138:
	v_lshlrev_b64 v[0:1], 3, v[30:31]
	v_mov_b32_e32 v35, v31
	v_lshl_add_u64 v[0:1], v[2:3], 0, v[0:1]
	global_store_dwordx2 v[0:1], v[34:35], off offset:-8
.LBB746_139:
	s_endpgm
.LBB746_140:
	s_or_b64 exec, exec, s[4:5]
	v_mov_b32_e32 v85, s6
	s_and_saveexec_b64 s[2:3], s[54:55]
	s_cbranch_execnz .LBB746_60
	s_branch .LBB746_61
.LBB746_141:
	s_and_saveexec_b64 s[38:39], s[30:31]
	s_cbranch_execnz .LBB746_209
; %bb.142:
	s_or_b64 exec, exec, s[38:39]
	s_and_saveexec_b64 s[38:39], s[28:29]
	s_cbranch_execnz .LBB746_210
.LBB746_143:
	s_or_b64 exec, exec, s[38:39]
	s_and_saveexec_b64 s[38:39], s[26:27]
	s_cbranch_execnz .LBB746_211
.LBB746_144:
	s_or_b64 exec, exec, s[38:39]
	s_and_saveexec_b64 s[38:39], s[24:25]
	s_cbranch_execnz .LBB746_212
.LBB746_145:
	s_or_b64 exec, exec, s[38:39]
	s_and_saveexec_b64 s[38:39], s[22:23]
	s_cbranch_execnz .LBB746_213
.LBB746_146:
	s_or_b64 exec, exec, s[38:39]
	s_and_saveexec_b64 s[38:39], s[20:21]
	s_cbranch_execnz .LBB746_214
.LBB746_147:
	s_or_b64 exec, exec, s[38:39]
	s_and_saveexec_b64 s[38:39], s[18:19]
	s_cbranch_execnz .LBB746_215
.LBB746_148:
	s_or_b64 exec, exec, s[38:39]
	s_and_saveexec_b64 s[38:39], s[16:17]
	s_cbranch_execnz .LBB746_216
.LBB746_149:
	s_or_b64 exec, exec, s[38:39]
	s_and_saveexec_b64 s[38:39], s[14:15]
	s_cbranch_execnz .LBB746_217
.LBB746_150:
	s_or_b64 exec, exec, s[38:39]
	s_and_saveexec_b64 s[38:39], s[12:13]
	s_cbranch_execnz .LBB746_218
.LBB746_151:
	s_or_b64 exec, exec, s[38:39]
	s_and_saveexec_b64 s[38:39], s[10:11]
	s_cbranch_execnz .LBB746_219
.LBB746_152:
	s_or_b64 exec, exec, s[38:39]
	s_and_saveexec_b64 s[38:39], s[8:9]
	s_cbranch_execnz .LBB746_220
.LBB746_153:
	s_or_b64 exec, exec, s[38:39]
	s_and_saveexec_b64 s[38:39], s[6:7]
	s_cbranch_execnz .LBB746_221
.LBB746_154:
	s_or_b64 exec, exec, s[38:39]
	s_and_saveexec_b64 s[38:39], s[4:5]
	s_cbranch_execz .LBB746_156
.LBB746_155:
	v_sub_u32_e32 v86, v36, v32
	v_mov_b32_e32 v87, 0
	v_lshl_add_u64 v[86:87], v[86:87], 3, v[70:71]
	global_store_dwordx2 v[86:87], v[8:9], off
.LBB746_156:
	s_or_b64 exec, exec, s[38:39]
	s_and_b64 s[38:39], s[2:3], exec
	s_andn2_saveexec_b64 s[0:1], s[0:1]
	s_cbranch_execz .LBB746_106
.LBB746_157:
	v_sub_u32_e32 v86, v66, v32
	v_mov_b32_e32 v87, 0
	v_lshl_add_u64 v[88:89], v[86:87], 3, v[70:71]
	v_sub_u32_e32 v86, v64, v32
	global_store_dwordx2 v[88:89], v[26:27], off
	v_lshl_add_u64 v[88:89], v[86:87], 3, v[70:71]
	v_sub_u32_e32 v86, v62, v32
	global_store_dwordx2 v[88:89], v[28:29], off
	;; [unrolled: 3-line block ×12, first 2 shown]
	v_lshl_add_u64 v[88:89], v[86:87], 3, v[70:71]
	v_sub_u32_e32 v86, v36, v32
	v_lshl_add_u64 v[86:87], v[86:87], 3, v[70:71]
	s_or_b64 s[38:39], s[38:39], exec
	global_store_dwordx2 v[88:89], v[6:7], off
	global_store_dwordx2 v[86:87], v[8:9], off
	s_or_b64 exec, exec, s[0:1]
	s_and_b64 exec, exec, s[38:39]
	s_cbranch_execnz .LBB746_107
	s_branch .LBB746_108
.LBB746_158:
	s_and_saveexec_b64 s[38:39], s[30:31]
	s_cbranch_execnz .LBB746_222
; %bb.159:
	s_or_b64 exec, exec, s[38:39]
	s_and_saveexec_b64 s[30:31], s[28:29]
	s_cbranch_execnz .LBB746_223
.LBB746_160:
	s_or_b64 exec, exec, s[30:31]
	s_and_saveexec_b64 s[28:29], s[26:27]
	s_cbranch_execnz .LBB746_224
.LBB746_161:
	s_or_b64 exec, exec, s[28:29]
	s_and_saveexec_b64 s[26:27], s[24:25]
	s_cbranch_execnz .LBB746_225
.LBB746_162:
	s_or_b64 exec, exec, s[26:27]
	s_and_saveexec_b64 s[24:25], s[22:23]
	s_cbranch_execnz .LBB746_226
.LBB746_163:
	s_or_b64 exec, exec, s[24:25]
	s_and_saveexec_b64 s[22:23], s[20:21]
	s_cbranch_execnz .LBB746_227
.LBB746_164:
	s_or_b64 exec, exec, s[22:23]
	s_and_saveexec_b64 s[20:21], s[18:19]
	s_cbranch_execnz .LBB746_228
.LBB746_165:
	s_or_b64 exec, exec, s[20:21]
	s_and_saveexec_b64 s[18:19], s[16:17]
	s_cbranch_execnz .LBB746_229
.LBB746_166:
	s_or_b64 exec, exec, s[18:19]
	s_and_saveexec_b64 s[16:17], s[14:15]
	s_cbranch_execnz .LBB746_230
.LBB746_167:
	s_or_b64 exec, exec, s[16:17]
	s_and_saveexec_b64 s[14:15], s[12:13]
	s_cbranch_execnz .LBB746_231
.LBB746_168:
	s_or_b64 exec, exec, s[14:15]
	s_and_saveexec_b64 s[12:13], s[10:11]
	s_cbranch_execnz .LBB746_232
.LBB746_169:
	s_or_b64 exec, exec, s[12:13]
	s_and_saveexec_b64 s[10:11], s[8:9]
	s_cbranch_execnz .LBB746_233
.LBB746_170:
	s_or_b64 exec, exec, s[10:11]
	s_and_saveexec_b64 s[8:9], s[6:7]
	s_cbranch_execnz .LBB746_234
.LBB746_171:
	s_or_b64 exec, exec, s[8:9]
	s_and_saveexec_b64 s[6:7], s[4:5]
	s_cbranch_execz .LBB746_173
.LBB746_172:
	v_sub_u32_e32 v2, v36, v32
	v_lshlrev_b32_e32 v2, 3, v2
	ds_write_b64 v2, v[8:9]
.LBB746_173:
	s_or_b64 exec, exec, s[6:7]
	s_and_b64 s[38:39], s[2:3], exec
                                        ; implicit-def: $vgpr8_vgpr9
                                        ; implicit-def: $vgpr4_vgpr5
                                        ; implicit-def: $vgpr12_vgpr13
                                        ; implicit-def: $vgpr16_vgpr17
                                        ; implicit-def: $vgpr20_vgpr21
                                        ; implicit-def: $vgpr24_vgpr25
                                        ; implicit-def: $vgpr28_vgpr29
	s_andn2_saveexec_b64 s[2:3], s[36:37]
	s_cbranch_execz .LBB746_113
.LBB746_174:
	v_sub_u32_e32 v31, v66, v32
	v_lshlrev_b32_e32 v31, 3, v31
	ds_write_b64 v31, v[26:27]
	v_sub_u32_e32 v26, v64, v32
	v_lshlrev_b32_e32 v26, 3, v26
	ds_write_b64 v26, v[28:29]
	;; [unrolled: 3-line block ×13, first 2 shown]
	v_sub_u32_e32 v2, v36, v32
	v_lshlrev_b32_e32 v2, 3, v2
	s_or_b64 s[38:39], s[38:39], exec
	ds_write_b64 v2, v[8:9]
	s_or_b64 exec, exec, s[2:3]
	s_and_b64 exec, exec, s[38:39]
	s_cbranch_execnz .LBB746_114
	s_branch .LBB746_115
.LBB746_175:
	s_and_saveexec_b64 s[36:37], s[28:29]
	s_cbranch_execnz .LBB746_235
; %bb.176:
	s_or_b64 exec, exec, s[36:37]
	s_and_saveexec_b64 s[36:37], s[26:27]
	s_cbranch_execnz .LBB746_236
.LBB746_177:
	s_or_b64 exec, exec, s[36:37]
	s_and_saveexec_b64 s[36:37], s[24:25]
	s_cbranch_execnz .LBB746_237
.LBB746_178:
	s_or_b64 exec, exec, s[36:37]
	s_and_saveexec_b64 s[36:37], s[22:23]
	s_cbranch_execnz .LBB746_238
.LBB746_179:
	s_or_b64 exec, exec, s[36:37]
	s_and_saveexec_b64 s[36:37], s[20:21]
	s_cbranch_execnz .LBB746_239
.LBB746_180:
	s_or_b64 exec, exec, s[36:37]
	s_and_saveexec_b64 s[36:37], s[18:19]
	s_cbranch_execnz .LBB746_240
.LBB746_181:
	s_or_b64 exec, exec, s[36:37]
	s_and_saveexec_b64 s[36:37], s[16:17]
	s_cbranch_execnz .LBB746_241
.LBB746_182:
	s_or_b64 exec, exec, s[36:37]
	s_and_saveexec_b64 s[36:37], s[14:15]
	s_cbranch_execnz .LBB746_242
.LBB746_183:
	s_or_b64 exec, exec, s[36:37]
	s_and_saveexec_b64 s[36:37], s[12:13]
	s_cbranch_execnz .LBB746_243
.LBB746_184:
	s_or_b64 exec, exec, s[36:37]
	s_and_saveexec_b64 s[36:37], s[10:11]
	s_cbranch_execnz .LBB746_244
.LBB746_185:
	s_or_b64 exec, exec, s[36:37]
	s_and_saveexec_b64 s[36:37], s[8:9]
	s_cbranch_execnz .LBB746_245
.LBB746_186:
	s_or_b64 exec, exec, s[36:37]
	s_and_saveexec_b64 s[36:37], s[6:7]
	s_cbranch_execnz .LBB746_246
.LBB746_187:
	s_or_b64 exec, exec, s[36:37]
	s_and_saveexec_b64 s[36:37], s[4:5]
	s_cbranch_execnz .LBB746_247
.LBB746_188:
	s_or_b64 exec, exec, s[36:37]
	s_and_saveexec_b64 s[36:37], s[2:3]
	s_cbranch_execz .LBB746_190
.LBB746_189:
	v_sub_u32_e32 v14, v36, v1
	v_mov_b32_e32 v15, 0
	v_lshl_add_u64 v[16:17], v[14:15], 3, v[10:11]
	v_mov_b32_e32 v14, v37
	global_store_dwordx2 v[16:17], v[14:15], off
.LBB746_190:
	s_or_b64 exec, exec, s[36:37]
	s_and_b64 s[36:37], s[0:1], exec
	s_andn2_saveexec_b64 s[30:31], s[30:31]
	s_cbranch_execz .LBB746_123
.LBB746_191:
	v_mov_b32_e32 v15, 0
	v_sub_u32_e32 v16, v66, v1
	v_mov_b32_e32 v17, v15
	v_mov_b32_e32 v14, v67
	v_lshl_add_u64 v[16:17], v[16:17], 3, v[10:11]
	global_store_dwordx2 v[16:17], v[14:15], off
	v_sub_u32_e32 v16, v64, v1
	v_mov_b32_e32 v17, v15
	v_mov_b32_e32 v14, v65
	v_lshl_add_u64 v[16:17], v[16:17], 3, v[10:11]
	global_store_dwordx2 v[16:17], v[14:15], off
	;; [unrolled: 5-line block ×13, first 2 shown]
	v_sub_u32_e32 v16, v36, v1
	v_mov_b32_e32 v17, v15
	v_mov_b32_e32 v14, v37
	v_lshl_add_u64 v[16:17], v[16:17], 3, v[10:11]
	s_or_b64 s[36:37], s[36:37], exec
	global_store_dwordx2 v[16:17], v[14:15], off
	s_or_b64 exec, exec, s[30:31]
	s_and_b64 exec, exec, s[36:37]
	s_cbranch_execnz .LBB746_124
	s_branch .LBB746_125
.LBB746_192:
	s_and_saveexec_b64 s[36:37], s[28:29]
	s_cbranch_execnz .LBB746_248
; %bb.193:
	s_or_b64 exec, exec, s[36:37]
	s_and_saveexec_b64 s[28:29], s[26:27]
	s_cbranch_execnz .LBB746_249
.LBB746_194:
	s_or_b64 exec, exec, s[28:29]
	s_and_saveexec_b64 s[26:27], s[24:25]
	s_cbranch_execnz .LBB746_250
.LBB746_195:
	s_or_b64 exec, exec, s[26:27]
	s_and_saveexec_b64 s[24:25], s[22:23]
	s_cbranch_execnz .LBB746_251
.LBB746_196:
	s_or_b64 exec, exec, s[24:25]
	s_and_saveexec_b64 s[22:23], s[20:21]
	s_cbranch_execnz .LBB746_252
.LBB746_197:
	s_or_b64 exec, exec, s[22:23]
	s_and_saveexec_b64 s[20:21], s[18:19]
	s_cbranch_execnz .LBB746_253
.LBB746_198:
	s_or_b64 exec, exec, s[20:21]
	s_and_saveexec_b64 s[18:19], s[16:17]
	s_cbranch_execnz .LBB746_254
.LBB746_199:
	s_or_b64 exec, exec, s[18:19]
	s_and_saveexec_b64 s[16:17], s[14:15]
	s_cbranch_execnz .LBB746_255
.LBB746_200:
	s_or_b64 exec, exec, s[16:17]
	s_and_saveexec_b64 s[14:15], s[12:13]
	s_cbranch_execnz .LBB746_256
.LBB746_201:
	s_or_b64 exec, exec, s[14:15]
	s_and_saveexec_b64 s[12:13], s[10:11]
	s_cbranch_execnz .LBB746_257
.LBB746_202:
	s_or_b64 exec, exec, s[12:13]
	s_and_saveexec_b64 s[10:11], s[8:9]
	s_cbranch_execnz .LBB746_258
.LBB746_203:
	s_or_b64 exec, exec, s[10:11]
	s_and_saveexec_b64 s[8:9], s[6:7]
	s_cbranch_execnz .LBB746_259
.LBB746_204:
	s_or_b64 exec, exec, s[8:9]
	s_and_saveexec_b64 s[6:7], s[4:5]
	s_cbranch_execnz .LBB746_260
.LBB746_205:
	s_or_b64 exec, exec, s[6:7]
	s_and_saveexec_b64 s[4:5], s[2:3]
	s_cbranch_execz .LBB746_207
.LBB746_206:
	v_sub_u32_e32 v10, v36, v1
	v_lshlrev_b32_e32 v10, 2, v10
	ds_write_b32 v10, v37
.LBB746_207:
	s_or_b64 exec, exec, s[4:5]
	s_and_b64 s[36:37], s[0:1], exec
                                        ; implicit-def: $vgpr36_vgpr37
                                        ; implicit-def: $vgpr40_vgpr41
                                        ; implicit-def: $vgpr42_vgpr43
                                        ; implicit-def: $vgpr66_vgpr67
                                        ; implicit-def: $vgpr64_vgpr65
                                        ; implicit-def: $vgpr62_vgpr63
                                        ; implicit-def: $vgpr60_vgpr61
                                        ; implicit-def: $vgpr58_vgpr59
                                        ; implicit-def: $vgpr56_vgpr57
                                        ; implicit-def: $vgpr54_vgpr55
                                        ; implicit-def: $vgpr52_vgpr53
                                        ; implicit-def: $vgpr50_vgpr51
                                        ; implicit-def: $vgpr48_vgpr49
                                        ; implicit-def: $vgpr44_vgpr45
	s_andn2_saveexec_b64 s[0:1], s[34:35]
	s_cbranch_execz .LBB746_130
.LBB746_208:
	v_sub_u32_e32 v10, v66, v1
	v_lshlrev_b32_e32 v10, 2, v10
	ds_write_b32 v10, v67
	v_sub_u32_e32 v10, v64, v1
	v_lshlrev_b32_e32 v10, 2, v10
	ds_write_b32 v10, v65
	;; [unrolled: 3-line block ×13, first 2 shown]
	v_sub_u32_e32 v10, v36, v1
	v_lshlrev_b32_e32 v10, 2, v10
	s_or_b64 s[36:37], s[36:37], exec
	ds_write_b32 v10, v37
	s_or_b64 exec, exec, s[0:1]
	s_and_b64 exec, exec, s[36:37]
	s_cbranch_execnz .LBB746_131
	s_branch .LBB746_132
.LBB746_209:
	v_sub_u32_e32 v86, v66, v32
	v_mov_b32_e32 v87, 0
	v_lshl_add_u64 v[86:87], v[86:87], 3, v[70:71]
	global_store_dwordx2 v[86:87], v[26:27], off
	s_or_b64 exec, exec, s[38:39]
	s_and_saveexec_b64 s[38:39], s[28:29]
	s_cbranch_execz .LBB746_143
.LBB746_210:
	v_sub_u32_e32 v86, v64, v32
	v_mov_b32_e32 v87, 0
	v_lshl_add_u64 v[86:87], v[86:87], 3, v[70:71]
	global_store_dwordx2 v[86:87], v[28:29], off
	s_or_b64 exec, exec, s[38:39]
	s_and_saveexec_b64 s[38:39], s[26:27]
	s_cbranch_execz .LBB746_144
.LBB746_211:
	v_sub_u32_e32 v86, v62, v32
	v_mov_b32_e32 v87, 0
	v_lshl_add_u64 v[86:87], v[86:87], 3, v[70:71]
	global_store_dwordx2 v[86:87], v[22:23], off
	s_or_b64 exec, exec, s[38:39]
	s_and_saveexec_b64 s[38:39], s[24:25]
	s_cbranch_execz .LBB746_145
.LBB746_212:
	v_sub_u32_e32 v86, v60, v32
	v_mov_b32_e32 v87, 0
	v_lshl_add_u64 v[86:87], v[86:87], 3, v[70:71]
	global_store_dwordx2 v[86:87], v[24:25], off
	s_or_b64 exec, exec, s[38:39]
	s_and_saveexec_b64 s[38:39], s[22:23]
	s_cbranch_execz .LBB746_146
.LBB746_213:
	v_sub_u32_e32 v86, v58, v32
	v_mov_b32_e32 v87, 0
	v_lshl_add_u64 v[86:87], v[86:87], 3, v[70:71]
	global_store_dwordx2 v[86:87], v[18:19], off
	s_or_b64 exec, exec, s[38:39]
	s_and_saveexec_b64 s[38:39], s[20:21]
	s_cbranch_execz .LBB746_147
.LBB746_214:
	v_sub_u32_e32 v86, v56, v32
	v_mov_b32_e32 v87, 0
	v_lshl_add_u64 v[86:87], v[86:87], 3, v[70:71]
	global_store_dwordx2 v[86:87], v[20:21], off
	s_or_b64 exec, exec, s[38:39]
	s_and_saveexec_b64 s[38:39], s[18:19]
	s_cbranch_execz .LBB746_148
.LBB746_215:
	v_sub_u32_e32 v86, v54, v32
	v_mov_b32_e32 v87, 0
	v_lshl_add_u64 v[86:87], v[86:87], 3, v[70:71]
	global_store_dwordx2 v[86:87], v[14:15], off
	s_or_b64 exec, exec, s[38:39]
	s_and_saveexec_b64 s[38:39], s[16:17]
	s_cbranch_execz .LBB746_149
.LBB746_216:
	v_sub_u32_e32 v86, v52, v32
	v_mov_b32_e32 v87, 0
	v_lshl_add_u64 v[86:87], v[86:87], 3, v[70:71]
	global_store_dwordx2 v[86:87], v[16:17], off
	s_or_b64 exec, exec, s[38:39]
	s_and_saveexec_b64 s[38:39], s[14:15]
	s_cbranch_execz .LBB746_150
.LBB746_217:
	v_sub_u32_e32 v86, v50, v32
	v_mov_b32_e32 v87, 0
	v_lshl_add_u64 v[86:87], v[86:87], 3, v[70:71]
	global_store_dwordx2 v[86:87], v[10:11], off
	s_or_b64 exec, exec, s[38:39]
	s_and_saveexec_b64 s[38:39], s[12:13]
	s_cbranch_execz .LBB746_151
.LBB746_218:
	v_sub_u32_e32 v86, v48, v32
	v_mov_b32_e32 v87, 0
	v_lshl_add_u64 v[86:87], v[86:87], 3, v[70:71]
	global_store_dwordx2 v[86:87], v[12:13], off
	s_or_b64 exec, exec, s[38:39]
	s_and_saveexec_b64 s[38:39], s[10:11]
	s_cbranch_execz .LBB746_152
.LBB746_219:
	v_sub_u32_e32 v86, v44, v32
	v_mov_b32_e32 v87, 0
	v_lshl_add_u64 v[86:87], v[86:87], 3, v[70:71]
	global_store_dwordx2 v[86:87], v[2:3], off
	s_or_b64 exec, exec, s[38:39]
	s_and_saveexec_b64 s[38:39], s[8:9]
	s_cbranch_execz .LBB746_153
.LBB746_220:
	v_sub_u32_e32 v86, v42, v32
	v_mov_b32_e32 v87, 0
	v_lshl_add_u64 v[86:87], v[86:87], 3, v[70:71]
	global_store_dwordx2 v[86:87], v[4:5], off
	s_or_b64 exec, exec, s[38:39]
	s_and_saveexec_b64 s[38:39], s[6:7]
	s_cbranch_execz .LBB746_154
.LBB746_221:
	v_sub_u32_e32 v86, v40, v32
	v_mov_b32_e32 v87, 0
	v_lshl_add_u64 v[86:87], v[86:87], 3, v[70:71]
	global_store_dwordx2 v[86:87], v[6:7], off
	s_or_b64 exec, exec, s[38:39]
	s_and_saveexec_b64 s[38:39], s[4:5]
	s_cbranch_execnz .LBB746_155
	s_branch .LBB746_156
.LBB746_222:
	v_sub_u32_e32 v31, v66, v32
	v_lshlrev_b32_e32 v31, 3, v31
	ds_write_b64 v31, v[26:27]
	s_or_b64 exec, exec, s[38:39]
	s_and_saveexec_b64 s[30:31], s[28:29]
	s_cbranch_execz .LBB746_160
.LBB746_223:
	v_sub_u32_e32 v26, v64, v32
	v_lshlrev_b32_e32 v26, 3, v26
	ds_write_b64 v26, v[28:29]
	s_or_b64 exec, exec, s[30:31]
	s_and_saveexec_b64 s[28:29], s[26:27]
	s_cbranch_execz .LBB746_161
.LBB746_224:
	v_sub_u32_e32 v26, v62, v32
	v_lshlrev_b32_e32 v26, 3, v26
	ds_write_b64 v26, v[22:23]
	s_or_b64 exec, exec, s[28:29]
	s_and_saveexec_b64 s[26:27], s[24:25]
	s_cbranch_execz .LBB746_162
.LBB746_225:
	v_sub_u32_e32 v22, v60, v32
	v_lshlrev_b32_e32 v22, 3, v22
	ds_write_b64 v22, v[24:25]
	s_or_b64 exec, exec, s[26:27]
	s_and_saveexec_b64 s[24:25], s[22:23]
	s_cbranch_execz .LBB746_163
.LBB746_226:
	v_sub_u32_e32 v22, v58, v32
	v_lshlrev_b32_e32 v22, 3, v22
	ds_write_b64 v22, v[18:19]
	s_or_b64 exec, exec, s[24:25]
	s_and_saveexec_b64 s[22:23], s[20:21]
	s_cbranch_execz .LBB746_164
.LBB746_227:
	v_sub_u32_e32 v18, v56, v32
	v_lshlrev_b32_e32 v18, 3, v18
	ds_write_b64 v18, v[20:21]
	s_or_b64 exec, exec, s[22:23]
	s_and_saveexec_b64 s[20:21], s[18:19]
	s_cbranch_execz .LBB746_165
.LBB746_228:
	v_sub_u32_e32 v18, v54, v32
	v_lshlrev_b32_e32 v18, 3, v18
	ds_write_b64 v18, v[14:15]
	s_or_b64 exec, exec, s[20:21]
	s_and_saveexec_b64 s[18:19], s[16:17]
	s_cbranch_execz .LBB746_166
.LBB746_229:
	v_sub_u32_e32 v14, v52, v32
	v_lshlrev_b32_e32 v14, 3, v14
	ds_write_b64 v14, v[16:17]
	s_or_b64 exec, exec, s[18:19]
	s_and_saveexec_b64 s[16:17], s[14:15]
	s_cbranch_execz .LBB746_167
.LBB746_230:
	v_sub_u32_e32 v14, v50, v32
	v_lshlrev_b32_e32 v14, 3, v14
	ds_write_b64 v14, v[10:11]
	s_or_b64 exec, exec, s[16:17]
	s_and_saveexec_b64 s[14:15], s[12:13]
	s_cbranch_execz .LBB746_168
.LBB746_231:
	v_sub_u32_e32 v10, v48, v32
	v_lshlrev_b32_e32 v10, 3, v10
	ds_write_b64 v10, v[12:13]
	s_or_b64 exec, exec, s[14:15]
	s_and_saveexec_b64 s[12:13], s[10:11]
	s_cbranch_execz .LBB746_169
.LBB746_232:
	v_sub_u32_e32 v10, v44, v32
	v_lshlrev_b32_e32 v10, 3, v10
	ds_write_b64 v10, v[2:3]
	s_or_b64 exec, exec, s[12:13]
	s_and_saveexec_b64 s[10:11], s[8:9]
	s_cbranch_execz .LBB746_170
.LBB746_233:
	v_sub_u32_e32 v2, v42, v32
	v_lshlrev_b32_e32 v2, 3, v2
	ds_write_b64 v2, v[4:5]
	s_or_b64 exec, exec, s[10:11]
	s_and_saveexec_b64 s[8:9], s[6:7]
	s_cbranch_execz .LBB746_171
.LBB746_234:
	v_sub_u32_e32 v2, v40, v32
	v_lshlrev_b32_e32 v2, 3, v2
	ds_write_b64 v2, v[6:7]
	s_or_b64 exec, exec, s[8:9]
	s_and_saveexec_b64 s[6:7], s[4:5]
	s_cbranch_execnz .LBB746_172
	s_branch .LBB746_173
.LBB746_235:
	v_sub_u32_e32 v14, v66, v1
	v_mov_b32_e32 v15, 0
	v_lshl_add_u64 v[16:17], v[14:15], 3, v[10:11]
	v_mov_b32_e32 v14, v67
	global_store_dwordx2 v[16:17], v[14:15], off
	s_or_b64 exec, exec, s[36:37]
	s_and_saveexec_b64 s[36:37], s[26:27]
	s_cbranch_execz .LBB746_177
.LBB746_236:
	v_sub_u32_e32 v14, v64, v1
	v_mov_b32_e32 v15, 0
	v_lshl_add_u64 v[16:17], v[14:15], 3, v[10:11]
	v_mov_b32_e32 v14, v65
	global_store_dwordx2 v[16:17], v[14:15], off
	s_or_b64 exec, exec, s[36:37]
	s_and_saveexec_b64 s[36:37], s[24:25]
	s_cbranch_execz .LBB746_178
.LBB746_237:
	v_sub_u32_e32 v14, v62, v1
	v_mov_b32_e32 v15, 0
	v_lshl_add_u64 v[16:17], v[14:15], 3, v[10:11]
	v_mov_b32_e32 v14, v63
	global_store_dwordx2 v[16:17], v[14:15], off
	s_or_b64 exec, exec, s[36:37]
	s_and_saveexec_b64 s[36:37], s[22:23]
	s_cbranch_execz .LBB746_179
.LBB746_238:
	v_sub_u32_e32 v14, v60, v1
	v_mov_b32_e32 v15, 0
	v_lshl_add_u64 v[16:17], v[14:15], 3, v[10:11]
	v_mov_b32_e32 v14, v61
	global_store_dwordx2 v[16:17], v[14:15], off
	s_or_b64 exec, exec, s[36:37]
	s_and_saveexec_b64 s[36:37], s[20:21]
	s_cbranch_execz .LBB746_180
.LBB746_239:
	v_sub_u32_e32 v14, v58, v1
	v_mov_b32_e32 v15, 0
	v_lshl_add_u64 v[16:17], v[14:15], 3, v[10:11]
	v_mov_b32_e32 v14, v59
	global_store_dwordx2 v[16:17], v[14:15], off
	s_or_b64 exec, exec, s[36:37]
	s_and_saveexec_b64 s[36:37], s[18:19]
	s_cbranch_execz .LBB746_181
.LBB746_240:
	v_sub_u32_e32 v14, v56, v1
	v_mov_b32_e32 v15, 0
	v_lshl_add_u64 v[16:17], v[14:15], 3, v[10:11]
	v_mov_b32_e32 v14, v57
	global_store_dwordx2 v[16:17], v[14:15], off
	s_or_b64 exec, exec, s[36:37]
	s_and_saveexec_b64 s[36:37], s[16:17]
	s_cbranch_execz .LBB746_182
.LBB746_241:
	v_sub_u32_e32 v14, v54, v1
	v_mov_b32_e32 v15, 0
	v_lshl_add_u64 v[16:17], v[14:15], 3, v[10:11]
	v_mov_b32_e32 v14, v55
	global_store_dwordx2 v[16:17], v[14:15], off
	s_or_b64 exec, exec, s[36:37]
	s_and_saveexec_b64 s[36:37], s[14:15]
	s_cbranch_execz .LBB746_183
.LBB746_242:
	v_sub_u32_e32 v14, v52, v1
	v_mov_b32_e32 v15, 0
	v_lshl_add_u64 v[16:17], v[14:15], 3, v[10:11]
	v_mov_b32_e32 v14, v53
	global_store_dwordx2 v[16:17], v[14:15], off
	s_or_b64 exec, exec, s[36:37]
	s_and_saveexec_b64 s[36:37], s[12:13]
	s_cbranch_execz .LBB746_184
.LBB746_243:
	v_sub_u32_e32 v14, v50, v1
	v_mov_b32_e32 v15, 0
	v_lshl_add_u64 v[16:17], v[14:15], 3, v[10:11]
	v_mov_b32_e32 v14, v51
	global_store_dwordx2 v[16:17], v[14:15], off
	s_or_b64 exec, exec, s[36:37]
	s_and_saveexec_b64 s[36:37], s[10:11]
	s_cbranch_execz .LBB746_185
.LBB746_244:
	v_sub_u32_e32 v14, v48, v1
	v_mov_b32_e32 v15, 0
	v_lshl_add_u64 v[16:17], v[14:15], 3, v[10:11]
	v_mov_b32_e32 v14, v49
	global_store_dwordx2 v[16:17], v[14:15], off
	s_or_b64 exec, exec, s[36:37]
	s_and_saveexec_b64 s[36:37], s[8:9]
	s_cbranch_execz .LBB746_186
.LBB746_245:
	v_sub_u32_e32 v14, v44, v1
	v_mov_b32_e32 v15, 0
	v_lshl_add_u64 v[16:17], v[14:15], 3, v[10:11]
	v_mov_b32_e32 v14, v45
	global_store_dwordx2 v[16:17], v[14:15], off
	s_or_b64 exec, exec, s[36:37]
	s_and_saveexec_b64 s[36:37], s[6:7]
	s_cbranch_execz .LBB746_187
.LBB746_246:
	v_sub_u32_e32 v14, v42, v1
	v_mov_b32_e32 v15, 0
	v_lshl_add_u64 v[16:17], v[14:15], 3, v[10:11]
	v_mov_b32_e32 v14, v43
	global_store_dwordx2 v[16:17], v[14:15], off
	s_or_b64 exec, exec, s[36:37]
	s_and_saveexec_b64 s[36:37], s[4:5]
	s_cbranch_execz .LBB746_188
.LBB746_247:
	v_sub_u32_e32 v14, v40, v1
	v_mov_b32_e32 v15, 0
	v_lshl_add_u64 v[16:17], v[14:15], 3, v[10:11]
	v_mov_b32_e32 v14, v41
	global_store_dwordx2 v[16:17], v[14:15], off
	s_or_b64 exec, exec, s[36:37]
	s_and_saveexec_b64 s[36:37], s[2:3]
	s_cbranch_execnz .LBB746_189
	s_branch .LBB746_190
.LBB746_248:
	v_sub_u32_e32 v10, v66, v1
	v_lshlrev_b32_e32 v10, 2, v10
	ds_write_b32 v10, v67
	s_or_b64 exec, exec, s[36:37]
	s_and_saveexec_b64 s[28:29], s[26:27]
	s_cbranch_execz .LBB746_194
.LBB746_249:
	v_sub_u32_e32 v10, v64, v1
	v_lshlrev_b32_e32 v10, 2, v10
	ds_write_b32 v10, v65
	s_or_b64 exec, exec, s[28:29]
	s_and_saveexec_b64 s[26:27], s[24:25]
	s_cbranch_execz .LBB746_195
.LBB746_250:
	v_sub_u32_e32 v10, v62, v1
	v_lshlrev_b32_e32 v10, 2, v10
	ds_write_b32 v10, v63
	s_or_b64 exec, exec, s[26:27]
	s_and_saveexec_b64 s[24:25], s[22:23]
	s_cbranch_execz .LBB746_196
.LBB746_251:
	v_sub_u32_e32 v10, v60, v1
	v_lshlrev_b32_e32 v10, 2, v10
	ds_write_b32 v10, v61
	s_or_b64 exec, exec, s[24:25]
	s_and_saveexec_b64 s[22:23], s[20:21]
	s_cbranch_execz .LBB746_197
.LBB746_252:
	v_sub_u32_e32 v10, v58, v1
	v_lshlrev_b32_e32 v10, 2, v10
	ds_write_b32 v10, v59
	s_or_b64 exec, exec, s[22:23]
	s_and_saveexec_b64 s[20:21], s[18:19]
	s_cbranch_execz .LBB746_198
.LBB746_253:
	v_sub_u32_e32 v10, v56, v1
	v_lshlrev_b32_e32 v10, 2, v10
	ds_write_b32 v10, v57
	s_or_b64 exec, exec, s[20:21]
	s_and_saveexec_b64 s[18:19], s[16:17]
	s_cbranch_execz .LBB746_199
.LBB746_254:
	v_sub_u32_e32 v10, v54, v1
	v_lshlrev_b32_e32 v10, 2, v10
	ds_write_b32 v10, v55
	s_or_b64 exec, exec, s[18:19]
	s_and_saveexec_b64 s[16:17], s[14:15]
	s_cbranch_execz .LBB746_200
.LBB746_255:
	v_sub_u32_e32 v10, v52, v1
	v_lshlrev_b32_e32 v10, 2, v10
	ds_write_b32 v10, v53
	s_or_b64 exec, exec, s[16:17]
	s_and_saveexec_b64 s[14:15], s[12:13]
	s_cbranch_execz .LBB746_201
.LBB746_256:
	v_sub_u32_e32 v10, v50, v1
	v_lshlrev_b32_e32 v10, 2, v10
	ds_write_b32 v10, v51
	s_or_b64 exec, exec, s[14:15]
	s_and_saveexec_b64 s[12:13], s[10:11]
	s_cbranch_execz .LBB746_202
.LBB746_257:
	v_sub_u32_e32 v10, v48, v1
	v_lshlrev_b32_e32 v10, 2, v10
	ds_write_b32 v10, v49
	s_or_b64 exec, exec, s[12:13]
	s_and_saveexec_b64 s[10:11], s[8:9]
	s_cbranch_execz .LBB746_203
.LBB746_258:
	v_sub_u32_e32 v10, v44, v1
	v_lshlrev_b32_e32 v10, 2, v10
	ds_write_b32 v10, v45
	s_or_b64 exec, exec, s[10:11]
	s_and_saveexec_b64 s[8:9], s[6:7]
	s_cbranch_execz .LBB746_204
.LBB746_259:
	v_sub_u32_e32 v10, v42, v1
	v_lshlrev_b32_e32 v10, 2, v10
	ds_write_b32 v10, v43
	s_or_b64 exec, exec, s[8:9]
	s_and_saveexec_b64 s[6:7], s[4:5]
	s_cbranch_execz .LBB746_205
.LBB746_260:
	v_sub_u32_e32 v10, v40, v1
	v_lshlrev_b32_e32 v10, 2, v10
	ds_write_b32 v10, v41
	s_or_b64 exec, exec, s[6:7]
	s_and_saveexec_b64 s[4:5], s[2:3]
	s_cbranch_execnz .LBB746_206
	s_branch .LBB746_207
	.section	.rodata,"a",@progbits
	.p2align	6, 0x0
	.amdhsa_kernel _ZN7rocprim17ROCPRIM_400000_NS6detail17trampoline_kernelINS0_14default_configENS1_33run_length_encode_config_selectorImjNS0_4plusIjEEEEZZNS1_33reduce_by_key_impl_wrapped_configILNS1_25lookback_scan_determinismE0ES3_S7_PKmNS0_17constant_iteratorIjlEEPmPlSF_S6_NS0_8equal_toImEEEE10hipError_tPvRmT2_T3_mT4_T5_T6_T7_T8_P12ihipStream_tbENKUlT_T0_E_clISt17integral_constantIbLb0EESY_IbLb1EEEEDaSU_SV_EUlSU_E_NS1_11comp_targetILNS1_3genE5ELNS1_11target_archE942ELNS1_3gpuE9ELNS1_3repE0EEENS1_30default_config_static_selectorELNS0_4arch9wavefront6targetE1EEEvT1_
		.amdhsa_group_segment_fixed_size 61440
		.amdhsa_private_segment_fixed_size 0
		.amdhsa_kernarg_size 128
		.amdhsa_user_sgpr_count 2
		.amdhsa_user_sgpr_dispatch_ptr 0
		.amdhsa_user_sgpr_queue_ptr 0
		.amdhsa_user_sgpr_kernarg_segment_ptr 1
		.amdhsa_user_sgpr_dispatch_id 0
		.amdhsa_user_sgpr_kernarg_preload_length 0
		.amdhsa_user_sgpr_kernarg_preload_offset 0
		.amdhsa_user_sgpr_private_segment_size 0
		.amdhsa_uses_dynamic_stack 0
		.amdhsa_enable_private_segment 0
		.amdhsa_system_sgpr_workgroup_id_x 1
		.amdhsa_system_sgpr_workgroup_id_y 0
		.amdhsa_system_sgpr_workgroup_id_z 0
		.amdhsa_system_sgpr_workgroup_info 0
		.amdhsa_system_vgpr_workitem_id 0
		.amdhsa_next_free_vgpr 90
		.amdhsa_next_free_sgpr 66
		.amdhsa_accum_offset 92
		.amdhsa_reserve_vcc 1
		.amdhsa_float_round_mode_32 0
		.amdhsa_float_round_mode_16_64 0
		.amdhsa_float_denorm_mode_32 3
		.amdhsa_float_denorm_mode_16_64 3
		.amdhsa_dx10_clamp 1
		.amdhsa_ieee_mode 1
		.amdhsa_fp16_overflow 0
		.amdhsa_tg_split 0
		.amdhsa_exception_fp_ieee_invalid_op 0
		.amdhsa_exception_fp_denorm_src 0
		.amdhsa_exception_fp_ieee_div_zero 0
		.amdhsa_exception_fp_ieee_overflow 0
		.amdhsa_exception_fp_ieee_underflow 0
		.amdhsa_exception_fp_ieee_inexact 0
		.amdhsa_exception_int_div_zero 0
	.end_amdhsa_kernel
	.section	.text._ZN7rocprim17ROCPRIM_400000_NS6detail17trampoline_kernelINS0_14default_configENS1_33run_length_encode_config_selectorImjNS0_4plusIjEEEEZZNS1_33reduce_by_key_impl_wrapped_configILNS1_25lookback_scan_determinismE0ES3_S7_PKmNS0_17constant_iteratorIjlEEPmPlSF_S6_NS0_8equal_toImEEEE10hipError_tPvRmT2_T3_mT4_T5_T6_T7_T8_P12ihipStream_tbENKUlT_T0_E_clISt17integral_constantIbLb0EESY_IbLb1EEEEDaSU_SV_EUlSU_E_NS1_11comp_targetILNS1_3genE5ELNS1_11target_archE942ELNS1_3gpuE9ELNS1_3repE0EEENS1_30default_config_static_selectorELNS0_4arch9wavefront6targetE1EEEvT1_,"axG",@progbits,_ZN7rocprim17ROCPRIM_400000_NS6detail17trampoline_kernelINS0_14default_configENS1_33run_length_encode_config_selectorImjNS0_4plusIjEEEEZZNS1_33reduce_by_key_impl_wrapped_configILNS1_25lookback_scan_determinismE0ES3_S7_PKmNS0_17constant_iteratorIjlEEPmPlSF_S6_NS0_8equal_toImEEEE10hipError_tPvRmT2_T3_mT4_T5_T6_T7_T8_P12ihipStream_tbENKUlT_T0_E_clISt17integral_constantIbLb0EESY_IbLb1EEEEDaSU_SV_EUlSU_E_NS1_11comp_targetILNS1_3genE5ELNS1_11target_archE942ELNS1_3gpuE9ELNS1_3repE0EEENS1_30default_config_static_selectorELNS0_4arch9wavefront6targetE1EEEvT1_,comdat
.Lfunc_end746:
	.size	_ZN7rocprim17ROCPRIM_400000_NS6detail17trampoline_kernelINS0_14default_configENS1_33run_length_encode_config_selectorImjNS0_4plusIjEEEEZZNS1_33reduce_by_key_impl_wrapped_configILNS1_25lookback_scan_determinismE0ES3_S7_PKmNS0_17constant_iteratorIjlEEPmPlSF_S6_NS0_8equal_toImEEEE10hipError_tPvRmT2_T3_mT4_T5_T6_T7_T8_P12ihipStream_tbENKUlT_T0_E_clISt17integral_constantIbLb0EESY_IbLb1EEEEDaSU_SV_EUlSU_E_NS1_11comp_targetILNS1_3genE5ELNS1_11target_archE942ELNS1_3gpuE9ELNS1_3repE0EEENS1_30default_config_static_selectorELNS0_4arch9wavefront6targetE1EEEvT1_, .Lfunc_end746-_ZN7rocprim17ROCPRIM_400000_NS6detail17trampoline_kernelINS0_14default_configENS1_33run_length_encode_config_selectorImjNS0_4plusIjEEEEZZNS1_33reduce_by_key_impl_wrapped_configILNS1_25lookback_scan_determinismE0ES3_S7_PKmNS0_17constant_iteratorIjlEEPmPlSF_S6_NS0_8equal_toImEEEE10hipError_tPvRmT2_T3_mT4_T5_T6_T7_T8_P12ihipStream_tbENKUlT_T0_E_clISt17integral_constantIbLb0EESY_IbLb1EEEEDaSU_SV_EUlSU_E_NS1_11comp_targetILNS1_3genE5ELNS1_11target_archE942ELNS1_3gpuE9ELNS1_3repE0EEENS1_30default_config_static_selectorELNS0_4arch9wavefront6targetE1EEEvT1_
                                        ; -- End function
	.section	.AMDGPU.csdata,"",@progbits
; Kernel info:
; codeLenInByte = 14288
; NumSgprs: 72
; NumVgprs: 90
; NumAgprs: 0
; TotalNumVgprs: 90
; ScratchSize: 0
; MemoryBound: 0
; FloatMode: 240
; IeeeMode: 1
; LDSByteSize: 61440 bytes/workgroup (compile time only)
; SGPRBlocks: 8
; VGPRBlocks: 11
; NumSGPRsForWavesPerEU: 72
; NumVGPRsForWavesPerEU: 90
; AccumOffset: 92
; Occupancy: 2
; WaveLimiterHint : 1
; COMPUTE_PGM_RSRC2:SCRATCH_EN: 0
; COMPUTE_PGM_RSRC2:USER_SGPR: 2
; COMPUTE_PGM_RSRC2:TRAP_HANDLER: 0
; COMPUTE_PGM_RSRC2:TGID_X_EN: 1
; COMPUTE_PGM_RSRC2:TGID_Y_EN: 0
; COMPUTE_PGM_RSRC2:TGID_Z_EN: 0
; COMPUTE_PGM_RSRC2:TIDIG_COMP_CNT: 0
; COMPUTE_PGM_RSRC3_GFX90A:ACCUM_OFFSET: 22
; COMPUTE_PGM_RSRC3_GFX90A:TG_SPLIT: 0
	.section	.text._ZN7rocprim17ROCPRIM_400000_NS6detail17trampoline_kernelINS0_14default_configENS1_33run_length_encode_config_selectorImjNS0_4plusIjEEEEZZNS1_33reduce_by_key_impl_wrapped_configILNS1_25lookback_scan_determinismE0ES3_S7_PKmNS0_17constant_iteratorIjlEEPmPlSF_S6_NS0_8equal_toImEEEE10hipError_tPvRmT2_T3_mT4_T5_T6_T7_T8_P12ihipStream_tbENKUlT_T0_E_clISt17integral_constantIbLb0EESY_IbLb1EEEEDaSU_SV_EUlSU_E_NS1_11comp_targetILNS1_3genE4ELNS1_11target_archE910ELNS1_3gpuE8ELNS1_3repE0EEENS1_30default_config_static_selectorELNS0_4arch9wavefront6targetE1EEEvT1_,"axG",@progbits,_ZN7rocprim17ROCPRIM_400000_NS6detail17trampoline_kernelINS0_14default_configENS1_33run_length_encode_config_selectorImjNS0_4plusIjEEEEZZNS1_33reduce_by_key_impl_wrapped_configILNS1_25lookback_scan_determinismE0ES3_S7_PKmNS0_17constant_iteratorIjlEEPmPlSF_S6_NS0_8equal_toImEEEE10hipError_tPvRmT2_T3_mT4_T5_T6_T7_T8_P12ihipStream_tbENKUlT_T0_E_clISt17integral_constantIbLb0EESY_IbLb1EEEEDaSU_SV_EUlSU_E_NS1_11comp_targetILNS1_3genE4ELNS1_11target_archE910ELNS1_3gpuE8ELNS1_3repE0EEENS1_30default_config_static_selectorELNS0_4arch9wavefront6targetE1EEEvT1_,comdat
	.protected	_ZN7rocprim17ROCPRIM_400000_NS6detail17trampoline_kernelINS0_14default_configENS1_33run_length_encode_config_selectorImjNS0_4plusIjEEEEZZNS1_33reduce_by_key_impl_wrapped_configILNS1_25lookback_scan_determinismE0ES3_S7_PKmNS0_17constant_iteratorIjlEEPmPlSF_S6_NS0_8equal_toImEEEE10hipError_tPvRmT2_T3_mT4_T5_T6_T7_T8_P12ihipStream_tbENKUlT_T0_E_clISt17integral_constantIbLb0EESY_IbLb1EEEEDaSU_SV_EUlSU_E_NS1_11comp_targetILNS1_3genE4ELNS1_11target_archE910ELNS1_3gpuE8ELNS1_3repE0EEENS1_30default_config_static_selectorELNS0_4arch9wavefront6targetE1EEEvT1_ ; -- Begin function _ZN7rocprim17ROCPRIM_400000_NS6detail17trampoline_kernelINS0_14default_configENS1_33run_length_encode_config_selectorImjNS0_4plusIjEEEEZZNS1_33reduce_by_key_impl_wrapped_configILNS1_25lookback_scan_determinismE0ES3_S7_PKmNS0_17constant_iteratorIjlEEPmPlSF_S6_NS0_8equal_toImEEEE10hipError_tPvRmT2_T3_mT4_T5_T6_T7_T8_P12ihipStream_tbENKUlT_T0_E_clISt17integral_constantIbLb0EESY_IbLb1EEEEDaSU_SV_EUlSU_E_NS1_11comp_targetILNS1_3genE4ELNS1_11target_archE910ELNS1_3gpuE8ELNS1_3repE0EEENS1_30default_config_static_selectorELNS0_4arch9wavefront6targetE1EEEvT1_
	.globl	_ZN7rocprim17ROCPRIM_400000_NS6detail17trampoline_kernelINS0_14default_configENS1_33run_length_encode_config_selectorImjNS0_4plusIjEEEEZZNS1_33reduce_by_key_impl_wrapped_configILNS1_25lookback_scan_determinismE0ES3_S7_PKmNS0_17constant_iteratorIjlEEPmPlSF_S6_NS0_8equal_toImEEEE10hipError_tPvRmT2_T3_mT4_T5_T6_T7_T8_P12ihipStream_tbENKUlT_T0_E_clISt17integral_constantIbLb0EESY_IbLb1EEEEDaSU_SV_EUlSU_E_NS1_11comp_targetILNS1_3genE4ELNS1_11target_archE910ELNS1_3gpuE8ELNS1_3repE0EEENS1_30default_config_static_selectorELNS0_4arch9wavefront6targetE1EEEvT1_
	.p2align	8
	.type	_ZN7rocprim17ROCPRIM_400000_NS6detail17trampoline_kernelINS0_14default_configENS1_33run_length_encode_config_selectorImjNS0_4plusIjEEEEZZNS1_33reduce_by_key_impl_wrapped_configILNS1_25lookback_scan_determinismE0ES3_S7_PKmNS0_17constant_iteratorIjlEEPmPlSF_S6_NS0_8equal_toImEEEE10hipError_tPvRmT2_T3_mT4_T5_T6_T7_T8_P12ihipStream_tbENKUlT_T0_E_clISt17integral_constantIbLb0EESY_IbLb1EEEEDaSU_SV_EUlSU_E_NS1_11comp_targetILNS1_3genE4ELNS1_11target_archE910ELNS1_3gpuE8ELNS1_3repE0EEENS1_30default_config_static_selectorELNS0_4arch9wavefront6targetE1EEEvT1_,@function
_ZN7rocprim17ROCPRIM_400000_NS6detail17trampoline_kernelINS0_14default_configENS1_33run_length_encode_config_selectorImjNS0_4plusIjEEEEZZNS1_33reduce_by_key_impl_wrapped_configILNS1_25lookback_scan_determinismE0ES3_S7_PKmNS0_17constant_iteratorIjlEEPmPlSF_S6_NS0_8equal_toImEEEE10hipError_tPvRmT2_T3_mT4_T5_T6_T7_T8_P12ihipStream_tbENKUlT_T0_E_clISt17integral_constantIbLb0EESY_IbLb1EEEEDaSU_SV_EUlSU_E_NS1_11comp_targetILNS1_3genE4ELNS1_11target_archE910ELNS1_3gpuE8ELNS1_3repE0EEENS1_30default_config_static_selectorELNS0_4arch9wavefront6targetE1EEEvT1_: ; @_ZN7rocprim17ROCPRIM_400000_NS6detail17trampoline_kernelINS0_14default_configENS1_33run_length_encode_config_selectorImjNS0_4plusIjEEEEZZNS1_33reduce_by_key_impl_wrapped_configILNS1_25lookback_scan_determinismE0ES3_S7_PKmNS0_17constant_iteratorIjlEEPmPlSF_S6_NS0_8equal_toImEEEE10hipError_tPvRmT2_T3_mT4_T5_T6_T7_T8_P12ihipStream_tbENKUlT_T0_E_clISt17integral_constantIbLb0EESY_IbLb1EEEEDaSU_SV_EUlSU_E_NS1_11comp_targetILNS1_3genE4ELNS1_11target_archE910ELNS1_3gpuE8ELNS1_3repE0EEENS1_30default_config_static_selectorELNS0_4arch9wavefront6targetE1EEEvT1_
; %bb.0:
	.section	.rodata,"a",@progbits
	.p2align	6, 0x0
	.amdhsa_kernel _ZN7rocprim17ROCPRIM_400000_NS6detail17trampoline_kernelINS0_14default_configENS1_33run_length_encode_config_selectorImjNS0_4plusIjEEEEZZNS1_33reduce_by_key_impl_wrapped_configILNS1_25lookback_scan_determinismE0ES3_S7_PKmNS0_17constant_iteratorIjlEEPmPlSF_S6_NS0_8equal_toImEEEE10hipError_tPvRmT2_T3_mT4_T5_T6_T7_T8_P12ihipStream_tbENKUlT_T0_E_clISt17integral_constantIbLb0EESY_IbLb1EEEEDaSU_SV_EUlSU_E_NS1_11comp_targetILNS1_3genE4ELNS1_11target_archE910ELNS1_3gpuE8ELNS1_3repE0EEENS1_30default_config_static_selectorELNS0_4arch9wavefront6targetE1EEEvT1_
		.amdhsa_group_segment_fixed_size 0
		.amdhsa_private_segment_fixed_size 0
		.amdhsa_kernarg_size 128
		.amdhsa_user_sgpr_count 2
		.amdhsa_user_sgpr_dispatch_ptr 0
		.amdhsa_user_sgpr_queue_ptr 0
		.amdhsa_user_sgpr_kernarg_segment_ptr 1
		.amdhsa_user_sgpr_dispatch_id 0
		.amdhsa_user_sgpr_kernarg_preload_length 0
		.amdhsa_user_sgpr_kernarg_preload_offset 0
		.amdhsa_user_sgpr_private_segment_size 0
		.amdhsa_uses_dynamic_stack 0
		.amdhsa_enable_private_segment 0
		.amdhsa_system_sgpr_workgroup_id_x 1
		.amdhsa_system_sgpr_workgroup_id_y 0
		.amdhsa_system_sgpr_workgroup_id_z 0
		.amdhsa_system_sgpr_workgroup_info 0
		.amdhsa_system_vgpr_workitem_id 0
		.amdhsa_next_free_vgpr 1
		.amdhsa_next_free_sgpr 0
		.amdhsa_accum_offset 4
		.amdhsa_reserve_vcc 0
		.amdhsa_float_round_mode_32 0
		.amdhsa_float_round_mode_16_64 0
		.amdhsa_float_denorm_mode_32 3
		.amdhsa_float_denorm_mode_16_64 3
		.amdhsa_dx10_clamp 1
		.amdhsa_ieee_mode 1
		.amdhsa_fp16_overflow 0
		.amdhsa_tg_split 0
		.amdhsa_exception_fp_ieee_invalid_op 0
		.amdhsa_exception_fp_denorm_src 0
		.amdhsa_exception_fp_ieee_div_zero 0
		.amdhsa_exception_fp_ieee_overflow 0
		.amdhsa_exception_fp_ieee_underflow 0
		.amdhsa_exception_fp_ieee_inexact 0
		.amdhsa_exception_int_div_zero 0
	.end_amdhsa_kernel
	.section	.text._ZN7rocprim17ROCPRIM_400000_NS6detail17trampoline_kernelINS0_14default_configENS1_33run_length_encode_config_selectorImjNS0_4plusIjEEEEZZNS1_33reduce_by_key_impl_wrapped_configILNS1_25lookback_scan_determinismE0ES3_S7_PKmNS0_17constant_iteratorIjlEEPmPlSF_S6_NS0_8equal_toImEEEE10hipError_tPvRmT2_T3_mT4_T5_T6_T7_T8_P12ihipStream_tbENKUlT_T0_E_clISt17integral_constantIbLb0EESY_IbLb1EEEEDaSU_SV_EUlSU_E_NS1_11comp_targetILNS1_3genE4ELNS1_11target_archE910ELNS1_3gpuE8ELNS1_3repE0EEENS1_30default_config_static_selectorELNS0_4arch9wavefront6targetE1EEEvT1_,"axG",@progbits,_ZN7rocprim17ROCPRIM_400000_NS6detail17trampoline_kernelINS0_14default_configENS1_33run_length_encode_config_selectorImjNS0_4plusIjEEEEZZNS1_33reduce_by_key_impl_wrapped_configILNS1_25lookback_scan_determinismE0ES3_S7_PKmNS0_17constant_iteratorIjlEEPmPlSF_S6_NS0_8equal_toImEEEE10hipError_tPvRmT2_T3_mT4_T5_T6_T7_T8_P12ihipStream_tbENKUlT_T0_E_clISt17integral_constantIbLb0EESY_IbLb1EEEEDaSU_SV_EUlSU_E_NS1_11comp_targetILNS1_3genE4ELNS1_11target_archE910ELNS1_3gpuE8ELNS1_3repE0EEENS1_30default_config_static_selectorELNS0_4arch9wavefront6targetE1EEEvT1_,comdat
.Lfunc_end747:
	.size	_ZN7rocprim17ROCPRIM_400000_NS6detail17trampoline_kernelINS0_14default_configENS1_33run_length_encode_config_selectorImjNS0_4plusIjEEEEZZNS1_33reduce_by_key_impl_wrapped_configILNS1_25lookback_scan_determinismE0ES3_S7_PKmNS0_17constant_iteratorIjlEEPmPlSF_S6_NS0_8equal_toImEEEE10hipError_tPvRmT2_T3_mT4_T5_T6_T7_T8_P12ihipStream_tbENKUlT_T0_E_clISt17integral_constantIbLb0EESY_IbLb1EEEEDaSU_SV_EUlSU_E_NS1_11comp_targetILNS1_3genE4ELNS1_11target_archE910ELNS1_3gpuE8ELNS1_3repE0EEENS1_30default_config_static_selectorELNS0_4arch9wavefront6targetE1EEEvT1_, .Lfunc_end747-_ZN7rocprim17ROCPRIM_400000_NS6detail17trampoline_kernelINS0_14default_configENS1_33run_length_encode_config_selectorImjNS0_4plusIjEEEEZZNS1_33reduce_by_key_impl_wrapped_configILNS1_25lookback_scan_determinismE0ES3_S7_PKmNS0_17constant_iteratorIjlEEPmPlSF_S6_NS0_8equal_toImEEEE10hipError_tPvRmT2_T3_mT4_T5_T6_T7_T8_P12ihipStream_tbENKUlT_T0_E_clISt17integral_constantIbLb0EESY_IbLb1EEEEDaSU_SV_EUlSU_E_NS1_11comp_targetILNS1_3genE4ELNS1_11target_archE910ELNS1_3gpuE8ELNS1_3repE0EEENS1_30default_config_static_selectorELNS0_4arch9wavefront6targetE1EEEvT1_
                                        ; -- End function
	.section	.AMDGPU.csdata,"",@progbits
; Kernel info:
; codeLenInByte = 0
; NumSgprs: 6
; NumVgprs: 0
; NumAgprs: 0
; TotalNumVgprs: 0
; ScratchSize: 0
; MemoryBound: 0
; FloatMode: 240
; IeeeMode: 1
; LDSByteSize: 0 bytes/workgroup (compile time only)
; SGPRBlocks: 0
; VGPRBlocks: 0
; NumSGPRsForWavesPerEU: 6
; NumVGPRsForWavesPerEU: 1
; AccumOffset: 4
; Occupancy: 8
; WaveLimiterHint : 0
; COMPUTE_PGM_RSRC2:SCRATCH_EN: 0
; COMPUTE_PGM_RSRC2:USER_SGPR: 2
; COMPUTE_PGM_RSRC2:TRAP_HANDLER: 0
; COMPUTE_PGM_RSRC2:TGID_X_EN: 1
; COMPUTE_PGM_RSRC2:TGID_Y_EN: 0
; COMPUTE_PGM_RSRC2:TGID_Z_EN: 0
; COMPUTE_PGM_RSRC2:TIDIG_COMP_CNT: 0
; COMPUTE_PGM_RSRC3_GFX90A:ACCUM_OFFSET: 0
; COMPUTE_PGM_RSRC3_GFX90A:TG_SPLIT: 0
	.section	.text._ZN7rocprim17ROCPRIM_400000_NS6detail17trampoline_kernelINS0_14default_configENS1_33run_length_encode_config_selectorImjNS0_4plusIjEEEEZZNS1_33reduce_by_key_impl_wrapped_configILNS1_25lookback_scan_determinismE0ES3_S7_PKmNS0_17constant_iteratorIjlEEPmPlSF_S6_NS0_8equal_toImEEEE10hipError_tPvRmT2_T3_mT4_T5_T6_T7_T8_P12ihipStream_tbENKUlT_T0_E_clISt17integral_constantIbLb0EESY_IbLb1EEEEDaSU_SV_EUlSU_E_NS1_11comp_targetILNS1_3genE3ELNS1_11target_archE908ELNS1_3gpuE7ELNS1_3repE0EEENS1_30default_config_static_selectorELNS0_4arch9wavefront6targetE1EEEvT1_,"axG",@progbits,_ZN7rocprim17ROCPRIM_400000_NS6detail17trampoline_kernelINS0_14default_configENS1_33run_length_encode_config_selectorImjNS0_4plusIjEEEEZZNS1_33reduce_by_key_impl_wrapped_configILNS1_25lookback_scan_determinismE0ES3_S7_PKmNS0_17constant_iteratorIjlEEPmPlSF_S6_NS0_8equal_toImEEEE10hipError_tPvRmT2_T3_mT4_T5_T6_T7_T8_P12ihipStream_tbENKUlT_T0_E_clISt17integral_constantIbLb0EESY_IbLb1EEEEDaSU_SV_EUlSU_E_NS1_11comp_targetILNS1_3genE3ELNS1_11target_archE908ELNS1_3gpuE7ELNS1_3repE0EEENS1_30default_config_static_selectorELNS0_4arch9wavefront6targetE1EEEvT1_,comdat
	.protected	_ZN7rocprim17ROCPRIM_400000_NS6detail17trampoline_kernelINS0_14default_configENS1_33run_length_encode_config_selectorImjNS0_4plusIjEEEEZZNS1_33reduce_by_key_impl_wrapped_configILNS1_25lookback_scan_determinismE0ES3_S7_PKmNS0_17constant_iteratorIjlEEPmPlSF_S6_NS0_8equal_toImEEEE10hipError_tPvRmT2_T3_mT4_T5_T6_T7_T8_P12ihipStream_tbENKUlT_T0_E_clISt17integral_constantIbLb0EESY_IbLb1EEEEDaSU_SV_EUlSU_E_NS1_11comp_targetILNS1_3genE3ELNS1_11target_archE908ELNS1_3gpuE7ELNS1_3repE0EEENS1_30default_config_static_selectorELNS0_4arch9wavefront6targetE1EEEvT1_ ; -- Begin function _ZN7rocprim17ROCPRIM_400000_NS6detail17trampoline_kernelINS0_14default_configENS1_33run_length_encode_config_selectorImjNS0_4plusIjEEEEZZNS1_33reduce_by_key_impl_wrapped_configILNS1_25lookback_scan_determinismE0ES3_S7_PKmNS0_17constant_iteratorIjlEEPmPlSF_S6_NS0_8equal_toImEEEE10hipError_tPvRmT2_T3_mT4_T5_T6_T7_T8_P12ihipStream_tbENKUlT_T0_E_clISt17integral_constantIbLb0EESY_IbLb1EEEEDaSU_SV_EUlSU_E_NS1_11comp_targetILNS1_3genE3ELNS1_11target_archE908ELNS1_3gpuE7ELNS1_3repE0EEENS1_30default_config_static_selectorELNS0_4arch9wavefront6targetE1EEEvT1_
	.globl	_ZN7rocprim17ROCPRIM_400000_NS6detail17trampoline_kernelINS0_14default_configENS1_33run_length_encode_config_selectorImjNS0_4plusIjEEEEZZNS1_33reduce_by_key_impl_wrapped_configILNS1_25lookback_scan_determinismE0ES3_S7_PKmNS0_17constant_iteratorIjlEEPmPlSF_S6_NS0_8equal_toImEEEE10hipError_tPvRmT2_T3_mT4_T5_T6_T7_T8_P12ihipStream_tbENKUlT_T0_E_clISt17integral_constantIbLb0EESY_IbLb1EEEEDaSU_SV_EUlSU_E_NS1_11comp_targetILNS1_3genE3ELNS1_11target_archE908ELNS1_3gpuE7ELNS1_3repE0EEENS1_30default_config_static_selectorELNS0_4arch9wavefront6targetE1EEEvT1_
	.p2align	8
	.type	_ZN7rocprim17ROCPRIM_400000_NS6detail17trampoline_kernelINS0_14default_configENS1_33run_length_encode_config_selectorImjNS0_4plusIjEEEEZZNS1_33reduce_by_key_impl_wrapped_configILNS1_25lookback_scan_determinismE0ES3_S7_PKmNS0_17constant_iteratorIjlEEPmPlSF_S6_NS0_8equal_toImEEEE10hipError_tPvRmT2_T3_mT4_T5_T6_T7_T8_P12ihipStream_tbENKUlT_T0_E_clISt17integral_constantIbLb0EESY_IbLb1EEEEDaSU_SV_EUlSU_E_NS1_11comp_targetILNS1_3genE3ELNS1_11target_archE908ELNS1_3gpuE7ELNS1_3repE0EEENS1_30default_config_static_selectorELNS0_4arch9wavefront6targetE1EEEvT1_,@function
_ZN7rocprim17ROCPRIM_400000_NS6detail17trampoline_kernelINS0_14default_configENS1_33run_length_encode_config_selectorImjNS0_4plusIjEEEEZZNS1_33reduce_by_key_impl_wrapped_configILNS1_25lookback_scan_determinismE0ES3_S7_PKmNS0_17constant_iteratorIjlEEPmPlSF_S6_NS0_8equal_toImEEEE10hipError_tPvRmT2_T3_mT4_T5_T6_T7_T8_P12ihipStream_tbENKUlT_T0_E_clISt17integral_constantIbLb0EESY_IbLb1EEEEDaSU_SV_EUlSU_E_NS1_11comp_targetILNS1_3genE3ELNS1_11target_archE908ELNS1_3gpuE7ELNS1_3repE0EEENS1_30default_config_static_selectorELNS0_4arch9wavefront6targetE1EEEvT1_: ; @_ZN7rocprim17ROCPRIM_400000_NS6detail17trampoline_kernelINS0_14default_configENS1_33run_length_encode_config_selectorImjNS0_4plusIjEEEEZZNS1_33reduce_by_key_impl_wrapped_configILNS1_25lookback_scan_determinismE0ES3_S7_PKmNS0_17constant_iteratorIjlEEPmPlSF_S6_NS0_8equal_toImEEEE10hipError_tPvRmT2_T3_mT4_T5_T6_T7_T8_P12ihipStream_tbENKUlT_T0_E_clISt17integral_constantIbLb0EESY_IbLb1EEEEDaSU_SV_EUlSU_E_NS1_11comp_targetILNS1_3genE3ELNS1_11target_archE908ELNS1_3gpuE7ELNS1_3repE0EEENS1_30default_config_static_selectorELNS0_4arch9wavefront6targetE1EEEvT1_
; %bb.0:
	.section	.rodata,"a",@progbits
	.p2align	6, 0x0
	.amdhsa_kernel _ZN7rocprim17ROCPRIM_400000_NS6detail17trampoline_kernelINS0_14default_configENS1_33run_length_encode_config_selectorImjNS0_4plusIjEEEEZZNS1_33reduce_by_key_impl_wrapped_configILNS1_25lookback_scan_determinismE0ES3_S7_PKmNS0_17constant_iteratorIjlEEPmPlSF_S6_NS0_8equal_toImEEEE10hipError_tPvRmT2_T3_mT4_T5_T6_T7_T8_P12ihipStream_tbENKUlT_T0_E_clISt17integral_constantIbLb0EESY_IbLb1EEEEDaSU_SV_EUlSU_E_NS1_11comp_targetILNS1_3genE3ELNS1_11target_archE908ELNS1_3gpuE7ELNS1_3repE0EEENS1_30default_config_static_selectorELNS0_4arch9wavefront6targetE1EEEvT1_
		.amdhsa_group_segment_fixed_size 0
		.amdhsa_private_segment_fixed_size 0
		.amdhsa_kernarg_size 128
		.amdhsa_user_sgpr_count 2
		.amdhsa_user_sgpr_dispatch_ptr 0
		.amdhsa_user_sgpr_queue_ptr 0
		.amdhsa_user_sgpr_kernarg_segment_ptr 1
		.amdhsa_user_sgpr_dispatch_id 0
		.amdhsa_user_sgpr_kernarg_preload_length 0
		.amdhsa_user_sgpr_kernarg_preload_offset 0
		.amdhsa_user_sgpr_private_segment_size 0
		.amdhsa_uses_dynamic_stack 0
		.amdhsa_enable_private_segment 0
		.amdhsa_system_sgpr_workgroup_id_x 1
		.amdhsa_system_sgpr_workgroup_id_y 0
		.amdhsa_system_sgpr_workgroup_id_z 0
		.amdhsa_system_sgpr_workgroup_info 0
		.amdhsa_system_vgpr_workitem_id 0
		.amdhsa_next_free_vgpr 1
		.amdhsa_next_free_sgpr 0
		.amdhsa_accum_offset 4
		.amdhsa_reserve_vcc 0
		.amdhsa_float_round_mode_32 0
		.amdhsa_float_round_mode_16_64 0
		.amdhsa_float_denorm_mode_32 3
		.amdhsa_float_denorm_mode_16_64 3
		.amdhsa_dx10_clamp 1
		.amdhsa_ieee_mode 1
		.amdhsa_fp16_overflow 0
		.amdhsa_tg_split 0
		.amdhsa_exception_fp_ieee_invalid_op 0
		.amdhsa_exception_fp_denorm_src 0
		.amdhsa_exception_fp_ieee_div_zero 0
		.amdhsa_exception_fp_ieee_overflow 0
		.amdhsa_exception_fp_ieee_underflow 0
		.amdhsa_exception_fp_ieee_inexact 0
		.amdhsa_exception_int_div_zero 0
	.end_amdhsa_kernel
	.section	.text._ZN7rocprim17ROCPRIM_400000_NS6detail17trampoline_kernelINS0_14default_configENS1_33run_length_encode_config_selectorImjNS0_4plusIjEEEEZZNS1_33reduce_by_key_impl_wrapped_configILNS1_25lookback_scan_determinismE0ES3_S7_PKmNS0_17constant_iteratorIjlEEPmPlSF_S6_NS0_8equal_toImEEEE10hipError_tPvRmT2_T3_mT4_T5_T6_T7_T8_P12ihipStream_tbENKUlT_T0_E_clISt17integral_constantIbLb0EESY_IbLb1EEEEDaSU_SV_EUlSU_E_NS1_11comp_targetILNS1_3genE3ELNS1_11target_archE908ELNS1_3gpuE7ELNS1_3repE0EEENS1_30default_config_static_selectorELNS0_4arch9wavefront6targetE1EEEvT1_,"axG",@progbits,_ZN7rocprim17ROCPRIM_400000_NS6detail17trampoline_kernelINS0_14default_configENS1_33run_length_encode_config_selectorImjNS0_4plusIjEEEEZZNS1_33reduce_by_key_impl_wrapped_configILNS1_25lookback_scan_determinismE0ES3_S7_PKmNS0_17constant_iteratorIjlEEPmPlSF_S6_NS0_8equal_toImEEEE10hipError_tPvRmT2_T3_mT4_T5_T6_T7_T8_P12ihipStream_tbENKUlT_T0_E_clISt17integral_constantIbLb0EESY_IbLb1EEEEDaSU_SV_EUlSU_E_NS1_11comp_targetILNS1_3genE3ELNS1_11target_archE908ELNS1_3gpuE7ELNS1_3repE0EEENS1_30default_config_static_selectorELNS0_4arch9wavefront6targetE1EEEvT1_,comdat
.Lfunc_end748:
	.size	_ZN7rocprim17ROCPRIM_400000_NS6detail17trampoline_kernelINS0_14default_configENS1_33run_length_encode_config_selectorImjNS0_4plusIjEEEEZZNS1_33reduce_by_key_impl_wrapped_configILNS1_25lookback_scan_determinismE0ES3_S7_PKmNS0_17constant_iteratorIjlEEPmPlSF_S6_NS0_8equal_toImEEEE10hipError_tPvRmT2_T3_mT4_T5_T6_T7_T8_P12ihipStream_tbENKUlT_T0_E_clISt17integral_constantIbLb0EESY_IbLb1EEEEDaSU_SV_EUlSU_E_NS1_11comp_targetILNS1_3genE3ELNS1_11target_archE908ELNS1_3gpuE7ELNS1_3repE0EEENS1_30default_config_static_selectorELNS0_4arch9wavefront6targetE1EEEvT1_, .Lfunc_end748-_ZN7rocprim17ROCPRIM_400000_NS6detail17trampoline_kernelINS0_14default_configENS1_33run_length_encode_config_selectorImjNS0_4plusIjEEEEZZNS1_33reduce_by_key_impl_wrapped_configILNS1_25lookback_scan_determinismE0ES3_S7_PKmNS0_17constant_iteratorIjlEEPmPlSF_S6_NS0_8equal_toImEEEE10hipError_tPvRmT2_T3_mT4_T5_T6_T7_T8_P12ihipStream_tbENKUlT_T0_E_clISt17integral_constantIbLb0EESY_IbLb1EEEEDaSU_SV_EUlSU_E_NS1_11comp_targetILNS1_3genE3ELNS1_11target_archE908ELNS1_3gpuE7ELNS1_3repE0EEENS1_30default_config_static_selectorELNS0_4arch9wavefront6targetE1EEEvT1_
                                        ; -- End function
	.section	.AMDGPU.csdata,"",@progbits
; Kernel info:
; codeLenInByte = 0
; NumSgprs: 6
; NumVgprs: 0
; NumAgprs: 0
; TotalNumVgprs: 0
; ScratchSize: 0
; MemoryBound: 0
; FloatMode: 240
; IeeeMode: 1
; LDSByteSize: 0 bytes/workgroup (compile time only)
; SGPRBlocks: 0
; VGPRBlocks: 0
; NumSGPRsForWavesPerEU: 6
; NumVGPRsForWavesPerEU: 1
; AccumOffset: 4
; Occupancy: 8
; WaveLimiterHint : 0
; COMPUTE_PGM_RSRC2:SCRATCH_EN: 0
; COMPUTE_PGM_RSRC2:USER_SGPR: 2
; COMPUTE_PGM_RSRC2:TRAP_HANDLER: 0
; COMPUTE_PGM_RSRC2:TGID_X_EN: 1
; COMPUTE_PGM_RSRC2:TGID_Y_EN: 0
; COMPUTE_PGM_RSRC2:TGID_Z_EN: 0
; COMPUTE_PGM_RSRC2:TIDIG_COMP_CNT: 0
; COMPUTE_PGM_RSRC3_GFX90A:ACCUM_OFFSET: 0
; COMPUTE_PGM_RSRC3_GFX90A:TG_SPLIT: 0
	.section	.text._ZN7rocprim17ROCPRIM_400000_NS6detail17trampoline_kernelINS0_14default_configENS1_33run_length_encode_config_selectorImjNS0_4plusIjEEEEZZNS1_33reduce_by_key_impl_wrapped_configILNS1_25lookback_scan_determinismE0ES3_S7_PKmNS0_17constant_iteratorIjlEEPmPlSF_S6_NS0_8equal_toImEEEE10hipError_tPvRmT2_T3_mT4_T5_T6_T7_T8_P12ihipStream_tbENKUlT_T0_E_clISt17integral_constantIbLb0EESY_IbLb1EEEEDaSU_SV_EUlSU_E_NS1_11comp_targetILNS1_3genE2ELNS1_11target_archE906ELNS1_3gpuE6ELNS1_3repE0EEENS1_30default_config_static_selectorELNS0_4arch9wavefront6targetE1EEEvT1_,"axG",@progbits,_ZN7rocprim17ROCPRIM_400000_NS6detail17trampoline_kernelINS0_14default_configENS1_33run_length_encode_config_selectorImjNS0_4plusIjEEEEZZNS1_33reduce_by_key_impl_wrapped_configILNS1_25lookback_scan_determinismE0ES3_S7_PKmNS0_17constant_iteratorIjlEEPmPlSF_S6_NS0_8equal_toImEEEE10hipError_tPvRmT2_T3_mT4_T5_T6_T7_T8_P12ihipStream_tbENKUlT_T0_E_clISt17integral_constantIbLb0EESY_IbLb1EEEEDaSU_SV_EUlSU_E_NS1_11comp_targetILNS1_3genE2ELNS1_11target_archE906ELNS1_3gpuE6ELNS1_3repE0EEENS1_30default_config_static_selectorELNS0_4arch9wavefront6targetE1EEEvT1_,comdat
	.protected	_ZN7rocprim17ROCPRIM_400000_NS6detail17trampoline_kernelINS0_14default_configENS1_33run_length_encode_config_selectorImjNS0_4plusIjEEEEZZNS1_33reduce_by_key_impl_wrapped_configILNS1_25lookback_scan_determinismE0ES3_S7_PKmNS0_17constant_iteratorIjlEEPmPlSF_S6_NS0_8equal_toImEEEE10hipError_tPvRmT2_T3_mT4_T5_T6_T7_T8_P12ihipStream_tbENKUlT_T0_E_clISt17integral_constantIbLb0EESY_IbLb1EEEEDaSU_SV_EUlSU_E_NS1_11comp_targetILNS1_3genE2ELNS1_11target_archE906ELNS1_3gpuE6ELNS1_3repE0EEENS1_30default_config_static_selectorELNS0_4arch9wavefront6targetE1EEEvT1_ ; -- Begin function _ZN7rocprim17ROCPRIM_400000_NS6detail17trampoline_kernelINS0_14default_configENS1_33run_length_encode_config_selectorImjNS0_4plusIjEEEEZZNS1_33reduce_by_key_impl_wrapped_configILNS1_25lookback_scan_determinismE0ES3_S7_PKmNS0_17constant_iteratorIjlEEPmPlSF_S6_NS0_8equal_toImEEEE10hipError_tPvRmT2_T3_mT4_T5_T6_T7_T8_P12ihipStream_tbENKUlT_T0_E_clISt17integral_constantIbLb0EESY_IbLb1EEEEDaSU_SV_EUlSU_E_NS1_11comp_targetILNS1_3genE2ELNS1_11target_archE906ELNS1_3gpuE6ELNS1_3repE0EEENS1_30default_config_static_selectorELNS0_4arch9wavefront6targetE1EEEvT1_
	.globl	_ZN7rocprim17ROCPRIM_400000_NS6detail17trampoline_kernelINS0_14default_configENS1_33run_length_encode_config_selectorImjNS0_4plusIjEEEEZZNS1_33reduce_by_key_impl_wrapped_configILNS1_25lookback_scan_determinismE0ES3_S7_PKmNS0_17constant_iteratorIjlEEPmPlSF_S6_NS0_8equal_toImEEEE10hipError_tPvRmT2_T3_mT4_T5_T6_T7_T8_P12ihipStream_tbENKUlT_T0_E_clISt17integral_constantIbLb0EESY_IbLb1EEEEDaSU_SV_EUlSU_E_NS1_11comp_targetILNS1_3genE2ELNS1_11target_archE906ELNS1_3gpuE6ELNS1_3repE0EEENS1_30default_config_static_selectorELNS0_4arch9wavefront6targetE1EEEvT1_
	.p2align	8
	.type	_ZN7rocprim17ROCPRIM_400000_NS6detail17trampoline_kernelINS0_14default_configENS1_33run_length_encode_config_selectorImjNS0_4plusIjEEEEZZNS1_33reduce_by_key_impl_wrapped_configILNS1_25lookback_scan_determinismE0ES3_S7_PKmNS0_17constant_iteratorIjlEEPmPlSF_S6_NS0_8equal_toImEEEE10hipError_tPvRmT2_T3_mT4_T5_T6_T7_T8_P12ihipStream_tbENKUlT_T0_E_clISt17integral_constantIbLb0EESY_IbLb1EEEEDaSU_SV_EUlSU_E_NS1_11comp_targetILNS1_3genE2ELNS1_11target_archE906ELNS1_3gpuE6ELNS1_3repE0EEENS1_30default_config_static_selectorELNS0_4arch9wavefront6targetE1EEEvT1_,@function
_ZN7rocprim17ROCPRIM_400000_NS6detail17trampoline_kernelINS0_14default_configENS1_33run_length_encode_config_selectorImjNS0_4plusIjEEEEZZNS1_33reduce_by_key_impl_wrapped_configILNS1_25lookback_scan_determinismE0ES3_S7_PKmNS0_17constant_iteratorIjlEEPmPlSF_S6_NS0_8equal_toImEEEE10hipError_tPvRmT2_T3_mT4_T5_T6_T7_T8_P12ihipStream_tbENKUlT_T0_E_clISt17integral_constantIbLb0EESY_IbLb1EEEEDaSU_SV_EUlSU_E_NS1_11comp_targetILNS1_3genE2ELNS1_11target_archE906ELNS1_3gpuE6ELNS1_3repE0EEENS1_30default_config_static_selectorELNS0_4arch9wavefront6targetE1EEEvT1_: ; @_ZN7rocprim17ROCPRIM_400000_NS6detail17trampoline_kernelINS0_14default_configENS1_33run_length_encode_config_selectorImjNS0_4plusIjEEEEZZNS1_33reduce_by_key_impl_wrapped_configILNS1_25lookback_scan_determinismE0ES3_S7_PKmNS0_17constant_iteratorIjlEEPmPlSF_S6_NS0_8equal_toImEEEE10hipError_tPvRmT2_T3_mT4_T5_T6_T7_T8_P12ihipStream_tbENKUlT_T0_E_clISt17integral_constantIbLb0EESY_IbLb1EEEEDaSU_SV_EUlSU_E_NS1_11comp_targetILNS1_3genE2ELNS1_11target_archE906ELNS1_3gpuE6ELNS1_3repE0EEENS1_30default_config_static_selectorELNS0_4arch9wavefront6targetE1EEEvT1_
; %bb.0:
	.section	.rodata,"a",@progbits
	.p2align	6, 0x0
	.amdhsa_kernel _ZN7rocprim17ROCPRIM_400000_NS6detail17trampoline_kernelINS0_14default_configENS1_33run_length_encode_config_selectorImjNS0_4plusIjEEEEZZNS1_33reduce_by_key_impl_wrapped_configILNS1_25lookback_scan_determinismE0ES3_S7_PKmNS0_17constant_iteratorIjlEEPmPlSF_S6_NS0_8equal_toImEEEE10hipError_tPvRmT2_T3_mT4_T5_T6_T7_T8_P12ihipStream_tbENKUlT_T0_E_clISt17integral_constantIbLb0EESY_IbLb1EEEEDaSU_SV_EUlSU_E_NS1_11comp_targetILNS1_3genE2ELNS1_11target_archE906ELNS1_3gpuE6ELNS1_3repE0EEENS1_30default_config_static_selectorELNS0_4arch9wavefront6targetE1EEEvT1_
		.amdhsa_group_segment_fixed_size 0
		.amdhsa_private_segment_fixed_size 0
		.amdhsa_kernarg_size 128
		.amdhsa_user_sgpr_count 2
		.amdhsa_user_sgpr_dispatch_ptr 0
		.amdhsa_user_sgpr_queue_ptr 0
		.amdhsa_user_sgpr_kernarg_segment_ptr 1
		.amdhsa_user_sgpr_dispatch_id 0
		.amdhsa_user_sgpr_kernarg_preload_length 0
		.amdhsa_user_sgpr_kernarg_preload_offset 0
		.amdhsa_user_sgpr_private_segment_size 0
		.amdhsa_uses_dynamic_stack 0
		.amdhsa_enable_private_segment 0
		.amdhsa_system_sgpr_workgroup_id_x 1
		.amdhsa_system_sgpr_workgroup_id_y 0
		.amdhsa_system_sgpr_workgroup_id_z 0
		.amdhsa_system_sgpr_workgroup_info 0
		.amdhsa_system_vgpr_workitem_id 0
		.amdhsa_next_free_vgpr 1
		.amdhsa_next_free_sgpr 0
		.amdhsa_accum_offset 4
		.amdhsa_reserve_vcc 0
		.amdhsa_float_round_mode_32 0
		.amdhsa_float_round_mode_16_64 0
		.amdhsa_float_denorm_mode_32 3
		.amdhsa_float_denorm_mode_16_64 3
		.amdhsa_dx10_clamp 1
		.amdhsa_ieee_mode 1
		.amdhsa_fp16_overflow 0
		.amdhsa_tg_split 0
		.amdhsa_exception_fp_ieee_invalid_op 0
		.amdhsa_exception_fp_denorm_src 0
		.amdhsa_exception_fp_ieee_div_zero 0
		.amdhsa_exception_fp_ieee_overflow 0
		.amdhsa_exception_fp_ieee_underflow 0
		.amdhsa_exception_fp_ieee_inexact 0
		.amdhsa_exception_int_div_zero 0
	.end_amdhsa_kernel
	.section	.text._ZN7rocprim17ROCPRIM_400000_NS6detail17trampoline_kernelINS0_14default_configENS1_33run_length_encode_config_selectorImjNS0_4plusIjEEEEZZNS1_33reduce_by_key_impl_wrapped_configILNS1_25lookback_scan_determinismE0ES3_S7_PKmNS0_17constant_iteratorIjlEEPmPlSF_S6_NS0_8equal_toImEEEE10hipError_tPvRmT2_T3_mT4_T5_T6_T7_T8_P12ihipStream_tbENKUlT_T0_E_clISt17integral_constantIbLb0EESY_IbLb1EEEEDaSU_SV_EUlSU_E_NS1_11comp_targetILNS1_3genE2ELNS1_11target_archE906ELNS1_3gpuE6ELNS1_3repE0EEENS1_30default_config_static_selectorELNS0_4arch9wavefront6targetE1EEEvT1_,"axG",@progbits,_ZN7rocprim17ROCPRIM_400000_NS6detail17trampoline_kernelINS0_14default_configENS1_33run_length_encode_config_selectorImjNS0_4plusIjEEEEZZNS1_33reduce_by_key_impl_wrapped_configILNS1_25lookback_scan_determinismE0ES3_S7_PKmNS0_17constant_iteratorIjlEEPmPlSF_S6_NS0_8equal_toImEEEE10hipError_tPvRmT2_T3_mT4_T5_T6_T7_T8_P12ihipStream_tbENKUlT_T0_E_clISt17integral_constantIbLb0EESY_IbLb1EEEEDaSU_SV_EUlSU_E_NS1_11comp_targetILNS1_3genE2ELNS1_11target_archE906ELNS1_3gpuE6ELNS1_3repE0EEENS1_30default_config_static_selectorELNS0_4arch9wavefront6targetE1EEEvT1_,comdat
.Lfunc_end749:
	.size	_ZN7rocprim17ROCPRIM_400000_NS6detail17trampoline_kernelINS0_14default_configENS1_33run_length_encode_config_selectorImjNS0_4plusIjEEEEZZNS1_33reduce_by_key_impl_wrapped_configILNS1_25lookback_scan_determinismE0ES3_S7_PKmNS0_17constant_iteratorIjlEEPmPlSF_S6_NS0_8equal_toImEEEE10hipError_tPvRmT2_T3_mT4_T5_T6_T7_T8_P12ihipStream_tbENKUlT_T0_E_clISt17integral_constantIbLb0EESY_IbLb1EEEEDaSU_SV_EUlSU_E_NS1_11comp_targetILNS1_3genE2ELNS1_11target_archE906ELNS1_3gpuE6ELNS1_3repE0EEENS1_30default_config_static_selectorELNS0_4arch9wavefront6targetE1EEEvT1_, .Lfunc_end749-_ZN7rocprim17ROCPRIM_400000_NS6detail17trampoline_kernelINS0_14default_configENS1_33run_length_encode_config_selectorImjNS0_4plusIjEEEEZZNS1_33reduce_by_key_impl_wrapped_configILNS1_25lookback_scan_determinismE0ES3_S7_PKmNS0_17constant_iteratorIjlEEPmPlSF_S6_NS0_8equal_toImEEEE10hipError_tPvRmT2_T3_mT4_T5_T6_T7_T8_P12ihipStream_tbENKUlT_T0_E_clISt17integral_constantIbLb0EESY_IbLb1EEEEDaSU_SV_EUlSU_E_NS1_11comp_targetILNS1_3genE2ELNS1_11target_archE906ELNS1_3gpuE6ELNS1_3repE0EEENS1_30default_config_static_selectorELNS0_4arch9wavefront6targetE1EEEvT1_
                                        ; -- End function
	.section	.AMDGPU.csdata,"",@progbits
; Kernel info:
; codeLenInByte = 0
; NumSgprs: 6
; NumVgprs: 0
; NumAgprs: 0
; TotalNumVgprs: 0
; ScratchSize: 0
; MemoryBound: 0
; FloatMode: 240
; IeeeMode: 1
; LDSByteSize: 0 bytes/workgroup (compile time only)
; SGPRBlocks: 0
; VGPRBlocks: 0
; NumSGPRsForWavesPerEU: 6
; NumVGPRsForWavesPerEU: 1
; AccumOffset: 4
; Occupancy: 8
; WaveLimiterHint : 0
; COMPUTE_PGM_RSRC2:SCRATCH_EN: 0
; COMPUTE_PGM_RSRC2:USER_SGPR: 2
; COMPUTE_PGM_RSRC2:TRAP_HANDLER: 0
; COMPUTE_PGM_RSRC2:TGID_X_EN: 1
; COMPUTE_PGM_RSRC2:TGID_Y_EN: 0
; COMPUTE_PGM_RSRC2:TGID_Z_EN: 0
; COMPUTE_PGM_RSRC2:TIDIG_COMP_CNT: 0
; COMPUTE_PGM_RSRC3_GFX90A:ACCUM_OFFSET: 0
; COMPUTE_PGM_RSRC3_GFX90A:TG_SPLIT: 0
	.section	.text._ZN7rocprim17ROCPRIM_400000_NS6detail17trampoline_kernelINS0_14default_configENS1_33run_length_encode_config_selectorImjNS0_4plusIjEEEEZZNS1_33reduce_by_key_impl_wrapped_configILNS1_25lookback_scan_determinismE0ES3_S7_PKmNS0_17constant_iteratorIjlEEPmPlSF_S6_NS0_8equal_toImEEEE10hipError_tPvRmT2_T3_mT4_T5_T6_T7_T8_P12ihipStream_tbENKUlT_T0_E_clISt17integral_constantIbLb0EESY_IbLb1EEEEDaSU_SV_EUlSU_E_NS1_11comp_targetILNS1_3genE10ELNS1_11target_archE1201ELNS1_3gpuE5ELNS1_3repE0EEENS1_30default_config_static_selectorELNS0_4arch9wavefront6targetE1EEEvT1_,"axG",@progbits,_ZN7rocprim17ROCPRIM_400000_NS6detail17trampoline_kernelINS0_14default_configENS1_33run_length_encode_config_selectorImjNS0_4plusIjEEEEZZNS1_33reduce_by_key_impl_wrapped_configILNS1_25lookback_scan_determinismE0ES3_S7_PKmNS0_17constant_iteratorIjlEEPmPlSF_S6_NS0_8equal_toImEEEE10hipError_tPvRmT2_T3_mT4_T5_T6_T7_T8_P12ihipStream_tbENKUlT_T0_E_clISt17integral_constantIbLb0EESY_IbLb1EEEEDaSU_SV_EUlSU_E_NS1_11comp_targetILNS1_3genE10ELNS1_11target_archE1201ELNS1_3gpuE5ELNS1_3repE0EEENS1_30default_config_static_selectorELNS0_4arch9wavefront6targetE1EEEvT1_,comdat
	.protected	_ZN7rocprim17ROCPRIM_400000_NS6detail17trampoline_kernelINS0_14default_configENS1_33run_length_encode_config_selectorImjNS0_4plusIjEEEEZZNS1_33reduce_by_key_impl_wrapped_configILNS1_25lookback_scan_determinismE0ES3_S7_PKmNS0_17constant_iteratorIjlEEPmPlSF_S6_NS0_8equal_toImEEEE10hipError_tPvRmT2_T3_mT4_T5_T6_T7_T8_P12ihipStream_tbENKUlT_T0_E_clISt17integral_constantIbLb0EESY_IbLb1EEEEDaSU_SV_EUlSU_E_NS1_11comp_targetILNS1_3genE10ELNS1_11target_archE1201ELNS1_3gpuE5ELNS1_3repE0EEENS1_30default_config_static_selectorELNS0_4arch9wavefront6targetE1EEEvT1_ ; -- Begin function _ZN7rocprim17ROCPRIM_400000_NS6detail17trampoline_kernelINS0_14default_configENS1_33run_length_encode_config_selectorImjNS0_4plusIjEEEEZZNS1_33reduce_by_key_impl_wrapped_configILNS1_25lookback_scan_determinismE0ES3_S7_PKmNS0_17constant_iteratorIjlEEPmPlSF_S6_NS0_8equal_toImEEEE10hipError_tPvRmT2_T3_mT4_T5_T6_T7_T8_P12ihipStream_tbENKUlT_T0_E_clISt17integral_constantIbLb0EESY_IbLb1EEEEDaSU_SV_EUlSU_E_NS1_11comp_targetILNS1_3genE10ELNS1_11target_archE1201ELNS1_3gpuE5ELNS1_3repE0EEENS1_30default_config_static_selectorELNS0_4arch9wavefront6targetE1EEEvT1_
	.globl	_ZN7rocprim17ROCPRIM_400000_NS6detail17trampoline_kernelINS0_14default_configENS1_33run_length_encode_config_selectorImjNS0_4plusIjEEEEZZNS1_33reduce_by_key_impl_wrapped_configILNS1_25lookback_scan_determinismE0ES3_S7_PKmNS0_17constant_iteratorIjlEEPmPlSF_S6_NS0_8equal_toImEEEE10hipError_tPvRmT2_T3_mT4_T5_T6_T7_T8_P12ihipStream_tbENKUlT_T0_E_clISt17integral_constantIbLb0EESY_IbLb1EEEEDaSU_SV_EUlSU_E_NS1_11comp_targetILNS1_3genE10ELNS1_11target_archE1201ELNS1_3gpuE5ELNS1_3repE0EEENS1_30default_config_static_selectorELNS0_4arch9wavefront6targetE1EEEvT1_
	.p2align	8
	.type	_ZN7rocprim17ROCPRIM_400000_NS6detail17trampoline_kernelINS0_14default_configENS1_33run_length_encode_config_selectorImjNS0_4plusIjEEEEZZNS1_33reduce_by_key_impl_wrapped_configILNS1_25lookback_scan_determinismE0ES3_S7_PKmNS0_17constant_iteratorIjlEEPmPlSF_S6_NS0_8equal_toImEEEE10hipError_tPvRmT2_T3_mT4_T5_T6_T7_T8_P12ihipStream_tbENKUlT_T0_E_clISt17integral_constantIbLb0EESY_IbLb1EEEEDaSU_SV_EUlSU_E_NS1_11comp_targetILNS1_3genE10ELNS1_11target_archE1201ELNS1_3gpuE5ELNS1_3repE0EEENS1_30default_config_static_selectorELNS0_4arch9wavefront6targetE1EEEvT1_,@function
_ZN7rocprim17ROCPRIM_400000_NS6detail17trampoline_kernelINS0_14default_configENS1_33run_length_encode_config_selectorImjNS0_4plusIjEEEEZZNS1_33reduce_by_key_impl_wrapped_configILNS1_25lookback_scan_determinismE0ES3_S7_PKmNS0_17constant_iteratorIjlEEPmPlSF_S6_NS0_8equal_toImEEEE10hipError_tPvRmT2_T3_mT4_T5_T6_T7_T8_P12ihipStream_tbENKUlT_T0_E_clISt17integral_constantIbLb0EESY_IbLb1EEEEDaSU_SV_EUlSU_E_NS1_11comp_targetILNS1_3genE10ELNS1_11target_archE1201ELNS1_3gpuE5ELNS1_3repE0EEENS1_30default_config_static_selectorELNS0_4arch9wavefront6targetE1EEEvT1_: ; @_ZN7rocprim17ROCPRIM_400000_NS6detail17trampoline_kernelINS0_14default_configENS1_33run_length_encode_config_selectorImjNS0_4plusIjEEEEZZNS1_33reduce_by_key_impl_wrapped_configILNS1_25lookback_scan_determinismE0ES3_S7_PKmNS0_17constant_iteratorIjlEEPmPlSF_S6_NS0_8equal_toImEEEE10hipError_tPvRmT2_T3_mT4_T5_T6_T7_T8_P12ihipStream_tbENKUlT_T0_E_clISt17integral_constantIbLb0EESY_IbLb1EEEEDaSU_SV_EUlSU_E_NS1_11comp_targetILNS1_3genE10ELNS1_11target_archE1201ELNS1_3gpuE5ELNS1_3repE0EEENS1_30default_config_static_selectorELNS0_4arch9wavefront6targetE1EEEvT1_
; %bb.0:
	.section	.rodata,"a",@progbits
	.p2align	6, 0x0
	.amdhsa_kernel _ZN7rocprim17ROCPRIM_400000_NS6detail17trampoline_kernelINS0_14default_configENS1_33run_length_encode_config_selectorImjNS0_4plusIjEEEEZZNS1_33reduce_by_key_impl_wrapped_configILNS1_25lookback_scan_determinismE0ES3_S7_PKmNS0_17constant_iteratorIjlEEPmPlSF_S6_NS0_8equal_toImEEEE10hipError_tPvRmT2_T3_mT4_T5_T6_T7_T8_P12ihipStream_tbENKUlT_T0_E_clISt17integral_constantIbLb0EESY_IbLb1EEEEDaSU_SV_EUlSU_E_NS1_11comp_targetILNS1_3genE10ELNS1_11target_archE1201ELNS1_3gpuE5ELNS1_3repE0EEENS1_30default_config_static_selectorELNS0_4arch9wavefront6targetE1EEEvT1_
		.amdhsa_group_segment_fixed_size 0
		.amdhsa_private_segment_fixed_size 0
		.amdhsa_kernarg_size 128
		.amdhsa_user_sgpr_count 2
		.amdhsa_user_sgpr_dispatch_ptr 0
		.amdhsa_user_sgpr_queue_ptr 0
		.amdhsa_user_sgpr_kernarg_segment_ptr 1
		.amdhsa_user_sgpr_dispatch_id 0
		.amdhsa_user_sgpr_kernarg_preload_length 0
		.amdhsa_user_sgpr_kernarg_preload_offset 0
		.amdhsa_user_sgpr_private_segment_size 0
		.amdhsa_uses_dynamic_stack 0
		.amdhsa_enable_private_segment 0
		.amdhsa_system_sgpr_workgroup_id_x 1
		.amdhsa_system_sgpr_workgroup_id_y 0
		.amdhsa_system_sgpr_workgroup_id_z 0
		.amdhsa_system_sgpr_workgroup_info 0
		.amdhsa_system_vgpr_workitem_id 0
		.amdhsa_next_free_vgpr 1
		.amdhsa_next_free_sgpr 0
		.amdhsa_accum_offset 4
		.amdhsa_reserve_vcc 0
		.amdhsa_float_round_mode_32 0
		.amdhsa_float_round_mode_16_64 0
		.amdhsa_float_denorm_mode_32 3
		.amdhsa_float_denorm_mode_16_64 3
		.amdhsa_dx10_clamp 1
		.amdhsa_ieee_mode 1
		.amdhsa_fp16_overflow 0
		.amdhsa_tg_split 0
		.amdhsa_exception_fp_ieee_invalid_op 0
		.amdhsa_exception_fp_denorm_src 0
		.amdhsa_exception_fp_ieee_div_zero 0
		.amdhsa_exception_fp_ieee_overflow 0
		.amdhsa_exception_fp_ieee_underflow 0
		.amdhsa_exception_fp_ieee_inexact 0
		.amdhsa_exception_int_div_zero 0
	.end_amdhsa_kernel
	.section	.text._ZN7rocprim17ROCPRIM_400000_NS6detail17trampoline_kernelINS0_14default_configENS1_33run_length_encode_config_selectorImjNS0_4plusIjEEEEZZNS1_33reduce_by_key_impl_wrapped_configILNS1_25lookback_scan_determinismE0ES3_S7_PKmNS0_17constant_iteratorIjlEEPmPlSF_S6_NS0_8equal_toImEEEE10hipError_tPvRmT2_T3_mT4_T5_T6_T7_T8_P12ihipStream_tbENKUlT_T0_E_clISt17integral_constantIbLb0EESY_IbLb1EEEEDaSU_SV_EUlSU_E_NS1_11comp_targetILNS1_3genE10ELNS1_11target_archE1201ELNS1_3gpuE5ELNS1_3repE0EEENS1_30default_config_static_selectorELNS0_4arch9wavefront6targetE1EEEvT1_,"axG",@progbits,_ZN7rocprim17ROCPRIM_400000_NS6detail17trampoline_kernelINS0_14default_configENS1_33run_length_encode_config_selectorImjNS0_4plusIjEEEEZZNS1_33reduce_by_key_impl_wrapped_configILNS1_25lookback_scan_determinismE0ES3_S7_PKmNS0_17constant_iteratorIjlEEPmPlSF_S6_NS0_8equal_toImEEEE10hipError_tPvRmT2_T3_mT4_T5_T6_T7_T8_P12ihipStream_tbENKUlT_T0_E_clISt17integral_constantIbLb0EESY_IbLb1EEEEDaSU_SV_EUlSU_E_NS1_11comp_targetILNS1_3genE10ELNS1_11target_archE1201ELNS1_3gpuE5ELNS1_3repE0EEENS1_30default_config_static_selectorELNS0_4arch9wavefront6targetE1EEEvT1_,comdat
.Lfunc_end750:
	.size	_ZN7rocprim17ROCPRIM_400000_NS6detail17trampoline_kernelINS0_14default_configENS1_33run_length_encode_config_selectorImjNS0_4plusIjEEEEZZNS1_33reduce_by_key_impl_wrapped_configILNS1_25lookback_scan_determinismE0ES3_S7_PKmNS0_17constant_iteratorIjlEEPmPlSF_S6_NS0_8equal_toImEEEE10hipError_tPvRmT2_T3_mT4_T5_T6_T7_T8_P12ihipStream_tbENKUlT_T0_E_clISt17integral_constantIbLb0EESY_IbLb1EEEEDaSU_SV_EUlSU_E_NS1_11comp_targetILNS1_3genE10ELNS1_11target_archE1201ELNS1_3gpuE5ELNS1_3repE0EEENS1_30default_config_static_selectorELNS0_4arch9wavefront6targetE1EEEvT1_, .Lfunc_end750-_ZN7rocprim17ROCPRIM_400000_NS6detail17trampoline_kernelINS0_14default_configENS1_33run_length_encode_config_selectorImjNS0_4plusIjEEEEZZNS1_33reduce_by_key_impl_wrapped_configILNS1_25lookback_scan_determinismE0ES3_S7_PKmNS0_17constant_iteratorIjlEEPmPlSF_S6_NS0_8equal_toImEEEE10hipError_tPvRmT2_T3_mT4_T5_T6_T7_T8_P12ihipStream_tbENKUlT_T0_E_clISt17integral_constantIbLb0EESY_IbLb1EEEEDaSU_SV_EUlSU_E_NS1_11comp_targetILNS1_3genE10ELNS1_11target_archE1201ELNS1_3gpuE5ELNS1_3repE0EEENS1_30default_config_static_selectorELNS0_4arch9wavefront6targetE1EEEvT1_
                                        ; -- End function
	.section	.AMDGPU.csdata,"",@progbits
; Kernel info:
; codeLenInByte = 0
; NumSgprs: 6
; NumVgprs: 0
; NumAgprs: 0
; TotalNumVgprs: 0
; ScratchSize: 0
; MemoryBound: 0
; FloatMode: 240
; IeeeMode: 1
; LDSByteSize: 0 bytes/workgroup (compile time only)
; SGPRBlocks: 0
; VGPRBlocks: 0
; NumSGPRsForWavesPerEU: 6
; NumVGPRsForWavesPerEU: 1
; AccumOffset: 4
; Occupancy: 8
; WaveLimiterHint : 0
; COMPUTE_PGM_RSRC2:SCRATCH_EN: 0
; COMPUTE_PGM_RSRC2:USER_SGPR: 2
; COMPUTE_PGM_RSRC2:TRAP_HANDLER: 0
; COMPUTE_PGM_RSRC2:TGID_X_EN: 1
; COMPUTE_PGM_RSRC2:TGID_Y_EN: 0
; COMPUTE_PGM_RSRC2:TGID_Z_EN: 0
; COMPUTE_PGM_RSRC2:TIDIG_COMP_CNT: 0
; COMPUTE_PGM_RSRC3_GFX90A:ACCUM_OFFSET: 0
; COMPUTE_PGM_RSRC3_GFX90A:TG_SPLIT: 0
	.section	.text._ZN7rocprim17ROCPRIM_400000_NS6detail17trampoline_kernelINS0_14default_configENS1_33run_length_encode_config_selectorImjNS0_4plusIjEEEEZZNS1_33reduce_by_key_impl_wrapped_configILNS1_25lookback_scan_determinismE0ES3_S7_PKmNS0_17constant_iteratorIjlEEPmPlSF_S6_NS0_8equal_toImEEEE10hipError_tPvRmT2_T3_mT4_T5_T6_T7_T8_P12ihipStream_tbENKUlT_T0_E_clISt17integral_constantIbLb0EESY_IbLb1EEEEDaSU_SV_EUlSU_E_NS1_11comp_targetILNS1_3genE10ELNS1_11target_archE1200ELNS1_3gpuE4ELNS1_3repE0EEENS1_30default_config_static_selectorELNS0_4arch9wavefront6targetE1EEEvT1_,"axG",@progbits,_ZN7rocprim17ROCPRIM_400000_NS6detail17trampoline_kernelINS0_14default_configENS1_33run_length_encode_config_selectorImjNS0_4plusIjEEEEZZNS1_33reduce_by_key_impl_wrapped_configILNS1_25lookback_scan_determinismE0ES3_S7_PKmNS0_17constant_iteratorIjlEEPmPlSF_S6_NS0_8equal_toImEEEE10hipError_tPvRmT2_T3_mT4_T5_T6_T7_T8_P12ihipStream_tbENKUlT_T0_E_clISt17integral_constantIbLb0EESY_IbLb1EEEEDaSU_SV_EUlSU_E_NS1_11comp_targetILNS1_3genE10ELNS1_11target_archE1200ELNS1_3gpuE4ELNS1_3repE0EEENS1_30default_config_static_selectorELNS0_4arch9wavefront6targetE1EEEvT1_,comdat
	.protected	_ZN7rocprim17ROCPRIM_400000_NS6detail17trampoline_kernelINS0_14default_configENS1_33run_length_encode_config_selectorImjNS0_4plusIjEEEEZZNS1_33reduce_by_key_impl_wrapped_configILNS1_25lookback_scan_determinismE0ES3_S7_PKmNS0_17constant_iteratorIjlEEPmPlSF_S6_NS0_8equal_toImEEEE10hipError_tPvRmT2_T3_mT4_T5_T6_T7_T8_P12ihipStream_tbENKUlT_T0_E_clISt17integral_constantIbLb0EESY_IbLb1EEEEDaSU_SV_EUlSU_E_NS1_11comp_targetILNS1_3genE10ELNS1_11target_archE1200ELNS1_3gpuE4ELNS1_3repE0EEENS1_30default_config_static_selectorELNS0_4arch9wavefront6targetE1EEEvT1_ ; -- Begin function _ZN7rocprim17ROCPRIM_400000_NS6detail17trampoline_kernelINS0_14default_configENS1_33run_length_encode_config_selectorImjNS0_4plusIjEEEEZZNS1_33reduce_by_key_impl_wrapped_configILNS1_25lookback_scan_determinismE0ES3_S7_PKmNS0_17constant_iteratorIjlEEPmPlSF_S6_NS0_8equal_toImEEEE10hipError_tPvRmT2_T3_mT4_T5_T6_T7_T8_P12ihipStream_tbENKUlT_T0_E_clISt17integral_constantIbLb0EESY_IbLb1EEEEDaSU_SV_EUlSU_E_NS1_11comp_targetILNS1_3genE10ELNS1_11target_archE1200ELNS1_3gpuE4ELNS1_3repE0EEENS1_30default_config_static_selectorELNS0_4arch9wavefront6targetE1EEEvT1_
	.globl	_ZN7rocprim17ROCPRIM_400000_NS6detail17trampoline_kernelINS0_14default_configENS1_33run_length_encode_config_selectorImjNS0_4plusIjEEEEZZNS1_33reduce_by_key_impl_wrapped_configILNS1_25lookback_scan_determinismE0ES3_S7_PKmNS0_17constant_iteratorIjlEEPmPlSF_S6_NS0_8equal_toImEEEE10hipError_tPvRmT2_T3_mT4_T5_T6_T7_T8_P12ihipStream_tbENKUlT_T0_E_clISt17integral_constantIbLb0EESY_IbLb1EEEEDaSU_SV_EUlSU_E_NS1_11comp_targetILNS1_3genE10ELNS1_11target_archE1200ELNS1_3gpuE4ELNS1_3repE0EEENS1_30default_config_static_selectorELNS0_4arch9wavefront6targetE1EEEvT1_
	.p2align	8
	.type	_ZN7rocprim17ROCPRIM_400000_NS6detail17trampoline_kernelINS0_14default_configENS1_33run_length_encode_config_selectorImjNS0_4plusIjEEEEZZNS1_33reduce_by_key_impl_wrapped_configILNS1_25lookback_scan_determinismE0ES3_S7_PKmNS0_17constant_iteratorIjlEEPmPlSF_S6_NS0_8equal_toImEEEE10hipError_tPvRmT2_T3_mT4_T5_T6_T7_T8_P12ihipStream_tbENKUlT_T0_E_clISt17integral_constantIbLb0EESY_IbLb1EEEEDaSU_SV_EUlSU_E_NS1_11comp_targetILNS1_3genE10ELNS1_11target_archE1200ELNS1_3gpuE4ELNS1_3repE0EEENS1_30default_config_static_selectorELNS0_4arch9wavefront6targetE1EEEvT1_,@function
_ZN7rocprim17ROCPRIM_400000_NS6detail17trampoline_kernelINS0_14default_configENS1_33run_length_encode_config_selectorImjNS0_4plusIjEEEEZZNS1_33reduce_by_key_impl_wrapped_configILNS1_25lookback_scan_determinismE0ES3_S7_PKmNS0_17constant_iteratorIjlEEPmPlSF_S6_NS0_8equal_toImEEEE10hipError_tPvRmT2_T3_mT4_T5_T6_T7_T8_P12ihipStream_tbENKUlT_T0_E_clISt17integral_constantIbLb0EESY_IbLb1EEEEDaSU_SV_EUlSU_E_NS1_11comp_targetILNS1_3genE10ELNS1_11target_archE1200ELNS1_3gpuE4ELNS1_3repE0EEENS1_30default_config_static_selectorELNS0_4arch9wavefront6targetE1EEEvT1_: ; @_ZN7rocprim17ROCPRIM_400000_NS6detail17trampoline_kernelINS0_14default_configENS1_33run_length_encode_config_selectorImjNS0_4plusIjEEEEZZNS1_33reduce_by_key_impl_wrapped_configILNS1_25lookback_scan_determinismE0ES3_S7_PKmNS0_17constant_iteratorIjlEEPmPlSF_S6_NS0_8equal_toImEEEE10hipError_tPvRmT2_T3_mT4_T5_T6_T7_T8_P12ihipStream_tbENKUlT_T0_E_clISt17integral_constantIbLb0EESY_IbLb1EEEEDaSU_SV_EUlSU_E_NS1_11comp_targetILNS1_3genE10ELNS1_11target_archE1200ELNS1_3gpuE4ELNS1_3repE0EEENS1_30default_config_static_selectorELNS0_4arch9wavefront6targetE1EEEvT1_
; %bb.0:
	.section	.rodata,"a",@progbits
	.p2align	6, 0x0
	.amdhsa_kernel _ZN7rocprim17ROCPRIM_400000_NS6detail17trampoline_kernelINS0_14default_configENS1_33run_length_encode_config_selectorImjNS0_4plusIjEEEEZZNS1_33reduce_by_key_impl_wrapped_configILNS1_25lookback_scan_determinismE0ES3_S7_PKmNS0_17constant_iteratorIjlEEPmPlSF_S6_NS0_8equal_toImEEEE10hipError_tPvRmT2_T3_mT4_T5_T6_T7_T8_P12ihipStream_tbENKUlT_T0_E_clISt17integral_constantIbLb0EESY_IbLb1EEEEDaSU_SV_EUlSU_E_NS1_11comp_targetILNS1_3genE10ELNS1_11target_archE1200ELNS1_3gpuE4ELNS1_3repE0EEENS1_30default_config_static_selectorELNS0_4arch9wavefront6targetE1EEEvT1_
		.amdhsa_group_segment_fixed_size 0
		.amdhsa_private_segment_fixed_size 0
		.amdhsa_kernarg_size 128
		.amdhsa_user_sgpr_count 2
		.amdhsa_user_sgpr_dispatch_ptr 0
		.amdhsa_user_sgpr_queue_ptr 0
		.amdhsa_user_sgpr_kernarg_segment_ptr 1
		.amdhsa_user_sgpr_dispatch_id 0
		.amdhsa_user_sgpr_kernarg_preload_length 0
		.amdhsa_user_sgpr_kernarg_preload_offset 0
		.amdhsa_user_sgpr_private_segment_size 0
		.amdhsa_uses_dynamic_stack 0
		.amdhsa_enable_private_segment 0
		.amdhsa_system_sgpr_workgroup_id_x 1
		.amdhsa_system_sgpr_workgroup_id_y 0
		.amdhsa_system_sgpr_workgroup_id_z 0
		.amdhsa_system_sgpr_workgroup_info 0
		.amdhsa_system_vgpr_workitem_id 0
		.amdhsa_next_free_vgpr 1
		.amdhsa_next_free_sgpr 0
		.amdhsa_accum_offset 4
		.amdhsa_reserve_vcc 0
		.amdhsa_float_round_mode_32 0
		.amdhsa_float_round_mode_16_64 0
		.amdhsa_float_denorm_mode_32 3
		.amdhsa_float_denorm_mode_16_64 3
		.amdhsa_dx10_clamp 1
		.amdhsa_ieee_mode 1
		.amdhsa_fp16_overflow 0
		.amdhsa_tg_split 0
		.amdhsa_exception_fp_ieee_invalid_op 0
		.amdhsa_exception_fp_denorm_src 0
		.amdhsa_exception_fp_ieee_div_zero 0
		.amdhsa_exception_fp_ieee_overflow 0
		.amdhsa_exception_fp_ieee_underflow 0
		.amdhsa_exception_fp_ieee_inexact 0
		.amdhsa_exception_int_div_zero 0
	.end_amdhsa_kernel
	.section	.text._ZN7rocprim17ROCPRIM_400000_NS6detail17trampoline_kernelINS0_14default_configENS1_33run_length_encode_config_selectorImjNS0_4plusIjEEEEZZNS1_33reduce_by_key_impl_wrapped_configILNS1_25lookback_scan_determinismE0ES3_S7_PKmNS0_17constant_iteratorIjlEEPmPlSF_S6_NS0_8equal_toImEEEE10hipError_tPvRmT2_T3_mT4_T5_T6_T7_T8_P12ihipStream_tbENKUlT_T0_E_clISt17integral_constantIbLb0EESY_IbLb1EEEEDaSU_SV_EUlSU_E_NS1_11comp_targetILNS1_3genE10ELNS1_11target_archE1200ELNS1_3gpuE4ELNS1_3repE0EEENS1_30default_config_static_selectorELNS0_4arch9wavefront6targetE1EEEvT1_,"axG",@progbits,_ZN7rocprim17ROCPRIM_400000_NS6detail17trampoline_kernelINS0_14default_configENS1_33run_length_encode_config_selectorImjNS0_4plusIjEEEEZZNS1_33reduce_by_key_impl_wrapped_configILNS1_25lookback_scan_determinismE0ES3_S7_PKmNS0_17constant_iteratorIjlEEPmPlSF_S6_NS0_8equal_toImEEEE10hipError_tPvRmT2_T3_mT4_T5_T6_T7_T8_P12ihipStream_tbENKUlT_T0_E_clISt17integral_constantIbLb0EESY_IbLb1EEEEDaSU_SV_EUlSU_E_NS1_11comp_targetILNS1_3genE10ELNS1_11target_archE1200ELNS1_3gpuE4ELNS1_3repE0EEENS1_30default_config_static_selectorELNS0_4arch9wavefront6targetE1EEEvT1_,comdat
.Lfunc_end751:
	.size	_ZN7rocprim17ROCPRIM_400000_NS6detail17trampoline_kernelINS0_14default_configENS1_33run_length_encode_config_selectorImjNS0_4plusIjEEEEZZNS1_33reduce_by_key_impl_wrapped_configILNS1_25lookback_scan_determinismE0ES3_S7_PKmNS0_17constant_iteratorIjlEEPmPlSF_S6_NS0_8equal_toImEEEE10hipError_tPvRmT2_T3_mT4_T5_T6_T7_T8_P12ihipStream_tbENKUlT_T0_E_clISt17integral_constantIbLb0EESY_IbLb1EEEEDaSU_SV_EUlSU_E_NS1_11comp_targetILNS1_3genE10ELNS1_11target_archE1200ELNS1_3gpuE4ELNS1_3repE0EEENS1_30default_config_static_selectorELNS0_4arch9wavefront6targetE1EEEvT1_, .Lfunc_end751-_ZN7rocprim17ROCPRIM_400000_NS6detail17trampoline_kernelINS0_14default_configENS1_33run_length_encode_config_selectorImjNS0_4plusIjEEEEZZNS1_33reduce_by_key_impl_wrapped_configILNS1_25lookback_scan_determinismE0ES3_S7_PKmNS0_17constant_iteratorIjlEEPmPlSF_S6_NS0_8equal_toImEEEE10hipError_tPvRmT2_T3_mT4_T5_T6_T7_T8_P12ihipStream_tbENKUlT_T0_E_clISt17integral_constantIbLb0EESY_IbLb1EEEEDaSU_SV_EUlSU_E_NS1_11comp_targetILNS1_3genE10ELNS1_11target_archE1200ELNS1_3gpuE4ELNS1_3repE0EEENS1_30default_config_static_selectorELNS0_4arch9wavefront6targetE1EEEvT1_
                                        ; -- End function
	.section	.AMDGPU.csdata,"",@progbits
; Kernel info:
; codeLenInByte = 0
; NumSgprs: 6
; NumVgprs: 0
; NumAgprs: 0
; TotalNumVgprs: 0
; ScratchSize: 0
; MemoryBound: 0
; FloatMode: 240
; IeeeMode: 1
; LDSByteSize: 0 bytes/workgroup (compile time only)
; SGPRBlocks: 0
; VGPRBlocks: 0
; NumSGPRsForWavesPerEU: 6
; NumVGPRsForWavesPerEU: 1
; AccumOffset: 4
; Occupancy: 8
; WaveLimiterHint : 0
; COMPUTE_PGM_RSRC2:SCRATCH_EN: 0
; COMPUTE_PGM_RSRC2:USER_SGPR: 2
; COMPUTE_PGM_RSRC2:TRAP_HANDLER: 0
; COMPUTE_PGM_RSRC2:TGID_X_EN: 1
; COMPUTE_PGM_RSRC2:TGID_Y_EN: 0
; COMPUTE_PGM_RSRC2:TGID_Z_EN: 0
; COMPUTE_PGM_RSRC2:TIDIG_COMP_CNT: 0
; COMPUTE_PGM_RSRC3_GFX90A:ACCUM_OFFSET: 0
; COMPUTE_PGM_RSRC3_GFX90A:TG_SPLIT: 0
	.section	.text._ZN7rocprim17ROCPRIM_400000_NS6detail17trampoline_kernelINS0_14default_configENS1_33run_length_encode_config_selectorImjNS0_4plusIjEEEEZZNS1_33reduce_by_key_impl_wrapped_configILNS1_25lookback_scan_determinismE0ES3_S7_PKmNS0_17constant_iteratorIjlEEPmPlSF_S6_NS0_8equal_toImEEEE10hipError_tPvRmT2_T3_mT4_T5_T6_T7_T8_P12ihipStream_tbENKUlT_T0_E_clISt17integral_constantIbLb0EESY_IbLb1EEEEDaSU_SV_EUlSU_E_NS1_11comp_targetILNS1_3genE9ELNS1_11target_archE1100ELNS1_3gpuE3ELNS1_3repE0EEENS1_30default_config_static_selectorELNS0_4arch9wavefront6targetE1EEEvT1_,"axG",@progbits,_ZN7rocprim17ROCPRIM_400000_NS6detail17trampoline_kernelINS0_14default_configENS1_33run_length_encode_config_selectorImjNS0_4plusIjEEEEZZNS1_33reduce_by_key_impl_wrapped_configILNS1_25lookback_scan_determinismE0ES3_S7_PKmNS0_17constant_iteratorIjlEEPmPlSF_S6_NS0_8equal_toImEEEE10hipError_tPvRmT2_T3_mT4_T5_T6_T7_T8_P12ihipStream_tbENKUlT_T0_E_clISt17integral_constantIbLb0EESY_IbLb1EEEEDaSU_SV_EUlSU_E_NS1_11comp_targetILNS1_3genE9ELNS1_11target_archE1100ELNS1_3gpuE3ELNS1_3repE0EEENS1_30default_config_static_selectorELNS0_4arch9wavefront6targetE1EEEvT1_,comdat
	.protected	_ZN7rocprim17ROCPRIM_400000_NS6detail17trampoline_kernelINS0_14default_configENS1_33run_length_encode_config_selectorImjNS0_4plusIjEEEEZZNS1_33reduce_by_key_impl_wrapped_configILNS1_25lookback_scan_determinismE0ES3_S7_PKmNS0_17constant_iteratorIjlEEPmPlSF_S6_NS0_8equal_toImEEEE10hipError_tPvRmT2_T3_mT4_T5_T6_T7_T8_P12ihipStream_tbENKUlT_T0_E_clISt17integral_constantIbLb0EESY_IbLb1EEEEDaSU_SV_EUlSU_E_NS1_11comp_targetILNS1_3genE9ELNS1_11target_archE1100ELNS1_3gpuE3ELNS1_3repE0EEENS1_30default_config_static_selectorELNS0_4arch9wavefront6targetE1EEEvT1_ ; -- Begin function _ZN7rocprim17ROCPRIM_400000_NS6detail17trampoline_kernelINS0_14default_configENS1_33run_length_encode_config_selectorImjNS0_4plusIjEEEEZZNS1_33reduce_by_key_impl_wrapped_configILNS1_25lookback_scan_determinismE0ES3_S7_PKmNS0_17constant_iteratorIjlEEPmPlSF_S6_NS0_8equal_toImEEEE10hipError_tPvRmT2_T3_mT4_T5_T6_T7_T8_P12ihipStream_tbENKUlT_T0_E_clISt17integral_constantIbLb0EESY_IbLb1EEEEDaSU_SV_EUlSU_E_NS1_11comp_targetILNS1_3genE9ELNS1_11target_archE1100ELNS1_3gpuE3ELNS1_3repE0EEENS1_30default_config_static_selectorELNS0_4arch9wavefront6targetE1EEEvT1_
	.globl	_ZN7rocprim17ROCPRIM_400000_NS6detail17trampoline_kernelINS0_14default_configENS1_33run_length_encode_config_selectorImjNS0_4plusIjEEEEZZNS1_33reduce_by_key_impl_wrapped_configILNS1_25lookback_scan_determinismE0ES3_S7_PKmNS0_17constant_iteratorIjlEEPmPlSF_S6_NS0_8equal_toImEEEE10hipError_tPvRmT2_T3_mT4_T5_T6_T7_T8_P12ihipStream_tbENKUlT_T0_E_clISt17integral_constantIbLb0EESY_IbLb1EEEEDaSU_SV_EUlSU_E_NS1_11comp_targetILNS1_3genE9ELNS1_11target_archE1100ELNS1_3gpuE3ELNS1_3repE0EEENS1_30default_config_static_selectorELNS0_4arch9wavefront6targetE1EEEvT1_
	.p2align	8
	.type	_ZN7rocprim17ROCPRIM_400000_NS6detail17trampoline_kernelINS0_14default_configENS1_33run_length_encode_config_selectorImjNS0_4plusIjEEEEZZNS1_33reduce_by_key_impl_wrapped_configILNS1_25lookback_scan_determinismE0ES3_S7_PKmNS0_17constant_iteratorIjlEEPmPlSF_S6_NS0_8equal_toImEEEE10hipError_tPvRmT2_T3_mT4_T5_T6_T7_T8_P12ihipStream_tbENKUlT_T0_E_clISt17integral_constantIbLb0EESY_IbLb1EEEEDaSU_SV_EUlSU_E_NS1_11comp_targetILNS1_3genE9ELNS1_11target_archE1100ELNS1_3gpuE3ELNS1_3repE0EEENS1_30default_config_static_selectorELNS0_4arch9wavefront6targetE1EEEvT1_,@function
_ZN7rocprim17ROCPRIM_400000_NS6detail17trampoline_kernelINS0_14default_configENS1_33run_length_encode_config_selectorImjNS0_4plusIjEEEEZZNS1_33reduce_by_key_impl_wrapped_configILNS1_25lookback_scan_determinismE0ES3_S7_PKmNS0_17constant_iteratorIjlEEPmPlSF_S6_NS0_8equal_toImEEEE10hipError_tPvRmT2_T3_mT4_T5_T6_T7_T8_P12ihipStream_tbENKUlT_T0_E_clISt17integral_constantIbLb0EESY_IbLb1EEEEDaSU_SV_EUlSU_E_NS1_11comp_targetILNS1_3genE9ELNS1_11target_archE1100ELNS1_3gpuE3ELNS1_3repE0EEENS1_30default_config_static_selectorELNS0_4arch9wavefront6targetE1EEEvT1_: ; @_ZN7rocprim17ROCPRIM_400000_NS6detail17trampoline_kernelINS0_14default_configENS1_33run_length_encode_config_selectorImjNS0_4plusIjEEEEZZNS1_33reduce_by_key_impl_wrapped_configILNS1_25lookback_scan_determinismE0ES3_S7_PKmNS0_17constant_iteratorIjlEEPmPlSF_S6_NS0_8equal_toImEEEE10hipError_tPvRmT2_T3_mT4_T5_T6_T7_T8_P12ihipStream_tbENKUlT_T0_E_clISt17integral_constantIbLb0EESY_IbLb1EEEEDaSU_SV_EUlSU_E_NS1_11comp_targetILNS1_3genE9ELNS1_11target_archE1100ELNS1_3gpuE3ELNS1_3repE0EEENS1_30default_config_static_selectorELNS0_4arch9wavefront6targetE1EEEvT1_
; %bb.0:
	.section	.rodata,"a",@progbits
	.p2align	6, 0x0
	.amdhsa_kernel _ZN7rocprim17ROCPRIM_400000_NS6detail17trampoline_kernelINS0_14default_configENS1_33run_length_encode_config_selectorImjNS0_4plusIjEEEEZZNS1_33reduce_by_key_impl_wrapped_configILNS1_25lookback_scan_determinismE0ES3_S7_PKmNS0_17constant_iteratorIjlEEPmPlSF_S6_NS0_8equal_toImEEEE10hipError_tPvRmT2_T3_mT4_T5_T6_T7_T8_P12ihipStream_tbENKUlT_T0_E_clISt17integral_constantIbLb0EESY_IbLb1EEEEDaSU_SV_EUlSU_E_NS1_11comp_targetILNS1_3genE9ELNS1_11target_archE1100ELNS1_3gpuE3ELNS1_3repE0EEENS1_30default_config_static_selectorELNS0_4arch9wavefront6targetE1EEEvT1_
		.amdhsa_group_segment_fixed_size 0
		.amdhsa_private_segment_fixed_size 0
		.amdhsa_kernarg_size 128
		.amdhsa_user_sgpr_count 2
		.amdhsa_user_sgpr_dispatch_ptr 0
		.amdhsa_user_sgpr_queue_ptr 0
		.amdhsa_user_sgpr_kernarg_segment_ptr 1
		.amdhsa_user_sgpr_dispatch_id 0
		.amdhsa_user_sgpr_kernarg_preload_length 0
		.amdhsa_user_sgpr_kernarg_preload_offset 0
		.amdhsa_user_sgpr_private_segment_size 0
		.amdhsa_uses_dynamic_stack 0
		.amdhsa_enable_private_segment 0
		.amdhsa_system_sgpr_workgroup_id_x 1
		.amdhsa_system_sgpr_workgroup_id_y 0
		.amdhsa_system_sgpr_workgroup_id_z 0
		.amdhsa_system_sgpr_workgroup_info 0
		.amdhsa_system_vgpr_workitem_id 0
		.amdhsa_next_free_vgpr 1
		.amdhsa_next_free_sgpr 0
		.amdhsa_accum_offset 4
		.amdhsa_reserve_vcc 0
		.amdhsa_float_round_mode_32 0
		.amdhsa_float_round_mode_16_64 0
		.amdhsa_float_denorm_mode_32 3
		.amdhsa_float_denorm_mode_16_64 3
		.amdhsa_dx10_clamp 1
		.amdhsa_ieee_mode 1
		.amdhsa_fp16_overflow 0
		.amdhsa_tg_split 0
		.amdhsa_exception_fp_ieee_invalid_op 0
		.amdhsa_exception_fp_denorm_src 0
		.amdhsa_exception_fp_ieee_div_zero 0
		.amdhsa_exception_fp_ieee_overflow 0
		.amdhsa_exception_fp_ieee_underflow 0
		.amdhsa_exception_fp_ieee_inexact 0
		.amdhsa_exception_int_div_zero 0
	.end_amdhsa_kernel
	.section	.text._ZN7rocprim17ROCPRIM_400000_NS6detail17trampoline_kernelINS0_14default_configENS1_33run_length_encode_config_selectorImjNS0_4plusIjEEEEZZNS1_33reduce_by_key_impl_wrapped_configILNS1_25lookback_scan_determinismE0ES3_S7_PKmNS0_17constant_iteratorIjlEEPmPlSF_S6_NS0_8equal_toImEEEE10hipError_tPvRmT2_T3_mT4_T5_T6_T7_T8_P12ihipStream_tbENKUlT_T0_E_clISt17integral_constantIbLb0EESY_IbLb1EEEEDaSU_SV_EUlSU_E_NS1_11comp_targetILNS1_3genE9ELNS1_11target_archE1100ELNS1_3gpuE3ELNS1_3repE0EEENS1_30default_config_static_selectorELNS0_4arch9wavefront6targetE1EEEvT1_,"axG",@progbits,_ZN7rocprim17ROCPRIM_400000_NS6detail17trampoline_kernelINS0_14default_configENS1_33run_length_encode_config_selectorImjNS0_4plusIjEEEEZZNS1_33reduce_by_key_impl_wrapped_configILNS1_25lookback_scan_determinismE0ES3_S7_PKmNS0_17constant_iteratorIjlEEPmPlSF_S6_NS0_8equal_toImEEEE10hipError_tPvRmT2_T3_mT4_T5_T6_T7_T8_P12ihipStream_tbENKUlT_T0_E_clISt17integral_constantIbLb0EESY_IbLb1EEEEDaSU_SV_EUlSU_E_NS1_11comp_targetILNS1_3genE9ELNS1_11target_archE1100ELNS1_3gpuE3ELNS1_3repE0EEENS1_30default_config_static_selectorELNS0_4arch9wavefront6targetE1EEEvT1_,comdat
.Lfunc_end752:
	.size	_ZN7rocprim17ROCPRIM_400000_NS6detail17trampoline_kernelINS0_14default_configENS1_33run_length_encode_config_selectorImjNS0_4plusIjEEEEZZNS1_33reduce_by_key_impl_wrapped_configILNS1_25lookback_scan_determinismE0ES3_S7_PKmNS0_17constant_iteratorIjlEEPmPlSF_S6_NS0_8equal_toImEEEE10hipError_tPvRmT2_T3_mT4_T5_T6_T7_T8_P12ihipStream_tbENKUlT_T0_E_clISt17integral_constantIbLb0EESY_IbLb1EEEEDaSU_SV_EUlSU_E_NS1_11comp_targetILNS1_3genE9ELNS1_11target_archE1100ELNS1_3gpuE3ELNS1_3repE0EEENS1_30default_config_static_selectorELNS0_4arch9wavefront6targetE1EEEvT1_, .Lfunc_end752-_ZN7rocprim17ROCPRIM_400000_NS6detail17trampoline_kernelINS0_14default_configENS1_33run_length_encode_config_selectorImjNS0_4plusIjEEEEZZNS1_33reduce_by_key_impl_wrapped_configILNS1_25lookback_scan_determinismE0ES3_S7_PKmNS0_17constant_iteratorIjlEEPmPlSF_S6_NS0_8equal_toImEEEE10hipError_tPvRmT2_T3_mT4_T5_T6_T7_T8_P12ihipStream_tbENKUlT_T0_E_clISt17integral_constantIbLb0EESY_IbLb1EEEEDaSU_SV_EUlSU_E_NS1_11comp_targetILNS1_3genE9ELNS1_11target_archE1100ELNS1_3gpuE3ELNS1_3repE0EEENS1_30default_config_static_selectorELNS0_4arch9wavefront6targetE1EEEvT1_
                                        ; -- End function
	.section	.AMDGPU.csdata,"",@progbits
; Kernel info:
; codeLenInByte = 0
; NumSgprs: 6
; NumVgprs: 0
; NumAgprs: 0
; TotalNumVgprs: 0
; ScratchSize: 0
; MemoryBound: 0
; FloatMode: 240
; IeeeMode: 1
; LDSByteSize: 0 bytes/workgroup (compile time only)
; SGPRBlocks: 0
; VGPRBlocks: 0
; NumSGPRsForWavesPerEU: 6
; NumVGPRsForWavesPerEU: 1
; AccumOffset: 4
; Occupancy: 8
; WaveLimiterHint : 0
; COMPUTE_PGM_RSRC2:SCRATCH_EN: 0
; COMPUTE_PGM_RSRC2:USER_SGPR: 2
; COMPUTE_PGM_RSRC2:TRAP_HANDLER: 0
; COMPUTE_PGM_RSRC2:TGID_X_EN: 1
; COMPUTE_PGM_RSRC2:TGID_Y_EN: 0
; COMPUTE_PGM_RSRC2:TGID_Z_EN: 0
; COMPUTE_PGM_RSRC2:TIDIG_COMP_CNT: 0
; COMPUTE_PGM_RSRC3_GFX90A:ACCUM_OFFSET: 0
; COMPUTE_PGM_RSRC3_GFX90A:TG_SPLIT: 0
	.section	.text._ZN7rocprim17ROCPRIM_400000_NS6detail17trampoline_kernelINS0_14default_configENS1_33run_length_encode_config_selectorImjNS0_4plusIjEEEEZZNS1_33reduce_by_key_impl_wrapped_configILNS1_25lookback_scan_determinismE0ES3_S7_PKmNS0_17constant_iteratorIjlEEPmPlSF_S6_NS0_8equal_toImEEEE10hipError_tPvRmT2_T3_mT4_T5_T6_T7_T8_P12ihipStream_tbENKUlT_T0_E_clISt17integral_constantIbLb0EESY_IbLb1EEEEDaSU_SV_EUlSU_E_NS1_11comp_targetILNS1_3genE8ELNS1_11target_archE1030ELNS1_3gpuE2ELNS1_3repE0EEENS1_30default_config_static_selectorELNS0_4arch9wavefront6targetE1EEEvT1_,"axG",@progbits,_ZN7rocprim17ROCPRIM_400000_NS6detail17trampoline_kernelINS0_14default_configENS1_33run_length_encode_config_selectorImjNS0_4plusIjEEEEZZNS1_33reduce_by_key_impl_wrapped_configILNS1_25lookback_scan_determinismE0ES3_S7_PKmNS0_17constant_iteratorIjlEEPmPlSF_S6_NS0_8equal_toImEEEE10hipError_tPvRmT2_T3_mT4_T5_T6_T7_T8_P12ihipStream_tbENKUlT_T0_E_clISt17integral_constantIbLb0EESY_IbLb1EEEEDaSU_SV_EUlSU_E_NS1_11comp_targetILNS1_3genE8ELNS1_11target_archE1030ELNS1_3gpuE2ELNS1_3repE0EEENS1_30default_config_static_selectorELNS0_4arch9wavefront6targetE1EEEvT1_,comdat
	.protected	_ZN7rocprim17ROCPRIM_400000_NS6detail17trampoline_kernelINS0_14default_configENS1_33run_length_encode_config_selectorImjNS0_4plusIjEEEEZZNS1_33reduce_by_key_impl_wrapped_configILNS1_25lookback_scan_determinismE0ES3_S7_PKmNS0_17constant_iteratorIjlEEPmPlSF_S6_NS0_8equal_toImEEEE10hipError_tPvRmT2_T3_mT4_T5_T6_T7_T8_P12ihipStream_tbENKUlT_T0_E_clISt17integral_constantIbLb0EESY_IbLb1EEEEDaSU_SV_EUlSU_E_NS1_11comp_targetILNS1_3genE8ELNS1_11target_archE1030ELNS1_3gpuE2ELNS1_3repE0EEENS1_30default_config_static_selectorELNS0_4arch9wavefront6targetE1EEEvT1_ ; -- Begin function _ZN7rocprim17ROCPRIM_400000_NS6detail17trampoline_kernelINS0_14default_configENS1_33run_length_encode_config_selectorImjNS0_4plusIjEEEEZZNS1_33reduce_by_key_impl_wrapped_configILNS1_25lookback_scan_determinismE0ES3_S7_PKmNS0_17constant_iteratorIjlEEPmPlSF_S6_NS0_8equal_toImEEEE10hipError_tPvRmT2_T3_mT4_T5_T6_T7_T8_P12ihipStream_tbENKUlT_T0_E_clISt17integral_constantIbLb0EESY_IbLb1EEEEDaSU_SV_EUlSU_E_NS1_11comp_targetILNS1_3genE8ELNS1_11target_archE1030ELNS1_3gpuE2ELNS1_3repE0EEENS1_30default_config_static_selectorELNS0_4arch9wavefront6targetE1EEEvT1_
	.globl	_ZN7rocprim17ROCPRIM_400000_NS6detail17trampoline_kernelINS0_14default_configENS1_33run_length_encode_config_selectorImjNS0_4plusIjEEEEZZNS1_33reduce_by_key_impl_wrapped_configILNS1_25lookback_scan_determinismE0ES3_S7_PKmNS0_17constant_iteratorIjlEEPmPlSF_S6_NS0_8equal_toImEEEE10hipError_tPvRmT2_T3_mT4_T5_T6_T7_T8_P12ihipStream_tbENKUlT_T0_E_clISt17integral_constantIbLb0EESY_IbLb1EEEEDaSU_SV_EUlSU_E_NS1_11comp_targetILNS1_3genE8ELNS1_11target_archE1030ELNS1_3gpuE2ELNS1_3repE0EEENS1_30default_config_static_selectorELNS0_4arch9wavefront6targetE1EEEvT1_
	.p2align	8
	.type	_ZN7rocprim17ROCPRIM_400000_NS6detail17trampoline_kernelINS0_14default_configENS1_33run_length_encode_config_selectorImjNS0_4plusIjEEEEZZNS1_33reduce_by_key_impl_wrapped_configILNS1_25lookback_scan_determinismE0ES3_S7_PKmNS0_17constant_iteratorIjlEEPmPlSF_S6_NS0_8equal_toImEEEE10hipError_tPvRmT2_T3_mT4_T5_T6_T7_T8_P12ihipStream_tbENKUlT_T0_E_clISt17integral_constantIbLb0EESY_IbLb1EEEEDaSU_SV_EUlSU_E_NS1_11comp_targetILNS1_3genE8ELNS1_11target_archE1030ELNS1_3gpuE2ELNS1_3repE0EEENS1_30default_config_static_selectorELNS0_4arch9wavefront6targetE1EEEvT1_,@function
_ZN7rocprim17ROCPRIM_400000_NS6detail17trampoline_kernelINS0_14default_configENS1_33run_length_encode_config_selectorImjNS0_4plusIjEEEEZZNS1_33reduce_by_key_impl_wrapped_configILNS1_25lookback_scan_determinismE0ES3_S7_PKmNS0_17constant_iteratorIjlEEPmPlSF_S6_NS0_8equal_toImEEEE10hipError_tPvRmT2_T3_mT4_T5_T6_T7_T8_P12ihipStream_tbENKUlT_T0_E_clISt17integral_constantIbLb0EESY_IbLb1EEEEDaSU_SV_EUlSU_E_NS1_11comp_targetILNS1_3genE8ELNS1_11target_archE1030ELNS1_3gpuE2ELNS1_3repE0EEENS1_30default_config_static_selectorELNS0_4arch9wavefront6targetE1EEEvT1_: ; @_ZN7rocprim17ROCPRIM_400000_NS6detail17trampoline_kernelINS0_14default_configENS1_33run_length_encode_config_selectorImjNS0_4plusIjEEEEZZNS1_33reduce_by_key_impl_wrapped_configILNS1_25lookback_scan_determinismE0ES3_S7_PKmNS0_17constant_iteratorIjlEEPmPlSF_S6_NS0_8equal_toImEEEE10hipError_tPvRmT2_T3_mT4_T5_T6_T7_T8_P12ihipStream_tbENKUlT_T0_E_clISt17integral_constantIbLb0EESY_IbLb1EEEEDaSU_SV_EUlSU_E_NS1_11comp_targetILNS1_3genE8ELNS1_11target_archE1030ELNS1_3gpuE2ELNS1_3repE0EEENS1_30default_config_static_selectorELNS0_4arch9wavefront6targetE1EEEvT1_
; %bb.0:
	.section	.rodata,"a",@progbits
	.p2align	6, 0x0
	.amdhsa_kernel _ZN7rocprim17ROCPRIM_400000_NS6detail17trampoline_kernelINS0_14default_configENS1_33run_length_encode_config_selectorImjNS0_4plusIjEEEEZZNS1_33reduce_by_key_impl_wrapped_configILNS1_25lookback_scan_determinismE0ES3_S7_PKmNS0_17constant_iteratorIjlEEPmPlSF_S6_NS0_8equal_toImEEEE10hipError_tPvRmT2_T3_mT4_T5_T6_T7_T8_P12ihipStream_tbENKUlT_T0_E_clISt17integral_constantIbLb0EESY_IbLb1EEEEDaSU_SV_EUlSU_E_NS1_11comp_targetILNS1_3genE8ELNS1_11target_archE1030ELNS1_3gpuE2ELNS1_3repE0EEENS1_30default_config_static_selectorELNS0_4arch9wavefront6targetE1EEEvT1_
		.amdhsa_group_segment_fixed_size 0
		.amdhsa_private_segment_fixed_size 0
		.amdhsa_kernarg_size 128
		.amdhsa_user_sgpr_count 2
		.amdhsa_user_sgpr_dispatch_ptr 0
		.amdhsa_user_sgpr_queue_ptr 0
		.amdhsa_user_sgpr_kernarg_segment_ptr 1
		.amdhsa_user_sgpr_dispatch_id 0
		.amdhsa_user_sgpr_kernarg_preload_length 0
		.amdhsa_user_sgpr_kernarg_preload_offset 0
		.amdhsa_user_sgpr_private_segment_size 0
		.amdhsa_uses_dynamic_stack 0
		.amdhsa_enable_private_segment 0
		.amdhsa_system_sgpr_workgroup_id_x 1
		.amdhsa_system_sgpr_workgroup_id_y 0
		.amdhsa_system_sgpr_workgroup_id_z 0
		.amdhsa_system_sgpr_workgroup_info 0
		.amdhsa_system_vgpr_workitem_id 0
		.amdhsa_next_free_vgpr 1
		.amdhsa_next_free_sgpr 0
		.amdhsa_accum_offset 4
		.amdhsa_reserve_vcc 0
		.amdhsa_float_round_mode_32 0
		.amdhsa_float_round_mode_16_64 0
		.amdhsa_float_denorm_mode_32 3
		.amdhsa_float_denorm_mode_16_64 3
		.amdhsa_dx10_clamp 1
		.amdhsa_ieee_mode 1
		.amdhsa_fp16_overflow 0
		.amdhsa_tg_split 0
		.amdhsa_exception_fp_ieee_invalid_op 0
		.amdhsa_exception_fp_denorm_src 0
		.amdhsa_exception_fp_ieee_div_zero 0
		.amdhsa_exception_fp_ieee_overflow 0
		.amdhsa_exception_fp_ieee_underflow 0
		.amdhsa_exception_fp_ieee_inexact 0
		.amdhsa_exception_int_div_zero 0
	.end_amdhsa_kernel
	.section	.text._ZN7rocprim17ROCPRIM_400000_NS6detail17trampoline_kernelINS0_14default_configENS1_33run_length_encode_config_selectorImjNS0_4plusIjEEEEZZNS1_33reduce_by_key_impl_wrapped_configILNS1_25lookback_scan_determinismE0ES3_S7_PKmNS0_17constant_iteratorIjlEEPmPlSF_S6_NS0_8equal_toImEEEE10hipError_tPvRmT2_T3_mT4_T5_T6_T7_T8_P12ihipStream_tbENKUlT_T0_E_clISt17integral_constantIbLb0EESY_IbLb1EEEEDaSU_SV_EUlSU_E_NS1_11comp_targetILNS1_3genE8ELNS1_11target_archE1030ELNS1_3gpuE2ELNS1_3repE0EEENS1_30default_config_static_selectorELNS0_4arch9wavefront6targetE1EEEvT1_,"axG",@progbits,_ZN7rocprim17ROCPRIM_400000_NS6detail17trampoline_kernelINS0_14default_configENS1_33run_length_encode_config_selectorImjNS0_4plusIjEEEEZZNS1_33reduce_by_key_impl_wrapped_configILNS1_25lookback_scan_determinismE0ES3_S7_PKmNS0_17constant_iteratorIjlEEPmPlSF_S6_NS0_8equal_toImEEEE10hipError_tPvRmT2_T3_mT4_T5_T6_T7_T8_P12ihipStream_tbENKUlT_T0_E_clISt17integral_constantIbLb0EESY_IbLb1EEEEDaSU_SV_EUlSU_E_NS1_11comp_targetILNS1_3genE8ELNS1_11target_archE1030ELNS1_3gpuE2ELNS1_3repE0EEENS1_30default_config_static_selectorELNS0_4arch9wavefront6targetE1EEEvT1_,comdat
.Lfunc_end753:
	.size	_ZN7rocprim17ROCPRIM_400000_NS6detail17trampoline_kernelINS0_14default_configENS1_33run_length_encode_config_selectorImjNS0_4plusIjEEEEZZNS1_33reduce_by_key_impl_wrapped_configILNS1_25lookback_scan_determinismE0ES3_S7_PKmNS0_17constant_iteratorIjlEEPmPlSF_S6_NS0_8equal_toImEEEE10hipError_tPvRmT2_T3_mT4_T5_T6_T7_T8_P12ihipStream_tbENKUlT_T0_E_clISt17integral_constantIbLb0EESY_IbLb1EEEEDaSU_SV_EUlSU_E_NS1_11comp_targetILNS1_3genE8ELNS1_11target_archE1030ELNS1_3gpuE2ELNS1_3repE0EEENS1_30default_config_static_selectorELNS0_4arch9wavefront6targetE1EEEvT1_, .Lfunc_end753-_ZN7rocprim17ROCPRIM_400000_NS6detail17trampoline_kernelINS0_14default_configENS1_33run_length_encode_config_selectorImjNS0_4plusIjEEEEZZNS1_33reduce_by_key_impl_wrapped_configILNS1_25lookback_scan_determinismE0ES3_S7_PKmNS0_17constant_iteratorIjlEEPmPlSF_S6_NS0_8equal_toImEEEE10hipError_tPvRmT2_T3_mT4_T5_T6_T7_T8_P12ihipStream_tbENKUlT_T0_E_clISt17integral_constantIbLb0EESY_IbLb1EEEEDaSU_SV_EUlSU_E_NS1_11comp_targetILNS1_3genE8ELNS1_11target_archE1030ELNS1_3gpuE2ELNS1_3repE0EEENS1_30default_config_static_selectorELNS0_4arch9wavefront6targetE1EEEvT1_
                                        ; -- End function
	.section	.AMDGPU.csdata,"",@progbits
; Kernel info:
; codeLenInByte = 0
; NumSgprs: 6
; NumVgprs: 0
; NumAgprs: 0
; TotalNumVgprs: 0
; ScratchSize: 0
; MemoryBound: 0
; FloatMode: 240
; IeeeMode: 1
; LDSByteSize: 0 bytes/workgroup (compile time only)
; SGPRBlocks: 0
; VGPRBlocks: 0
; NumSGPRsForWavesPerEU: 6
; NumVGPRsForWavesPerEU: 1
; AccumOffset: 4
; Occupancy: 8
; WaveLimiterHint : 0
; COMPUTE_PGM_RSRC2:SCRATCH_EN: 0
; COMPUTE_PGM_RSRC2:USER_SGPR: 2
; COMPUTE_PGM_RSRC2:TRAP_HANDLER: 0
; COMPUTE_PGM_RSRC2:TGID_X_EN: 1
; COMPUTE_PGM_RSRC2:TGID_Y_EN: 0
; COMPUTE_PGM_RSRC2:TGID_Z_EN: 0
; COMPUTE_PGM_RSRC2:TIDIG_COMP_CNT: 0
; COMPUTE_PGM_RSRC3_GFX90A:ACCUM_OFFSET: 0
; COMPUTE_PGM_RSRC3_GFX90A:TG_SPLIT: 0
	.section	.text._ZN2at6native8internal12_GLOBAL__N_126adjacent_difference_kernelIPKtEEvlT_Pi,"axG",@progbits,_ZN2at6native8internal12_GLOBAL__N_126adjacent_difference_kernelIPKtEEvlT_Pi,comdat
	.globl	_ZN2at6native8internal12_GLOBAL__N_126adjacent_difference_kernelIPKtEEvlT_Pi ; -- Begin function _ZN2at6native8internal12_GLOBAL__N_126adjacent_difference_kernelIPKtEEvlT_Pi
	.p2align	8
	.type	_ZN2at6native8internal12_GLOBAL__N_126adjacent_difference_kernelIPKtEEvlT_Pi,@function
_ZN2at6native8internal12_GLOBAL__N_126adjacent_difference_kernelIPKtEEvlT_Pi: ; @_ZN2at6native8internal12_GLOBAL__N_126adjacent_difference_kernelIPKtEEvlT_Pi
; %bb.0:
	s_load_dword s3, s[0:1], 0x24
	s_load_dwordx4 s[4:7], s[0:1], 0x0
	s_add_u32 s10, s0, 24
	s_addc_u32 s11, s1, 0
	v_mov_b32_e32 v1, 0
	s_waitcnt lgkmcnt(0)
	s_and_b32 s12, s3, 0xffff
	v_mov_b32_e32 v2, s2
	v_mad_u64_u32 v[4:5], s[8:9], s12, v2, v[0:1]
	v_cmp_gt_i64_e32 vcc, s[4:5], v[4:5]
	s_and_saveexec_b64 s[8:9], vcc
	s_cbranch_execz .LBB754_5
; %bb.1:
	s_load_dword s13, s[10:11], 0x0
	s_load_dwordx2 s[8:9], s[0:1], 0x10
	s_mul_hi_u32 s1, s12, s2
	s_mul_i32 s0, s12, s2
	s_mov_b32 s3, 0
	s_waitcnt lgkmcnt(0)
	s_mul_i32 s2, s13, s12
	v_mov_b32_e32 v2, v1
	v_mov_b32_e32 v3, v4
	s_mov_b32 s10, s3
	s_mov_b32 s11, s2
	s_mov_b64 s[12:13], 0
	v_mov_b64_e32 v[4:5], v[0:1]
	s_branch .LBB754_3
.LBB754_2:                              ;   in Loop: Header=BB754_3 Depth=1
	s_or_b64 exec, exec, s[14:15]
	v_ashrrev_i64 v[6:7], 30, v[2:3]
	v_lshl_add_u64 v[6:7], s[8:9], 0, v[6:7]
	v_lshl_add_u64 v[4:5], v[4:5], 0, s[2:3]
	global_store_dword v[6:7], v0, off
	v_lshl_add_u64 v[6:7], s[0:1], 0, v[4:5]
	v_cmp_le_i64_e32 vcc, s[4:5], v[6:7]
	s_or_b64 s[12:13], vcc, s[12:13]
	v_lshl_add_u64 v[2:3], v[2:3], 0, s[10:11]
	s_andn2_b64 exec, exec, s[12:13]
	s_cbranch_execz .LBB754_5
.LBB754_3:                              ; =>This Inner Loop Header: Depth=1
	v_add_u32_e32 v0, s0, v4
	v_cmp_lt_i32_e32 vcc, 0, v0
	v_mov_b32_e32 v0, 0
	s_and_saveexec_b64 s[14:15], vcc
	s_cbranch_execz .LBB754_2
; %bb.4:                                ;   in Loop: Header=BB754_3 Depth=1
	v_add_u32_e32 v0, s0, v4
	v_lshlrev_b32_e32 v8, 1, v0
	v_add_u32_e32 v0, -1, v0
	v_lshl_add_u64 v[6:7], v[0:1], 1, s[6:7]
	global_load_ushort v0, v8, s[6:7]
	global_load_ushort v9, v[6:7], off
	s_waitcnt vmcnt(0)
	v_cmp_ne_u16_e32 vcc, v0, v9
	s_nop 1
	v_cndmask_b32_e64 v0, 0, 1, vcc
	s_branch .LBB754_2
.LBB754_5:
	s_endpgm
	.section	.rodata,"a",@progbits
	.p2align	6, 0x0
	.amdhsa_kernel _ZN2at6native8internal12_GLOBAL__N_126adjacent_difference_kernelIPKtEEvlT_Pi
		.amdhsa_group_segment_fixed_size 0
		.amdhsa_private_segment_fixed_size 0
		.amdhsa_kernarg_size 280
		.amdhsa_user_sgpr_count 2
		.amdhsa_user_sgpr_dispatch_ptr 0
		.amdhsa_user_sgpr_queue_ptr 0
		.amdhsa_user_sgpr_kernarg_segment_ptr 1
		.amdhsa_user_sgpr_dispatch_id 0
		.amdhsa_user_sgpr_kernarg_preload_length 0
		.amdhsa_user_sgpr_kernarg_preload_offset 0
		.amdhsa_user_sgpr_private_segment_size 0
		.amdhsa_uses_dynamic_stack 0
		.amdhsa_enable_private_segment 0
		.amdhsa_system_sgpr_workgroup_id_x 1
		.amdhsa_system_sgpr_workgroup_id_y 0
		.amdhsa_system_sgpr_workgroup_id_z 0
		.amdhsa_system_sgpr_workgroup_info 0
		.amdhsa_system_vgpr_workitem_id 0
		.amdhsa_next_free_vgpr 10
		.amdhsa_next_free_sgpr 16
		.amdhsa_accum_offset 12
		.amdhsa_reserve_vcc 1
		.amdhsa_float_round_mode_32 0
		.amdhsa_float_round_mode_16_64 0
		.amdhsa_float_denorm_mode_32 3
		.amdhsa_float_denorm_mode_16_64 3
		.amdhsa_dx10_clamp 1
		.amdhsa_ieee_mode 1
		.amdhsa_fp16_overflow 0
		.amdhsa_tg_split 0
		.amdhsa_exception_fp_ieee_invalid_op 0
		.amdhsa_exception_fp_denorm_src 0
		.amdhsa_exception_fp_ieee_div_zero 0
		.amdhsa_exception_fp_ieee_overflow 0
		.amdhsa_exception_fp_ieee_underflow 0
		.amdhsa_exception_fp_ieee_inexact 0
		.amdhsa_exception_int_div_zero 0
	.end_amdhsa_kernel
	.section	.text._ZN2at6native8internal12_GLOBAL__N_126adjacent_difference_kernelIPKtEEvlT_Pi,"axG",@progbits,_ZN2at6native8internal12_GLOBAL__N_126adjacent_difference_kernelIPKtEEvlT_Pi,comdat
.Lfunc_end754:
	.size	_ZN2at6native8internal12_GLOBAL__N_126adjacent_difference_kernelIPKtEEvlT_Pi, .Lfunc_end754-_ZN2at6native8internal12_GLOBAL__N_126adjacent_difference_kernelIPKtEEvlT_Pi
                                        ; -- End function
	.section	.AMDGPU.csdata,"",@progbits
; Kernel info:
; codeLenInByte = 280
; NumSgprs: 22
; NumVgprs: 10
; NumAgprs: 0
; TotalNumVgprs: 10
; ScratchSize: 0
; MemoryBound: 0
; FloatMode: 240
; IeeeMode: 1
; LDSByteSize: 0 bytes/workgroup (compile time only)
; SGPRBlocks: 2
; VGPRBlocks: 1
; NumSGPRsForWavesPerEU: 22
; NumVGPRsForWavesPerEU: 10
; AccumOffset: 12
; Occupancy: 8
; WaveLimiterHint : 0
; COMPUTE_PGM_RSRC2:SCRATCH_EN: 0
; COMPUTE_PGM_RSRC2:USER_SGPR: 2
; COMPUTE_PGM_RSRC2:TRAP_HANDLER: 0
; COMPUTE_PGM_RSRC2:TGID_X_EN: 1
; COMPUTE_PGM_RSRC2:TGID_Y_EN: 0
; COMPUTE_PGM_RSRC2:TGID_Z_EN: 0
; COMPUTE_PGM_RSRC2:TIDIG_COMP_CNT: 0
; COMPUTE_PGM_RSRC3_GFX90A:ACCUM_OFFSET: 2
; COMPUTE_PGM_RSRC3_GFX90A:TG_SPLIT: 0
	.section	.text._ZN7rocprim17ROCPRIM_400000_NS6detail17trampoline_kernelINS0_14default_configENS1_25partition_config_selectorILNS1_17partition_subalgoE8EtNS0_10empty_typeEbEEZZNS1_14partition_implILS5_8ELb0ES3_jPKtPS6_PKS6_NS0_5tupleIJPtS6_EEENSE_IJSB_SB_EEENS0_18inequality_wrapperIN6hipcub16HIPCUB_304000_NS8EqualityEEEPlJS6_EEE10hipError_tPvRmT3_T4_T5_T6_T7_T9_mT8_P12ihipStream_tbDpT10_ENKUlT_T0_E_clISt17integral_constantIbLb0EES17_EEDaS12_S13_EUlS12_E_NS1_11comp_targetILNS1_3genE0ELNS1_11target_archE4294967295ELNS1_3gpuE0ELNS1_3repE0EEENS1_30default_config_static_selectorELNS0_4arch9wavefront6targetE1EEEvT1_,"axG",@progbits,_ZN7rocprim17ROCPRIM_400000_NS6detail17trampoline_kernelINS0_14default_configENS1_25partition_config_selectorILNS1_17partition_subalgoE8EtNS0_10empty_typeEbEEZZNS1_14partition_implILS5_8ELb0ES3_jPKtPS6_PKS6_NS0_5tupleIJPtS6_EEENSE_IJSB_SB_EEENS0_18inequality_wrapperIN6hipcub16HIPCUB_304000_NS8EqualityEEEPlJS6_EEE10hipError_tPvRmT3_T4_T5_T6_T7_T9_mT8_P12ihipStream_tbDpT10_ENKUlT_T0_E_clISt17integral_constantIbLb0EES17_EEDaS12_S13_EUlS12_E_NS1_11comp_targetILNS1_3genE0ELNS1_11target_archE4294967295ELNS1_3gpuE0ELNS1_3repE0EEENS1_30default_config_static_selectorELNS0_4arch9wavefront6targetE1EEEvT1_,comdat
	.protected	_ZN7rocprim17ROCPRIM_400000_NS6detail17trampoline_kernelINS0_14default_configENS1_25partition_config_selectorILNS1_17partition_subalgoE8EtNS0_10empty_typeEbEEZZNS1_14partition_implILS5_8ELb0ES3_jPKtPS6_PKS6_NS0_5tupleIJPtS6_EEENSE_IJSB_SB_EEENS0_18inequality_wrapperIN6hipcub16HIPCUB_304000_NS8EqualityEEEPlJS6_EEE10hipError_tPvRmT3_T4_T5_T6_T7_T9_mT8_P12ihipStream_tbDpT10_ENKUlT_T0_E_clISt17integral_constantIbLb0EES17_EEDaS12_S13_EUlS12_E_NS1_11comp_targetILNS1_3genE0ELNS1_11target_archE4294967295ELNS1_3gpuE0ELNS1_3repE0EEENS1_30default_config_static_selectorELNS0_4arch9wavefront6targetE1EEEvT1_ ; -- Begin function _ZN7rocprim17ROCPRIM_400000_NS6detail17trampoline_kernelINS0_14default_configENS1_25partition_config_selectorILNS1_17partition_subalgoE8EtNS0_10empty_typeEbEEZZNS1_14partition_implILS5_8ELb0ES3_jPKtPS6_PKS6_NS0_5tupleIJPtS6_EEENSE_IJSB_SB_EEENS0_18inequality_wrapperIN6hipcub16HIPCUB_304000_NS8EqualityEEEPlJS6_EEE10hipError_tPvRmT3_T4_T5_T6_T7_T9_mT8_P12ihipStream_tbDpT10_ENKUlT_T0_E_clISt17integral_constantIbLb0EES17_EEDaS12_S13_EUlS12_E_NS1_11comp_targetILNS1_3genE0ELNS1_11target_archE4294967295ELNS1_3gpuE0ELNS1_3repE0EEENS1_30default_config_static_selectorELNS0_4arch9wavefront6targetE1EEEvT1_
	.globl	_ZN7rocprim17ROCPRIM_400000_NS6detail17trampoline_kernelINS0_14default_configENS1_25partition_config_selectorILNS1_17partition_subalgoE8EtNS0_10empty_typeEbEEZZNS1_14partition_implILS5_8ELb0ES3_jPKtPS6_PKS6_NS0_5tupleIJPtS6_EEENSE_IJSB_SB_EEENS0_18inequality_wrapperIN6hipcub16HIPCUB_304000_NS8EqualityEEEPlJS6_EEE10hipError_tPvRmT3_T4_T5_T6_T7_T9_mT8_P12ihipStream_tbDpT10_ENKUlT_T0_E_clISt17integral_constantIbLb0EES17_EEDaS12_S13_EUlS12_E_NS1_11comp_targetILNS1_3genE0ELNS1_11target_archE4294967295ELNS1_3gpuE0ELNS1_3repE0EEENS1_30default_config_static_selectorELNS0_4arch9wavefront6targetE1EEEvT1_
	.p2align	8
	.type	_ZN7rocprim17ROCPRIM_400000_NS6detail17trampoline_kernelINS0_14default_configENS1_25partition_config_selectorILNS1_17partition_subalgoE8EtNS0_10empty_typeEbEEZZNS1_14partition_implILS5_8ELb0ES3_jPKtPS6_PKS6_NS0_5tupleIJPtS6_EEENSE_IJSB_SB_EEENS0_18inequality_wrapperIN6hipcub16HIPCUB_304000_NS8EqualityEEEPlJS6_EEE10hipError_tPvRmT3_T4_T5_T6_T7_T9_mT8_P12ihipStream_tbDpT10_ENKUlT_T0_E_clISt17integral_constantIbLb0EES17_EEDaS12_S13_EUlS12_E_NS1_11comp_targetILNS1_3genE0ELNS1_11target_archE4294967295ELNS1_3gpuE0ELNS1_3repE0EEENS1_30default_config_static_selectorELNS0_4arch9wavefront6targetE1EEEvT1_,@function
_ZN7rocprim17ROCPRIM_400000_NS6detail17trampoline_kernelINS0_14default_configENS1_25partition_config_selectorILNS1_17partition_subalgoE8EtNS0_10empty_typeEbEEZZNS1_14partition_implILS5_8ELb0ES3_jPKtPS6_PKS6_NS0_5tupleIJPtS6_EEENSE_IJSB_SB_EEENS0_18inequality_wrapperIN6hipcub16HIPCUB_304000_NS8EqualityEEEPlJS6_EEE10hipError_tPvRmT3_T4_T5_T6_T7_T9_mT8_P12ihipStream_tbDpT10_ENKUlT_T0_E_clISt17integral_constantIbLb0EES17_EEDaS12_S13_EUlS12_E_NS1_11comp_targetILNS1_3genE0ELNS1_11target_archE4294967295ELNS1_3gpuE0ELNS1_3repE0EEENS1_30default_config_static_selectorELNS0_4arch9wavefront6targetE1EEEvT1_: ; @_ZN7rocprim17ROCPRIM_400000_NS6detail17trampoline_kernelINS0_14default_configENS1_25partition_config_selectorILNS1_17partition_subalgoE8EtNS0_10empty_typeEbEEZZNS1_14partition_implILS5_8ELb0ES3_jPKtPS6_PKS6_NS0_5tupleIJPtS6_EEENSE_IJSB_SB_EEENS0_18inequality_wrapperIN6hipcub16HIPCUB_304000_NS8EqualityEEEPlJS6_EEE10hipError_tPvRmT3_T4_T5_T6_T7_T9_mT8_P12ihipStream_tbDpT10_ENKUlT_T0_E_clISt17integral_constantIbLb0EES17_EEDaS12_S13_EUlS12_E_NS1_11comp_targetILNS1_3genE0ELNS1_11target_archE4294967295ELNS1_3gpuE0ELNS1_3repE0EEENS1_30default_config_static_selectorELNS0_4arch9wavefront6targetE1EEEvT1_
; %bb.0:
	.section	.rodata,"a",@progbits
	.p2align	6, 0x0
	.amdhsa_kernel _ZN7rocprim17ROCPRIM_400000_NS6detail17trampoline_kernelINS0_14default_configENS1_25partition_config_selectorILNS1_17partition_subalgoE8EtNS0_10empty_typeEbEEZZNS1_14partition_implILS5_8ELb0ES3_jPKtPS6_PKS6_NS0_5tupleIJPtS6_EEENSE_IJSB_SB_EEENS0_18inequality_wrapperIN6hipcub16HIPCUB_304000_NS8EqualityEEEPlJS6_EEE10hipError_tPvRmT3_T4_T5_T6_T7_T9_mT8_P12ihipStream_tbDpT10_ENKUlT_T0_E_clISt17integral_constantIbLb0EES17_EEDaS12_S13_EUlS12_E_NS1_11comp_targetILNS1_3genE0ELNS1_11target_archE4294967295ELNS1_3gpuE0ELNS1_3repE0EEENS1_30default_config_static_selectorELNS0_4arch9wavefront6targetE1EEEvT1_
		.amdhsa_group_segment_fixed_size 0
		.amdhsa_private_segment_fixed_size 0
		.amdhsa_kernarg_size 112
		.amdhsa_user_sgpr_count 2
		.amdhsa_user_sgpr_dispatch_ptr 0
		.amdhsa_user_sgpr_queue_ptr 0
		.amdhsa_user_sgpr_kernarg_segment_ptr 1
		.amdhsa_user_sgpr_dispatch_id 0
		.amdhsa_user_sgpr_kernarg_preload_length 0
		.amdhsa_user_sgpr_kernarg_preload_offset 0
		.amdhsa_user_sgpr_private_segment_size 0
		.amdhsa_uses_dynamic_stack 0
		.amdhsa_enable_private_segment 0
		.amdhsa_system_sgpr_workgroup_id_x 1
		.amdhsa_system_sgpr_workgroup_id_y 0
		.amdhsa_system_sgpr_workgroup_id_z 0
		.amdhsa_system_sgpr_workgroup_info 0
		.amdhsa_system_vgpr_workitem_id 0
		.amdhsa_next_free_vgpr 1
		.amdhsa_next_free_sgpr 0
		.amdhsa_accum_offset 4
		.amdhsa_reserve_vcc 0
		.amdhsa_float_round_mode_32 0
		.amdhsa_float_round_mode_16_64 0
		.amdhsa_float_denorm_mode_32 3
		.amdhsa_float_denorm_mode_16_64 3
		.amdhsa_dx10_clamp 1
		.amdhsa_ieee_mode 1
		.amdhsa_fp16_overflow 0
		.amdhsa_tg_split 0
		.amdhsa_exception_fp_ieee_invalid_op 0
		.amdhsa_exception_fp_denorm_src 0
		.amdhsa_exception_fp_ieee_div_zero 0
		.amdhsa_exception_fp_ieee_overflow 0
		.amdhsa_exception_fp_ieee_underflow 0
		.amdhsa_exception_fp_ieee_inexact 0
		.amdhsa_exception_int_div_zero 0
	.end_amdhsa_kernel
	.section	.text._ZN7rocprim17ROCPRIM_400000_NS6detail17trampoline_kernelINS0_14default_configENS1_25partition_config_selectorILNS1_17partition_subalgoE8EtNS0_10empty_typeEbEEZZNS1_14partition_implILS5_8ELb0ES3_jPKtPS6_PKS6_NS0_5tupleIJPtS6_EEENSE_IJSB_SB_EEENS0_18inequality_wrapperIN6hipcub16HIPCUB_304000_NS8EqualityEEEPlJS6_EEE10hipError_tPvRmT3_T4_T5_T6_T7_T9_mT8_P12ihipStream_tbDpT10_ENKUlT_T0_E_clISt17integral_constantIbLb0EES17_EEDaS12_S13_EUlS12_E_NS1_11comp_targetILNS1_3genE0ELNS1_11target_archE4294967295ELNS1_3gpuE0ELNS1_3repE0EEENS1_30default_config_static_selectorELNS0_4arch9wavefront6targetE1EEEvT1_,"axG",@progbits,_ZN7rocprim17ROCPRIM_400000_NS6detail17trampoline_kernelINS0_14default_configENS1_25partition_config_selectorILNS1_17partition_subalgoE8EtNS0_10empty_typeEbEEZZNS1_14partition_implILS5_8ELb0ES3_jPKtPS6_PKS6_NS0_5tupleIJPtS6_EEENSE_IJSB_SB_EEENS0_18inequality_wrapperIN6hipcub16HIPCUB_304000_NS8EqualityEEEPlJS6_EEE10hipError_tPvRmT3_T4_T5_T6_T7_T9_mT8_P12ihipStream_tbDpT10_ENKUlT_T0_E_clISt17integral_constantIbLb0EES17_EEDaS12_S13_EUlS12_E_NS1_11comp_targetILNS1_3genE0ELNS1_11target_archE4294967295ELNS1_3gpuE0ELNS1_3repE0EEENS1_30default_config_static_selectorELNS0_4arch9wavefront6targetE1EEEvT1_,comdat
.Lfunc_end755:
	.size	_ZN7rocprim17ROCPRIM_400000_NS6detail17trampoline_kernelINS0_14default_configENS1_25partition_config_selectorILNS1_17partition_subalgoE8EtNS0_10empty_typeEbEEZZNS1_14partition_implILS5_8ELb0ES3_jPKtPS6_PKS6_NS0_5tupleIJPtS6_EEENSE_IJSB_SB_EEENS0_18inequality_wrapperIN6hipcub16HIPCUB_304000_NS8EqualityEEEPlJS6_EEE10hipError_tPvRmT3_T4_T5_T6_T7_T9_mT8_P12ihipStream_tbDpT10_ENKUlT_T0_E_clISt17integral_constantIbLb0EES17_EEDaS12_S13_EUlS12_E_NS1_11comp_targetILNS1_3genE0ELNS1_11target_archE4294967295ELNS1_3gpuE0ELNS1_3repE0EEENS1_30default_config_static_selectorELNS0_4arch9wavefront6targetE1EEEvT1_, .Lfunc_end755-_ZN7rocprim17ROCPRIM_400000_NS6detail17trampoline_kernelINS0_14default_configENS1_25partition_config_selectorILNS1_17partition_subalgoE8EtNS0_10empty_typeEbEEZZNS1_14partition_implILS5_8ELb0ES3_jPKtPS6_PKS6_NS0_5tupleIJPtS6_EEENSE_IJSB_SB_EEENS0_18inequality_wrapperIN6hipcub16HIPCUB_304000_NS8EqualityEEEPlJS6_EEE10hipError_tPvRmT3_T4_T5_T6_T7_T9_mT8_P12ihipStream_tbDpT10_ENKUlT_T0_E_clISt17integral_constantIbLb0EES17_EEDaS12_S13_EUlS12_E_NS1_11comp_targetILNS1_3genE0ELNS1_11target_archE4294967295ELNS1_3gpuE0ELNS1_3repE0EEENS1_30default_config_static_selectorELNS0_4arch9wavefront6targetE1EEEvT1_
                                        ; -- End function
	.section	.AMDGPU.csdata,"",@progbits
; Kernel info:
; codeLenInByte = 0
; NumSgprs: 6
; NumVgprs: 0
; NumAgprs: 0
; TotalNumVgprs: 0
; ScratchSize: 0
; MemoryBound: 0
; FloatMode: 240
; IeeeMode: 1
; LDSByteSize: 0 bytes/workgroup (compile time only)
; SGPRBlocks: 0
; VGPRBlocks: 0
; NumSGPRsForWavesPerEU: 6
; NumVGPRsForWavesPerEU: 1
; AccumOffset: 4
; Occupancy: 8
; WaveLimiterHint : 0
; COMPUTE_PGM_RSRC2:SCRATCH_EN: 0
; COMPUTE_PGM_RSRC2:USER_SGPR: 2
; COMPUTE_PGM_RSRC2:TRAP_HANDLER: 0
; COMPUTE_PGM_RSRC2:TGID_X_EN: 1
; COMPUTE_PGM_RSRC2:TGID_Y_EN: 0
; COMPUTE_PGM_RSRC2:TGID_Z_EN: 0
; COMPUTE_PGM_RSRC2:TIDIG_COMP_CNT: 0
; COMPUTE_PGM_RSRC3_GFX90A:ACCUM_OFFSET: 0
; COMPUTE_PGM_RSRC3_GFX90A:TG_SPLIT: 0
	.section	.text._ZN7rocprim17ROCPRIM_400000_NS6detail17trampoline_kernelINS0_14default_configENS1_25partition_config_selectorILNS1_17partition_subalgoE8EtNS0_10empty_typeEbEEZZNS1_14partition_implILS5_8ELb0ES3_jPKtPS6_PKS6_NS0_5tupleIJPtS6_EEENSE_IJSB_SB_EEENS0_18inequality_wrapperIN6hipcub16HIPCUB_304000_NS8EqualityEEEPlJS6_EEE10hipError_tPvRmT3_T4_T5_T6_T7_T9_mT8_P12ihipStream_tbDpT10_ENKUlT_T0_E_clISt17integral_constantIbLb0EES17_EEDaS12_S13_EUlS12_E_NS1_11comp_targetILNS1_3genE5ELNS1_11target_archE942ELNS1_3gpuE9ELNS1_3repE0EEENS1_30default_config_static_selectorELNS0_4arch9wavefront6targetE1EEEvT1_,"axG",@progbits,_ZN7rocprim17ROCPRIM_400000_NS6detail17trampoline_kernelINS0_14default_configENS1_25partition_config_selectorILNS1_17partition_subalgoE8EtNS0_10empty_typeEbEEZZNS1_14partition_implILS5_8ELb0ES3_jPKtPS6_PKS6_NS0_5tupleIJPtS6_EEENSE_IJSB_SB_EEENS0_18inequality_wrapperIN6hipcub16HIPCUB_304000_NS8EqualityEEEPlJS6_EEE10hipError_tPvRmT3_T4_T5_T6_T7_T9_mT8_P12ihipStream_tbDpT10_ENKUlT_T0_E_clISt17integral_constantIbLb0EES17_EEDaS12_S13_EUlS12_E_NS1_11comp_targetILNS1_3genE5ELNS1_11target_archE942ELNS1_3gpuE9ELNS1_3repE0EEENS1_30default_config_static_selectorELNS0_4arch9wavefront6targetE1EEEvT1_,comdat
	.protected	_ZN7rocprim17ROCPRIM_400000_NS6detail17trampoline_kernelINS0_14default_configENS1_25partition_config_selectorILNS1_17partition_subalgoE8EtNS0_10empty_typeEbEEZZNS1_14partition_implILS5_8ELb0ES3_jPKtPS6_PKS6_NS0_5tupleIJPtS6_EEENSE_IJSB_SB_EEENS0_18inequality_wrapperIN6hipcub16HIPCUB_304000_NS8EqualityEEEPlJS6_EEE10hipError_tPvRmT3_T4_T5_T6_T7_T9_mT8_P12ihipStream_tbDpT10_ENKUlT_T0_E_clISt17integral_constantIbLb0EES17_EEDaS12_S13_EUlS12_E_NS1_11comp_targetILNS1_3genE5ELNS1_11target_archE942ELNS1_3gpuE9ELNS1_3repE0EEENS1_30default_config_static_selectorELNS0_4arch9wavefront6targetE1EEEvT1_ ; -- Begin function _ZN7rocprim17ROCPRIM_400000_NS6detail17trampoline_kernelINS0_14default_configENS1_25partition_config_selectorILNS1_17partition_subalgoE8EtNS0_10empty_typeEbEEZZNS1_14partition_implILS5_8ELb0ES3_jPKtPS6_PKS6_NS0_5tupleIJPtS6_EEENSE_IJSB_SB_EEENS0_18inequality_wrapperIN6hipcub16HIPCUB_304000_NS8EqualityEEEPlJS6_EEE10hipError_tPvRmT3_T4_T5_T6_T7_T9_mT8_P12ihipStream_tbDpT10_ENKUlT_T0_E_clISt17integral_constantIbLb0EES17_EEDaS12_S13_EUlS12_E_NS1_11comp_targetILNS1_3genE5ELNS1_11target_archE942ELNS1_3gpuE9ELNS1_3repE0EEENS1_30default_config_static_selectorELNS0_4arch9wavefront6targetE1EEEvT1_
	.globl	_ZN7rocprim17ROCPRIM_400000_NS6detail17trampoline_kernelINS0_14default_configENS1_25partition_config_selectorILNS1_17partition_subalgoE8EtNS0_10empty_typeEbEEZZNS1_14partition_implILS5_8ELb0ES3_jPKtPS6_PKS6_NS0_5tupleIJPtS6_EEENSE_IJSB_SB_EEENS0_18inequality_wrapperIN6hipcub16HIPCUB_304000_NS8EqualityEEEPlJS6_EEE10hipError_tPvRmT3_T4_T5_T6_T7_T9_mT8_P12ihipStream_tbDpT10_ENKUlT_T0_E_clISt17integral_constantIbLb0EES17_EEDaS12_S13_EUlS12_E_NS1_11comp_targetILNS1_3genE5ELNS1_11target_archE942ELNS1_3gpuE9ELNS1_3repE0EEENS1_30default_config_static_selectorELNS0_4arch9wavefront6targetE1EEEvT1_
	.p2align	8
	.type	_ZN7rocprim17ROCPRIM_400000_NS6detail17trampoline_kernelINS0_14default_configENS1_25partition_config_selectorILNS1_17partition_subalgoE8EtNS0_10empty_typeEbEEZZNS1_14partition_implILS5_8ELb0ES3_jPKtPS6_PKS6_NS0_5tupleIJPtS6_EEENSE_IJSB_SB_EEENS0_18inequality_wrapperIN6hipcub16HIPCUB_304000_NS8EqualityEEEPlJS6_EEE10hipError_tPvRmT3_T4_T5_T6_T7_T9_mT8_P12ihipStream_tbDpT10_ENKUlT_T0_E_clISt17integral_constantIbLb0EES17_EEDaS12_S13_EUlS12_E_NS1_11comp_targetILNS1_3genE5ELNS1_11target_archE942ELNS1_3gpuE9ELNS1_3repE0EEENS1_30default_config_static_selectorELNS0_4arch9wavefront6targetE1EEEvT1_,@function
_ZN7rocprim17ROCPRIM_400000_NS6detail17trampoline_kernelINS0_14default_configENS1_25partition_config_selectorILNS1_17partition_subalgoE8EtNS0_10empty_typeEbEEZZNS1_14partition_implILS5_8ELb0ES3_jPKtPS6_PKS6_NS0_5tupleIJPtS6_EEENSE_IJSB_SB_EEENS0_18inequality_wrapperIN6hipcub16HIPCUB_304000_NS8EqualityEEEPlJS6_EEE10hipError_tPvRmT3_T4_T5_T6_T7_T9_mT8_P12ihipStream_tbDpT10_ENKUlT_T0_E_clISt17integral_constantIbLb0EES17_EEDaS12_S13_EUlS12_E_NS1_11comp_targetILNS1_3genE5ELNS1_11target_archE942ELNS1_3gpuE9ELNS1_3repE0EEENS1_30default_config_static_selectorELNS0_4arch9wavefront6targetE1EEEvT1_: ; @_ZN7rocprim17ROCPRIM_400000_NS6detail17trampoline_kernelINS0_14default_configENS1_25partition_config_selectorILNS1_17partition_subalgoE8EtNS0_10empty_typeEbEEZZNS1_14partition_implILS5_8ELb0ES3_jPKtPS6_PKS6_NS0_5tupleIJPtS6_EEENSE_IJSB_SB_EEENS0_18inequality_wrapperIN6hipcub16HIPCUB_304000_NS8EqualityEEEPlJS6_EEE10hipError_tPvRmT3_T4_T5_T6_T7_T9_mT8_P12ihipStream_tbDpT10_ENKUlT_T0_E_clISt17integral_constantIbLb0EES17_EEDaS12_S13_EUlS12_E_NS1_11comp_targetILNS1_3genE5ELNS1_11target_archE942ELNS1_3gpuE9ELNS1_3repE0EEENS1_30default_config_static_selectorELNS0_4arch9wavefront6targetE1EEEvT1_
; %bb.0:
	s_load_dwordx2 s[8:9], s[0:1], 0x50
	s_load_dwordx4 s[4:7], s[0:1], 0x8
	s_load_dwordx4 s[64:67], s[0:1], 0x40
	s_load_dword s3, s[0:1], 0x68
	s_waitcnt lgkmcnt(0)
	v_mov_b32_e32 v3, s9
	s_lshl_b64 s[10:11], s[6:7], 1
	s_add_u32 s10, s4, s10
	s_mul_i32 s9, s3, 0x3c00
	s_addc_u32 s11, s5, s11
	s_add_i32 s12, s3, -1
	s_add_i32 s3, s9, s6
	s_sub_i32 s3, s8, s3
	v_mov_b32_e32 v2, s8
	s_add_u32 s8, s6, s9
	s_addc_u32 s9, s7, 0
	s_cmp_eq_u32 s2, s12
	s_load_dwordx2 s[66:67], s[66:67], 0x0
	v_cmp_ge_u64_e32 vcc, s[8:9], v[2:3]
	s_cselect_b64 s[68:69], -1, 0
	s_mul_i32 s4, s2, 0x3c00
	s_mov_b32 s5, 0
	s_and_b64 s[72:73], s[68:69], vcc
	s_xor_b64 s[70:71], s[72:73], -1
	s_lshl_b64 s[4:5], s[4:5], 1
	s_add_u32 s4, s10, s4
	s_mov_b64 s[8:9], -1
	s_addc_u32 s5, s11, s5
	s_and_b64 vcc, exec, s[70:71]
	s_cbranch_vccz .LBB756_2
; %bb.1:
	v_lshlrev_b32_e32 v2, 1, v0
	v_mov_b32_e32 v3, 0
	v_lshl_add_u64 v[4:5], s[4:5], 0, v[2:3]
	v_add_co_u32_e32 v6, vcc, 0x1000, v4
	global_load_ushort v1, v2, s[4:5]
	global_load_ushort v3, v2, s[4:5] offset:1024
	global_load_ushort v10, v2, s[4:5] offset:2048
	;; [unrolled: 1-line block ×3, first 2 shown]
	v_addc_co_u32_e32 v7, vcc, 0, v5, vcc
	v_add_co_u32_e32 v8, vcc, 0x2000, v4
	s_mov_b64 s[8:9], 0
	s_nop 0
	v_addc_co_u32_e32 v9, vcc, 0, v5, vcc
	global_load_ushort v12, v[6:7], off
	global_load_ushort v13, v[6:7], off offset:1024
	global_load_ushort v14, v[6:7], off offset:2048
	;; [unrolled: 1-line block ×3, first 2 shown]
	global_load_ushort v16, v[8:9], off
	global_load_ushort v17, v[8:9], off offset:1024
	global_load_ushort v18, v[8:9], off offset:2048
	;; [unrolled: 1-line block ×3, first 2 shown]
	v_add_co_u32_e32 v6, vcc, 0x3000, v4
	s_nop 1
	v_addc_co_u32_e32 v7, vcc, 0, v5, vcc
	v_add_co_u32_e32 v8, vcc, 0x4000, v4
	s_nop 1
	v_addc_co_u32_e32 v9, vcc, 0, v5, vcc
	global_load_ushort v20, v[6:7], off
	global_load_ushort v21, v[6:7], off offset:1024
	global_load_ushort v22, v[6:7], off offset:2048
	;; [unrolled: 1-line block ×3, first 2 shown]
	global_load_ushort v24, v[8:9], off
	global_load_ushort v25, v[8:9], off offset:1024
	global_load_ushort v26, v[8:9], off offset:2048
	;; [unrolled: 1-line block ×3, first 2 shown]
	v_add_co_u32_e32 v6, vcc, 0x5000, v4
	s_nop 1
	v_addc_co_u32_e32 v7, vcc, 0, v5, vcc
	v_add_co_u32_e32 v8, vcc, 0x6000, v4
	s_nop 1
	v_addc_co_u32_e32 v9, vcc, 0, v5, vcc
	v_add_co_u32_e32 v4, vcc, 0x7000, v4
	global_load_ushort v28, v[6:7], off
	global_load_ushort v29, v[6:7], off offset:1024
	global_load_ushort v30, v[6:7], off offset:2048
	global_load_ushort v31, v[6:7], off offset:3072
	global_load_ushort v32, v[8:9], off
	global_load_ushort v33, v[8:9], off offset:1024
	global_load_ushort v34, v[8:9], off offset:2048
	;; [unrolled: 1-line block ×3, first 2 shown]
	v_addc_co_u32_e32 v5, vcc, 0, v5, vcc
	global_load_ushort v6, v[4:5], off
	global_load_ushort v7, v[4:5], off offset:1024
	s_waitcnt vmcnt(29)
	ds_write_b16 v2, v1
	s_waitcnt vmcnt(28)
	ds_write_b16 v2, v3 offset:1024
	s_waitcnt vmcnt(27)
	ds_write_b16 v2, v10 offset:2048
	;; [unrolled: 2-line block ×29, first 2 shown]
	s_waitcnt lgkmcnt(0)
	s_barrier
.LBB756_2:
	s_andn2_b64 vcc, exec, s[8:9]
	s_addk_i32 s3, 0x3c00
	s_cbranch_vccnz .LBB756_64
; %bb.3:
	v_cmp_gt_u32_e32 vcc, s3, v0
                                        ; implicit-def: $vgpr1
	s_and_saveexec_b64 s[8:9], vcc
	s_cbranch_execz .LBB756_5
; %bb.4:
	v_lshlrev_b32_e32 v1, 1, v0
	global_load_ushort v1, v1, s[4:5]
.LBB756_5:
	s_or_b64 exec, exec, s[8:9]
	v_or_b32_e32 v2, 0x200, v0
	v_cmp_gt_u32_e32 vcc, s3, v2
                                        ; implicit-def: $vgpr2
	s_and_saveexec_b64 s[8:9], vcc
	s_cbranch_execz .LBB756_7
; %bb.6:
	v_lshlrev_b32_e32 v2, 1, v0
	global_load_ushort v2, v2, s[4:5] offset:1024
.LBB756_7:
	s_or_b64 exec, exec, s[8:9]
	v_or_b32_e32 v3, 0x400, v0
	v_cmp_gt_u32_e32 vcc, s3, v3
                                        ; implicit-def: $vgpr3
	s_and_saveexec_b64 s[8:9], vcc
	s_cbranch_execz .LBB756_9
; %bb.8:
	v_lshlrev_b32_e32 v3, 1, v0
	global_load_ushort v3, v3, s[4:5] offset:2048
.LBB756_9:
	s_or_b64 exec, exec, s[8:9]
	v_or_b32_e32 v4, 0x600, v0
	v_cmp_gt_u32_e32 vcc, s3, v4
                                        ; implicit-def: $vgpr4
	s_and_saveexec_b64 s[8:9], vcc
	s_cbranch_execz .LBB756_11
; %bb.10:
	v_lshlrev_b32_e32 v4, 1, v0
	global_load_ushort v4, v4, s[4:5] offset:3072
.LBB756_11:
	s_or_b64 exec, exec, s[8:9]
	v_or_b32_e32 v6, 0x800, v0
	v_cmp_gt_u32_e32 vcc, s3, v6
                                        ; implicit-def: $vgpr5
	s_and_saveexec_b64 s[8:9], vcc
	s_cbranch_execz .LBB756_13
; %bb.12:
	v_lshlrev_b32_e32 v5, 1, v6
	global_load_ushort v5, v5, s[4:5]
.LBB756_13:
	s_or_b64 exec, exec, s[8:9]
	v_or_b32_e32 v7, 0xa00, v0
	v_cmp_gt_u32_e32 vcc, s3, v7
                                        ; implicit-def: $vgpr6
	s_and_saveexec_b64 s[8:9], vcc
	s_cbranch_execz .LBB756_15
; %bb.14:
	v_lshlrev_b32_e32 v6, 1, v7
	global_load_ushort v6, v6, s[4:5]
.LBB756_15:
	s_or_b64 exec, exec, s[8:9]
	v_or_b32_e32 v8, 0xc00, v0
	v_cmp_gt_u32_e32 vcc, s3, v8
                                        ; implicit-def: $vgpr7
	s_and_saveexec_b64 s[8:9], vcc
	s_cbranch_execz .LBB756_17
; %bb.16:
	v_lshlrev_b32_e32 v7, 1, v8
	global_load_ushort v7, v7, s[4:5]
.LBB756_17:
	s_or_b64 exec, exec, s[8:9]
	v_or_b32_e32 v9, 0xe00, v0
	v_cmp_gt_u32_e32 vcc, s3, v9
                                        ; implicit-def: $vgpr8
	s_and_saveexec_b64 s[8:9], vcc
	s_cbranch_execz .LBB756_19
; %bb.18:
	v_lshlrev_b32_e32 v8, 1, v9
	global_load_ushort v8, v8, s[4:5]
.LBB756_19:
	s_or_b64 exec, exec, s[8:9]
	v_or_b32_e32 v10, 0x1000, v0
	v_cmp_gt_u32_e32 vcc, s3, v10
                                        ; implicit-def: $vgpr9
	s_and_saveexec_b64 s[8:9], vcc
	s_cbranch_execz .LBB756_21
; %bb.20:
	v_lshlrev_b32_e32 v9, 1, v10
	global_load_ushort v9, v9, s[4:5]
.LBB756_21:
	s_or_b64 exec, exec, s[8:9]
	v_or_b32_e32 v11, 0x1200, v0
	v_cmp_gt_u32_e32 vcc, s3, v11
                                        ; implicit-def: $vgpr10
	s_and_saveexec_b64 s[8:9], vcc
	s_cbranch_execz .LBB756_23
; %bb.22:
	v_lshlrev_b32_e32 v10, 1, v11
	global_load_ushort v10, v10, s[4:5]
.LBB756_23:
	s_or_b64 exec, exec, s[8:9]
	v_or_b32_e32 v12, 0x1400, v0
	v_cmp_gt_u32_e32 vcc, s3, v12
                                        ; implicit-def: $vgpr11
	s_and_saveexec_b64 s[8:9], vcc
	s_cbranch_execz .LBB756_25
; %bb.24:
	v_lshlrev_b32_e32 v11, 1, v12
	global_load_ushort v11, v11, s[4:5]
.LBB756_25:
	s_or_b64 exec, exec, s[8:9]
	v_or_b32_e32 v13, 0x1600, v0
	v_cmp_gt_u32_e32 vcc, s3, v13
                                        ; implicit-def: $vgpr12
	s_and_saveexec_b64 s[8:9], vcc
	s_cbranch_execz .LBB756_27
; %bb.26:
	v_lshlrev_b32_e32 v12, 1, v13
	global_load_ushort v12, v12, s[4:5]
.LBB756_27:
	s_or_b64 exec, exec, s[8:9]
	v_or_b32_e32 v14, 0x1800, v0
	v_cmp_gt_u32_e32 vcc, s3, v14
                                        ; implicit-def: $vgpr13
	s_and_saveexec_b64 s[8:9], vcc
	s_cbranch_execz .LBB756_29
; %bb.28:
	v_lshlrev_b32_e32 v13, 1, v14
	global_load_ushort v13, v13, s[4:5]
.LBB756_29:
	s_or_b64 exec, exec, s[8:9]
	v_or_b32_e32 v15, 0x1a00, v0
	v_cmp_gt_u32_e32 vcc, s3, v15
                                        ; implicit-def: $vgpr14
	s_and_saveexec_b64 s[8:9], vcc
	s_cbranch_execz .LBB756_31
; %bb.30:
	v_lshlrev_b32_e32 v14, 1, v15
	global_load_ushort v14, v14, s[4:5]
.LBB756_31:
	s_or_b64 exec, exec, s[8:9]
	v_or_b32_e32 v16, 0x1c00, v0
	v_cmp_gt_u32_e32 vcc, s3, v16
                                        ; implicit-def: $vgpr15
	s_and_saveexec_b64 s[8:9], vcc
	s_cbranch_execz .LBB756_33
; %bb.32:
	v_lshlrev_b32_e32 v15, 1, v16
	global_load_ushort v15, v15, s[4:5]
.LBB756_33:
	s_or_b64 exec, exec, s[8:9]
	v_or_b32_e32 v17, 0x1e00, v0
	v_cmp_gt_u32_e32 vcc, s3, v17
                                        ; implicit-def: $vgpr16
	s_and_saveexec_b64 s[8:9], vcc
	s_cbranch_execz .LBB756_35
; %bb.34:
	v_lshlrev_b32_e32 v16, 1, v17
	global_load_ushort v16, v16, s[4:5]
.LBB756_35:
	s_or_b64 exec, exec, s[8:9]
	v_or_b32_e32 v18, 0x2000, v0
	v_cmp_gt_u32_e32 vcc, s3, v18
                                        ; implicit-def: $vgpr17
	s_and_saveexec_b64 s[8:9], vcc
	s_cbranch_execz .LBB756_37
; %bb.36:
	v_lshlrev_b32_e32 v17, 1, v18
	global_load_ushort v17, v17, s[4:5]
.LBB756_37:
	s_or_b64 exec, exec, s[8:9]
	v_or_b32_e32 v19, 0x2200, v0
	v_cmp_gt_u32_e32 vcc, s3, v19
                                        ; implicit-def: $vgpr18
	s_and_saveexec_b64 s[8:9], vcc
	s_cbranch_execz .LBB756_39
; %bb.38:
	v_lshlrev_b32_e32 v18, 1, v19
	global_load_ushort v18, v18, s[4:5]
.LBB756_39:
	s_or_b64 exec, exec, s[8:9]
	v_or_b32_e32 v20, 0x2400, v0
	v_cmp_gt_u32_e32 vcc, s3, v20
                                        ; implicit-def: $vgpr19
	s_and_saveexec_b64 s[8:9], vcc
	s_cbranch_execz .LBB756_41
; %bb.40:
	v_lshlrev_b32_e32 v19, 1, v20
	global_load_ushort v19, v19, s[4:5]
.LBB756_41:
	s_or_b64 exec, exec, s[8:9]
	v_or_b32_e32 v21, 0x2600, v0
	v_cmp_gt_u32_e32 vcc, s3, v21
                                        ; implicit-def: $vgpr20
	s_and_saveexec_b64 s[8:9], vcc
	s_cbranch_execz .LBB756_43
; %bb.42:
	v_lshlrev_b32_e32 v20, 1, v21
	global_load_ushort v20, v20, s[4:5]
.LBB756_43:
	s_or_b64 exec, exec, s[8:9]
	v_or_b32_e32 v22, 0x2800, v0
	v_cmp_gt_u32_e32 vcc, s3, v22
                                        ; implicit-def: $vgpr21
	s_and_saveexec_b64 s[8:9], vcc
	s_cbranch_execz .LBB756_45
; %bb.44:
	v_lshlrev_b32_e32 v21, 1, v22
	global_load_ushort v21, v21, s[4:5]
.LBB756_45:
	s_or_b64 exec, exec, s[8:9]
	v_or_b32_e32 v23, 0x2a00, v0
	v_cmp_gt_u32_e32 vcc, s3, v23
                                        ; implicit-def: $vgpr22
	s_and_saveexec_b64 s[8:9], vcc
	s_cbranch_execz .LBB756_47
; %bb.46:
	v_lshlrev_b32_e32 v22, 1, v23
	global_load_ushort v22, v22, s[4:5]
.LBB756_47:
	s_or_b64 exec, exec, s[8:9]
	v_or_b32_e32 v24, 0x2c00, v0
	v_cmp_gt_u32_e32 vcc, s3, v24
                                        ; implicit-def: $vgpr23
	s_and_saveexec_b64 s[8:9], vcc
	s_cbranch_execz .LBB756_49
; %bb.48:
	v_lshlrev_b32_e32 v23, 1, v24
	global_load_ushort v23, v23, s[4:5]
.LBB756_49:
	s_or_b64 exec, exec, s[8:9]
	v_or_b32_e32 v25, 0x2e00, v0
	v_cmp_gt_u32_e32 vcc, s3, v25
                                        ; implicit-def: $vgpr24
	s_and_saveexec_b64 s[8:9], vcc
	s_cbranch_execz .LBB756_51
; %bb.50:
	v_lshlrev_b32_e32 v24, 1, v25
	global_load_ushort v24, v24, s[4:5]
.LBB756_51:
	s_or_b64 exec, exec, s[8:9]
	v_or_b32_e32 v26, 0x3000, v0
	v_cmp_gt_u32_e32 vcc, s3, v26
                                        ; implicit-def: $vgpr25
	s_and_saveexec_b64 s[8:9], vcc
	s_cbranch_execz .LBB756_53
; %bb.52:
	v_lshlrev_b32_e32 v25, 1, v26
	global_load_ushort v25, v25, s[4:5]
.LBB756_53:
	s_or_b64 exec, exec, s[8:9]
	v_or_b32_e32 v27, 0x3200, v0
	v_cmp_gt_u32_e32 vcc, s3, v27
                                        ; implicit-def: $vgpr26
	s_and_saveexec_b64 s[8:9], vcc
	s_cbranch_execz .LBB756_55
; %bb.54:
	v_lshlrev_b32_e32 v26, 1, v27
	global_load_ushort v26, v26, s[4:5]
.LBB756_55:
	s_or_b64 exec, exec, s[8:9]
	v_or_b32_e32 v28, 0x3400, v0
	v_cmp_gt_u32_e32 vcc, s3, v28
                                        ; implicit-def: $vgpr27
	s_and_saveexec_b64 s[8:9], vcc
	s_cbranch_execz .LBB756_57
; %bb.56:
	v_lshlrev_b32_e32 v27, 1, v28
	global_load_ushort v27, v27, s[4:5]
.LBB756_57:
	s_or_b64 exec, exec, s[8:9]
	v_or_b32_e32 v29, 0x3600, v0
	v_cmp_gt_u32_e32 vcc, s3, v29
                                        ; implicit-def: $vgpr28
	s_and_saveexec_b64 s[8:9], vcc
	s_cbranch_execz .LBB756_59
; %bb.58:
	v_lshlrev_b32_e32 v28, 1, v29
	global_load_ushort v28, v28, s[4:5]
.LBB756_59:
	s_or_b64 exec, exec, s[8:9]
	v_or_b32_e32 v30, 0x3800, v0
	v_cmp_gt_u32_e32 vcc, s3, v30
                                        ; implicit-def: $vgpr29
	s_and_saveexec_b64 s[8:9], vcc
	s_cbranch_execz .LBB756_61
; %bb.60:
	v_lshlrev_b32_e32 v29, 1, v30
	global_load_ushort v29, v29, s[4:5]
.LBB756_61:
	s_or_b64 exec, exec, s[8:9]
	v_or_b32_e32 v31, 0x3a00, v0
	v_cmp_gt_u32_e32 vcc, s3, v31
                                        ; implicit-def: $vgpr30
	s_and_saveexec_b64 s[8:9], vcc
	s_cbranch_execz .LBB756_63
; %bb.62:
	v_lshlrev_b32_e32 v30, 1, v31
	global_load_ushort v30, v30, s[4:5]
.LBB756_63:
	s_or_b64 exec, exec, s[8:9]
	v_lshlrev_b32_e32 v31, 1, v0
	s_waitcnt vmcnt(0)
	ds_write_b16 v31, v1
	ds_write_b16 v31, v2 offset:1024
	ds_write_b16 v31, v3 offset:2048
	;; [unrolled: 1-line block ×29, first 2 shown]
	s_waitcnt lgkmcnt(0)
	s_barrier
.LBB756_64:
	v_mul_u32_u24_e32 v23, 30, v0
	v_lshlrev_b32_e32 v46, 1, v23
	s_waitcnt lgkmcnt(0)
	ds_read_b32 v80, v46 offset:56
	ds_read2_b32 v[2:3], v46 offset0:12 offset1:13
	ds_read2_b32 v[4:5], v46 offset0:10 offset1:11
	;; [unrolled: 1-line block ×3, first 2 shown]
	ds_read2_b32 v[14:15], v46 offset1:1
	ds_read2_b32 v[12:13], v46 offset0:2 offset1:3
	ds_read2_b32 v[10:11], v46 offset0:4 offset1:5
	;; [unrolled: 1-line block ×3, first 2 shown]
	s_cmp_lg_u32 s2, 0
	s_cselect_b64 s[74:75], -1, 0
	s_cmp_lg_u64 s[6:7], 0
	s_cselect_b64 s[6:7], -1, 0
	s_or_b64 s[6:7], s[74:75], s[6:7]
	v_mad_u32_u24 v16, v0, 30, 29
	v_mad_u32_u24 v17, v0, 30, 28
	s_waitcnt lgkmcnt(7)
	v_lshrrev_b32_e32 v1, 16, v80
	v_mad_u32_u24 v18, v0, 30, 27
	s_waitcnt lgkmcnt(6)
	v_lshrrev_b32_e32 v82, 16, v2
	v_lshrrev_b32_e32 v81, 16, v3
	v_mad_u32_u24 v19, v0, 30, 26
	v_mad_u32_u24 v20, v0, 30, 25
	;; [unrolled: 1-line block ×4, first 2 shown]
	s_waitcnt lgkmcnt(5)
	v_lshrrev_b32_e32 v84, 16, v4
	v_lshrrev_b32_e32 v83, 16, v5
	v_mad_u32_u24 v24, v0, 30, 22
	s_waitcnt lgkmcnt(3)
	v_lshrrev_b32_e32 v100, 16, v14
	v_lshrrev_b32_e32 v98, 16, v15
	v_or_b32_e32 v45, 1, v23
	v_mad_u32_u24 v44, v0, 30, 2
	v_mad_u32_u24 v42, v0, 30, 3
	v_mad_u32_u24 v40, v0, 30, 4
	s_waitcnt lgkmcnt(2)
	v_lshrrev_b32_e32 v96, 16, v12
	v_lshrrev_b32_e32 v94, 16, v13
	v_mad_u32_u24 v43, v0, 30, 5
	v_mad_u32_u24 v41, v0, 30, 6
	v_mad_u32_u24 v38, v0, 30, 7
	v_mad_u32_u24 v36, v0, 30, 8
	s_waitcnt lgkmcnt(1)
	v_lshrrev_b32_e32 v92, 16, v10
	v_lshrrev_b32_e32 v90, 16, v11
	v_mad_u32_u24 v39, v0, 30, 9
	;; [unrolled: 7-line block ×3, first 2 shown]
	v_mad_u32_u24 v33, v0, 30, 14
	v_mad_u32_u24 v30, v0, 30, 15
	;; [unrolled: 1-line block ×3, first 2 shown]
	v_lshrrev_b32_e32 v86, 16, v6
	v_lshrrev_b32_e32 v85, 16, v7
	v_mad_u32_u24 v31, v0, 30, 17
	v_mad_u32_u24 v29, v0, 30, 18
	v_mad_u32_u24 v27, v0, 30, 19
	v_mad_u32_u24 v26, v0, 30, 20
	v_mad_u32_u24 v25, v0, 30, 21
	s_mov_b64 s[76:77], 0
	s_and_b64 vcc, exec, s[6:7]
	s_barrier
	s_cbranch_vccz .LBB756_69
; %bb.65:
	v_mov_b32_e32 v47, 0
	global_load_ushort v47, v47, s[4:5] offset:-2
	v_lshlrev_b32_e32 v48, 1, v0
	s_and_b64 vcc, exec, s[70:71]
	ds_write_b16 v48, v1
	s_cbranch_vccz .LBB756_71
; %bb.66:
	v_cmp_ne_u32_e32 vcc, 0, v0
	s_waitcnt vmcnt(0)
	v_mov_b32_e32 v49, v47
	s_waitcnt lgkmcnt(0)
	s_barrier
	s_and_saveexec_b64 s[4:5], vcc
	s_cbranch_execz .LBB756_68
; %bb.67:
	v_add_u32_e32 v49, -2, v48
	ds_read_u16 v49, v49
.LBB756_68:
	s_or_b64 exec, exec, s[4:5]
	v_cmp_ne_u16_e32 vcc, v80, v1
	s_waitcnt lgkmcnt(0)
	v_cmp_ne_u16_e64 s[4:5], v49, v14
	v_cndmask_b32_e64 v89, 0, 1, vcc
	v_cmp_ne_u16_e32 vcc, v81, v80
	s_nop 1
	v_cndmask_b32_e64 v91, 0, 1, vcc
	v_cmp_ne_u16_e32 vcc, v3, v81
	s_nop 1
	;; [unrolled: 3-line block ×28, first 2 shown]
	v_cndmask_b32_e64 v123, 0, 1, vcc
	s_branch .LBB756_75
.LBB756_69:
                                        ; implicit-def: $sgpr4_sgpr5
                                        ; implicit-def: $vgpr123
                                        ; implicit-def: $vgpr122
                                        ; implicit-def: $vgpr121
                                        ; implicit-def: $vgpr120
                                        ; implicit-def: $vgpr119
                                        ; implicit-def: $vgpr118
                                        ; implicit-def: $vgpr117
                                        ; implicit-def: $vgpr116
                                        ; implicit-def: $vgpr115
                                        ; implicit-def: $vgpr114
                                        ; implicit-def: $vgpr113
                                        ; implicit-def: $vgpr112
                                        ; implicit-def: $vgpr111
                                        ; implicit-def: $vgpr110
                                        ; implicit-def: $vgpr109
                                        ; implicit-def: $vgpr108
                                        ; implicit-def: $vgpr107
                                        ; implicit-def: $vgpr106
                                        ; implicit-def: $vgpr105
                                        ; implicit-def: $vgpr104
                                        ; implicit-def: $vgpr103
                                        ; implicit-def: $vgpr102
                                        ; implicit-def: $vgpr101
                                        ; implicit-def: $vgpr99
                                        ; implicit-def: $vgpr97
                                        ; implicit-def: $vgpr95
                                        ; implicit-def: $vgpr93
                                        ; implicit-def: $vgpr91
                                        ; implicit-def: $vgpr89
	s_branch .LBB756_76
.LBB756_70:
                                        ; implicit-def: $sgpr8
	s_branch .LBB756_84
.LBB756_71:
                                        ; implicit-def: $sgpr4_sgpr5
                                        ; implicit-def: $vgpr123
                                        ; implicit-def: $vgpr122
                                        ; implicit-def: $vgpr121
                                        ; implicit-def: $vgpr120
                                        ; implicit-def: $vgpr119
                                        ; implicit-def: $vgpr118
                                        ; implicit-def: $vgpr117
                                        ; implicit-def: $vgpr116
                                        ; implicit-def: $vgpr115
                                        ; implicit-def: $vgpr114
                                        ; implicit-def: $vgpr113
                                        ; implicit-def: $vgpr112
                                        ; implicit-def: $vgpr111
                                        ; implicit-def: $vgpr110
                                        ; implicit-def: $vgpr109
                                        ; implicit-def: $vgpr108
                                        ; implicit-def: $vgpr107
                                        ; implicit-def: $vgpr106
                                        ; implicit-def: $vgpr105
                                        ; implicit-def: $vgpr104
                                        ; implicit-def: $vgpr103
                                        ; implicit-def: $vgpr102
                                        ; implicit-def: $vgpr101
                                        ; implicit-def: $vgpr99
                                        ; implicit-def: $vgpr97
                                        ; implicit-def: $vgpr95
                                        ; implicit-def: $vgpr93
                                        ; implicit-def: $vgpr91
                                        ; implicit-def: $vgpr89
	s_cbranch_execz .LBB756_75
; %bb.72:
	v_cmp_ne_u32_e32 vcc, 0, v0
	s_waitcnt lgkmcnt(0)
	s_barrier
	s_and_saveexec_b64 s[4:5], vcc
	s_cbranch_execz .LBB756_74
; %bb.73:
	s_waitcnt vmcnt(0)
	v_add_u32_e32 v47, -2, v48
	ds_read_u16 v47, v47
.LBB756_74:
	s_or_b64 exec, exec, s[4:5]
	v_cmp_gt_u32_e32 vcc, s3, v16
	v_cmp_ne_u16_e64 s[4:5], v80, v1
	s_and_b64 s[4:5], vcc, s[4:5]
	v_cmp_gt_u32_e32 vcc, s3, v17
	v_cndmask_b32_e64 v89, 0, 1, s[4:5]
	v_cmp_ne_u16_e64 s[4:5], v81, v80
	s_and_b64 s[4:5], vcc, s[4:5]
	v_cmp_gt_u32_e32 vcc, s3, v18
	v_cndmask_b32_e64 v91, 0, 1, s[4:5]
	;; [unrolled: 4-line block ×29, first 2 shown]
	s_waitcnt vmcnt(0) lgkmcnt(0)
	v_cmp_ne_u16_e64 s[4:5], v47, v14
	s_and_b64 s[4:5], vcc, s[4:5]
.LBB756_75:
	s_mov_b64 s[76:77], -1
	s_cbranch_execnz .LBB756_70
.LBB756_76:
	s_movk_i32 s4, 0xffc6
	v_mad_i32_i24 v46, v0, s4, v46
	s_and_b64 vcc, exec, s[70:71]
	v_cmp_ne_u16_e64 s[62:63], v80, v1
	v_cmp_ne_u16_e64 s[4:5], v81, v80
	;; [unrolled: 1-line block ×29, first 2 shown]
	ds_write_b16 v46, v1
	s_cbranch_vccz .LBB756_80
; %bb.77:
	v_cndmask_b32_e64 v89, 0, 1, s[62:63]
	v_cndmask_b32_e64 v91, 0, 1, s[4:5]
	;; [unrolled: 1-line block ×29, first 2 shown]
	v_cmp_ne_u32_e32 vcc, 0, v0
	s_waitcnt lgkmcnt(0)
	s_barrier
	s_waitcnt lgkmcnt(0)
                                        ; implicit-def: $sgpr4_sgpr5
	s_and_saveexec_b64 s[6:7], vcc
	s_xor_b64 s[6:7], exec, s[6:7]
	s_cbranch_execz .LBB756_79
; %bb.78:
	s_waitcnt vmcnt(0)
	v_add_u32_e32 v47, -2, v46
	ds_read_u16 v47, v47
	s_or_b64 s[76:77], s[76:77], exec
	s_waitcnt lgkmcnt(0)
	v_cmp_ne_u16_e32 vcc, v47, v14
	s_and_b64 s[4:5], vcc, exec
.LBB756_79:
	s_or_b64 exec, exec, s[6:7]
	s_mov_b32 s8, 1
	s_branch .LBB756_84
.LBB756_80:
                                        ; implicit-def: $sgpr4_sgpr5
                                        ; implicit-def: $vgpr123
                                        ; implicit-def: $vgpr122
                                        ; implicit-def: $vgpr121
                                        ; implicit-def: $vgpr120
                                        ; implicit-def: $vgpr119
                                        ; implicit-def: $vgpr118
                                        ; implicit-def: $vgpr117
                                        ; implicit-def: $vgpr116
                                        ; implicit-def: $vgpr115
                                        ; implicit-def: $vgpr114
                                        ; implicit-def: $vgpr113
                                        ; implicit-def: $vgpr112
                                        ; implicit-def: $vgpr111
                                        ; implicit-def: $vgpr110
                                        ; implicit-def: $vgpr109
                                        ; implicit-def: $vgpr108
                                        ; implicit-def: $vgpr107
                                        ; implicit-def: $vgpr106
                                        ; implicit-def: $vgpr105
                                        ; implicit-def: $vgpr104
                                        ; implicit-def: $vgpr103
                                        ; implicit-def: $vgpr102
                                        ; implicit-def: $vgpr101
                                        ; implicit-def: $vgpr99
                                        ; implicit-def: $vgpr97
                                        ; implicit-def: $vgpr95
                                        ; implicit-def: $vgpr93
                                        ; implicit-def: $vgpr91
                                        ; implicit-def: $vgpr89
                                        ; implicit-def: $sgpr8
	s_cbranch_execz .LBB756_84
; %bb.81:
	v_cmp_gt_u32_e32 vcc, s3, v16
	v_cmp_ne_u16_e64 s[4:5], v80, v1
	s_and_b64 s[4:5], vcc, s[4:5]
	v_cmp_gt_u32_e32 vcc, s3, v17
	v_cndmask_b32_e64 v89, 0, 1, s[4:5]
	v_cmp_ne_u16_e64 s[4:5], v81, v80
	s_and_b64 s[4:5], vcc, s[4:5]
	v_cmp_gt_u32_e32 vcc, s3, v18
	v_cndmask_b32_e64 v91, 0, 1, s[4:5]
	;; [unrolled: 4-line block ×28, first 2 shown]
	v_cmp_ne_u16_e64 s[4:5], v14, v100
	s_and_b64 s[4:5], vcc, s[4:5]
	v_cmp_ne_u32_e32 vcc, 0, v0
	v_cndmask_b32_e64 v123, 0, 1, s[4:5]
	s_waitcnt lgkmcnt(0)
	s_barrier
	s_waitcnt lgkmcnt(0)
                                        ; implicit-def: $sgpr4_sgpr5
	s_and_saveexec_b64 s[6:7], vcc
	s_cbranch_execz .LBB756_83
; %bb.82:
	v_add_u32_e32 v46, -2, v46
	ds_read_u16 v46, v46
	v_cmp_gt_u32_e32 vcc, s3, v23
	s_or_b64 s[76:77], s[76:77], exec
	s_waitcnt lgkmcnt(0)
	v_cmp_ne_u16_e64 s[4:5], v46, v14
	s_and_b64 s[4:5], vcc, s[4:5]
	s_and_b64 s[4:5], s[4:5], exec
.LBB756_83:
	s_or_b64 exec, exec, s[6:7]
	s_mov_b32 s8, 1
.LBB756_84:
	v_mov_b32_e32 v124, s8
	s_and_saveexec_b64 s[6:7], s[76:77]
; %bb.85:
	v_cndmask_b32_e64 v124, 0, 1, s[4:5]
; %bb.86:
	s_or_b64 exec, exec, s[6:7]
	s_load_dwordx2 s[20:21], s[0:1], 0x60
	s_andn2_b64 vcc, exec, s[72:73]
	s_cbranch_vccnz .LBB756_88
; %bb.87:
	v_cmp_gt_u32_e32 vcc, s3, v23
	s_nop 1
	v_cndmask_b32_e32 v124, 0, v124, vcc
	v_cmp_gt_u32_e32 vcc, s3, v45
	s_nop 1
	v_cndmask_b32_e32 v123, 0, v123, vcc
	;; [unrolled: 3-line block ×30, first 2 shown]
.LBB756_88:
	v_and_b32_e32 v61, 0xff, v95
	v_and_b32_e32 v63, 0xff, v93
	v_add_u32_sdwa v16, v91, v89 dst_sel:DWORD dst_unused:UNUSED_PAD src0_sel:BYTE_0 src1_sel:BYTE_0
	v_and_b32_e32 v57, 0xff, v99
	v_and_b32_e32 v59, 0xff, v97
	v_add3_u32 v16, v16, v63, v61
	v_and_b32_e32 v53, 0xff, v102
	v_and_b32_e32 v55, 0xff, v101
	v_add3_u32 v16, v16, v59, v57
	;; [unrolled: 3-line block ×3, first 2 shown]
	v_and_b32_e32 v45, 0xff, v106
	s_waitcnt vmcnt(0)
	v_and_b32_e32 v47, 0xff, v105
	v_add3_u32 v16, v16, v51, v49
	v_and_b32_e32 v42, 0xff, v108
	v_and_b32_e32 v43, 0xff, v107
	v_add3_u32 v16, v16, v47, v45
	v_and_b32_e32 v40, 0xff, v110
	;; [unrolled: 3-line block ×9, first 2 shown]
	v_and_b32_e32 v27, 0xff, v123
	v_add3_u32 v16, v16, v29, v28
	v_add3_u32 v48, v16, v27, v26
	v_mbcnt_lo_u32_b32 v16, -1, 0
	v_mbcnt_hi_u32_b32 v44, -1, v16
	v_and_b32_e32 v16, 15, v44
	v_cmp_eq_u32_e64 s[14:15], 0, v16
	v_cmp_lt_u32_e64 s[12:13], 1, v16
	v_cmp_lt_u32_e64 s[10:11], 3, v16
	;; [unrolled: 1-line block ×3, first 2 shown]
	v_and_b32_e32 v16, 16, v44
	v_cmp_eq_u32_e64 s[6:7], 0, v16
	v_or_b32_e32 v16, 63, v0
	v_cmp_lt_u32_e64 s[18:19], 31, v44
	v_lshrrev_b32_e32 v46, 6, v0
	v_cmp_eq_u32_e64 s[4:5], v16, v0
	s_and_b64 vcc, exec, s[74:75]
	s_waitcnt lgkmcnt(0)
	s_barrier
	s_cbranch_vccz .LBB756_115
; %bb.89:
	v_mov_b32_dpp v16, v48 row_shr:1 row_mask:0xf bank_mask:0xf
	v_cndmask_b32_e64 v16, v16, 0, s[14:15]
	v_add_u32_e32 v16, v16, v48
	s_nop 1
	v_mov_b32_dpp v17, v16 row_shr:2 row_mask:0xf bank_mask:0xf
	v_cndmask_b32_e64 v17, 0, v17, s[12:13]
	v_add_u32_e32 v16, v16, v17
	s_nop 1
	;; [unrolled: 4-line block ×4, first 2 shown]
	v_mov_b32_dpp v17, v16 row_bcast:15 row_mask:0xf bank_mask:0xf
	v_cndmask_b32_e64 v17, v17, 0, s[6:7]
	v_add_u32_e32 v16, v16, v17
	s_nop 1
	v_mov_b32_dpp v17, v16 row_bcast:31 row_mask:0xf bank_mask:0xf
	v_cndmask_b32_e64 v17, 0, v17, s[18:19]
	v_add_u32_e32 v16, v16, v17
	s_and_saveexec_b64 s[16:17], s[4:5]
	s_cbranch_execz .LBB756_91
; %bb.90:
	v_lshlrev_b32_e32 v17, 2, v46
	ds_write_b32 v17, v16
.LBB756_91:
	s_or_b64 exec, exec, s[16:17]
	v_cmp_gt_u32_e32 vcc, 8, v0
	s_waitcnt lgkmcnt(0)
	s_barrier
	s_and_saveexec_b64 s[16:17], vcc
	s_cbranch_execz .LBB756_93
; %bb.92:
	v_lshlrev_b32_e32 v17, 2, v0
	ds_read_b32 v18, v17
	v_and_b32_e32 v19, 7, v44
	v_cmp_ne_u32_e32 vcc, 0, v19
	s_waitcnt lgkmcnt(0)
	v_mov_b32_dpp v20, v18 row_shr:1 row_mask:0xf bank_mask:0xf
	v_cndmask_b32_e32 v20, 0, v20, vcc
	v_add_u32_e32 v18, v20, v18
	v_cmp_lt_u32_e32 vcc, 1, v19
	s_nop 0
	v_mov_b32_dpp v20, v18 row_shr:2 row_mask:0xf bank_mask:0xf
	v_cndmask_b32_e32 v20, 0, v20, vcc
	v_add_u32_e32 v18, v18, v20
	v_cmp_lt_u32_e32 vcc, 3, v19
	s_nop 0
	v_mov_b32_dpp v20, v18 row_shr:4 row_mask:0xf bank_mask:0xf
	v_cndmask_b32_e32 v19, 0, v20, vcc
	v_add_u32_e32 v18, v18, v19
	ds_write_b32 v17, v18
.LBB756_93:
	s_or_b64 exec, exec, s[16:17]
	v_cmp_gt_u32_e32 vcc, 64, v0
	v_cmp_lt_u32_e64 s[16:17], 63, v0
	s_waitcnt lgkmcnt(0)
	s_barrier
	s_waitcnt lgkmcnt(0)
                                        ; implicit-def: $vgpr50
	s_and_saveexec_b64 s[22:23], s[16:17]
	s_cbranch_execz .LBB756_95
; %bb.94:
	v_lshl_add_u32 v17, v46, 2, -4
	ds_read_b32 v50, v17
	s_waitcnt lgkmcnt(0)
	v_add_u32_e32 v16, v50, v16
.LBB756_95:
	s_or_b64 exec, exec, s[22:23]
	v_add_u32_e32 v17, -1, v44
	v_and_b32_e32 v18, 64, v44
	v_cmp_lt_i32_e64 s[16:17], v17, v18
	s_nop 1
	v_cndmask_b32_e64 v17, v17, v44, s[16:17]
	v_lshlrev_b32_e32 v17, 2, v17
	ds_bpermute_b32 v52, v17, v16
	v_cmp_eq_u32_e64 s[16:17], 0, v44
	s_and_saveexec_b64 s[22:23], vcc
	s_cbranch_execz .LBB756_114
; %bb.96:
	v_mov_b32_e32 v23, 0
	ds_read_b32 v16, v23 offset:28
	s_and_saveexec_b64 s[24:25], s[16:17]
	s_cbranch_execz .LBB756_98
; %bb.97:
	s_add_i32 s26, s2, 64
	s_mov_b32 s27, 0
	s_lshl_b64 s[26:27], s[26:27], 3
	s_add_u32 s26, s20, s26
	v_mov_b32_e32 v17, 1
	s_addc_u32 s27, s21, s27
	s_waitcnt lgkmcnt(0)
	global_store_dwordx2 v23, v[16:17], s[26:27] sc1
.LBB756_98:
	s_or_b64 exec, exec, s[24:25]
	v_xad_u32 v18, v44, -1, s2
	v_add_u32_e32 v22, 64, v18
	v_lshl_add_u64 v[24:25], v[22:23], 3, s[20:21]
	global_load_dwordx2 v[20:21], v[24:25], off sc1
	s_waitcnt vmcnt(0)
	v_cmp_eq_u16_sdwa s[26:27], v21, v23 src0_sel:BYTE_0 src1_sel:DWORD
	s_and_saveexec_b64 s[24:25], s[26:27]
	s_cbranch_execz .LBB756_102
; %bb.99:
	s_mov_b64 s[26:27], 0
	v_mov_b32_e32 v17, 0
.LBB756_100:                            ; =>This Inner Loop Header: Depth=1
	global_load_dwordx2 v[20:21], v[24:25], off sc1
	s_waitcnt vmcnt(0)
	v_cmp_ne_u16_sdwa s[28:29], v21, v17 src0_sel:BYTE_0 src1_sel:DWORD
	s_or_b64 s[26:27], s[28:29], s[26:27]
	s_andn2_b64 exec, exec, s[26:27]
	s_cbranch_execnz .LBB756_100
; %bb.101:
	s_or_b64 exec, exec, s[26:27]
.LBB756_102:
	s_or_b64 exec, exec, s[24:25]
	v_and_b32_e32 v56, 63, v44
	v_mov_b32_e32 v54, 2
	v_cmp_ne_u32_e32 vcc, 63, v56
	v_cmp_eq_u16_sdwa s[24:25], v21, v54 src0_sel:BYTE_0 src1_sel:DWORD
	v_lshlrev_b64 v[22:23], v44, -1
	v_addc_co_u32_e32 v24, vcc, 0, v44, vcc
	v_and_b32_e32 v17, s25, v23
	v_lshlrev_b32_e32 v58, 2, v24
	v_or_b32_e32 v17, 0x80000000, v17
	ds_bpermute_b32 v24, v58, v20
	v_and_b32_e32 v19, s24, v22
	v_ffbl_b32_e32 v17, v17
	v_add_u32_e32 v17, 32, v17
	v_ffbl_b32_e32 v19, v19
	v_min_u32_e32 v17, v19, v17
	v_cmp_lt_u32_e32 vcc, v56, v17
	v_add_u32_e32 v62, 2, v56
	v_add_u32_e32 v65, 4, v56
	s_waitcnt lgkmcnt(0)
	v_cndmask_b32_e32 v19, 0, v24, vcc
	v_cmp_gt_u32_e32 vcc, 62, v56
	v_add_u32_e32 v19, v19, v20
	v_add_u32_e32 v67, 8, v56
	v_cndmask_b32_e64 v20, 0, 1, vcc
	v_lshlrev_b32_e32 v20, 1, v20
	v_add_lshl_u32 v60, v20, v44, 2
	ds_bpermute_b32 v20, v60, v19
	v_cmp_le_u32_e32 vcc, v62, v17
	v_add_u32_e32 v69, 16, v56
	v_add_u32_e32 v71, 32, v56
	s_waitcnt lgkmcnt(0)
	v_cndmask_b32_e32 v20, 0, v20, vcc
	v_cmp_gt_u32_e32 vcc, 60, v56
	v_add_u32_e32 v19, v19, v20
	s_nop 0
	v_cndmask_b32_e64 v20, 0, 1, vcc
	v_lshlrev_b32_e32 v20, 2, v20
	v_add_lshl_u32 v64, v20, v44, 2
	ds_bpermute_b32 v20, v64, v19
	v_cmp_le_u32_e32 vcc, v65, v17
	s_waitcnt lgkmcnt(0)
	s_nop 0
	v_cndmask_b32_e32 v20, 0, v20, vcc
	v_cmp_gt_u32_e32 vcc, 56, v56
	v_add_u32_e32 v19, v19, v20
	s_nop 0
	v_cndmask_b32_e64 v20, 0, 1, vcc
	v_lshlrev_b32_e32 v20, 3, v20
	v_add_lshl_u32 v66, v20, v44, 2
	ds_bpermute_b32 v20, v66, v19
	v_cmp_le_u32_e32 vcc, v67, v17
	s_waitcnt lgkmcnt(0)
	s_nop 0
	;; [unrolled: 11-line block ×4, first 2 shown]
	v_cndmask_b32_e32 v17, 0, v20, vcc
	v_add_u32_e32 v20, v19, v17
	v_mov_b32_e32 v19, 0
	s_branch .LBB756_104
.LBB756_103:                            ;   in Loop: Header=BB756_104 Depth=1
	s_or_b64 exec, exec, s[24:25]
	v_cmp_eq_u16_sdwa s[24:25], v21, v54 src0_sel:BYTE_0 src1_sel:DWORD
	ds_bpermute_b32 v72, v58, v20
	v_subrev_u32_e32 v18, 64, v18
	v_and_b32_e32 v24, s25, v23
	v_or_b32_e32 v24, 0x80000000, v24
	v_and_b32_e32 v25, s24, v22
	v_ffbl_b32_e32 v24, v24
	v_add_u32_e32 v24, 32, v24
	v_ffbl_b32_e32 v25, v25
	v_min_u32_e32 v24, v25, v24
	v_cmp_lt_u32_e32 vcc, v56, v24
	s_waitcnt lgkmcnt(0)
	s_nop 0
	v_cndmask_b32_e32 v25, 0, v72, vcc
	v_add_u32_e32 v20, v25, v20
	ds_bpermute_b32 v25, v60, v20
	v_cmp_le_u32_e32 vcc, v62, v24
	s_waitcnt lgkmcnt(0)
	s_nop 0
	v_cndmask_b32_e32 v25, 0, v25, vcc
	v_add_u32_e32 v20, v20, v25
	ds_bpermute_b32 v25, v64, v20
	v_cmp_le_u32_e32 vcc, v65, v24
	s_waitcnt lgkmcnt(0)
	s_nop 0
	v_cndmask_b32_e32 v25, 0, v25, vcc
	v_add_u32_e32 v20, v20, v25
	ds_bpermute_b32 v25, v66, v20
	v_cmp_le_u32_e32 vcc, v67, v24
	s_waitcnt lgkmcnt(0)
	s_nop 0
	v_cndmask_b32_e32 v25, 0, v25, vcc
	v_add_u32_e32 v20, v20, v25
	ds_bpermute_b32 v25, v68, v20
	v_cmp_le_u32_e32 vcc, v69, v24
	s_waitcnt lgkmcnt(0)
	s_nop 0
	v_cndmask_b32_e32 v25, 0, v25, vcc
	v_add_u32_e32 v20, v20, v25
	ds_bpermute_b32 v25, v70, v20
	v_cmp_le_u32_e32 vcc, v71, v24
	s_waitcnt lgkmcnt(0)
	s_nop 0
	v_cndmask_b32_e32 v24, 0, v25, vcc
	v_add3_u32 v20, v24, v17, v20
.LBB756_104:                            ; =>This Loop Header: Depth=1
                                        ;     Child Loop BB756_107 Depth 2
	v_cmp_ne_u16_sdwa s[24:25], v21, v54 src0_sel:BYTE_0 src1_sel:DWORD
	s_nop 1
	v_cndmask_b32_e64 v17, 0, 1, s[24:25]
	;;#ASMSTART
	;;#ASMEND
	s_nop 0
	v_cmp_ne_u32_e32 vcc, 0, v17
	s_cmp_lg_u64 vcc, exec
	v_mov_b32_e32 v17, v20
	s_cbranch_scc1 .LBB756_109
; %bb.105:                              ;   in Loop: Header=BB756_104 Depth=1
	v_lshl_add_u64 v[24:25], v[18:19], 3, s[20:21]
	global_load_dwordx2 v[20:21], v[24:25], off sc1
	s_waitcnt vmcnt(0)
	v_cmp_eq_u16_sdwa s[26:27], v21, v19 src0_sel:BYTE_0 src1_sel:DWORD
	s_and_saveexec_b64 s[24:25], s[26:27]
	s_cbranch_execz .LBB756_103
; %bb.106:                              ;   in Loop: Header=BB756_104 Depth=1
	s_mov_b64 s[26:27], 0
.LBB756_107:                            ;   Parent Loop BB756_104 Depth=1
                                        ; =>  This Inner Loop Header: Depth=2
	global_load_dwordx2 v[20:21], v[24:25], off sc1
	s_waitcnt vmcnt(0)
	v_cmp_ne_u16_sdwa s[28:29], v21, v19 src0_sel:BYTE_0 src1_sel:DWORD
	s_or_b64 s[26:27], s[28:29], s[26:27]
	s_andn2_b64 exec, exec, s[26:27]
	s_cbranch_execnz .LBB756_107
; %bb.108:                              ;   in Loop: Header=BB756_104 Depth=1
	s_or_b64 exec, exec, s[26:27]
	s_branch .LBB756_103
.LBB756_109:                            ;   in Loop: Header=BB756_104 Depth=1
                                        ; implicit-def: $vgpr20
                                        ; implicit-def: $vgpr21
	s_cbranch_execz .LBB756_104
; %bb.110:
	s_and_saveexec_b64 s[24:25], s[16:17]
	s_cbranch_execz .LBB756_112
; %bb.111:
	s_add_i32 s2, s2, 64
	s_mov_b32 s3, 0
	s_lshl_b64 s[2:3], s[2:3], 3
	s_add_u32 s2, s20, s2
	v_add_u32_e32 v18, v17, v16
	v_mov_b32_e32 v19, 2
	s_addc_u32 s3, s21, s3
	v_mov_b32_e32 v20, 0
	global_store_dwordx2 v20, v[18:19], s[2:3] sc1
	ds_write_b64 v20, v[16:17] offset:30720
.LBB756_112:
	s_or_b64 exec, exec, s[24:25]
	v_cmp_eq_u32_e32 vcc, 0, v0
	s_and_b64 exec, exec, vcc
	s_cbranch_execz .LBB756_114
; %bb.113:
	v_mov_b32_e32 v16, 0
	ds_write_b32 v16, v17 offset:28
.LBB756_114:
	s_or_b64 exec, exec, s[22:23]
	v_mov_b32_e32 v16, 0
	s_waitcnt lgkmcnt(0)
	s_barrier
	ds_read_b32 v19, v16 offset:28
	s_waitcnt lgkmcnt(0)
	s_barrier
	ds_read_b64 v[16:17], v16 offset:30720
	v_cndmask_b32_e64 v18, v52, v50, s[16:17]
	v_cmp_ne_u32_e32 vcc, 0, v0
	s_nop 1
	v_cndmask_b32_e32 v18, 0, v18, vcc
	v_add_u32_e32 v72, v19, v18
	s_waitcnt lgkmcnt(0)
	v_mov_b32_e32 v18, v17
	s_load_dwordx2 s[2:3], s[0:1], 0x28
	s_branch .LBB756_125
.LBB756_115:
                                        ; implicit-def: $vgpr18
                                        ; implicit-def: $vgpr16
                                        ; implicit-def: $vgpr72
	s_load_dwordx2 s[2:3], s[0:1], 0x28
	s_cbranch_execz .LBB756_125
; %bb.116:
	v_mov_b32_dpp v16, v48 row_shr:1 row_mask:0xf bank_mask:0xf
	v_cndmask_b32_e64 v16, v16, 0, s[14:15]
	v_add_u32_e32 v16, v16, v48
	s_nop 1
	v_mov_b32_dpp v17, v16 row_shr:2 row_mask:0xf bank_mask:0xf
	v_cndmask_b32_e64 v17, 0, v17, s[12:13]
	v_add_u32_e32 v16, v16, v17
	s_nop 1
	v_mov_b32_dpp v17, v16 row_shr:4 row_mask:0xf bank_mask:0xf
	v_cndmask_b32_e64 v17, 0, v17, s[10:11]
	v_add_u32_e32 v16, v16, v17
	s_nop 1
	v_mov_b32_dpp v17, v16 row_shr:8 row_mask:0xf bank_mask:0xf
	v_cndmask_b32_e64 v17, 0, v17, s[8:9]
	v_add_u32_e32 v16, v16, v17
	s_nop 1
	v_mov_b32_dpp v17, v16 row_bcast:15 row_mask:0xf bank_mask:0xf
	v_cndmask_b32_e64 v17, v17, 0, s[6:7]
	v_add_u32_e32 v16, v16, v17
	s_nop 1
	v_mov_b32_dpp v17, v16 row_bcast:31 row_mask:0xf bank_mask:0xf
	v_cndmask_b32_e64 v17, 0, v17, s[18:19]
	v_add_u32_e32 v16, v16, v17
	s_and_saveexec_b64 s[0:1], s[4:5]
	s_cbranch_execz .LBB756_118
; %bb.117:
	v_lshlrev_b32_e32 v17, 2, v46
	ds_write_b32 v17, v16
.LBB756_118:
	s_or_b64 exec, exec, s[0:1]
	v_cmp_gt_u32_e32 vcc, 8, v0
	s_waitcnt lgkmcnt(0)
	s_barrier
	s_and_saveexec_b64 s[0:1], vcc
	s_cbranch_execz .LBB756_120
; %bb.119:
	v_lshlrev_b32_e32 v17, 2, v0
	ds_read_b32 v18, v17
	v_and_b32_e32 v19, 7, v44
	v_cmp_ne_u32_e32 vcc, 0, v19
	s_waitcnt lgkmcnt(0)
	v_mov_b32_dpp v20, v18 row_shr:1 row_mask:0xf bank_mask:0xf
	v_cndmask_b32_e32 v20, 0, v20, vcc
	v_add_u32_e32 v18, v20, v18
	v_cmp_lt_u32_e32 vcc, 1, v19
	s_nop 0
	v_mov_b32_dpp v20, v18 row_shr:2 row_mask:0xf bank_mask:0xf
	v_cndmask_b32_e32 v20, 0, v20, vcc
	v_add_u32_e32 v18, v18, v20
	v_cmp_lt_u32_e32 vcc, 3, v19
	s_nop 0
	v_mov_b32_dpp v20, v18 row_shr:4 row_mask:0xf bank_mask:0xf
	v_cndmask_b32_e32 v19, 0, v20, vcc
	v_add_u32_e32 v18, v18, v19
	ds_write_b32 v17, v18
.LBB756_120:
	s_or_b64 exec, exec, s[0:1]
	v_cmp_lt_u32_e32 vcc, 63, v0
	v_mov_b32_e32 v17, 0
	v_mov_b32_e32 v18, 0
	s_waitcnt lgkmcnt(0)
	s_barrier
	s_and_saveexec_b64 s[0:1], vcc
	s_cbranch_execz .LBB756_122
; %bb.121:
	v_lshl_add_u32 v18, v46, 2, -4
	ds_read_b32 v18, v18
.LBB756_122:
	s_or_b64 exec, exec, s[0:1]
	v_add_u32_e32 v19, -1, v44
	v_and_b32_e32 v20, 64, v44
	v_cmp_lt_i32_e32 vcc, v19, v20
	s_waitcnt lgkmcnt(0)
	v_add_u32_e32 v16, v18, v16
	v_cndmask_b32_e32 v19, v19, v44, vcc
	v_lshlrev_b32_e32 v19, 2, v19
	ds_bpermute_b32 v19, v19, v16
	ds_read_b32 v16, v17 offset:28
	v_cmp_eq_u32_e32 vcc, 0, v0
	s_and_saveexec_b64 s[0:1], vcc
	s_cbranch_execz .LBB756_124
; %bb.123:
	v_mov_b32_e32 v20, 0
	v_mov_b32_e32 v17, 2
	s_waitcnt lgkmcnt(0)
	global_store_dwordx2 v20, v[16:17], s[20:21] offset:512 sc1
.LBB756_124:
	s_or_b64 exec, exec, s[0:1]
	v_cmp_eq_u32_e64 s[0:1], 0, v44
	s_waitcnt lgkmcnt(0)
	s_barrier
	v_cndmask_b32_e64 v17, v19, v18, s[0:1]
	v_mov_b32_e32 v18, 0
	v_cndmask_b32_e64 v72, v17, 0, vcc
.LBB756_125:
	v_add_u32_e32 v78, v72, v26
	v_add_u32_e32 v76, v78, v27
	v_add_u32_e32 v74, v76, v28
	v_add_u32_e32 v70, v74, v29
	v_add_u32_e32 v68, v70, v30
	v_add_u32_e32 v66, v68, v31
	v_add_u32_e32 v64, v66, v32
	v_add_u32_e32 v62, v64, v33
	v_add_u32_e32 v60, v62, v34
	v_add_u32_e32 v58, v60, v35
	v_add_u32_e32 v56, v58, v36
	v_add_u32_e32 v54, v56, v37
	v_add_u32_e32 v52, v54, v38
	v_add_u32_e32 v50, v52, v39
	v_add_u32_e32 v48, v50, v40
	v_add_u32_e32 v46, v48, v41
	v_add_u32_e32 v44, v46, v42
	v_add_u32_e32 v42, v44, v43
	v_add_u32_e32 v40, v42, v45
	v_add_u32_e32 v38, v40, v47
	v_add_u32_e32 v36, v38, v49
	v_add_u32_e32 v34, v36, v51
	v_add_u32_e32 v32, v34, v53
	v_add_u32_e32 v30, v32, v55
	v_add_u32_e32 v28, v30, v57
	v_add_u32_e32 v26, v28, v59
	v_add_u32_e32 v24, v26, v61
	s_movk_i32 s0, 0x201
	v_add_u32_e32 v22, v24, v63
	v_cmp_gt_u32_e32 vcc, s0, v16
	v_add_u32_sdwa v20, v22, v91 dst_sel:DWORD dst_unused:UNUSED_PAD src0_sel:DWORD src1_sel:BYTE_0
	s_mov_b64 s[0:1], -1
	s_cbranch_vccnz .LBB756_129
; %bb.126:
	s_and_b64 vcc, exec, s[0:1]
	s_cbranch_vccnz .LBB756_220
.LBB756_127:
	v_cmp_eq_u32_e32 vcc, 0, v0
	s_and_b64 s[0:1], vcc, s[68:69]
	s_waitcnt lgkmcnt(0)
	s_and_saveexec_b64 s[2:3], s[0:1]
	s_cbranch_execnz .LBB756_294
.LBB756_128:
	s_endpgm
.LBB756_129:
	v_add_u32_e32 v17, v18, v16
	s_lshl_b64 s[0:1], s[66:67], 1
	s_waitcnt lgkmcnt(0)
	s_add_u32 s0, s2, s0
	v_cmp_lt_u32_e32 vcc, v72, v17
	s_addc_u32 s1, s3, s1
	s_or_b64 s[6:7], s[70:71], vcc
	s_and_saveexec_b64 s[4:5], s[6:7]
	s_cbranch_execz .LBB756_132
; %bb.130:
	v_and_b32_e32 v19, 1, v124
	v_cmp_eq_u32_e32 vcc, 1, v19
	s_and_b64 exec, exec, vcc
	s_cbranch_execz .LBB756_132
; %bb.131:
	v_mov_b32_e32 v73, 0
	v_lshl_add_u64 v[126:127], v[72:73], 1, s[0:1]
	global_store_short v[126:127], v14, off
.LBB756_132:
	s_or_b64 exec, exec, s[4:5]
	v_cmp_lt_u32_e32 vcc, v78, v17
	s_or_b64 s[6:7], s[70:71], vcc
	s_and_saveexec_b64 s[4:5], s[6:7]
	s_cbranch_execz .LBB756_135
; %bb.133:
	v_and_b32_e32 v19, 1, v123
	v_cmp_eq_u32_e32 vcc, 1, v19
	s_and_b64 exec, exec, vcc
	s_cbranch_execz .LBB756_135
; %bb.134:
	v_mov_b32_e32 v79, 0
	v_lshl_add_u64 v[126:127], v[78:79], 1, s[0:1]
	global_store_short v[126:127], v100, off
.LBB756_135:
	s_or_b64 exec, exec, s[4:5]
	v_cmp_lt_u32_e32 vcc, v76, v17
	;; [unrolled: 15-line block ×29, first 2 shown]
	s_or_b64 s[6:7], s[70:71], vcc
	s_and_saveexec_b64 s[4:5], s[6:7]
	s_cbranch_execz .LBB756_219
; %bb.217:
	v_and_b32_e32 v17, 1, v89
	v_cmp_eq_u32_e32 vcc, 1, v17
	s_and_b64 exec, exec, vcc
	s_cbranch_execz .LBB756_219
; %bb.218:
	v_mov_b32_e32 v21, 0
	v_lshl_add_u64 v[126:127], v[20:21], 1, s[0:1]
	global_store_short v[126:127], v1, off
.LBB756_219:
	s_or_b64 exec, exec, s[4:5]
	s_branch .LBB756_127
.LBB756_220:
	v_and_b32_e32 v17, 1, v124
	v_cmp_eq_u32_e32 vcc, 1, v17
	s_and_saveexec_b64 s[0:1], vcc
	s_cbranch_execz .LBB756_222
; %bb.221:
	v_sub_u32_e32 v17, v72, v18
	v_lshlrev_b32_e32 v17, 1, v17
	ds_write_b16 v17, v14
.LBB756_222:
	s_or_b64 exec, exec, s[0:1]
	v_and_b32_e32 v14, 1, v123
	v_cmp_eq_u32_e32 vcc, 1, v14
	s_and_saveexec_b64 s[0:1], vcc
	s_cbranch_execz .LBB756_224
; %bb.223:
	v_sub_u32_e32 v14, v78, v18
	v_lshlrev_b32_e32 v14, 1, v14
	ds_write_b16 v14, v100
.LBB756_224:
	s_or_b64 exec, exec, s[0:1]
	v_and_b32_e32 v14, 1, v122
	v_cmp_eq_u32_e32 vcc, 1, v14
	s_and_saveexec_b64 s[0:1], vcc
	s_cbranch_execz .LBB756_226
; %bb.225:
	v_sub_u32_e32 v14, v76, v18
	v_lshlrev_b32_e32 v14, 1, v14
	ds_write_b16 v14, v15
.LBB756_226:
	s_or_b64 exec, exec, s[0:1]
	v_and_b32_e32 v14, 1, v121
	v_cmp_eq_u32_e32 vcc, 1, v14
	s_and_saveexec_b64 s[0:1], vcc
	s_cbranch_execz .LBB756_228
; %bb.227:
	v_sub_u32_e32 v14, v74, v18
	v_lshlrev_b32_e32 v14, 1, v14
	ds_write_b16 v14, v98
.LBB756_228:
	s_or_b64 exec, exec, s[0:1]
	v_and_b32_e32 v14, 1, v120
	v_cmp_eq_u32_e32 vcc, 1, v14
	s_and_saveexec_b64 s[0:1], vcc
	s_cbranch_execz .LBB756_230
; %bb.229:
	v_sub_u32_e32 v14, v70, v18
	v_lshlrev_b32_e32 v14, 1, v14
	ds_write_b16 v14, v12
.LBB756_230:
	s_or_b64 exec, exec, s[0:1]
	v_and_b32_e32 v12, 1, v119
	v_cmp_eq_u32_e32 vcc, 1, v12
	s_and_saveexec_b64 s[0:1], vcc
	s_cbranch_execz .LBB756_232
; %bb.231:
	v_sub_u32_e32 v12, v68, v18
	v_lshlrev_b32_e32 v12, 1, v12
	ds_write_b16 v12, v96
.LBB756_232:
	s_or_b64 exec, exec, s[0:1]
	v_and_b32_e32 v12, 1, v118
	v_cmp_eq_u32_e32 vcc, 1, v12
	s_and_saveexec_b64 s[0:1], vcc
	s_cbranch_execz .LBB756_234
; %bb.233:
	v_sub_u32_e32 v12, v66, v18
	v_lshlrev_b32_e32 v12, 1, v12
	ds_write_b16 v12, v13
.LBB756_234:
	s_or_b64 exec, exec, s[0:1]
	v_and_b32_e32 v12, 1, v117
	v_cmp_eq_u32_e32 vcc, 1, v12
	s_and_saveexec_b64 s[0:1], vcc
	s_cbranch_execz .LBB756_236
; %bb.235:
	v_sub_u32_e32 v12, v64, v18
	v_lshlrev_b32_e32 v12, 1, v12
	ds_write_b16 v12, v94
.LBB756_236:
	s_or_b64 exec, exec, s[0:1]
	v_and_b32_e32 v12, 1, v116
	v_cmp_eq_u32_e32 vcc, 1, v12
	s_and_saveexec_b64 s[0:1], vcc
	s_cbranch_execz .LBB756_238
; %bb.237:
	v_sub_u32_e32 v12, v62, v18
	v_lshlrev_b32_e32 v12, 1, v12
	ds_write_b16 v12, v10
.LBB756_238:
	s_or_b64 exec, exec, s[0:1]
	v_and_b32_e32 v10, 1, v115
	v_cmp_eq_u32_e32 vcc, 1, v10
	s_and_saveexec_b64 s[0:1], vcc
	s_cbranch_execz .LBB756_240
; %bb.239:
	v_sub_u32_e32 v10, v60, v18
	v_lshlrev_b32_e32 v10, 1, v10
	ds_write_b16 v10, v92
.LBB756_240:
	s_or_b64 exec, exec, s[0:1]
	v_and_b32_e32 v10, 1, v114
	v_cmp_eq_u32_e32 vcc, 1, v10
	s_and_saveexec_b64 s[0:1], vcc
	s_cbranch_execz .LBB756_242
; %bb.241:
	v_sub_u32_e32 v10, v58, v18
	v_lshlrev_b32_e32 v10, 1, v10
	ds_write_b16 v10, v11
.LBB756_242:
	s_or_b64 exec, exec, s[0:1]
	v_and_b32_e32 v10, 1, v113
	v_cmp_eq_u32_e32 vcc, 1, v10
	s_and_saveexec_b64 s[0:1], vcc
	s_cbranch_execz .LBB756_244
; %bb.243:
	v_sub_u32_e32 v10, v56, v18
	v_lshlrev_b32_e32 v10, 1, v10
	ds_write_b16 v10, v90
.LBB756_244:
	s_or_b64 exec, exec, s[0:1]
	v_and_b32_e32 v10, 1, v112
	v_cmp_eq_u32_e32 vcc, 1, v10
	s_and_saveexec_b64 s[0:1], vcc
	s_cbranch_execz .LBB756_246
; %bb.245:
	v_sub_u32_e32 v10, v54, v18
	v_lshlrev_b32_e32 v10, 1, v10
	ds_write_b16 v10, v8
.LBB756_246:
	s_or_b64 exec, exec, s[0:1]
	v_and_b32_e32 v8, 1, v111
	v_cmp_eq_u32_e32 vcc, 1, v8
	s_and_saveexec_b64 s[0:1], vcc
	s_cbranch_execz .LBB756_248
; %bb.247:
	v_sub_u32_e32 v8, v52, v18
	v_lshlrev_b32_e32 v8, 1, v8
	ds_write_b16 v8, v88
.LBB756_248:
	s_or_b64 exec, exec, s[0:1]
	v_and_b32_e32 v8, 1, v110
	v_cmp_eq_u32_e32 vcc, 1, v8
	s_and_saveexec_b64 s[0:1], vcc
	s_cbranch_execz .LBB756_250
; %bb.249:
	v_sub_u32_e32 v8, v50, v18
	v_lshlrev_b32_e32 v8, 1, v8
	ds_write_b16 v8, v9
.LBB756_250:
	s_or_b64 exec, exec, s[0:1]
	v_and_b32_e32 v8, 1, v109
	v_cmp_eq_u32_e32 vcc, 1, v8
	s_and_saveexec_b64 s[0:1], vcc
	s_cbranch_execz .LBB756_252
; %bb.251:
	v_sub_u32_e32 v8, v48, v18
	v_lshlrev_b32_e32 v8, 1, v8
	ds_write_b16 v8, v87
.LBB756_252:
	s_or_b64 exec, exec, s[0:1]
	v_and_b32_e32 v8, 1, v108
	v_cmp_eq_u32_e32 vcc, 1, v8
	s_and_saveexec_b64 s[0:1], vcc
	s_cbranch_execz .LBB756_254
; %bb.253:
	v_sub_u32_e32 v8, v46, v18
	v_lshlrev_b32_e32 v8, 1, v8
	ds_write_b16 v8, v6
.LBB756_254:
	s_or_b64 exec, exec, s[0:1]
	v_and_b32_e32 v6, 1, v107
	v_cmp_eq_u32_e32 vcc, 1, v6
	s_and_saveexec_b64 s[0:1], vcc
	s_cbranch_execz .LBB756_256
; %bb.255:
	v_sub_u32_e32 v6, v44, v18
	v_lshlrev_b32_e32 v6, 1, v6
	ds_write_b16 v6, v86
.LBB756_256:
	s_or_b64 exec, exec, s[0:1]
	v_and_b32_e32 v6, 1, v106
	v_cmp_eq_u32_e32 vcc, 1, v6
	s_and_saveexec_b64 s[0:1], vcc
	s_cbranch_execz .LBB756_258
; %bb.257:
	v_sub_u32_e32 v6, v42, v18
	v_lshlrev_b32_e32 v6, 1, v6
	ds_write_b16 v6, v7
.LBB756_258:
	s_or_b64 exec, exec, s[0:1]
	v_and_b32_e32 v6, 1, v105
	v_cmp_eq_u32_e32 vcc, 1, v6
	s_and_saveexec_b64 s[0:1], vcc
	s_cbranch_execz .LBB756_260
; %bb.259:
	v_sub_u32_e32 v6, v40, v18
	v_lshlrev_b32_e32 v6, 1, v6
	ds_write_b16 v6, v85
.LBB756_260:
	s_or_b64 exec, exec, s[0:1]
	v_and_b32_e32 v6, 1, v104
	v_cmp_eq_u32_e32 vcc, 1, v6
	s_and_saveexec_b64 s[0:1], vcc
	s_cbranch_execz .LBB756_262
; %bb.261:
	v_sub_u32_e32 v6, v38, v18
	v_lshlrev_b32_e32 v6, 1, v6
	ds_write_b16 v6, v4
.LBB756_262:
	s_or_b64 exec, exec, s[0:1]
	v_and_b32_e32 v4, 1, v103
	v_cmp_eq_u32_e32 vcc, 1, v4
	s_and_saveexec_b64 s[0:1], vcc
	s_cbranch_execz .LBB756_264
; %bb.263:
	v_sub_u32_e32 v4, v36, v18
	v_lshlrev_b32_e32 v4, 1, v4
	ds_write_b16 v4, v84
.LBB756_264:
	s_or_b64 exec, exec, s[0:1]
	v_and_b32_e32 v4, 1, v102
	v_cmp_eq_u32_e32 vcc, 1, v4
	s_and_saveexec_b64 s[0:1], vcc
	s_cbranch_execz .LBB756_266
; %bb.265:
	v_sub_u32_e32 v4, v34, v18
	v_lshlrev_b32_e32 v4, 1, v4
	ds_write_b16 v4, v5
.LBB756_266:
	s_or_b64 exec, exec, s[0:1]
	v_and_b32_e32 v4, 1, v101
	v_cmp_eq_u32_e32 vcc, 1, v4
	s_and_saveexec_b64 s[0:1], vcc
	s_cbranch_execz .LBB756_268
; %bb.267:
	v_sub_u32_e32 v4, v32, v18
	v_lshlrev_b32_e32 v4, 1, v4
	ds_write_b16 v4, v83
.LBB756_268:
	s_or_b64 exec, exec, s[0:1]
	v_and_b32_e32 v4, 1, v99
	v_cmp_eq_u32_e32 vcc, 1, v4
	s_and_saveexec_b64 s[0:1], vcc
	s_cbranch_execz .LBB756_270
; %bb.269:
	v_sub_u32_e32 v4, v30, v18
	v_lshlrev_b32_e32 v4, 1, v4
	ds_write_b16 v4, v2
.LBB756_270:
	s_or_b64 exec, exec, s[0:1]
	v_and_b32_e32 v2, 1, v97
	v_cmp_eq_u32_e32 vcc, 1, v2
	s_and_saveexec_b64 s[0:1], vcc
	s_cbranch_execz .LBB756_272
; %bb.271:
	v_sub_u32_e32 v2, v28, v18
	v_lshlrev_b32_e32 v2, 1, v2
	ds_write_b16 v2, v82
.LBB756_272:
	s_or_b64 exec, exec, s[0:1]
	v_and_b32_e32 v2, 1, v95
	v_cmp_eq_u32_e32 vcc, 1, v2
	s_and_saveexec_b64 s[0:1], vcc
	s_cbranch_execz .LBB756_274
; %bb.273:
	v_sub_u32_e32 v2, v26, v18
	v_lshlrev_b32_e32 v2, 1, v2
	ds_write_b16 v2, v3
.LBB756_274:
	s_or_b64 exec, exec, s[0:1]
	v_and_b32_e32 v2, 1, v93
	v_cmp_eq_u32_e32 vcc, 1, v2
	s_and_saveexec_b64 s[0:1], vcc
	s_cbranch_execz .LBB756_276
; %bb.275:
	v_sub_u32_e32 v2, v24, v18
	v_lshlrev_b32_e32 v2, 1, v2
	ds_write_b16 v2, v81
.LBB756_276:
	s_or_b64 exec, exec, s[0:1]
	v_and_b32_e32 v2, 1, v91
	v_cmp_eq_u32_e32 vcc, 1, v2
	s_and_saveexec_b64 s[0:1], vcc
	s_cbranch_execz .LBB756_278
; %bb.277:
	v_sub_u32_e32 v2, v22, v18
	v_lshlrev_b32_e32 v2, 1, v2
	ds_write_b16 v2, v80
.LBB756_278:
	s_or_b64 exec, exec, s[0:1]
	v_and_b32_e32 v2, 1, v89
	v_cmp_eq_u32_e32 vcc, 1, v2
	s_and_saveexec_b64 s[0:1], vcc
	s_cbranch_execz .LBB756_280
; %bb.279:
	v_sub_u32_e32 v2, v20, v18
	v_lshlrev_b32_e32 v2, 1, v2
	ds_write_b16 v2, v1
.LBB756_280:
	s_or_b64 exec, exec, s[0:1]
	v_cmp_lt_u32_e32 vcc, v0, v16
	s_waitcnt lgkmcnt(0)
	s_barrier
	s_and_saveexec_b64 s[0:1], vcc
	s_cbranch_execz .LBB756_293
; %bb.281:
	s_lshl_b64 s[4:5], s[66:67], 1
	v_mov_b32_e32 v19, 0
	s_add_u32 s2, s2, s4
	s_addc_u32 s3, s3, s5
	v_lshlrev_b64 v[2:3], 1, v[18:19]
	v_lshl_add_u64 v[8:9], s[2:3], 0, v[2:3]
	v_xad_u32 v1, v0, -1, v16
	s_movk_i32 s2, 0x5ff
	v_cmp_lt_u32_e32 vcc, s2, v1
	s_mov_b64 s[4:5], -1
	v_mov_b32_e32 v2, v0
	s_and_saveexec_b64 s[2:3], vcc
	s_cbranch_execz .LBB756_290
; %bb.282:
	v_lshrrev_b32_e32 v12, 9, v1
	v_add_u32_e32 v4, -3, v12
	v_or_b32_e32 v3, 0x600, v0
	v_or_b32_e32 v2, 0x400, v0
	v_lshrrev_b32_e32 v5, 2, v4
	v_or_b32_e32 v1, 0x200, v0
	v_add_u32_e32 v14, 1, v5
	v_cmp_lt_u32_e32 vcc, 11, v4
	v_mov_b64_e32 v[6:7], v[2:3]
	v_lshlrev_b32_e32 v13, 1, v0
	v_mov_b64_e32 v[4:5], v[0:1]
	s_and_saveexec_b64 s[4:5], vcc
	s_cbranch_execz .LBB756_286
; %bb.283:
	v_mov_b64_e32 v[6:7], v[2:3]
	v_and_b32_e32 v15, 0x7ffffffc, v14
	s_mov_b32 s8, 0
	s_mov_b64 s[6:7], 0
	v_mov_b32_e32 v11, 0
	v_mov_b32_e32 v17, v13
	v_mov_b64_e32 v[4:5], v[0:1]
.LBB756_284:                            ; =>This Inner Loop Header: Depth=1
	v_mov_b32_e32 v10, v4
	ds_read_u16 v1, v17
	ds_read_u16 v44, v17 offset:1024
	ds_read_u16 v45, v17 offset:2048
	;; [unrolled: 1-line block ×7, first 2 shown]
	v_lshl_add_u64 v[36:37], v[10:11], 1, v[8:9]
	v_mov_b32_e32 v10, v5
	v_lshl_add_u64 v[38:39], v[10:11], 1, v[8:9]
	v_mov_b32_e32 v10, v6
	ds_read_u16 v51, v17 offset:8192
	ds_read_u16 v52, v17 offset:9216
	;; [unrolled: 1-line block ×8, first 2 shown]
	v_lshl_add_u64 v[40:41], v[10:11], 1, v[8:9]
	v_mov_b32_e32 v10, v7
	v_add_u32_e32 v2, 0x800, v7
	v_mov_b32_e32 v3, v11
	v_lshl_add_u64 v[42:43], v[10:11], 1, v[8:9]
	v_add_u32_e32 v10, 0x800, v4
	v_add_u32_e32 v20, 0x800, v6
	v_add_u32_e32 v22, 0x800, v5
	v_mov_b32_e32 v23, v11
	v_mov_b32_e32 v21, v11
	v_add_u32_e32 v15, -4, v15
	v_lshl_add_u64 v[2:3], v[2:3], 1, v[8:9]
	s_waitcnt lgkmcnt(14)
	global_store_short v[36:37], v1, off
	global_store_short v[38:39], v44, off
	s_waitcnt lgkmcnt(13)
	global_store_short v[40:41], v45, off
	s_waitcnt lgkmcnt(12)
	global_store_short v[42:43], v46, off
	v_lshl_add_u64 v[36:37], v[10:11], 1, v[8:9]
	v_add_u32_e32 v10, 0x1000, v4
	v_add_u32_e32 v24, 0x1000, v7
	;; [unrolled: 1-line block ×4, first 2 shown]
	v_mov_b32_e32 v29, v11
	v_mov_b32_e32 v27, v11
	;; [unrolled: 1-line block ×3, first 2 shown]
	s_add_i32 s8, s8, 16
	v_lshl_add_u64 v[22:23], v[22:23], 1, v[8:9]
	v_lshl_add_u64 v[20:21], v[20:21], 1, v[8:9]
	v_cmp_eq_u32_e32 vcc, 0, v15
	s_waitcnt lgkmcnt(11)
	global_store_short v[36:37], v47, off
	s_waitcnt lgkmcnt(10)
	global_store_short v[22:23], v48, off
	;; [unrolled: 2-line block ×4, first 2 shown]
	v_lshl_add_u64 v[2:3], v[10:11], 1, v[8:9]
	v_add_u32_e32 v10, 0x1800, v4
	v_add_u32_e32 v30, 0x1800, v7
	;; [unrolled: 1-line block ×4, first 2 shown]
	v_mov_b32_e32 v35, v11
	v_mov_b32_e32 v33, v11
	v_mov_b32_e32 v31, v11
	v_add_u32_e32 v17, 0x4000, v17
	v_lshl_add_u64 v[28:29], v[28:29], 1, v[8:9]
	v_lshl_add_u64 v[26:27], v[26:27], 1, v[8:9]
	;; [unrolled: 1-line block ×3, first 2 shown]
	v_add_u32_e32 v5, 0x2000, v5
	v_mov_b32_e32 v19, s8
	v_add_u32_e32 v6, 0x2000, v6
	s_or_b64 s[6:7], vcc, s[6:7]
	v_add_u32_e32 v7, 0x2000, v7
	v_add_u32_e32 v4, 0x2000, v4
	s_waitcnt lgkmcnt(7)
	global_store_short v[2:3], v51, off
	s_waitcnt lgkmcnt(6)
	global_store_short v[28:29], v52, off
	;; [unrolled: 2-line block ×4, first 2 shown]
	v_lshl_add_u64 v[2:3], v[10:11], 1, v[8:9]
	v_lshl_add_u64 v[34:35], v[34:35], 1, v[8:9]
	v_lshl_add_u64 v[32:33], v[32:33], 1, v[8:9]
	v_lshl_add_u64 v[30:31], v[30:31], 1, v[8:9]
	s_waitcnt lgkmcnt(3)
	global_store_short v[2:3], v55, off
	s_waitcnt lgkmcnt(2)
	global_store_short v[34:35], v56, off
	s_waitcnt lgkmcnt(1)
	global_store_short v[32:33], v57, off
	s_waitcnt lgkmcnt(0)
	global_store_short v[30:31], v58, off
	s_andn2_b64 exec, exec, s[6:7]
	s_cbranch_execnz .LBB756_284
; %bb.285:
	s_or_b64 exec, exec, s[6:7]
.LBB756_286:
	s_or_b64 exec, exec, s[4:5]
	v_and_b32_e32 v1, 3, v14
	v_cmp_ne_u32_e32 vcc, 0, v1
	s_and_saveexec_b64 s[4:5], vcc
	s_cbranch_execz .LBB756_289
; %bb.287:
	v_lshl_or_b32 v10, v19, 10, v13
	s_mov_b64 s[6:7], 0
	v_mov_b32_e32 v3, 0
.LBB756_288:                            ; =>This Inner Loop Header: Depth=1
	ds_read_u16 v11, v10
	ds_read_u16 v13, v10 offset:1024
	ds_read_u16 v17, v10 offset:2048
	;; [unrolled: 1-line block ×3, first 2 shown]
	v_mov_b32_e32 v2, v4
	v_add_u32_e32 v1, -1, v1
	v_lshl_add_u64 v[14:15], v[2:3], 1, v[8:9]
	v_mov_b32_e32 v2, v5
	v_cmp_eq_u32_e32 vcc, 0, v1
	v_lshl_add_u64 v[20:21], v[2:3], 1, v[8:9]
	v_mov_b32_e32 v2, v6
	v_add_u32_e32 v4, 0x800, v4
	v_add_u32_e32 v10, 0x1000, v10
	v_add_u32_e32 v5, 0x800, v5
	v_add_u32_e32 v6, 0x800, v6
	s_or_b64 s[6:7], vcc, s[6:7]
	v_lshl_add_u64 v[22:23], v[2:3], 1, v[8:9]
	v_mov_b32_e32 v2, v7
	v_add_u32_e32 v7, 0x800, v7
	v_lshl_add_u64 v[24:25], v[2:3], 1, v[8:9]
	s_waitcnt lgkmcnt(3)
	global_store_short v[14:15], v11, off
	s_waitcnt lgkmcnt(2)
	global_store_short v[20:21], v13, off
	;; [unrolled: 2-line block ×4, first 2 shown]
	s_andn2_b64 exec, exec, s[6:7]
	s_cbranch_execnz .LBB756_288
.LBB756_289:
	s_or_b64 exec, exec, s[4:5]
	v_add_u32_e32 v1, 1, v12
	v_and_b32_e32 v3, 0xfffffc, v1
	v_cmp_ne_u32_e32 vcc, v1, v3
	v_lshl_or_b32 v2, v3, 9, v0
	s_orn2_b64 s[4:5], vcc, exec
.LBB756_290:
	s_or_b64 exec, exec, s[2:3]
	s_and_b64 exec, exec, s[4:5]
	s_cbranch_execz .LBB756_293
; %bb.291:
	v_lshlrev_b32_e32 v1, 1, v2
	s_mov_b64 s[2:3], 0
	v_mov_b32_e32 v3, 0
.LBB756_292:                            ; =>This Inner Loop Header: Depth=1
	ds_read_u16 v6, v1
	v_lshl_add_u64 v[4:5], v[2:3], 1, v[8:9]
	v_add_u32_e32 v2, 0x200, v2
	v_cmp_ge_u32_e32 vcc, v2, v16
	v_add_u32_e32 v1, 0x400, v1
	s_or_b64 s[2:3], vcc, s[2:3]
	s_waitcnt lgkmcnt(0)
	global_store_short v[4:5], v6, off
	s_andn2_b64 exec, exec, s[2:3]
	s_cbranch_execnz .LBB756_292
.LBB756_293:
	s_or_b64 exec, exec, s[0:1]
	v_cmp_eq_u32_e32 vcc, 0, v0
	s_and_b64 s[0:1], vcc, s[68:69]
	s_and_saveexec_b64 s[2:3], s[0:1]
	s_cbranch_execz .LBB756_128
.LBB756_294:
	v_mov_b32_e32 v17, 0
	v_lshl_add_u64 v[0:1], s[66:67], 0, v[16:17]
	v_mov_b32_e32 v19, v17
	v_lshl_add_u64 v[0:1], v[0:1], 0, v[18:19]
	global_store_dwordx2 v17, v[0:1], s[64:65]
	s_endpgm
	.section	.rodata,"a",@progbits
	.p2align	6, 0x0
	.amdhsa_kernel _ZN7rocprim17ROCPRIM_400000_NS6detail17trampoline_kernelINS0_14default_configENS1_25partition_config_selectorILNS1_17partition_subalgoE8EtNS0_10empty_typeEbEEZZNS1_14partition_implILS5_8ELb0ES3_jPKtPS6_PKS6_NS0_5tupleIJPtS6_EEENSE_IJSB_SB_EEENS0_18inequality_wrapperIN6hipcub16HIPCUB_304000_NS8EqualityEEEPlJS6_EEE10hipError_tPvRmT3_T4_T5_T6_T7_T9_mT8_P12ihipStream_tbDpT10_ENKUlT_T0_E_clISt17integral_constantIbLb0EES17_EEDaS12_S13_EUlS12_E_NS1_11comp_targetILNS1_3genE5ELNS1_11target_archE942ELNS1_3gpuE9ELNS1_3repE0EEENS1_30default_config_static_selectorELNS0_4arch9wavefront6targetE1EEEvT1_
		.amdhsa_group_segment_fixed_size 30728
		.amdhsa_private_segment_fixed_size 0
		.amdhsa_kernarg_size 112
		.amdhsa_user_sgpr_count 2
		.amdhsa_user_sgpr_dispatch_ptr 0
		.amdhsa_user_sgpr_queue_ptr 0
		.amdhsa_user_sgpr_kernarg_segment_ptr 1
		.amdhsa_user_sgpr_dispatch_id 0
		.amdhsa_user_sgpr_kernarg_preload_length 0
		.amdhsa_user_sgpr_kernarg_preload_offset 0
		.amdhsa_user_sgpr_private_segment_size 0
		.amdhsa_uses_dynamic_stack 0
		.amdhsa_enable_private_segment 0
		.amdhsa_system_sgpr_workgroup_id_x 1
		.amdhsa_system_sgpr_workgroup_id_y 0
		.amdhsa_system_sgpr_workgroup_id_z 0
		.amdhsa_system_sgpr_workgroup_info 0
		.amdhsa_system_vgpr_workitem_id 0
		.amdhsa_next_free_vgpr 128
		.amdhsa_next_free_sgpr 78
		.amdhsa_accum_offset 128
		.amdhsa_reserve_vcc 1
		.amdhsa_float_round_mode_32 0
		.amdhsa_float_round_mode_16_64 0
		.amdhsa_float_denorm_mode_32 3
		.amdhsa_float_denorm_mode_16_64 3
		.amdhsa_dx10_clamp 1
		.amdhsa_ieee_mode 1
		.amdhsa_fp16_overflow 0
		.amdhsa_tg_split 0
		.amdhsa_exception_fp_ieee_invalid_op 0
		.amdhsa_exception_fp_denorm_src 0
		.amdhsa_exception_fp_ieee_div_zero 0
		.amdhsa_exception_fp_ieee_overflow 0
		.amdhsa_exception_fp_ieee_underflow 0
		.amdhsa_exception_fp_ieee_inexact 0
		.amdhsa_exception_int_div_zero 0
	.end_amdhsa_kernel
	.section	.text._ZN7rocprim17ROCPRIM_400000_NS6detail17trampoline_kernelINS0_14default_configENS1_25partition_config_selectorILNS1_17partition_subalgoE8EtNS0_10empty_typeEbEEZZNS1_14partition_implILS5_8ELb0ES3_jPKtPS6_PKS6_NS0_5tupleIJPtS6_EEENSE_IJSB_SB_EEENS0_18inequality_wrapperIN6hipcub16HIPCUB_304000_NS8EqualityEEEPlJS6_EEE10hipError_tPvRmT3_T4_T5_T6_T7_T9_mT8_P12ihipStream_tbDpT10_ENKUlT_T0_E_clISt17integral_constantIbLb0EES17_EEDaS12_S13_EUlS12_E_NS1_11comp_targetILNS1_3genE5ELNS1_11target_archE942ELNS1_3gpuE9ELNS1_3repE0EEENS1_30default_config_static_selectorELNS0_4arch9wavefront6targetE1EEEvT1_,"axG",@progbits,_ZN7rocprim17ROCPRIM_400000_NS6detail17trampoline_kernelINS0_14default_configENS1_25partition_config_selectorILNS1_17partition_subalgoE8EtNS0_10empty_typeEbEEZZNS1_14partition_implILS5_8ELb0ES3_jPKtPS6_PKS6_NS0_5tupleIJPtS6_EEENSE_IJSB_SB_EEENS0_18inequality_wrapperIN6hipcub16HIPCUB_304000_NS8EqualityEEEPlJS6_EEE10hipError_tPvRmT3_T4_T5_T6_T7_T9_mT8_P12ihipStream_tbDpT10_ENKUlT_T0_E_clISt17integral_constantIbLb0EES17_EEDaS12_S13_EUlS12_E_NS1_11comp_targetILNS1_3genE5ELNS1_11target_archE942ELNS1_3gpuE9ELNS1_3repE0EEENS1_30default_config_static_selectorELNS0_4arch9wavefront6targetE1EEEvT1_,comdat
.Lfunc_end756:
	.size	_ZN7rocprim17ROCPRIM_400000_NS6detail17trampoline_kernelINS0_14default_configENS1_25partition_config_selectorILNS1_17partition_subalgoE8EtNS0_10empty_typeEbEEZZNS1_14partition_implILS5_8ELb0ES3_jPKtPS6_PKS6_NS0_5tupleIJPtS6_EEENSE_IJSB_SB_EEENS0_18inequality_wrapperIN6hipcub16HIPCUB_304000_NS8EqualityEEEPlJS6_EEE10hipError_tPvRmT3_T4_T5_T6_T7_T9_mT8_P12ihipStream_tbDpT10_ENKUlT_T0_E_clISt17integral_constantIbLb0EES17_EEDaS12_S13_EUlS12_E_NS1_11comp_targetILNS1_3genE5ELNS1_11target_archE942ELNS1_3gpuE9ELNS1_3repE0EEENS1_30default_config_static_selectorELNS0_4arch9wavefront6targetE1EEEvT1_, .Lfunc_end756-_ZN7rocprim17ROCPRIM_400000_NS6detail17trampoline_kernelINS0_14default_configENS1_25partition_config_selectorILNS1_17partition_subalgoE8EtNS0_10empty_typeEbEEZZNS1_14partition_implILS5_8ELb0ES3_jPKtPS6_PKS6_NS0_5tupleIJPtS6_EEENSE_IJSB_SB_EEENS0_18inequality_wrapperIN6hipcub16HIPCUB_304000_NS8EqualityEEEPlJS6_EEE10hipError_tPvRmT3_T4_T5_T6_T7_T9_mT8_P12ihipStream_tbDpT10_ENKUlT_T0_E_clISt17integral_constantIbLb0EES17_EEDaS12_S13_EUlS12_E_NS1_11comp_targetILNS1_3genE5ELNS1_11target_archE942ELNS1_3gpuE9ELNS1_3repE0EEENS1_30default_config_static_selectorELNS0_4arch9wavefront6targetE1EEEvT1_
                                        ; -- End function
	.section	.AMDGPU.csdata,"",@progbits
; Kernel info:
; codeLenInByte = 12272
; NumSgprs: 84
; NumVgprs: 128
; NumAgprs: 0
; TotalNumVgprs: 128
; ScratchSize: 0
; MemoryBound: 0
; FloatMode: 240
; IeeeMode: 1
; LDSByteSize: 30728 bytes/workgroup (compile time only)
; SGPRBlocks: 10
; VGPRBlocks: 15
; NumSGPRsForWavesPerEU: 84
; NumVGPRsForWavesPerEU: 128
; AccumOffset: 128
; Occupancy: 4
; WaveLimiterHint : 1
; COMPUTE_PGM_RSRC2:SCRATCH_EN: 0
; COMPUTE_PGM_RSRC2:USER_SGPR: 2
; COMPUTE_PGM_RSRC2:TRAP_HANDLER: 0
; COMPUTE_PGM_RSRC2:TGID_X_EN: 1
; COMPUTE_PGM_RSRC2:TGID_Y_EN: 0
; COMPUTE_PGM_RSRC2:TGID_Z_EN: 0
; COMPUTE_PGM_RSRC2:TIDIG_COMP_CNT: 0
; COMPUTE_PGM_RSRC3_GFX90A:ACCUM_OFFSET: 31
; COMPUTE_PGM_RSRC3_GFX90A:TG_SPLIT: 0
	.section	.text._ZN7rocprim17ROCPRIM_400000_NS6detail17trampoline_kernelINS0_14default_configENS1_25partition_config_selectorILNS1_17partition_subalgoE8EtNS0_10empty_typeEbEEZZNS1_14partition_implILS5_8ELb0ES3_jPKtPS6_PKS6_NS0_5tupleIJPtS6_EEENSE_IJSB_SB_EEENS0_18inequality_wrapperIN6hipcub16HIPCUB_304000_NS8EqualityEEEPlJS6_EEE10hipError_tPvRmT3_T4_T5_T6_T7_T9_mT8_P12ihipStream_tbDpT10_ENKUlT_T0_E_clISt17integral_constantIbLb0EES17_EEDaS12_S13_EUlS12_E_NS1_11comp_targetILNS1_3genE4ELNS1_11target_archE910ELNS1_3gpuE8ELNS1_3repE0EEENS1_30default_config_static_selectorELNS0_4arch9wavefront6targetE1EEEvT1_,"axG",@progbits,_ZN7rocprim17ROCPRIM_400000_NS6detail17trampoline_kernelINS0_14default_configENS1_25partition_config_selectorILNS1_17partition_subalgoE8EtNS0_10empty_typeEbEEZZNS1_14partition_implILS5_8ELb0ES3_jPKtPS6_PKS6_NS0_5tupleIJPtS6_EEENSE_IJSB_SB_EEENS0_18inequality_wrapperIN6hipcub16HIPCUB_304000_NS8EqualityEEEPlJS6_EEE10hipError_tPvRmT3_T4_T5_T6_T7_T9_mT8_P12ihipStream_tbDpT10_ENKUlT_T0_E_clISt17integral_constantIbLb0EES17_EEDaS12_S13_EUlS12_E_NS1_11comp_targetILNS1_3genE4ELNS1_11target_archE910ELNS1_3gpuE8ELNS1_3repE0EEENS1_30default_config_static_selectorELNS0_4arch9wavefront6targetE1EEEvT1_,comdat
	.protected	_ZN7rocprim17ROCPRIM_400000_NS6detail17trampoline_kernelINS0_14default_configENS1_25partition_config_selectorILNS1_17partition_subalgoE8EtNS0_10empty_typeEbEEZZNS1_14partition_implILS5_8ELb0ES3_jPKtPS6_PKS6_NS0_5tupleIJPtS6_EEENSE_IJSB_SB_EEENS0_18inequality_wrapperIN6hipcub16HIPCUB_304000_NS8EqualityEEEPlJS6_EEE10hipError_tPvRmT3_T4_T5_T6_T7_T9_mT8_P12ihipStream_tbDpT10_ENKUlT_T0_E_clISt17integral_constantIbLb0EES17_EEDaS12_S13_EUlS12_E_NS1_11comp_targetILNS1_3genE4ELNS1_11target_archE910ELNS1_3gpuE8ELNS1_3repE0EEENS1_30default_config_static_selectorELNS0_4arch9wavefront6targetE1EEEvT1_ ; -- Begin function _ZN7rocprim17ROCPRIM_400000_NS6detail17trampoline_kernelINS0_14default_configENS1_25partition_config_selectorILNS1_17partition_subalgoE8EtNS0_10empty_typeEbEEZZNS1_14partition_implILS5_8ELb0ES3_jPKtPS6_PKS6_NS0_5tupleIJPtS6_EEENSE_IJSB_SB_EEENS0_18inequality_wrapperIN6hipcub16HIPCUB_304000_NS8EqualityEEEPlJS6_EEE10hipError_tPvRmT3_T4_T5_T6_T7_T9_mT8_P12ihipStream_tbDpT10_ENKUlT_T0_E_clISt17integral_constantIbLb0EES17_EEDaS12_S13_EUlS12_E_NS1_11comp_targetILNS1_3genE4ELNS1_11target_archE910ELNS1_3gpuE8ELNS1_3repE0EEENS1_30default_config_static_selectorELNS0_4arch9wavefront6targetE1EEEvT1_
	.globl	_ZN7rocprim17ROCPRIM_400000_NS6detail17trampoline_kernelINS0_14default_configENS1_25partition_config_selectorILNS1_17partition_subalgoE8EtNS0_10empty_typeEbEEZZNS1_14partition_implILS5_8ELb0ES3_jPKtPS6_PKS6_NS0_5tupleIJPtS6_EEENSE_IJSB_SB_EEENS0_18inequality_wrapperIN6hipcub16HIPCUB_304000_NS8EqualityEEEPlJS6_EEE10hipError_tPvRmT3_T4_T5_T6_T7_T9_mT8_P12ihipStream_tbDpT10_ENKUlT_T0_E_clISt17integral_constantIbLb0EES17_EEDaS12_S13_EUlS12_E_NS1_11comp_targetILNS1_3genE4ELNS1_11target_archE910ELNS1_3gpuE8ELNS1_3repE0EEENS1_30default_config_static_selectorELNS0_4arch9wavefront6targetE1EEEvT1_
	.p2align	8
	.type	_ZN7rocprim17ROCPRIM_400000_NS6detail17trampoline_kernelINS0_14default_configENS1_25partition_config_selectorILNS1_17partition_subalgoE8EtNS0_10empty_typeEbEEZZNS1_14partition_implILS5_8ELb0ES3_jPKtPS6_PKS6_NS0_5tupleIJPtS6_EEENSE_IJSB_SB_EEENS0_18inequality_wrapperIN6hipcub16HIPCUB_304000_NS8EqualityEEEPlJS6_EEE10hipError_tPvRmT3_T4_T5_T6_T7_T9_mT8_P12ihipStream_tbDpT10_ENKUlT_T0_E_clISt17integral_constantIbLb0EES17_EEDaS12_S13_EUlS12_E_NS1_11comp_targetILNS1_3genE4ELNS1_11target_archE910ELNS1_3gpuE8ELNS1_3repE0EEENS1_30default_config_static_selectorELNS0_4arch9wavefront6targetE1EEEvT1_,@function
_ZN7rocprim17ROCPRIM_400000_NS6detail17trampoline_kernelINS0_14default_configENS1_25partition_config_selectorILNS1_17partition_subalgoE8EtNS0_10empty_typeEbEEZZNS1_14partition_implILS5_8ELb0ES3_jPKtPS6_PKS6_NS0_5tupleIJPtS6_EEENSE_IJSB_SB_EEENS0_18inequality_wrapperIN6hipcub16HIPCUB_304000_NS8EqualityEEEPlJS6_EEE10hipError_tPvRmT3_T4_T5_T6_T7_T9_mT8_P12ihipStream_tbDpT10_ENKUlT_T0_E_clISt17integral_constantIbLb0EES17_EEDaS12_S13_EUlS12_E_NS1_11comp_targetILNS1_3genE4ELNS1_11target_archE910ELNS1_3gpuE8ELNS1_3repE0EEENS1_30default_config_static_selectorELNS0_4arch9wavefront6targetE1EEEvT1_: ; @_ZN7rocprim17ROCPRIM_400000_NS6detail17trampoline_kernelINS0_14default_configENS1_25partition_config_selectorILNS1_17partition_subalgoE8EtNS0_10empty_typeEbEEZZNS1_14partition_implILS5_8ELb0ES3_jPKtPS6_PKS6_NS0_5tupleIJPtS6_EEENSE_IJSB_SB_EEENS0_18inequality_wrapperIN6hipcub16HIPCUB_304000_NS8EqualityEEEPlJS6_EEE10hipError_tPvRmT3_T4_T5_T6_T7_T9_mT8_P12ihipStream_tbDpT10_ENKUlT_T0_E_clISt17integral_constantIbLb0EES17_EEDaS12_S13_EUlS12_E_NS1_11comp_targetILNS1_3genE4ELNS1_11target_archE910ELNS1_3gpuE8ELNS1_3repE0EEENS1_30default_config_static_selectorELNS0_4arch9wavefront6targetE1EEEvT1_
; %bb.0:
	.section	.rodata,"a",@progbits
	.p2align	6, 0x0
	.amdhsa_kernel _ZN7rocprim17ROCPRIM_400000_NS6detail17trampoline_kernelINS0_14default_configENS1_25partition_config_selectorILNS1_17partition_subalgoE8EtNS0_10empty_typeEbEEZZNS1_14partition_implILS5_8ELb0ES3_jPKtPS6_PKS6_NS0_5tupleIJPtS6_EEENSE_IJSB_SB_EEENS0_18inequality_wrapperIN6hipcub16HIPCUB_304000_NS8EqualityEEEPlJS6_EEE10hipError_tPvRmT3_T4_T5_T6_T7_T9_mT8_P12ihipStream_tbDpT10_ENKUlT_T0_E_clISt17integral_constantIbLb0EES17_EEDaS12_S13_EUlS12_E_NS1_11comp_targetILNS1_3genE4ELNS1_11target_archE910ELNS1_3gpuE8ELNS1_3repE0EEENS1_30default_config_static_selectorELNS0_4arch9wavefront6targetE1EEEvT1_
		.amdhsa_group_segment_fixed_size 0
		.amdhsa_private_segment_fixed_size 0
		.amdhsa_kernarg_size 112
		.amdhsa_user_sgpr_count 2
		.amdhsa_user_sgpr_dispatch_ptr 0
		.amdhsa_user_sgpr_queue_ptr 0
		.amdhsa_user_sgpr_kernarg_segment_ptr 1
		.amdhsa_user_sgpr_dispatch_id 0
		.amdhsa_user_sgpr_kernarg_preload_length 0
		.amdhsa_user_sgpr_kernarg_preload_offset 0
		.amdhsa_user_sgpr_private_segment_size 0
		.amdhsa_uses_dynamic_stack 0
		.amdhsa_enable_private_segment 0
		.amdhsa_system_sgpr_workgroup_id_x 1
		.amdhsa_system_sgpr_workgroup_id_y 0
		.amdhsa_system_sgpr_workgroup_id_z 0
		.amdhsa_system_sgpr_workgroup_info 0
		.amdhsa_system_vgpr_workitem_id 0
		.amdhsa_next_free_vgpr 1
		.amdhsa_next_free_sgpr 0
		.amdhsa_accum_offset 4
		.amdhsa_reserve_vcc 0
		.amdhsa_float_round_mode_32 0
		.amdhsa_float_round_mode_16_64 0
		.amdhsa_float_denorm_mode_32 3
		.amdhsa_float_denorm_mode_16_64 3
		.amdhsa_dx10_clamp 1
		.amdhsa_ieee_mode 1
		.amdhsa_fp16_overflow 0
		.amdhsa_tg_split 0
		.amdhsa_exception_fp_ieee_invalid_op 0
		.amdhsa_exception_fp_denorm_src 0
		.amdhsa_exception_fp_ieee_div_zero 0
		.amdhsa_exception_fp_ieee_overflow 0
		.amdhsa_exception_fp_ieee_underflow 0
		.amdhsa_exception_fp_ieee_inexact 0
		.amdhsa_exception_int_div_zero 0
	.end_amdhsa_kernel
	.section	.text._ZN7rocprim17ROCPRIM_400000_NS6detail17trampoline_kernelINS0_14default_configENS1_25partition_config_selectorILNS1_17partition_subalgoE8EtNS0_10empty_typeEbEEZZNS1_14partition_implILS5_8ELb0ES3_jPKtPS6_PKS6_NS0_5tupleIJPtS6_EEENSE_IJSB_SB_EEENS0_18inequality_wrapperIN6hipcub16HIPCUB_304000_NS8EqualityEEEPlJS6_EEE10hipError_tPvRmT3_T4_T5_T6_T7_T9_mT8_P12ihipStream_tbDpT10_ENKUlT_T0_E_clISt17integral_constantIbLb0EES17_EEDaS12_S13_EUlS12_E_NS1_11comp_targetILNS1_3genE4ELNS1_11target_archE910ELNS1_3gpuE8ELNS1_3repE0EEENS1_30default_config_static_selectorELNS0_4arch9wavefront6targetE1EEEvT1_,"axG",@progbits,_ZN7rocprim17ROCPRIM_400000_NS6detail17trampoline_kernelINS0_14default_configENS1_25partition_config_selectorILNS1_17partition_subalgoE8EtNS0_10empty_typeEbEEZZNS1_14partition_implILS5_8ELb0ES3_jPKtPS6_PKS6_NS0_5tupleIJPtS6_EEENSE_IJSB_SB_EEENS0_18inequality_wrapperIN6hipcub16HIPCUB_304000_NS8EqualityEEEPlJS6_EEE10hipError_tPvRmT3_T4_T5_T6_T7_T9_mT8_P12ihipStream_tbDpT10_ENKUlT_T0_E_clISt17integral_constantIbLb0EES17_EEDaS12_S13_EUlS12_E_NS1_11comp_targetILNS1_3genE4ELNS1_11target_archE910ELNS1_3gpuE8ELNS1_3repE0EEENS1_30default_config_static_selectorELNS0_4arch9wavefront6targetE1EEEvT1_,comdat
.Lfunc_end757:
	.size	_ZN7rocprim17ROCPRIM_400000_NS6detail17trampoline_kernelINS0_14default_configENS1_25partition_config_selectorILNS1_17partition_subalgoE8EtNS0_10empty_typeEbEEZZNS1_14partition_implILS5_8ELb0ES3_jPKtPS6_PKS6_NS0_5tupleIJPtS6_EEENSE_IJSB_SB_EEENS0_18inequality_wrapperIN6hipcub16HIPCUB_304000_NS8EqualityEEEPlJS6_EEE10hipError_tPvRmT3_T4_T5_T6_T7_T9_mT8_P12ihipStream_tbDpT10_ENKUlT_T0_E_clISt17integral_constantIbLb0EES17_EEDaS12_S13_EUlS12_E_NS1_11comp_targetILNS1_3genE4ELNS1_11target_archE910ELNS1_3gpuE8ELNS1_3repE0EEENS1_30default_config_static_selectorELNS0_4arch9wavefront6targetE1EEEvT1_, .Lfunc_end757-_ZN7rocprim17ROCPRIM_400000_NS6detail17trampoline_kernelINS0_14default_configENS1_25partition_config_selectorILNS1_17partition_subalgoE8EtNS0_10empty_typeEbEEZZNS1_14partition_implILS5_8ELb0ES3_jPKtPS6_PKS6_NS0_5tupleIJPtS6_EEENSE_IJSB_SB_EEENS0_18inequality_wrapperIN6hipcub16HIPCUB_304000_NS8EqualityEEEPlJS6_EEE10hipError_tPvRmT3_T4_T5_T6_T7_T9_mT8_P12ihipStream_tbDpT10_ENKUlT_T0_E_clISt17integral_constantIbLb0EES17_EEDaS12_S13_EUlS12_E_NS1_11comp_targetILNS1_3genE4ELNS1_11target_archE910ELNS1_3gpuE8ELNS1_3repE0EEENS1_30default_config_static_selectorELNS0_4arch9wavefront6targetE1EEEvT1_
                                        ; -- End function
	.section	.AMDGPU.csdata,"",@progbits
; Kernel info:
; codeLenInByte = 0
; NumSgprs: 6
; NumVgprs: 0
; NumAgprs: 0
; TotalNumVgprs: 0
; ScratchSize: 0
; MemoryBound: 0
; FloatMode: 240
; IeeeMode: 1
; LDSByteSize: 0 bytes/workgroup (compile time only)
; SGPRBlocks: 0
; VGPRBlocks: 0
; NumSGPRsForWavesPerEU: 6
; NumVGPRsForWavesPerEU: 1
; AccumOffset: 4
; Occupancy: 8
; WaveLimiterHint : 0
; COMPUTE_PGM_RSRC2:SCRATCH_EN: 0
; COMPUTE_PGM_RSRC2:USER_SGPR: 2
; COMPUTE_PGM_RSRC2:TRAP_HANDLER: 0
; COMPUTE_PGM_RSRC2:TGID_X_EN: 1
; COMPUTE_PGM_RSRC2:TGID_Y_EN: 0
; COMPUTE_PGM_RSRC2:TGID_Z_EN: 0
; COMPUTE_PGM_RSRC2:TIDIG_COMP_CNT: 0
; COMPUTE_PGM_RSRC3_GFX90A:ACCUM_OFFSET: 0
; COMPUTE_PGM_RSRC3_GFX90A:TG_SPLIT: 0
	.section	.text._ZN7rocprim17ROCPRIM_400000_NS6detail17trampoline_kernelINS0_14default_configENS1_25partition_config_selectorILNS1_17partition_subalgoE8EtNS0_10empty_typeEbEEZZNS1_14partition_implILS5_8ELb0ES3_jPKtPS6_PKS6_NS0_5tupleIJPtS6_EEENSE_IJSB_SB_EEENS0_18inequality_wrapperIN6hipcub16HIPCUB_304000_NS8EqualityEEEPlJS6_EEE10hipError_tPvRmT3_T4_T5_T6_T7_T9_mT8_P12ihipStream_tbDpT10_ENKUlT_T0_E_clISt17integral_constantIbLb0EES17_EEDaS12_S13_EUlS12_E_NS1_11comp_targetILNS1_3genE3ELNS1_11target_archE908ELNS1_3gpuE7ELNS1_3repE0EEENS1_30default_config_static_selectorELNS0_4arch9wavefront6targetE1EEEvT1_,"axG",@progbits,_ZN7rocprim17ROCPRIM_400000_NS6detail17trampoline_kernelINS0_14default_configENS1_25partition_config_selectorILNS1_17partition_subalgoE8EtNS0_10empty_typeEbEEZZNS1_14partition_implILS5_8ELb0ES3_jPKtPS6_PKS6_NS0_5tupleIJPtS6_EEENSE_IJSB_SB_EEENS0_18inequality_wrapperIN6hipcub16HIPCUB_304000_NS8EqualityEEEPlJS6_EEE10hipError_tPvRmT3_T4_T5_T6_T7_T9_mT8_P12ihipStream_tbDpT10_ENKUlT_T0_E_clISt17integral_constantIbLb0EES17_EEDaS12_S13_EUlS12_E_NS1_11comp_targetILNS1_3genE3ELNS1_11target_archE908ELNS1_3gpuE7ELNS1_3repE0EEENS1_30default_config_static_selectorELNS0_4arch9wavefront6targetE1EEEvT1_,comdat
	.protected	_ZN7rocprim17ROCPRIM_400000_NS6detail17trampoline_kernelINS0_14default_configENS1_25partition_config_selectorILNS1_17partition_subalgoE8EtNS0_10empty_typeEbEEZZNS1_14partition_implILS5_8ELb0ES3_jPKtPS6_PKS6_NS0_5tupleIJPtS6_EEENSE_IJSB_SB_EEENS0_18inequality_wrapperIN6hipcub16HIPCUB_304000_NS8EqualityEEEPlJS6_EEE10hipError_tPvRmT3_T4_T5_T6_T7_T9_mT8_P12ihipStream_tbDpT10_ENKUlT_T0_E_clISt17integral_constantIbLb0EES17_EEDaS12_S13_EUlS12_E_NS1_11comp_targetILNS1_3genE3ELNS1_11target_archE908ELNS1_3gpuE7ELNS1_3repE0EEENS1_30default_config_static_selectorELNS0_4arch9wavefront6targetE1EEEvT1_ ; -- Begin function _ZN7rocprim17ROCPRIM_400000_NS6detail17trampoline_kernelINS0_14default_configENS1_25partition_config_selectorILNS1_17partition_subalgoE8EtNS0_10empty_typeEbEEZZNS1_14partition_implILS5_8ELb0ES3_jPKtPS6_PKS6_NS0_5tupleIJPtS6_EEENSE_IJSB_SB_EEENS0_18inequality_wrapperIN6hipcub16HIPCUB_304000_NS8EqualityEEEPlJS6_EEE10hipError_tPvRmT3_T4_T5_T6_T7_T9_mT8_P12ihipStream_tbDpT10_ENKUlT_T0_E_clISt17integral_constantIbLb0EES17_EEDaS12_S13_EUlS12_E_NS1_11comp_targetILNS1_3genE3ELNS1_11target_archE908ELNS1_3gpuE7ELNS1_3repE0EEENS1_30default_config_static_selectorELNS0_4arch9wavefront6targetE1EEEvT1_
	.globl	_ZN7rocprim17ROCPRIM_400000_NS6detail17trampoline_kernelINS0_14default_configENS1_25partition_config_selectorILNS1_17partition_subalgoE8EtNS0_10empty_typeEbEEZZNS1_14partition_implILS5_8ELb0ES3_jPKtPS6_PKS6_NS0_5tupleIJPtS6_EEENSE_IJSB_SB_EEENS0_18inequality_wrapperIN6hipcub16HIPCUB_304000_NS8EqualityEEEPlJS6_EEE10hipError_tPvRmT3_T4_T5_T6_T7_T9_mT8_P12ihipStream_tbDpT10_ENKUlT_T0_E_clISt17integral_constantIbLb0EES17_EEDaS12_S13_EUlS12_E_NS1_11comp_targetILNS1_3genE3ELNS1_11target_archE908ELNS1_3gpuE7ELNS1_3repE0EEENS1_30default_config_static_selectorELNS0_4arch9wavefront6targetE1EEEvT1_
	.p2align	8
	.type	_ZN7rocprim17ROCPRIM_400000_NS6detail17trampoline_kernelINS0_14default_configENS1_25partition_config_selectorILNS1_17partition_subalgoE8EtNS0_10empty_typeEbEEZZNS1_14partition_implILS5_8ELb0ES3_jPKtPS6_PKS6_NS0_5tupleIJPtS6_EEENSE_IJSB_SB_EEENS0_18inequality_wrapperIN6hipcub16HIPCUB_304000_NS8EqualityEEEPlJS6_EEE10hipError_tPvRmT3_T4_T5_T6_T7_T9_mT8_P12ihipStream_tbDpT10_ENKUlT_T0_E_clISt17integral_constantIbLb0EES17_EEDaS12_S13_EUlS12_E_NS1_11comp_targetILNS1_3genE3ELNS1_11target_archE908ELNS1_3gpuE7ELNS1_3repE0EEENS1_30default_config_static_selectorELNS0_4arch9wavefront6targetE1EEEvT1_,@function
_ZN7rocprim17ROCPRIM_400000_NS6detail17trampoline_kernelINS0_14default_configENS1_25partition_config_selectorILNS1_17partition_subalgoE8EtNS0_10empty_typeEbEEZZNS1_14partition_implILS5_8ELb0ES3_jPKtPS6_PKS6_NS0_5tupleIJPtS6_EEENSE_IJSB_SB_EEENS0_18inequality_wrapperIN6hipcub16HIPCUB_304000_NS8EqualityEEEPlJS6_EEE10hipError_tPvRmT3_T4_T5_T6_T7_T9_mT8_P12ihipStream_tbDpT10_ENKUlT_T0_E_clISt17integral_constantIbLb0EES17_EEDaS12_S13_EUlS12_E_NS1_11comp_targetILNS1_3genE3ELNS1_11target_archE908ELNS1_3gpuE7ELNS1_3repE0EEENS1_30default_config_static_selectorELNS0_4arch9wavefront6targetE1EEEvT1_: ; @_ZN7rocprim17ROCPRIM_400000_NS6detail17trampoline_kernelINS0_14default_configENS1_25partition_config_selectorILNS1_17partition_subalgoE8EtNS0_10empty_typeEbEEZZNS1_14partition_implILS5_8ELb0ES3_jPKtPS6_PKS6_NS0_5tupleIJPtS6_EEENSE_IJSB_SB_EEENS0_18inequality_wrapperIN6hipcub16HIPCUB_304000_NS8EqualityEEEPlJS6_EEE10hipError_tPvRmT3_T4_T5_T6_T7_T9_mT8_P12ihipStream_tbDpT10_ENKUlT_T0_E_clISt17integral_constantIbLb0EES17_EEDaS12_S13_EUlS12_E_NS1_11comp_targetILNS1_3genE3ELNS1_11target_archE908ELNS1_3gpuE7ELNS1_3repE0EEENS1_30default_config_static_selectorELNS0_4arch9wavefront6targetE1EEEvT1_
; %bb.0:
	.section	.rodata,"a",@progbits
	.p2align	6, 0x0
	.amdhsa_kernel _ZN7rocprim17ROCPRIM_400000_NS6detail17trampoline_kernelINS0_14default_configENS1_25partition_config_selectorILNS1_17partition_subalgoE8EtNS0_10empty_typeEbEEZZNS1_14partition_implILS5_8ELb0ES3_jPKtPS6_PKS6_NS0_5tupleIJPtS6_EEENSE_IJSB_SB_EEENS0_18inequality_wrapperIN6hipcub16HIPCUB_304000_NS8EqualityEEEPlJS6_EEE10hipError_tPvRmT3_T4_T5_T6_T7_T9_mT8_P12ihipStream_tbDpT10_ENKUlT_T0_E_clISt17integral_constantIbLb0EES17_EEDaS12_S13_EUlS12_E_NS1_11comp_targetILNS1_3genE3ELNS1_11target_archE908ELNS1_3gpuE7ELNS1_3repE0EEENS1_30default_config_static_selectorELNS0_4arch9wavefront6targetE1EEEvT1_
		.amdhsa_group_segment_fixed_size 0
		.amdhsa_private_segment_fixed_size 0
		.amdhsa_kernarg_size 112
		.amdhsa_user_sgpr_count 2
		.amdhsa_user_sgpr_dispatch_ptr 0
		.amdhsa_user_sgpr_queue_ptr 0
		.amdhsa_user_sgpr_kernarg_segment_ptr 1
		.amdhsa_user_sgpr_dispatch_id 0
		.amdhsa_user_sgpr_kernarg_preload_length 0
		.amdhsa_user_sgpr_kernarg_preload_offset 0
		.amdhsa_user_sgpr_private_segment_size 0
		.amdhsa_uses_dynamic_stack 0
		.amdhsa_enable_private_segment 0
		.amdhsa_system_sgpr_workgroup_id_x 1
		.amdhsa_system_sgpr_workgroup_id_y 0
		.amdhsa_system_sgpr_workgroup_id_z 0
		.amdhsa_system_sgpr_workgroup_info 0
		.amdhsa_system_vgpr_workitem_id 0
		.amdhsa_next_free_vgpr 1
		.amdhsa_next_free_sgpr 0
		.amdhsa_accum_offset 4
		.amdhsa_reserve_vcc 0
		.amdhsa_float_round_mode_32 0
		.amdhsa_float_round_mode_16_64 0
		.amdhsa_float_denorm_mode_32 3
		.amdhsa_float_denorm_mode_16_64 3
		.amdhsa_dx10_clamp 1
		.amdhsa_ieee_mode 1
		.amdhsa_fp16_overflow 0
		.amdhsa_tg_split 0
		.amdhsa_exception_fp_ieee_invalid_op 0
		.amdhsa_exception_fp_denorm_src 0
		.amdhsa_exception_fp_ieee_div_zero 0
		.amdhsa_exception_fp_ieee_overflow 0
		.amdhsa_exception_fp_ieee_underflow 0
		.amdhsa_exception_fp_ieee_inexact 0
		.amdhsa_exception_int_div_zero 0
	.end_amdhsa_kernel
	.section	.text._ZN7rocprim17ROCPRIM_400000_NS6detail17trampoline_kernelINS0_14default_configENS1_25partition_config_selectorILNS1_17partition_subalgoE8EtNS0_10empty_typeEbEEZZNS1_14partition_implILS5_8ELb0ES3_jPKtPS6_PKS6_NS0_5tupleIJPtS6_EEENSE_IJSB_SB_EEENS0_18inequality_wrapperIN6hipcub16HIPCUB_304000_NS8EqualityEEEPlJS6_EEE10hipError_tPvRmT3_T4_T5_T6_T7_T9_mT8_P12ihipStream_tbDpT10_ENKUlT_T0_E_clISt17integral_constantIbLb0EES17_EEDaS12_S13_EUlS12_E_NS1_11comp_targetILNS1_3genE3ELNS1_11target_archE908ELNS1_3gpuE7ELNS1_3repE0EEENS1_30default_config_static_selectorELNS0_4arch9wavefront6targetE1EEEvT1_,"axG",@progbits,_ZN7rocprim17ROCPRIM_400000_NS6detail17trampoline_kernelINS0_14default_configENS1_25partition_config_selectorILNS1_17partition_subalgoE8EtNS0_10empty_typeEbEEZZNS1_14partition_implILS5_8ELb0ES3_jPKtPS6_PKS6_NS0_5tupleIJPtS6_EEENSE_IJSB_SB_EEENS0_18inequality_wrapperIN6hipcub16HIPCUB_304000_NS8EqualityEEEPlJS6_EEE10hipError_tPvRmT3_T4_T5_T6_T7_T9_mT8_P12ihipStream_tbDpT10_ENKUlT_T0_E_clISt17integral_constantIbLb0EES17_EEDaS12_S13_EUlS12_E_NS1_11comp_targetILNS1_3genE3ELNS1_11target_archE908ELNS1_3gpuE7ELNS1_3repE0EEENS1_30default_config_static_selectorELNS0_4arch9wavefront6targetE1EEEvT1_,comdat
.Lfunc_end758:
	.size	_ZN7rocprim17ROCPRIM_400000_NS6detail17trampoline_kernelINS0_14default_configENS1_25partition_config_selectorILNS1_17partition_subalgoE8EtNS0_10empty_typeEbEEZZNS1_14partition_implILS5_8ELb0ES3_jPKtPS6_PKS6_NS0_5tupleIJPtS6_EEENSE_IJSB_SB_EEENS0_18inequality_wrapperIN6hipcub16HIPCUB_304000_NS8EqualityEEEPlJS6_EEE10hipError_tPvRmT3_T4_T5_T6_T7_T9_mT8_P12ihipStream_tbDpT10_ENKUlT_T0_E_clISt17integral_constantIbLb0EES17_EEDaS12_S13_EUlS12_E_NS1_11comp_targetILNS1_3genE3ELNS1_11target_archE908ELNS1_3gpuE7ELNS1_3repE0EEENS1_30default_config_static_selectorELNS0_4arch9wavefront6targetE1EEEvT1_, .Lfunc_end758-_ZN7rocprim17ROCPRIM_400000_NS6detail17trampoline_kernelINS0_14default_configENS1_25partition_config_selectorILNS1_17partition_subalgoE8EtNS0_10empty_typeEbEEZZNS1_14partition_implILS5_8ELb0ES3_jPKtPS6_PKS6_NS0_5tupleIJPtS6_EEENSE_IJSB_SB_EEENS0_18inequality_wrapperIN6hipcub16HIPCUB_304000_NS8EqualityEEEPlJS6_EEE10hipError_tPvRmT3_T4_T5_T6_T7_T9_mT8_P12ihipStream_tbDpT10_ENKUlT_T0_E_clISt17integral_constantIbLb0EES17_EEDaS12_S13_EUlS12_E_NS1_11comp_targetILNS1_3genE3ELNS1_11target_archE908ELNS1_3gpuE7ELNS1_3repE0EEENS1_30default_config_static_selectorELNS0_4arch9wavefront6targetE1EEEvT1_
                                        ; -- End function
	.section	.AMDGPU.csdata,"",@progbits
; Kernel info:
; codeLenInByte = 0
; NumSgprs: 6
; NumVgprs: 0
; NumAgprs: 0
; TotalNumVgprs: 0
; ScratchSize: 0
; MemoryBound: 0
; FloatMode: 240
; IeeeMode: 1
; LDSByteSize: 0 bytes/workgroup (compile time only)
; SGPRBlocks: 0
; VGPRBlocks: 0
; NumSGPRsForWavesPerEU: 6
; NumVGPRsForWavesPerEU: 1
; AccumOffset: 4
; Occupancy: 8
; WaveLimiterHint : 0
; COMPUTE_PGM_RSRC2:SCRATCH_EN: 0
; COMPUTE_PGM_RSRC2:USER_SGPR: 2
; COMPUTE_PGM_RSRC2:TRAP_HANDLER: 0
; COMPUTE_PGM_RSRC2:TGID_X_EN: 1
; COMPUTE_PGM_RSRC2:TGID_Y_EN: 0
; COMPUTE_PGM_RSRC2:TGID_Z_EN: 0
; COMPUTE_PGM_RSRC2:TIDIG_COMP_CNT: 0
; COMPUTE_PGM_RSRC3_GFX90A:ACCUM_OFFSET: 0
; COMPUTE_PGM_RSRC3_GFX90A:TG_SPLIT: 0
	.section	.text._ZN7rocprim17ROCPRIM_400000_NS6detail17trampoline_kernelINS0_14default_configENS1_25partition_config_selectorILNS1_17partition_subalgoE8EtNS0_10empty_typeEbEEZZNS1_14partition_implILS5_8ELb0ES3_jPKtPS6_PKS6_NS0_5tupleIJPtS6_EEENSE_IJSB_SB_EEENS0_18inequality_wrapperIN6hipcub16HIPCUB_304000_NS8EqualityEEEPlJS6_EEE10hipError_tPvRmT3_T4_T5_T6_T7_T9_mT8_P12ihipStream_tbDpT10_ENKUlT_T0_E_clISt17integral_constantIbLb0EES17_EEDaS12_S13_EUlS12_E_NS1_11comp_targetILNS1_3genE2ELNS1_11target_archE906ELNS1_3gpuE6ELNS1_3repE0EEENS1_30default_config_static_selectorELNS0_4arch9wavefront6targetE1EEEvT1_,"axG",@progbits,_ZN7rocprim17ROCPRIM_400000_NS6detail17trampoline_kernelINS0_14default_configENS1_25partition_config_selectorILNS1_17partition_subalgoE8EtNS0_10empty_typeEbEEZZNS1_14partition_implILS5_8ELb0ES3_jPKtPS6_PKS6_NS0_5tupleIJPtS6_EEENSE_IJSB_SB_EEENS0_18inequality_wrapperIN6hipcub16HIPCUB_304000_NS8EqualityEEEPlJS6_EEE10hipError_tPvRmT3_T4_T5_T6_T7_T9_mT8_P12ihipStream_tbDpT10_ENKUlT_T0_E_clISt17integral_constantIbLb0EES17_EEDaS12_S13_EUlS12_E_NS1_11comp_targetILNS1_3genE2ELNS1_11target_archE906ELNS1_3gpuE6ELNS1_3repE0EEENS1_30default_config_static_selectorELNS0_4arch9wavefront6targetE1EEEvT1_,comdat
	.protected	_ZN7rocprim17ROCPRIM_400000_NS6detail17trampoline_kernelINS0_14default_configENS1_25partition_config_selectorILNS1_17partition_subalgoE8EtNS0_10empty_typeEbEEZZNS1_14partition_implILS5_8ELb0ES3_jPKtPS6_PKS6_NS0_5tupleIJPtS6_EEENSE_IJSB_SB_EEENS0_18inequality_wrapperIN6hipcub16HIPCUB_304000_NS8EqualityEEEPlJS6_EEE10hipError_tPvRmT3_T4_T5_T6_T7_T9_mT8_P12ihipStream_tbDpT10_ENKUlT_T0_E_clISt17integral_constantIbLb0EES17_EEDaS12_S13_EUlS12_E_NS1_11comp_targetILNS1_3genE2ELNS1_11target_archE906ELNS1_3gpuE6ELNS1_3repE0EEENS1_30default_config_static_selectorELNS0_4arch9wavefront6targetE1EEEvT1_ ; -- Begin function _ZN7rocprim17ROCPRIM_400000_NS6detail17trampoline_kernelINS0_14default_configENS1_25partition_config_selectorILNS1_17partition_subalgoE8EtNS0_10empty_typeEbEEZZNS1_14partition_implILS5_8ELb0ES3_jPKtPS6_PKS6_NS0_5tupleIJPtS6_EEENSE_IJSB_SB_EEENS0_18inequality_wrapperIN6hipcub16HIPCUB_304000_NS8EqualityEEEPlJS6_EEE10hipError_tPvRmT3_T4_T5_T6_T7_T9_mT8_P12ihipStream_tbDpT10_ENKUlT_T0_E_clISt17integral_constantIbLb0EES17_EEDaS12_S13_EUlS12_E_NS1_11comp_targetILNS1_3genE2ELNS1_11target_archE906ELNS1_3gpuE6ELNS1_3repE0EEENS1_30default_config_static_selectorELNS0_4arch9wavefront6targetE1EEEvT1_
	.globl	_ZN7rocprim17ROCPRIM_400000_NS6detail17trampoline_kernelINS0_14default_configENS1_25partition_config_selectorILNS1_17partition_subalgoE8EtNS0_10empty_typeEbEEZZNS1_14partition_implILS5_8ELb0ES3_jPKtPS6_PKS6_NS0_5tupleIJPtS6_EEENSE_IJSB_SB_EEENS0_18inequality_wrapperIN6hipcub16HIPCUB_304000_NS8EqualityEEEPlJS6_EEE10hipError_tPvRmT3_T4_T5_T6_T7_T9_mT8_P12ihipStream_tbDpT10_ENKUlT_T0_E_clISt17integral_constantIbLb0EES17_EEDaS12_S13_EUlS12_E_NS1_11comp_targetILNS1_3genE2ELNS1_11target_archE906ELNS1_3gpuE6ELNS1_3repE0EEENS1_30default_config_static_selectorELNS0_4arch9wavefront6targetE1EEEvT1_
	.p2align	8
	.type	_ZN7rocprim17ROCPRIM_400000_NS6detail17trampoline_kernelINS0_14default_configENS1_25partition_config_selectorILNS1_17partition_subalgoE8EtNS0_10empty_typeEbEEZZNS1_14partition_implILS5_8ELb0ES3_jPKtPS6_PKS6_NS0_5tupleIJPtS6_EEENSE_IJSB_SB_EEENS0_18inequality_wrapperIN6hipcub16HIPCUB_304000_NS8EqualityEEEPlJS6_EEE10hipError_tPvRmT3_T4_T5_T6_T7_T9_mT8_P12ihipStream_tbDpT10_ENKUlT_T0_E_clISt17integral_constantIbLb0EES17_EEDaS12_S13_EUlS12_E_NS1_11comp_targetILNS1_3genE2ELNS1_11target_archE906ELNS1_3gpuE6ELNS1_3repE0EEENS1_30default_config_static_selectorELNS0_4arch9wavefront6targetE1EEEvT1_,@function
_ZN7rocprim17ROCPRIM_400000_NS6detail17trampoline_kernelINS0_14default_configENS1_25partition_config_selectorILNS1_17partition_subalgoE8EtNS0_10empty_typeEbEEZZNS1_14partition_implILS5_8ELb0ES3_jPKtPS6_PKS6_NS0_5tupleIJPtS6_EEENSE_IJSB_SB_EEENS0_18inequality_wrapperIN6hipcub16HIPCUB_304000_NS8EqualityEEEPlJS6_EEE10hipError_tPvRmT3_T4_T5_T6_T7_T9_mT8_P12ihipStream_tbDpT10_ENKUlT_T0_E_clISt17integral_constantIbLb0EES17_EEDaS12_S13_EUlS12_E_NS1_11comp_targetILNS1_3genE2ELNS1_11target_archE906ELNS1_3gpuE6ELNS1_3repE0EEENS1_30default_config_static_selectorELNS0_4arch9wavefront6targetE1EEEvT1_: ; @_ZN7rocprim17ROCPRIM_400000_NS6detail17trampoline_kernelINS0_14default_configENS1_25partition_config_selectorILNS1_17partition_subalgoE8EtNS0_10empty_typeEbEEZZNS1_14partition_implILS5_8ELb0ES3_jPKtPS6_PKS6_NS0_5tupleIJPtS6_EEENSE_IJSB_SB_EEENS0_18inequality_wrapperIN6hipcub16HIPCUB_304000_NS8EqualityEEEPlJS6_EEE10hipError_tPvRmT3_T4_T5_T6_T7_T9_mT8_P12ihipStream_tbDpT10_ENKUlT_T0_E_clISt17integral_constantIbLb0EES17_EEDaS12_S13_EUlS12_E_NS1_11comp_targetILNS1_3genE2ELNS1_11target_archE906ELNS1_3gpuE6ELNS1_3repE0EEENS1_30default_config_static_selectorELNS0_4arch9wavefront6targetE1EEEvT1_
; %bb.0:
	.section	.rodata,"a",@progbits
	.p2align	6, 0x0
	.amdhsa_kernel _ZN7rocprim17ROCPRIM_400000_NS6detail17trampoline_kernelINS0_14default_configENS1_25partition_config_selectorILNS1_17partition_subalgoE8EtNS0_10empty_typeEbEEZZNS1_14partition_implILS5_8ELb0ES3_jPKtPS6_PKS6_NS0_5tupleIJPtS6_EEENSE_IJSB_SB_EEENS0_18inequality_wrapperIN6hipcub16HIPCUB_304000_NS8EqualityEEEPlJS6_EEE10hipError_tPvRmT3_T4_T5_T6_T7_T9_mT8_P12ihipStream_tbDpT10_ENKUlT_T0_E_clISt17integral_constantIbLb0EES17_EEDaS12_S13_EUlS12_E_NS1_11comp_targetILNS1_3genE2ELNS1_11target_archE906ELNS1_3gpuE6ELNS1_3repE0EEENS1_30default_config_static_selectorELNS0_4arch9wavefront6targetE1EEEvT1_
		.amdhsa_group_segment_fixed_size 0
		.amdhsa_private_segment_fixed_size 0
		.amdhsa_kernarg_size 112
		.amdhsa_user_sgpr_count 2
		.amdhsa_user_sgpr_dispatch_ptr 0
		.amdhsa_user_sgpr_queue_ptr 0
		.amdhsa_user_sgpr_kernarg_segment_ptr 1
		.amdhsa_user_sgpr_dispatch_id 0
		.amdhsa_user_sgpr_kernarg_preload_length 0
		.amdhsa_user_sgpr_kernarg_preload_offset 0
		.amdhsa_user_sgpr_private_segment_size 0
		.amdhsa_uses_dynamic_stack 0
		.amdhsa_enable_private_segment 0
		.amdhsa_system_sgpr_workgroup_id_x 1
		.amdhsa_system_sgpr_workgroup_id_y 0
		.amdhsa_system_sgpr_workgroup_id_z 0
		.amdhsa_system_sgpr_workgroup_info 0
		.amdhsa_system_vgpr_workitem_id 0
		.amdhsa_next_free_vgpr 1
		.amdhsa_next_free_sgpr 0
		.amdhsa_accum_offset 4
		.amdhsa_reserve_vcc 0
		.amdhsa_float_round_mode_32 0
		.amdhsa_float_round_mode_16_64 0
		.amdhsa_float_denorm_mode_32 3
		.amdhsa_float_denorm_mode_16_64 3
		.amdhsa_dx10_clamp 1
		.amdhsa_ieee_mode 1
		.amdhsa_fp16_overflow 0
		.amdhsa_tg_split 0
		.amdhsa_exception_fp_ieee_invalid_op 0
		.amdhsa_exception_fp_denorm_src 0
		.amdhsa_exception_fp_ieee_div_zero 0
		.amdhsa_exception_fp_ieee_overflow 0
		.amdhsa_exception_fp_ieee_underflow 0
		.amdhsa_exception_fp_ieee_inexact 0
		.amdhsa_exception_int_div_zero 0
	.end_amdhsa_kernel
	.section	.text._ZN7rocprim17ROCPRIM_400000_NS6detail17trampoline_kernelINS0_14default_configENS1_25partition_config_selectorILNS1_17partition_subalgoE8EtNS0_10empty_typeEbEEZZNS1_14partition_implILS5_8ELb0ES3_jPKtPS6_PKS6_NS0_5tupleIJPtS6_EEENSE_IJSB_SB_EEENS0_18inequality_wrapperIN6hipcub16HIPCUB_304000_NS8EqualityEEEPlJS6_EEE10hipError_tPvRmT3_T4_T5_T6_T7_T9_mT8_P12ihipStream_tbDpT10_ENKUlT_T0_E_clISt17integral_constantIbLb0EES17_EEDaS12_S13_EUlS12_E_NS1_11comp_targetILNS1_3genE2ELNS1_11target_archE906ELNS1_3gpuE6ELNS1_3repE0EEENS1_30default_config_static_selectorELNS0_4arch9wavefront6targetE1EEEvT1_,"axG",@progbits,_ZN7rocprim17ROCPRIM_400000_NS6detail17trampoline_kernelINS0_14default_configENS1_25partition_config_selectorILNS1_17partition_subalgoE8EtNS0_10empty_typeEbEEZZNS1_14partition_implILS5_8ELb0ES3_jPKtPS6_PKS6_NS0_5tupleIJPtS6_EEENSE_IJSB_SB_EEENS0_18inequality_wrapperIN6hipcub16HIPCUB_304000_NS8EqualityEEEPlJS6_EEE10hipError_tPvRmT3_T4_T5_T6_T7_T9_mT8_P12ihipStream_tbDpT10_ENKUlT_T0_E_clISt17integral_constantIbLb0EES17_EEDaS12_S13_EUlS12_E_NS1_11comp_targetILNS1_3genE2ELNS1_11target_archE906ELNS1_3gpuE6ELNS1_3repE0EEENS1_30default_config_static_selectorELNS0_4arch9wavefront6targetE1EEEvT1_,comdat
.Lfunc_end759:
	.size	_ZN7rocprim17ROCPRIM_400000_NS6detail17trampoline_kernelINS0_14default_configENS1_25partition_config_selectorILNS1_17partition_subalgoE8EtNS0_10empty_typeEbEEZZNS1_14partition_implILS5_8ELb0ES3_jPKtPS6_PKS6_NS0_5tupleIJPtS6_EEENSE_IJSB_SB_EEENS0_18inequality_wrapperIN6hipcub16HIPCUB_304000_NS8EqualityEEEPlJS6_EEE10hipError_tPvRmT3_T4_T5_T6_T7_T9_mT8_P12ihipStream_tbDpT10_ENKUlT_T0_E_clISt17integral_constantIbLb0EES17_EEDaS12_S13_EUlS12_E_NS1_11comp_targetILNS1_3genE2ELNS1_11target_archE906ELNS1_3gpuE6ELNS1_3repE0EEENS1_30default_config_static_selectorELNS0_4arch9wavefront6targetE1EEEvT1_, .Lfunc_end759-_ZN7rocprim17ROCPRIM_400000_NS6detail17trampoline_kernelINS0_14default_configENS1_25partition_config_selectorILNS1_17partition_subalgoE8EtNS0_10empty_typeEbEEZZNS1_14partition_implILS5_8ELb0ES3_jPKtPS6_PKS6_NS0_5tupleIJPtS6_EEENSE_IJSB_SB_EEENS0_18inequality_wrapperIN6hipcub16HIPCUB_304000_NS8EqualityEEEPlJS6_EEE10hipError_tPvRmT3_T4_T5_T6_T7_T9_mT8_P12ihipStream_tbDpT10_ENKUlT_T0_E_clISt17integral_constantIbLb0EES17_EEDaS12_S13_EUlS12_E_NS1_11comp_targetILNS1_3genE2ELNS1_11target_archE906ELNS1_3gpuE6ELNS1_3repE0EEENS1_30default_config_static_selectorELNS0_4arch9wavefront6targetE1EEEvT1_
                                        ; -- End function
	.section	.AMDGPU.csdata,"",@progbits
; Kernel info:
; codeLenInByte = 0
; NumSgprs: 6
; NumVgprs: 0
; NumAgprs: 0
; TotalNumVgprs: 0
; ScratchSize: 0
; MemoryBound: 0
; FloatMode: 240
; IeeeMode: 1
; LDSByteSize: 0 bytes/workgroup (compile time only)
; SGPRBlocks: 0
; VGPRBlocks: 0
; NumSGPRsForWavesPerEU: 6
; NumVGPRsForWavesPerEU: 1
; AccumOffset: 4
; Occupancy: 8
; WaveLimiterHint : 0
; COMPUTE_PGM_RSRC2:SCRATCH_EN: 0
; COMPUTE_PGM_RSRC2:USER_SGPR: 2
; COMPUTE_PGM_RSRC2:TRAP_HANDLER: 0
; COMPUTE_PGM_RSRC2:TGID_X_EN: 1
; COMPUTE_PGM_RSRC2:TGID_Y_EN: 0
; COMPUTE_PGM_RSRC2:TGID_Z_EN: 0
; COMPUTE_PGM_RSRC2:TIDIG_COMP_CNT: 0
; COMPUTE_PGM_RSRC3_GFX90A:ACCUM_OFFSET: 0
; COMPUTE_PGM_RSRC3_GFX90A:TG_SPLIT: 0
	.section	.text._ZN7rocprim17ROCPRIM_400000_NS6detail17trampoline_kernelINS0_14default_configENS1_25partition_config_selectorILNS1_17partition_subalgoE8EtNS0_10empty_typeEbEEZZNS1_14partition_implILS5_8ELb0ES3_jPKtPS6_PKS6_NS0_5tupleIJPtS6_EEENSE_IJSB_SB_EEENS0_18inequality_wrapperIN6hipcub16HIPCUB_304000_NS8EqualityEEEPlJS6_EEE10hipError_tPvRmT3_T4_T5_T6_T7_T9_mT8_P12ihipStream_tbDpT10_ENKUlT_T0_E_clISt17integral_constantIbLb0EES17_EEDaS12_S13_EUlS12_E_NS1_11comp_targetILNS1_3genE10ELNS1_11target_archE1200ELNS1_3gpuE4ELNS1_3repE0EEENS1_30default_config_static_selectorELNS0_4arch9wavefront6targetE1EEEvT1_,"axG",@progbits,_ZN7rocprim17ROCPRIM_400000_NS6detail17trampoline_kernelINS0_14default_configENS1_25partition_config_selectorILNS1_17partition_subalgoE8EtNS0_10empty_typeEbEEZZNS1_14partition_implILS5_8ELb0ES3_jPKtPS6_PKS6_NS0_5tupleIJPtS6_EEENSE_IJSB_SB_EEENS0_18inequality_wrapperIN6hipcub16HIPCUB_304000_NS8EqualityEEEPlJS6_EEE10hipError_tPvRmT3_T4_T5_T6_T7_T9_mT8_P12ihipStream_tbDpT10_ENKUlT_T0_E_clISt17integral_constantIbLb0EES17_EEDaS12_S13_EUlS12_E_NS1_11comp_targetILNS1_3genE10ELNS1_11target_archE1200ELNS1_3gpuE4ELNS1_3repE0EEENS1_30default_config_static_selectorELNS0_4arch9wavefront6targetE1EEEvT1_,comdat
	.protected	_ZN7rocprim17ROCPRIM_400000_NS6detail17trampoline_kernelINS0_14default_configENS1_25partition_config_selectorILNS1_17partition_subalgoE8EtNS0_10empty_typeEbEEZZNS1_14partition_implILS5_8ELb0ES3_jPKtPS6_PKS6_NS0_5tupleIJPtS6_EEENSE_IJSB_SB_EEENS0_18inequality_wrapperIN6hipcub16HIPCUB_304000_NS8EqualityEEEPlJS6_EEE10hipError_tPvRmT3_T4_T5_T6_T7_T9_mT8_P12ihipStream_tbDpT10_ENKUlT_T0_E_clISt17integral_constantIbLb0EES17_EEDaS12_S13_EUlS12_E_NS1_11comp_targetILNS1_3genE10ELNS1_11target_archE1200ELNS1_3gpuE4ELNS1_3repE0EEENS1_30default_config_static_selectorELNS0_4arch9wavefront6targetE1EEEvT1_ ; -- Begin function _ZN7rocprim17ROCPRIM_400000_NS6detail17trampoline_kernelINS0_14default_configENS1_25partition_config_selectorILNS1_17partition_subalgoE8EtNS0_10empty_typeEbEEZZNS1_14partition_implILS5_8ELb0ES3_jPKtPS6_PKS6_NS0_5tupleIJPtS6_EEENSE_IJSB_SB_EEENS0_18inequality_wrapperIN6hipcub16HIPCUB_304000_NS8EqualityEEEPlJS6_EEE10hipError_tPvRmT3_T4_T5_T6_T7_T9_mT8_P12ihipStream_tbDpT10_ENKUlT_T0_E_clISt17integral_constantIbLb0EES17_EEDaS12_S13_EUlS12_E_NS1_11comp_targetILNS1_3genE10ELNS1_11target_archE1200ELNS1_3gpuE4ELNS1_3repE0EEENS1_30default_config_static_selectorELNS0_4arch9wavefront6targetE1EEEvT1_
	.globl	_ZN7rocprim17ROCPRIM_400000_NS6detail17trampoline_kernelINS0_14default_configENS1_25partition_config_selectorILNS1_17partition_subalgoE8EtNS0_10empty_typeEbEEZZNS1_14partition_implILS5_8ELb0ES3_jPKtPS6_PKS6_NS0_5tupleIJPtS6_EEENSE_IJSB_SB_EEENS0_18inequality_wrapperIN6hipcub16HIPCUB_304000_NS8EqualityEEEPlJS6_EEE10hipError_tPvRmT3_T4_T5_T6_T7_T9_mT8_P12ihipStream_tbDpT10_ENKUlT_T0_E_clISt17integral_constantIbLb0EES17_EEDaS12_S13_EUlS12_E_NS1_11comp_targetILNS1_3genE10ELNS1_11target_archE1200ELNS1_3gpuE4ELNS1_3repE0EEENS1_30default_config_static_selectorELNS0_4arch9wavefront6targetE1EEEvT1_
	.p2align	8
	.type	_ZN7rocprim17ROCPRIM_400000_NS6detail17trampoline_kernelINS0_14default_configENS1_25partition_config_selectorILNS1_17partition_subalgoE8EtNS0_10empty_typeEbEEZZNS1_14partition_implILS5_8ELb0ES3_jPKtPS6_PKS6_NS0_5tupleIJPtS6_EEENSE_IJSB_SB_EEENS0_18inequality_wrapperIN6hipcub16HIPCUB_304000_NS8EqualityEEEPlJS6_EEE10hipError_tPvRmT3_T4_T5_T6_T7_T9_mT8_P12ihipStream_tbDpT10_ENKUlT_T0_E_clISt17integral_constantIbLb0EES17_EEDaS12_S13_EUlS12_E_NS1_11comp_targetILNS1_3genE10ELNS1_11target_archE1200ELNS1_3gpuE4ELNS1_3repE0EEENS1_30default_config_static_selectorELNS0_4arch9wavefront6targetE1EEEvT1_,@function
_ZN7rocprim17ROCPRIM_400000_NS6detail17trampoline_kernelINS0_14default_configENS1_25partition_config_selectorILNS1_17partition_subalgoE8EtNS0_10empty_typeEbEEZZNS1_14partition_implILS5_8ELb0ES3_jPKtPS6_PKS6_NS0_5tupleIJPtS6_EEENSE_IJSB_SB_EEENS0_18inequality_wrapperIN6hipcub16HIPCUB_304000_NS8EqualityEEEPlJS6_EEE10hipError_tPvRmT3_T4_T5_T6_T7_T9_mT8_P12ihipStream_tbDpT10_ENKUlT_T0_E_clISt17integral_constantIbLb0EES17_EEDaS12_S13_EUlS12_E_NS1_11comp_targetILNS1_3genE10ELNS1_11target_archE1200ELNS1_3gpuE4ELNS1_3repE0EEENS1_30default_config_static_selectorELNS0_4arch9wavefront6targetE1EEEvT1_: ; @_ZN7rocprim17ROCPRIM_400000_NS6detail17trampoline_kernelINS0_14default_configENS1_25partition_config_selectorILNS1_17partition_subalgoE8EtNS0_10empty_typeEbEEZZNS1_14partition_implILS5_8ELb0ES3_jPKtPS6_PKS6_NS0_5tupleIJPtS6_EEENSE_IJSB_SB_EEENS0_18inequality_wrapperIN6hipcub16HIPCUB_304000_NS8EqualityEEEPlJS6_EEE10hipError_tPvRmT3_T4_T5_T6_T7_T9_mT8_P12ihipStream_tbDpT10_ENKUlT_T0_E_clISt17integral_constantIbLb0EES17_EEDaS12_S13_EUlS12_E_NS1_11comp_targetILNS1_3genE10ELNS1_11target_archE1200ELNS1_3gpuE4ELNS1_3repE0EEENS1_30default_config_static_selectorELNS0_4arch9wavefront6targetE1EEEvT1_
; %bb.0:
	.section	.rodata,"a",@progbits
	.p2align	6, 0x0
	.amdhsa_kernel _ZN7rocprim17ROCPRIM_400000_NS6detail17trampoline_kernelINS0_14default_configENS1_25partition_config_selectorILNS1_17partition_subalgoE8EtNS0_10empty_typeEbEEZZNS1_14partition_implILS5_8ELb0ES3_jPKtPS6_PKS6_NS0_5tupleIJPtS6_EEENSE_IJSB_SB_EEENS0_18inequality_wrapperIN6hipcub16HIPCUB_304000_NS8EqualityEEEPlJS6_EEE10hipError_tPvRmT3_T4_T5_T6_T7_T9_mT8_P12ihipStream_tbDpT10_ENKUlT_T0_E_clISt17integral_constantIbLb0EES17_EEDaS12_S13_EUlS12_E_NS1_11comp_targetILNS1_3genE10ELNS1_11target_archE1200ELNS1_3gpuE4ELNS1_3repE0EEENS1_30default_config_static_selectorELNS0_4arch9wavefront6targetE1EEEvT1_
		.amdhsa_group_segment_fixed_size 0
		.amdhsa_private_segment_fixed_size 0
		.amdhsa_kernarg_size 112
		.amdhsa_user_sgpr_count 2
		.amdhsa_user_sgpr_dispatch_ptr 0
		.amdhsa_user_sgpr_queue_ptr 0
		.amdhsa_user_sgpr_kernarg_segment_ptr 1
		.amdhsa_user_sgpr_dispatch_id 0
		.amdhsa_user_sgpr_kernarg_preload_length 0
		.amdhsa_user_sgpr_kernarg_preload_offset 0
		.amdhsa_user_sgpr_private_segment_size 0
		.amdhsa_uses_dynamic_stack 0
		.amdhsa_enable_private_segment 0
		.amdhsa_system_sgpr_workgroup_id_x 1
		.amdhsa_system_sgpr_workgroup_id_y 0
		.amdhsa_system_sgpr_workgroup_id_z 0
		.amdhsa_system_sgpr_workgroup_info 0
		.amdhsa_system_vgpr_workitem_id 0
		.amdhsa_next_free_vgpr 1
		.amdhsa_next_free_sgpr 0
		.amdhsa_accum_offset 4
		.amdhsa_reserve_vcc 0
		.amdhsa_float_round_mode_32 0
		.amdhsa_float_round_mode_16_64 0
		.amdhsa_float_denorm_mode_32 3
		.amdhsa_float_denorm_mode_16_64 3
		.amdhsa_dx10_clamp 1
		.amdhsa_ieee_mode 1
		.amdhsa_fp16_overflow 0
		.amdhsa_tg_split 0
		.amdhsa_exception_fp_ieee_invalid_op 0
		.amdhsa_exception_fp_denorm_src 0
		.amdhsa_exception_fp_ieee_div_zero 0
		.amdhsa_exception_fp_ieee_overflow 0
		.amdhsa_exception_fp_ieee_underflow 0
		.amdhsa_exception_fp_ieee_inexact 0
		.amdhsa_exception_int_div_zero 0
	.end_amdhsa_kernel
	.section	.text._ZN7rocprim17ROCPRIM_400000_NS6detail17trampoline_kernelINS0_14default_configENS1_25partition_config_selectorILNS1_17partition_subalgoE8EtNS0_10empty_typeEbEEZZNS1_14partition_implILS5_8ELb0ES3_jPKtPS6_PKS6_NS0_5tupleIJPtS6_EEENSE_IJSB_SB_EEENS0_18inequality_wrapperIN6hipcub16HIPCUB_304000_NS8EqualityEEEPlJS6_EEE10hipError_tPvRmT3_T4_T5_T6_T7_T9_mT8_P12ihipStream_tbDpT10_ENKUlT_T0_E_clISt17integral_constantIbLb0EES17_EEDaS12_S13_EUlS12_E_NS1_11comp_targetILNS1_3genE10ELNS1_11target_archE1200ELNS1_3gpuE4ELNS1_3repE0EEENS1_30default_config_static_selectorELNS0_4arch9wavefront6targetE1EEEvT1_,"axG",@progbits,_ZN7rocprim17ROCPRIM_400000_NS6detail17trampoline_kernelINS0_14default_configENS1_25partition_config_selectorILNS1_17partition_subalgoE8EtNS0_10empty_typeEbEEZZNS1_14partition_implILS5_8ELb0ES3_jPKtPS6_PKS6_NS0_5tupleIJPtS6_EEENSE_IJSB_SB_EEENS0_18inequality_wrapperIN6hipcub16HIPCUB_304000_NS8EqualityEEEPlJS6_EEE10hipError_tPvRmT3_T4_T5_T6_T7_T9_mT8_P12ihipStream_tbDpT10_ENKUlT_T0_E_clISt17integral_constantIbLb0EES17_EEDaS12_S13_EUlS12_E_NS1_11comp_targetILNS1_3genE10ELNS1_11target_archE1200ELNS1_3gpuE4ELNS1_3repE0EEENS1_30default_config_static_selectorELNS0_4arch9wavefront6targetE1EEEvT1_,comdat
.Lfunc_end760:
	.size	_ZN7rocprim17ROCPRIM_400000_NS6detail17trampoline_kernelINS0_14default_configENS1_25partition_config_selectorILNS1_17partition_subalgoE8EtNS0_10empty_typeEbEEZZNS1_14partition_implILS5_8ELb0ES3_jPKtPS6_PKS6_NS0_5tupleIJPtS6_EEENSE_IJSB_SB_EEENS0_18inequality_wrapperIN6hipcub16HIPCUB_304000_NS8EqualityEEEPlJS6_EEE10hipError_tPvRmT3_T4_T5_T6_T7_T9_mT8_P12ihipStream_tbDpT10_ENKUlT_T0_E_clISt17integral_constantIbLb0EES17_EEDaS12_S13_EUlS12_E_NS1_11comp_targetILNS1_3genE10ELNS1_11target_archE1200ELNS1_3gpuE4ELNS1_3repE0EEENS1_30default_config_static_selectorELNS0_4arch9wavefront6targetE1EEEvT1_, .Lfunc_end760-_ZN7rocprim17ROCPRIM_400000_NS6detail17trampoline_kernelINS0_14default_configENS1_25partition_config_selectorILNS1_17partition_subalgoE8EtNS0_10empty_typeEbEEZZNS1_14partition_implILS5_8ELb0ES3_jPKtPS6_PKS6_NS0_5tupleIJPtS6_EEENSE_IJSB_SB_EEENS0_18inequality_wrapperIN6hipcub16HIPCUB_304000_NS8EqualityEEEPlJS6_EEE10hipError_tPvRmT3_T4_T5_T6_T7_T9_mT8_P12ihipStream_tbDpT10_ENKUlT_T0_E_clISt17integral_constantIbLb0EES17_EEDaS12_S13_EUlS12_E_NS1_11comp_targetILNS1_3genE10ELNS1_11target_archE1200ELNS1_3gpuE4ELNS1_3repE0EEENS1_30default_config_static_selectorELNS0_4arch9wavefront6targetE1EEEvT1_
                                        ; -- End function
	.section	.AMDGPU.csdata,"",@progbits
; Kernel info:
; codeLenInByte = 0
; NumSgprs: 6
; NumVgprs: 0
; NumAgprs: 0
; TotalNumVgprs: 0
; ScratchSize: 0
; MemoryBound: 0
; FloatMode: 240
; IeeeMode: 1
; LDSByteSize: 0 bytes/workgroup (compile time only)
; SGPRBlocks: 0
; VGPRBlocks: 0
; NumSGPRsForWavesPerEU: 6
; NumVGPRsForWavesPerEU: 1
; AccumOffset: 4
; Occupancy: 8
; WaveLimiterHint : 0
; COMPUTE_PGM_RSRC2:SCRATCH_EN: 0
; COMPUTE_PGM_RSRC2:USER_SGPR: 2
; COMPUTE_PGM_RSRC2:TRAP_HANDLER: 0
; COMPUTE_PGM_RSRC2:TGID_X_EN: 1
; COMPUTE_PGM_RSRC2:TGID_Y_EN: 0
; COMPUTE_PGM_RSRC2:TGID_Z_EN: 0
; COMPUTE_PGM_RSRC2:TIDIG_COMP_CNT: 0
; COMPUTE_PGM_RSRC3_GFX90A:ACCUM_OFFSET: 0
; COMPUTE_PGM_RSRC3_GFX90A:TG_SPLIT: 0
	.section	.text._ZN7rocprim17ROCPRIM_400000_NS6detail17trampoline_kernelINS0_14default_configENS1_25partition_config_selectorILNS1_17partition_subalgoE8EtNS0_10empty_typeEbEEZZNS1_14partition_implILS5_8ELb0ES3_jPKtPS6_PKS6_NS0_5tupleIJPtS6_EEENSE_IJSB_SB_EEENS0_18inequality_wrapperIN6hipcub16HIPCUB_304000_NS8EqualityEEEPlJS6_EEE10hipError_tPvRmT3_T4_T5_T6_T7_T9_mT8_P12ihipStream_tbDpT10_ENKUlT_T0_E_clISt17integral_constantIbLb0EES17_EEDaS12_S13_EUlS12_E_NS1_11comp_targetILNS1_3genE9ELNS1_11target_archE1100ELNS1_3gpuE3ELNS1_3repE0EEENS1_30default_config_static_selectorELNS0_4arch9wavefront6targetE1EEEvT1_,"axG",@progbits,_ZN7rocprim17ROCPRIM_400000_NS6detail17trampoline_kernelINS0_14default_configENS1_25partition_config_selectorILNS1_17partition_subalgoE8EtNS0_10empty_typeEbEEZZNS1_14partition_implILS5_8ELb0ES3_jPKtPS6_PKS6_NS0_5tupleIJPtS6_EEENSE_IJSB_SB_EEENS0_18inequality_wrapperIN6hipcub16HIPCUB_304000_NS8EqualityEEEPlJS6_EEE10hipError_tPvRmT3_T4_T5_T6_T7_T9_mT8_P12ihipStream_tbDpT10_ENKUlT_T0_E_clISt17integral_constantIbLb0EES17_EEDaS12_S13_EUlS12_E_NS1_11comp_targetILNS1_3genE9ELNS1_11target_archE1100ELNS1_3gpuE3ELNS1_3repE0EEENS1_30default_config_static_selectorELNS0_4arch9wavefront6targetE1EEEvT1_,comdat
	.protected	_ZN7rocprim17ROCPRIM_400000_NS6detail17trampoline_kernelINS0_14default_configENS1_25partition_config_selectorILNS1_17partition_subalgoE8EtNS0_10empty_typeEbEEZZNS1_14partition_implILS5_8ELb0ES3_jPKtPS6_PKS6_NS0_5tupleIJPtS6_EEENSE_IJSB_SB_EEENS0_18inequality_wrapperIN6hipcub16HIPCUB_304000_NS8EqualityEEEPlJS6_EEE10hipError_tPvRmT3_T4_T5_T6_T7_T9_mT8_P12ihipStream_tbDpT10_ENKUlT_T0_E_clISt17integral_constantIbLb0EES17_EEDaS12_S13_EUlS12_E_NS1_11comp_targetILNS1_3genE9ELNS1_11target_archE1100ELNS1_3gpuE3ELNS1_3repE0EEENS1_30default_config_static_selectorELNS0_4arch9wavefront6targetE1EEEvT1_ ; -- Begin function _ZN7rocprim17ROCPRIM_400000_NS6detail17trampoline_kernelINS0_14default_configENS1_25partition_config_selectorILNS1_17partition_subalgoE8EtNS0_10empty_typeEbEEZZNS1_14partition_implILS5_8ELb0ES3_jPKtPS6_PKS6_NS0_5tupleIJPtS6_EEENSE_IJSB_SB_EEENS0_18inequality_wrapperIN6hipcub16HIPCUB_304000_NS8EqualityEEEPlJS6_EEE10hipError_tPvRmT3_T4_T5_T6_T7_T9_mT8_P12ihipStream_tbDpT10_ENKUlT_T0_E_clISt17integral_constantIbLb0EES17_EEDaS12_S13_EUlS12_E_NS1_11comp_targetILNS1_3genE9ELNS1_11target_archE1100ELNS1_3gpuE3ELNS1_3repE0EEENS1_30default_config_static_selectorELNS0_4arch9wavefront6targetE1EEEvT1_
	.globl	_ZN7rocprim17ROCPRIM_400000_NS6detail17trampoline_kernelINS0_14default_configENS1_25partition_config_selectorILNS1_17partition_subalgoE8EtNS0_10empty_typeEbEEZZNS1_14partition_implILS5_8ELb0ES3_jPKtPS6_PKS6_NS0_5tupleIJPtS6_EEENSE_IJSB_SB_EEENS0_18inequality_wrapperIN6hipcub16HIPCUB_304000_NS8EqualityEEEPlJS6_EEE10hipError_tPvRmT3_T4_T5_T6_T7_T9_mT8_P12ihipStream_tbDpT10_ENKUlT_T0_E_clISt17integral_constantIbLb0EES17_EEDaS12_S13_EUlS12_E_NS1_11comp_targetILNS1_3genE9ELNS1_11target_archE1100ELNS1_3gpuE3ELNS1_3repE0EEENS1_30default_config_static_selectorELNS0_4arch9wavefront6targetE1EEEvT1_
	.p2align	8
	.type	_ZN7rocprim17ROCPRIM_400000_NS6detail17trampoline_kernelINS0_14default_configENS1_25partition_config_selectorILNS1_17partition_subalgoE8EtNS0_10empty_typeEbEEZZNS1_14partition_implILS5_8ELb0ES3_jPKtPS6_PKS6_NS0_5tupleIJPtS6_EEENSE_IJSB_SB_EEENS0_18inequality_wrapperIN6hipcub16HIPCUB_304000_NS8EqualityEEEPlJS6_EEE10hipError_tPvRmT3_T4_T5_T6_T7_T9_mT8_P12ihipStream_tbDpT10_ENKUlT_T0_E_clISt17integral_constantIbLb0EES17_EEDaS12_S13_EUlS12_E_NS1_11comp_targetILNS1_3genE9ELNS1_11target_archE1100ELNS1_3gpuE3ELNS1_3repE0EEENS1_30default_config_static_selectorELNS0_4arch9wavefront6targetE1EEEvT1_,@function
_ZN7rocprim17ROCPRIM_400000_NS6detail17trampoline_kernelINS0_14default_configENS1_25partition_config_selectorILNS1_17partition_subalgoE8EtNS0_10empty_typeEbEEZZNS1_14partition_implILS5_8ELb0ES3_jPKtPS6_PKS6_NS0_5tupleIJPtS6_EEENSE_IJSB_SB_EEENS0_18inequality_wrapperIN6hipcub16HIPCUB_304000_NS8EqualityEEEPlJS6_EEE10hipError_tPvRmT3_T4_T5_T6_T7_T9_mT8_P12ihipStream_tbDpT10_ENKUlT_T0_E_clISt17integral_constantIbLb0EES17_EEDaS12_S13_EUlS12_E_NS1_11comp_targetILNS1_3genE9ELNS1_11target_archE1100ELNS1_3gpuE3ELNS1_3repE0EEENS1_30default_config_static_selectorELNS0_4arch9wavefront6targetE1EEEvT1_: ; @_ZN7rocprim17ROCPRIM_400000_NS6detail17trampoline_kernelINS0_14default_configENS1_25partition_config_selectorILNS1_17partition_subalgoE8EtNS0_10empty_typeEbEEZZNS1_14partition_implILS5_8ELb0ES3_jPKtPS6_PKS6_NS0_5tupleIJPtS6_EEENSE_IJSB_SB_EEENS0_18inequality_wrapperIN6hipcub16HIPCUB_304000_NS8EqualityEEEPlJS6_EEE10hipError_tPvRmT3_T4_T5_T6_T7_T9_mT8_P12ihipStream_tbDpT10_ENKUlT_T0_E_clISt17integral_constantIbLb0EES17_EEDaS12_S13_EUlS12_E_NS1_11comp_targetILNS1_3genE9ELNS1_11target_archE1100ELNS1_3gpuE3ELNS1_3repE0EEENS1_30default_config_static_selectorELNS0_4arch9wavefront6targetE1EEEvT1_
; %bb.0:
	.section	.rodata,"a",@progbits
	.p2align	6, 0x0
	.amdhsa_kernel _ZN7rocprim17ROCPRIM_400000_NS6detail17trampoline_kernelINS0_14default_configENS1_25partition_config_selectorILNS1_17partition_subalgoE8EtNS0_10empty_typeEbEEZZNS1_14partition_implILS5_8ELb0ES3_jPKtPS6_PKS6_NS0_5tupleIJPtS6_EEENSE_IJSB_SB_EEENS0_18inequality_wrapperIN6hipcub16HIPCUB_304000_NS8EqualityEEEPlJS6_EEE10hipError_tPvRmT3_T4_T5_T6_T7_T9_mT8_P12ihipStream_tbDpT10_ENKUlT_T0_E_clISt17integral_constantIbLb0EES17_EEDaS12_S13_EUlS12_E_NS1_11comp_targetILNS1_3genE9ELNS1_11target_archE1100ELNS1_3gpuE3ELNS1_3repE0EEENS1_30default_config_static_selectorELNS0_4arch9wavefront6targetE1EEEvT1_
		.amdhsa_group_segment_fixed_size 0
		.amdhsa_private_segment_fixed_size 0
		.amdhsa_kernarg_size 112
		.amdhsa_user_sgpr_count 2
		.amdhsa_user_sgpr_dispatch_ptr 0
		.amdhsa_user_sgpr_queue_ptr 0
		.amdhsa_user_sgpr_kernarg_segment_ptr 1
		.amdhsa_user_sgpr_dispatch_id 0
		.amdhsa_user_sgpr_kernarg_preload_length 0
		.amdhsa_user_sgpr_kernarg_preload_offset 0
		.amdhsa_user_sgpr_private_segment_size 0
		.amdhsa_uses_dynamic_stack 0
		.amdhsa_enable_private_segment 0
		.amdhsa_system_sgpr_workgroup_id_x 1
		.amdhsa_system_sgpr_workgroup_id_y 0
		.amdhsa_system_sgpr_workgroup_id_z 0
		.amdhsa_system_sgpr_workgroup_info 0
		.amdhsa_system_vgpr_workitem_id 0
		.amdhsa_next_free_vgpr 1
		.amdhsa_next_free_sgpr 0
		.amdhsa_accum_offset 4
		.amdhsa_reserve_vcc 0
		.amdhsa_float_round_mode_32 0
		.amdhsa_float_round_mode_16_64 0
		.amdhsa_float_denorm_mode_32 3
		.amdhsa_float_denorm_mode_16_64 3
		.amdhsa_dx10_clamp 1
		.amdhsa_ieee_mode 1
		.amdhsa_fp16_overflow 0
		.amdhsa_tg_split 0
		.amdhsa_exception_fp_ieee_invalid_op 0
		.amdhsa_exception_fp_denorm_src 0
		.amdhsa_exception_fp_ieee_div_zero 0
		.amdhsa_exception_fp_ieee_overflow 0
		.amdhsa_exception_fp_ieee_underflow 0
		.amdhsa_exception_fp_ieee_inexact 0
		.amdhsa_exception_int_div_zero 0
	.end_amdhsa_kernel
	.section	.text._ZN7rocprim17ROCPRIM_400000_NS6detail17trampoline_kernelINS0_14default_configENS1_25partition_config_selectorILNS1_17partition_subalgoE8EtNS0_10empty_typeEbEEZZNS1_14partition_implILS5_8ELb0ES3_jPKtPS6_PKS6_NS0_5tupleIJPtS6_EEENSE_IJSB_SB_EEENS0_18inequality_wrapperIN6hipcub16HIPCUB_304000_NS8EqualityEEEPlJS6_EEE10hipError_tPvRmT3_T4_T5_T6_T7_T9_mT8_P12ihipStream_tbDpT10_ENKUlT_T0_E_clISt17integral_constantIbLb0EES17_EEDaS12_S13_EUlS12_E_NS1_11comp_targetILNS1_3genE9ELNS1_11target_archE1100ELNS1_3gpuE3ELNS1_3repE0EEENS1_30default_config_static_selectorELNS0_4arch9wavefront6targetE1EEEvT1_,"axG",@progbits,_ZN7rocprim17ROCPRIM_400000_NS6detail17trampoline_kernelINS0_14default_configENS1_25partition_config_selectorILNS1_17partition_subalgoE8EtNS0_10empty_typeEbEEZZNS1_14partition_implILS5_8ELb0ES3_jPKtPS6_PKS6_NS0_5tupleIJPtS6_EEENSE_IJSB_SB_EEENS0_18inequality_wrapperIN6hipcub16HIPCUB_304000_NS8EqualityEEEPlJS6_EEE10hipError_tPvRmT3_T4_T5_T6_T7_T9_mT8_P12ihipStream_tbDpT10_ENKUlT_T0_E_clISt17integral_constantIbLb0EES17_EEDaS12_S13_EUlS12_E_NS1_11comp_targetILNS1_3genE9ELNS1_11target_archE1100ELNS1_3gpuE3ELNS1_3repE0EEENS1_30default_config_static_selectorELNS0_4arch9wavefront6targetE1EEEvT1_,comdat
.Lfunc_end761:
	.size	_ZN7rocprim17ROCPRIM_400000_NS6detail17trampoline_kernelINS0_14default_configENS1_25partition_config_selectorILNS1_17partition_subalgoE8EtNS0_10empty_typeEbEEZZNS1_14partition_implILS5_8ELb0ES3_jPKtPS6_PKS6_NS0_5tupleIJPtS6_EEENSE_IJSB_SB_EEENS0_18inequality_wrapperIN6hipcub16HIPCUB_304000_NS8EqualityEEEPlJS6_EEE10hipError_tPvRmT3_T4_T5_T6_T7_T9_mT8_P12ihipStream_tbDpT10_ENKUlT_T0_E_clISt17integral_constantIbLb0EES17_EEDaS12_S13_EUlS12_E_NS1_11comp_targetILNS1_3genE9ELNS1_11target_archE1100ELNS1_3gpuE3ELNS1_3repE0EEENS1_30default_config_static_selectorELNS0_4arch9wavefront6targetE1EEEvT1_, .Lfunc_end761-_ZN7rocprim17ROCPRIM_400000_NS6detail17trampoline_kernelINS0_14default_configENS1_25partition_config_selectorILNS1_17partition_subalgoE8EtNS0_10empty_typeEbEEZZNS1_14partition_implILS5_8ELb0ES3_jPKtPS6_PKS6_NS0_5tupleIJPtS6_EEENSE_IJSB_SB_EEENS0_18inequality_wrapperIN6hipcub16HIPCUB_304000_NS8EqualityEEEPlJS6_EEE10hipError_tPvRmT3_T4_T5_T6_T7_T9_mT8_P12ihipStream_tbDpT10_ENKUlT_T0_E_clISt17integral_constantIbLb0EES17_EEDaS12_S13_EUlS12_E_NS1_11comp_targetILNS1_3genE9ELNS1_11target_archE1100ELNS1_3gpuE3ELNS1_3repE0EEENS1_30default_config_static_selectorELNS0_4arch9wavefront6targetE1EEEvT1_
                                        ; -- End function
	.section	.AMDGPU.csdata,"",@progbits
; Kernel info:
; codeLenInByte = 0
; NumSgprs: 6
; NumVgprs: 0
; NumAgprs: 0
; TotalNumVgprs: 0
; ScratchSize: 0
; MemoryBound: 0
; FloatMode: 240
; IeeeMode: 1
; LDSByteSize: 0 bytes/workgroup (compile time only)
; SGPRBlocks: 0
; VGPRBlocks: 0
; NumSGPRsForWavesPerEU: 6
; NumVGPRsForWavesPerEU: 1
; AccumOffset: 4
; Occupancy: 8
; WaveLimiterHint : 0
; COMPUTE_PGM_RSRC2:SCRATCH_EN: 0
; COMPUTE_PGM_RSRC2:USER_SGPR: 2
; COMPUTE_PGM_RSRC2:TRAP_HANDLER: 0
; COMPUTE_PGM_RSRC2:TGID_X_EN: 1
; COMPUTE_PGM_RSRC2:TGID_Y_EN: 0
; COMPUTE_PGM_RSRC2:TGID_Z_EN: 0
; COMPUTE_PGM_RSRC2:TIDIG_COMP_CNT: 0
; COMPUTE_PGM_RSRC3_GFX90A:ACCUM_OFFSET: 0
; COMPUTE_PGM_RSRC3_GFX90A:TG_SPLIT: 0
	.section	.text._ZN7rocprim17ROCPRIM_400000_NS6detail17trampoline_kernelINS0_14default_configENS1_25partition_config_selectorILNS1_17partition_subalgoE8EtNS0_10empty_typeEbEEZZNS1_14partition_implILS5_8ELb0ES3_jPKtPS6_PKS6_NS0_5tupleIJPtS6_EEENSE_IJSB_SB_EEENS0_18inequality_wrapperIN6hipcub16HIPCUB_304000_NS8EqualityEEEPlJS6_EEE10hipError_tPvRmT3_T4_T5_T6_T7_T9_mT8_P12ihipStream_tbDpT10_ENKUlT_T0_E_clISt17integral_constantIbLb0EES17_EEDaS12_S13_EUlS12_E_NS1_11comp_targetILNS1_3genE8ELNS1_11target_archE1030ELNS1_3gpuE2ELNS1_3repE0EEENS1_30default_config_static_selectorELNS0_4arch9wavefront6targetE1EEEvT1_,"axG",@progbits,_ZN7rocprim17ROCPRIM_400000_NS6detail17trampoline_kernelINS0_14default_configENS1_25partition_config_selectorILNS1_17partition_subalgoE8EtNS0_10empty_typeEbEEZZNS1_14partition_implILS5_8ELb0ES3_jPKtPS6_PKS6_NS0_5tupleIJPtS6_EEENSE_IJSB_SB_EEENS0_18inequality_wrapperIN6hipcub16HIPCUB_304000_NS8EqualityEEEPlJS6_EEE10hipError_tPvRmT3_T4_T5_T6_T7_T9_mT8_P12ihipStream_tbDpT10_ENKUlT_T0_E_clISt17integral_constantIbLb0EES17_EEDaS12_S13_EUlS12_E_NS1_11comp_targetILNS1_3genE8ELNS1_11target_archE1030ELNS1_3gpuE2ELNS1_3repE0EEENS1_30default_config_static_selectorELNS0_4arch9wavefront6targetE1EEEvT1_,comdat
	.protected	_ZN7rocprim17ROCPRIM_400000_NS6detail17trampoline_kernelINS0_14default_configENS1_25partition_config_selectorILNS1_17partition_subalgoE8EtNS0_10empty_typeEbEEZZNS1_14partition_implILS5_8ELb0ES3_jPKtPS6_PKS6_NS0_5tupleIJPtS6_EEENSE_IJSB_SB_EEENS0_18inequality_wrapperIN6hipcub16HIPCUB_304000_NS8EqualityEEEPlJS6_EEE10hipError_tPvRmT3_T4_T5_T6_T7_T9_mT8_P12ihipStream_tbDpT10_ENKUlT_T0_E_clISt17integral_constantIbLb0EES17_EEDaS12_S13_EUlS12_E_NS1_11comp_targetILNS1_3genE8ELNS1_11target_archE1030ELNS1_3gpuE2ELNS1_3repE0EEENS1_30default_config_static_selectorELNS0_4arch9wavefront6targetE1EEEvT1_ ; -- Begin function _ZN7rocprim17ROCPRIM_400000_NS6detail17trampoline_kernelINS0_14default_configENS1_25partition_config_selectorILNS1_17partition_subalgoE8EtNS0_10empty_typeEbEEZZNS1_14partition_implILS5_8ELb0ES3_jPKtPS6_PKS6_NS0_5tupleIJPtS6_EEENSE_IJSB_SB_EEENS0_18inequality_wrapperIN6hipcub16HIPCUB_304000_NS8EqualityEEEPlJS6_EEE10hipError_tPvRmT3_T4_T5_T6_T7_T9_mT8_P12ihipStream_tbDpT10_ENKUlT_T0_E_clISt17integral_constantIbLb0EES17_EEDaS12_S13_EUlS12_E_NS1_11comp_targetILNS1_3genE8ELNS1_11target_archE1030ELNS1_3gpuE2ELNS1_3repE0EEENS1_30default_config_static_selectorELNS0_4arch9wavefront6targetE1EEEvT1_
	.globl	_ZN7rocprim17ROCPRIM_400000_NS6detail17trampoline_kernelINS0_14default_configENS1_25partition_config_selectorILNS1_17partition_subalgoE8EtNS0_10empty_typeEbEEZZNS1_14partition_implILS5_8ELb0ES3_jPKtPS6_PKS6_NS0_5tupleIJPtS6_EEENSE_IJSB_SB_EEENS0_18inequality_wrapperIN6hipcub16HIPCUB_304000_NS8EqualityEEEPlJS6_EEE10hipError_tPvRmT3_T4_T5_T6_T7_T9_mT8_P12ihipStream_tbDpT10_ENKUlT_T0_E_clISt17integral_constantIbLb0EES17_EEDaS12_S13_EUlS12_E_NS1_11comp_targetILNS1_3genE8ELNS1_11target_archE1030ELNS1_3gpuE2ELNS1_3repE0EEENS1_30default_config_static_selectorELNS0_4arch9wavefront6targetE1EEEvT1_
	.p2align	8
	.type	_ZN7rocprim17ROCPRIM_400000_NS6detail17trampoline_kernelINS0_14default_configENS1_25partition_config_selectorILNS1_17partition_subalgoE8EtNS0_10empty_typeEbEEZZNS1_14partition_implILS5_8ELb0ES3_jPKtPS6_PKS6_NS0_5tupleIJPtS6_EEENSE_IJSB_SB_EEENS0_18inequality_wrapperIN6hipcub16HIPCUB_304000_NS8EqualityEEEPlJS6_EEE10hipError_tPvRmT3_T4_T5_T6_T7_T9_mT8_P12ihipStream_tbDpT10_ENKUlT_T0_E_clISt17integral_constantIbLb0EES17_EEDaS12_S13_EUlS12_E_NS1_11comp_targetILNS1_3genE8ELNS1_11target_archE1030ELNS1_3gpuE2ELNS1_3repE0EEENS1_30default_config_static_selectorELNS0_4arch9wavefront6targetE1EEEvT1_,@function
_ZN7rocprim17ROCPRIM_400000_NS6detail17trampoline_kernelINS0_14default_configENS1_25partition_config_selectorILNS1_17partition_subalgoE8EtNS0_10empty_typeEbEEZZNS1_14partition_implILS5_8ELb0ES3_jPKtPS6_PKS6_NS0_5tupleIJPtS6_EEENSE_IJSB_SB_EEENS0_18inequality_wrapperIN6hipcub16HIPCUB_304000_NS8EqualityEEEPlJS6_EEE10hipError_tPvRmT3_T4_T5_T6_T7_T9_mT8_P12ihipStream_tbDpT10_ENKUlT_T0_E_clISt17integral_constantIbLb0EES17_EEDaS12_S13_EUlS12_E_NS1_11comp_targetILNS1_3genE8ELNS1_11target_archE1030ELNS1_3gpuE2ELNS1_3repE0EEENS1_30default_config_static_selectorELNS0_4arch9wavefront6targetE1EEEvT1_: ; @_ZN7rocprim17ROCPRIM_400000_NS6detail17trampoline_kernelINS0_14default_configENS1_25partition_config_selectorILNS1_17partition_subalgoE8EtNS0_10empty_typeEbEEZZNS1_14partition_implILS5_8ELb0ES3_jPKtPS6_PKS6_NS0_5tupleIJPtS6_EEENSE_IJSB_SB_EEENS0_18inequality_wrapperIN6hipcub16HIPCUB_304000_NS8EqualityEEEPlJS6_EEE10hipError_tPvRmT3_T4_T5_T6_T7_T9_mT8_P12ihipStream_tbDpT10_ENKUlT_T0_E_clISt17integral_constantIbLb0EES17_EEDaS12_S13_EUlS12_E_NS1_11comp_targetILNS1_3genE8ELNS1_11target_archE1030ELNS1_3gpuE2ELNS1_3repE0EEENS1_30default_config_static_selectorELNS0_4arch9wavefront6targetE1EEEvT1_
; %bb.0:
	.section	.rodata,"a",@progbits
	.p2align	6, 0x0
	.amdhsa_kernel _ZN7rocprim17ROCPRIM_400000_NS6detail17trampoline_kernelINS0_14default_configENS1_25partition_config_selectorILNS1_17partition_subalgoE8EtNS0_10empty_typeEbEEZZNS1_14partition_implILS5_8ELb0ES3_jPKtPS6_PKS6_NS0_5tupleIJPtS6_EEENSE_IJSB_SB_EEENS0_18inequality_wrapperIN6hipcub16HIPCUB_304000_NS8EqualityEEEPlJS6_EEE10hipError_tPvRmT3_T4_T5_T6_T7_T9_mT8_P12ihipStream_tbDpT10_ENKUlT_T0_E_clISt17integral_constantIbLb0EES17_EEDaS12_S13_EUlS12_E_NS1_11comp_targetILNS1_3genE8ELNS1_11target_archE1030ELNS1_3gpuE2ELNS1_3repE0EEENS1_30default_config_static_selectorELNS0_4arch9wavefront6targetE1EEEvT1_
		.amdhsa_group_segment_fixed_size 0
		.amdhsa_private_segment_fixed_size 0
		.amdhsa_kernarg_size 112
		.amdhsa_user_sgpr_count 2
		.amdhsa_user_sgpr_dispatch_ptr 0
		.amdhsa_user_sgpr_queue_ptr 0
		.amdhsa_user_sgpr_kernarg_segment_ptr 1
		.amdhsa_user_sgpr_dispatch_id 0
		.amdhsa_user_sgpr_kernarg_preload_length 0
		.amdhsa_user_sgpr_kernarg_preload_offset 0
		.amdhsa_user_sgpr_private_segment_size 0
		.amdhsa_uses_dynamic_stack 0
		.amdhsa_enable_private_segment 0
		.amdhsa_system_sgpr_workgroup_id_x 1
		.amdhsa_system_sgpr_workgroup_id_y 0
		.amdhsa_system_sgpr_workgroup_id_z 0
		.amdhsa_system_sgpr_workgroup_info 0
		.amdhsa_system_vgpr_workitem_id 0
		.amdhsa_next_free_vgpr 1
		.amdhsa_next_free_sgpr 0
		.amdhsa_accum_offset 4
		.amdhsa_reserve_vcc 0
		.amdhsa_float_round_mode_32 0
		.amdhsa_float_round_mode_16_64 0
		.amdhsa_float_denorm_mode_32 3
		.amdhsa_float_denorm_mode_16_64 3
		.amdhsa_dx10_clamp 1
		.amdhsa_ieee_mode 1
		.amdhsa_fp16_overflow 0
		.amdhsa_tg_split 0
		.amdhsa_exception_fp_ieee_invalid_op 0
		.amdhsa_exception_fp_denorm_src 0
		.amdhsa_exception_fp_ieee_div_zero 0
		.amdhsa_exception_fp_ieee_overflow 0
		.amdhsa_exception_fp_ieee_underflow 0
		.amdhsa_exception_fp_ieee_inexact 0
		.amdhsa_exception_int_div_zero 0
	.end_amdhsa_kernel
	.section	.text._ZN7rocprim17ROCPRIM_400000_NS6detail17trampoline_kernelINS0_14default_configENS1_25partition_config_selectorILNS1_17partition_subalgoE8EtNS0_10empty_typeEbEEZZNS1_14partition_implILS5_8ELb0ES3_jPKtPS6_PKS6_NS0_5tupleIJPtS6_EEENSE_IJSB_SB_EEENS0_18inequality_wrapperIN6hipcub16HIPCUB_304000_NS8EqualityEEEPlJS6_EEE10hipError_tPvRmT3_T4_T5_T6_T7_T9_mT8_P12ihipStream_tbDpT10_ENKUlT_T0_E_clISt17integral_constantIbLb0EES17_EEDaS12_S13_EUlS12_E_NS1_11comp_targetILNS1_3genE8ELNS1_11target_archE1030ELNS1_3gpuE2ELNS1_3repE0EEENS1_30default_config_static_selectorELNS0_4arch9wavefront6targetE1EEEvT1_,"axG",@progbits,_ZN7rocprim17ROCPRIM_400000_NS6detail17trampoline_kernelINS0_14default_configENS1_25partition_config_selectorILNS1_17partition_subalgoE8EtNS0_10empty_typeEbEEZZNS1_14partition_implILS5_8ELb0ES3_jPKtPS6_PKS6_NS0_5tupleIJPtS6_EEENSE_IJSB_SB_EEENS0_18inequality_wrapperIN6hipcub16HIPCUB_304000_NS8EqualityEEEPlJS6_EEE10hipError_tPvRmT3_T4_T5_T6_T7_T9_mT8_P12ihipStream_tbDpT10_ENKUlT_T0_E_clISt17integral_constantIbLb0EES17_EEDaS12_S13_EUlS12_E_NS1_11comp_targetILNS1_3genE8ELNS1_11target_archE1030ELNS1_3gpuE2ELNS1_3repE0EEENS1_30default_config_static_selectorELNS0_4arch9wavefront6targetE1EEEvT1_,comdat
.Lfunc_end762:
	.size	_ZN7rocprim17ROCPRIM_400000_NS6detail17trampoline_kernelINS0_14default_configENS1_25partition_config_selectorILNS1_17partition_subalgoE8EtNS0_10empty_typeEbEEZZNS1_14partition_implILS5_8ELb0ES3_jPKtPS6_PKS6_NS0_5tupleIJPtS6_EEENSE_IJSB_SB_EEENS0_18inequality_wrapperIN6hipcub16HIPCUB_304000_NS8EqualityEEEPlJS6_EEE10hipError_tPvRmT3_T4_T5_T6_T7_T9_mT8_P12ihipStream_tbDpT10_ENKUlT_T0_E_clISt17integral_constantIbLb0EES17_EEDaS12_S13_EUlS12_E_NS1_11comp_targetILNS1_3genE8ELNS1_11target_archE1030ELNS1_3gpuE2ELNS1_3repE0EEENS1_30default_config_static_selectorELNS0_4arch9wavefront6targetE1EEEvT1_, .Lfunc_end762-_ZN7rocprim17ROCPRIM_400000_NS6detail17trampoline_kernelINS0_14default_configENS1_25partition_config_selectorILNS1_17partition_subalgoE8EtNS0_10empty_typeEbEEZZNS1_14partition_implILS5_8ELb0ES3_jPKtPS6_PKS6_NS0_5tupleIJPtS6_EEENSE_IJSB_SB_EEENS0_18inequality_wrapperIN6hipcub16HIPCUB_304000_NS8EqualityEEEPlJS6_EEE10hipError_tPvRmT3_T4_T5_T6_T7_T9_mT8_P12ihipStream_tbDpT10_ENKUlT_T0_E_clISt17integral_constantIbLb0EES17_EEDaS12_S13_EUlS12_E_NS1_11comp_targetILNS1_3genE8ELNS1_11target_archE1030ELNS1_3gpuE2ELNS1_3repE0EEENS1_30default_config_static_selectorELNS0_4arch9wavefront6targetE1EEEvT1_
                                        ; -- End function
	.section	.AMDGPU.csdata,"",@progbits
; Kernel info:
; codeLenInByte = 0
; NumSgprs: 6
; NumVgprs: 0
; NumAgprs: 0
; TotalNumVgprs: 0
; ScratchSize: 0
; MemoryBound: 0
; FloatMode: 240
; IeeeMode: 1
; LDSByteSize: 0 bytes/workgroup (compile time only)
; SGPRBlocks: 0
; VGPRBlocks: 0
; NumSGPRsForWavesPerEU: 6
; NumVGPRsForWavesPerEU: 1
; AccumOffset: 4
; Occupancy: 8
; WaveLimiterHint : 0
; COMPUTE_PGM_RSRC2:SCRATCH_EN: 0
; COMPUTE_PGM_RSRC2:USER_SGPR: 2
; COMPUTE_PGM_RSRC2:TRAP_HANDLER: 0
; COMPUTE_PGM_RSRC2:TGID_X_EN: 1
; COMPUTE_PGM_RSRC2:TGID_Y_EN: 0
; COMPUTE_PGM_RSRC2:TGID_Z_EN: 0
; COMPUTE_PGM_RSRC2:TIDIG_COMP_CNT: 0
; COMPUTE_PGM_RSRC3_GFX90A:ACCUM_OFFSET: 0
; COMPUTE_PGM_RSRC3_GFX90A:TG_SPLIT: 0
	.section	.text._ZN7rocprim17ROCPRIM_400000_NS6detail17trampoline_kernelINS0_14default_configENS1_25partition_config_selectorILNS1_17partition_subalgoE8EtNS0_10empty_typeEbEEZZNS1_14partition_implILS5_8ELb0ES3_jPKtPS6_PKS6_NS0_5tupleIJPtS6_EEENSE_IJSB_SB_EEENS0_18inequality_wrapperIN6hipcub16HIPCUB_304000_NS8EqualityEEEPlJS6_EEE10hipError_tPvRmT3_T4_T5_T6_T7_T9_mT8_P12ihipStream_tbDpT10_ENKUlT_T0_E_clISt17integral_constantIbLb1EES17_EEDaS12_S13_EUlS12_E_NS1_11comp_targetILNS1_3genE0ELNS1_11target_archE4294967295ELNS1_3gpuE0ELNS1_3repE0EEENS1_30default_config_static_selectorELNS0_4arch9wavefront6targetE1EEEvT1_,"axG",@progbits,_ZN7rocprim17ROCPRIM_400000_NS6detail17trampoline_kernelINS0_14default_configENS1_25partition_config_selectorILNS1_17partition_subalgoE8EtNS0_10empty_typeEbEEZZNS1_14partition_implILS5_8ELb0ES3_jPKtPS6_PKS6_NS0_5tupleIJPtS6_EEENSE_IJSB_SB_EEENS0_18inequality_wrapperIN6hipcub16HIPCUB_304000_NS8EqualityEEEPlJS6_EEE10hipError_tPvRmT3_T4_T5_T6_T7_T9_mT8_P12ihipStream_tbDpT10_ENKUlT_T0_E_clISt17integral_constantIbLb1EES17_EEDaS12_S13_EUlS12_E_NS1_11comp_targetILNS1_3genE0ELNS1_11target_archE4294967295ELNS1_3gpuE0ELNS1_3repE0EEENS1_30default_config_static_selectorELNS0_4arch9wavefront6targetE1EEEvT1_,comdat
	.protected	_ZN7rocprim17ROCPRIM_400000_NS6detail17trampoline_kernelINS0_14default_configENS1_25partition_config_selectorILNS1_17partition_subalgoE8EtNS0_10empty_typeEbEEZZNS1_14partition_implILS5_8ELb0ES3_jPKtPS6_PKS6_NS0_5tupleIJPtS6_EEENSE_IJSB_SB_EEENS0_18inequality_wrapperIN6hipcub16HIPCUB_304000_NS8EqualityEEEPlJS6_EEE10hipError_tPvRmT3_T4_T5_T6_T7_T9_mT8_P12ihipStream_tbDpT10_ENKUlT_T0_E_clISt17integral_constantIbLb1EES17_EEDaS12_S13_EUlS12_E_NS1_11comp_targetILNS1_3genE0ELNS1_11target_archE4294967295ELNS1_3gpuE0ELNS1_3repE0EEENS1_30default_config_static_selectorELNS0_4arch9wavefront6targetE1EEEvT1_ ; -- Begin function _ZN7rocprim17ROCPRIM_400000_NS6detail17trampoline_kernelINS0_14default_configENS1_25partition_config_selectorILNS1_17partition_subalgoE8EtNS0_10empty_typeEbEEZZNS1_14partition_implILS5_8ELb0ES3_jPKtPS6_PKS6_NS0_5tupleIJPtS6_EEENSE_IJSB_SB_EEENS0_18inequality_wrapperIN6hipcub16HIPCUB_304000_NS8EqualityEEEPlJS6_EEE10hipError_tPvRmT3_T4_T5_T6_T7_T9_mT8_P12ihipStream_tbDpT10_ENKUlT_T0_E_clISt17integral_constantIbLb1EES17_EEDaS12_S13_EUlS12_E_NS1_11comp_targetILNS1_3genE0ELNS1_11target_archE4294967295ELNS1_3gpuE0ELNS1_3repE0EEENS1_30default_config_static_selectorELNS0_4arch9wavefront6targetE1EEEvT1_
	.globl	_ZN7rocprim17ROCPRIM_400000_NS6detail17trampoline_kernelINS0_14default_configENS1_25partition_config_selectorILNS1_17partition_subalgoE8EtNS0_10empty_typeEbEEZZNS1_14partition_implILS5_8ELb0ES3_jPKtPS6_PKS6_NS0_5tupleIJPtS6_EEENSE_IJSB_SB_EEENS0_18inequality_wrapperIN6hipcub16HIPCUB_304000_NS8EqualityEEEPlJS6_EEE10hipError_tPvRmT3_T4_T5_T6_T7_T9_mT8_P12ihipStream_tbDpT10_ENKUlT_T0_E_clISt17integral_constantIbLb1EES17_EEDaS12_S13_EUlS12_E_NS1_11comp_targetILNS1_3genE0ELNS1_11target_archE4294967295ELNS1_3gpuE0ELNS1_3repE0EEENS1_30default_config_static_selectorELNS0_4arch9wavefront6targetE1EEEvT1_
	.p2align	8
	.type	_ZN7rocprim17ROCPRIM_400000_NS6detail17trampoline_kernelINS0_14default_configENS1_25partition_config_selectorILNS1_17partition_subalgoE8EtNS0_10empty_typeEbEEZZNS1_14partition_implILS5_8ELb0ES3_jPKtPS6_PKS6_NS0_5tupleIJPtS6_EEENSE_IJSB_SB_EEENS0_18inequality_wrapperIN6hipcub16HIPCUB_304000_NS8EqualityEEEPlJS6_EEE10hipError_tPvRmT3_T4_T5_T6_T7_T9_mT8_P12ihipStream_tbDpT10_ENKUlT_T0_E_clISt17integral_constantIbLb1EES17_EEDaS12_S13_EUlS12_E_NS1_11comp_targetILNS1_3genE0ELNS1_11target_archE4294967295ELNS1_3gpuE0ELNS1_3repE0EEENS1_30default_config_static_selectorELNS0_4arch9wavefront6targetE1EEEvT1_,@function
_ZN7rocprim17ROCPRIM_400000_NS6detail17trampoline_kernelINS0_14default_configENS1_25partition_config_selectorILNS1_17partition_subalgoE8EtNS0_10empty_typeEbEEZZNS1_14partition_implILS5_8ELb0ES3_jPKtPS6_PKS6_NS0_5tupleIJPtS6_EEENSE_IJSB_SB_EEENS0_18inequality_wrapperIN6hipcub16HIPCUB_304000_NS8EqualityEEEPlJS6_EEE10hipError_tPvRmT3_T4_T5_T6_T7_T9_mT8_P12ihipStream_tbDpT10_ENKUlT_T0_E_clISt17integral_constantIbLb1EES17_EEDaS12_S13_EUlS12_E_NS1_11comp_targetILNS1_3genE0ELNS1_11target_archE4294967295ELNS1_3gpuE0ELNS1_3repE0EEENS1_30default_config_static_selectorELNS0_4arch9wavefront6targetE1EEEvT1_: ; @_ZN7rocprim17ROCPRIM_400000_NS6detail17trampoline_kernelINS0_14default_configENS1_25partition_config_selectorILNS1_17partition_subalgoE8EtNS0_10empty_typeEbEEZZNS1_14partition_implILS5_8ELb0ES3_jPKtPS6_PKS6_NS0_5tupleIJPtS6_EEENSE_IJSB_SB_EEENS0_18inequality_wrapperIN6hipcub16HIPCUB_304000_NS8EqualityEEEPlJS6_EEE10hipError_tPvRmT3_T4_T5_T6_T7_T9_mT8_P12ihipStream_tbDpT10_ENKUlT_T0_E_clISt17integral_constantIbLb1EES17_EEDaS12_S13_EUlS12_E_NS1_11comp_targetILNS1_3genE0ELNS1_11target_archE4294967295ELNS1_3gpuE0ELNS1_3repE0EEENS1_30default_config_static_selectorELNS0_4arch9wavefront6targetE1EEEvT1_
; %bb.0:
	.section	.rodata,"a",@progbits
	.p2align	6, 0x0
	.amdhsa_kernel _ZN7rocprim17ROCPRIM_400000_NS6detail17trampoline_kernelINS0_14default_configENS1_25partition_config_selectorILNS1_17partition_subalgoE8EtNS0_10empty_typeEbEEZZNS1_14partition_implILS5_8ELb0ES3_jPKtPS6_PKS6_NS0_5tupleIJPtS6_EEENSE_IJSB_SB_EEENS0_18inequality_wrapperIN6hipcub16HIPCUB_304000_NS8EqualityEEEPlJS6_EEE10hipError_tPvRmT3_T4_T5_T6_T7_T9_mT8_P12ihipStream_tbDpT10_ENKUlT_T0_E_clISt17integral_constantIbLb1EES17_EEDaS12_S13_EUlS12_E_NS1_11comp_targetILNS1_3genE0ELNS1_11target_archE4294967295ELNS1_3gpuE0ELNS1_3repE0EEENS1_30default_config_static_selectorELNS0_4arch9wavefront6targetE1EEEvT1_
		.amdhsa_group_segment_fixed_size 0
		.amdhsa_private_segment_fixed_size 0
		.amdhsa_kernarg_size 128
		.amdhsa_user_sgpr_count 2
		.amdhsa_user_sgpr_dispatch_ptr 0
		.amdhsa_user_sgpr_queue_ptr 0
		.amdhsa_user_sgpr_kernarg_segment_ptr 1
		.amdhsa_user_sgpr_dispatch_id 0
		.amdhsa_user_sgpr_kernarg_preload_length 0
		.amdhsa_user_sgpr_kernarg_preload_offset 0
		.amdhsa_user_sgpr_private_segment_size 0
		.amdhsa_uses_dynamic_stack 0
		.amdhsa_enable_private_segment 0
		.amdhsa_system_sgpr_workgroup_id_x 1
		.amdhsa_system_sgpr_workgroup_id_y 0
		.amdhsa_system_sgpr_workgroup_id_z 0
		.amdhsa_system_sgpr_workgroup_info 0
		.amdhsa_system_vgpr_workitem_id 0
		.amdhsa_next_free_vgpr 1
		.amdhsa_next_free_sgpr 0
		.amdhsa_accum_offset 4
		.amdhsa_reserve_vcc 0
		.amdhsa_float_round_mode_32 0
		.amdhsa_float_round_mode_16_64 0
		.amdhsa_float_denorm_mode_32 3
		.amdhsa_float_denorm_mode_16_64 3
		.amdhsa_dx10_clamp 1
		.amdhsa_ieee_mode 1
		.amdhsa_fp16_overflow 0
		.amdhsa_tg_split 0
		.amdhsa_exception_fp_ieee_invalid_op 0
		.amdhsa_exception_fp_denorm_src 0
		.amdhsa_exception_fp_ieee_div_zero 0
		.amdhsa_exception_fp_ieee_overflow 0
		.amdhsa_exception_fp_ieee_underflow 0
		.amdhsa_exception_fp_ieee_inexact 0
		.amdhsa_exception_int_div_zero 0
	.end_amdhsa_kernel
	.section	.text._ZN7rocprim17ROCPRIM_400000_NS6detail17trampoline_kernelINS0_14default_configENS1_25partition_config_selectorILNS1_17partition_subalgoE8EtNS0_10empty_typeEbEEZZNS1_14partition_implILS5_8ELb0ES3_jPKtPS6_PKS6_NS0_5tupleIJPtS6_EEENSE_IJSB_SB_EEENS0_18inequality_wrapperIN6hipcub16HIPCUB_304000_NS8EqualityEEEPlJS6_EEE10hipError_tPvRmT3_T4_T5_T6_T7_T9_mT8_P12ihipStream_tbDpT10_ENKUlT_T0_E_clISt17integral_constantIbLb1EES17_EEDaS12_S13_EUlS12_E_NS1_11comp_targetILNS1_3genE0ELNS1_11target_archE4294967295ELNS1_3gpuE0ELNS1_3repE0EEENS1_30default_config_static_selectorELNS0_4arch9wavefront6targetE1EEEvT1_,"axG",@progbits,_ZN7rocprim17ROCPRIM_400000_NS6detail17trampoline_kernelINS0_14default_configENS1_25partition_config_selectorILNS1_17partition_subalgoE8EtNS0_10empty_typeEbEEZZNS1_14partition_implILS5_8ELb0ES3_jPKtPS6_PKS6_NS0_5tupleIJPtS6_EEENSE_IJSB_SB_EEENS0_18inequality_wrapperIN6hipcub16HIPCUB_304000_NS8EqualityEEEPlJS6_EEE10hipError_tPvRmT3_T4_T5_T6_T7_T9_mT8_P12ihipStream_tbDpT10_ENKUlT_T0_E_clISt17integral_constantIbLb1EES17_EEDaS12_S13_EUlS12_E_NS1_11comp_targetILNS1_3genE0ELNS1_11target_archE4294967295ELNS1_3gpuE0ELNS1_3repE0EEENS1_30default_config_static_selectorELNS0_4arch9wavefront6targetE1EEEvT1_,comdat
.Lfunc_end763:
	.size	_ZN7rocprim17ROCPRIM_400000_NS6detail17trampoline_kernelINS0_14default_configENS1_25partition_config_selectorILNS1_17partition_subalgoE8EtNS0_10empty_typeEbEEZZNS1_14partition_implILS5_8ELb0ES3_jPKtPS6_PKS6_NS0_5tupleIJPtS6_EEENSE_IJSB_SB_EEENS0_18inequality_wrapperIN6hipcub16HIPCUB_304000_NS8EqualityEEEPlJS6_EEE10hipError_tPvRmT3_T4_T5_T6_T7_T9_mT8_P12ihipStream_tbDpT10_ENKUlT_T0_E_clISt17integral_constantIbLb1EES17_EEDaS12_S13_EUlS12_E_NS1_11comp_targetILNS1_3genE0ELNS1_11target_archE4294967295ELNS1_3gpuE0ELNS1_3repE0EEENS1_30default_config_static_selectorELNS0_4arch9wavefront6targetE1EEEvT1_, .Lfunc_end763-_ZN7rocprim17ROCPRIM_400000_NS6detail17trampoline_kernelINS0_14default_configENS1_25partition_config_selectorILNS1_17partition_subalgoE8EtNS0_10empty_typeEbEEZZNS1_14partition_implILS5_8ELb0ES3_jPKtPS6_PKS6_NS0_5tupleIJPtS6_EEENSE_IJSB_SB_EEENS0_18inequality_wrapperIN6hipcub16HIPCUB_304000_NS8EqualityEEEPlJS6_EEE10hipError_tPvRmT3_T4_T5_T6_T7_T9_mT8_P12ihipStream_tbDpT10_ENKUlT_T0_E_clISt17integral_constantIbLb1EES17_EEDaS12_S13_EUlS12_E_NS1_11comp_targetILNS1_3genE0ELNS1_11target_archE4294967295ELNS1_3gpuE0ELNS1_3repE0EEENS1_30default_config_static_selectorELNS0_4arch9wavefront6targetE1EEEvT1_
                                        ; -- End function
	.section	.AMDGPU.csdata,"",@progbits
; Kernel info:
; codeLenInByte = 0
; NumSgprs: 6
; NumVgprs: 0
; NumAgprs: 0
; TotalNumVgprs: 0
; ScratchSize: 0
; MemoryBound: 0
; FloatMode: 240
; IeeeMode: 1
; LDSByteSize: 0 bytes/workgroup (compile time only)
; SGPRBlocks: 0
; VGPRBlocks: 0
; NumSGPRsForWavesPerEU: 6
; NumVGPRsForWavesPerEU: 1
; AccumOffset: 4
; Occupancy: 8
; WaveLimiterHint : 0
; COMPUTE_PGM_RSRC2:SCRATCH_EN: 0
; COMPUTE_PGM_RSRC2:USER_SGPR: 2
; COMPUTE_PGM_RSRC2:TRAP_HANDLER: 0
; COMPUTE_PGM_RSRC2:TGID_X_EN: 1
; COMPUTE_PGM_RSRC2:TGID_Y_EN: 0
; COMPUTE_PGM_RSRC2:TGID_Z_EN: 0
; COMPUTE_PGM_RSRC2:TIDIG_COMP_CNT: 0
; COMPUTE_PGM_RSRC3_GFX90A:ACCUM_OFFSET: 0
; COMPUTE_PGM_RSRC3_GFX90A:TG_SPLIT: 0
	.section	.text._ZN7rocprim17ROCPRIM_400000_NS6detail17trampoline_kernelINS0_14default_configENS1_25partition_config_selectorILNS1_17partition_subalgoE8EtNS0_10empty_typeEbEEZZNS1_14partition_implILS5_8ELb0ES3_jPKtPS6_PKS6_NS0_5tupleIJPtS6_EEENSE_IJSB_SB_EEENS0_18inequality_wrapperIN6hipcub16HIPCUB_304000_NS8EqualityEEEPlJS6_EEE10hipError_tPvRmT3_T4_T5_T6_T7_T9_mT8_P12ihipStream_tbDpT10_ENKUlT_T0_E_clISt17integral_constantIbLb1EES17_EEDaS12_S13_EUlS12_E_NS1_11comp_targetILNS1_3genE5ELNS1_11target_archE942ELNS1_3gpuE9ELNS1_3repE0EEENS1_30default_config_static_selectorELNS0_4arch9wavefront6targetE1EEEvT1_,"axG",@progbits,_ZN7rocprim17ROCPRIM_400000_NS6detail17trampoline_kernelINS0_14default_configENS1_25partition_config_selectorILNS1_17partition_subalgoE8EtNS0_10empty_typeEbEEZZNS1_14partition_implILS5_8ELb0ES3_jPKtPS6_PKS6_NS0_5tupleIJPtS6_EEENSE_IJSB_SB_EEENS0_18inequality_wrapperIN6hipcub16HIPCUB_304000_NS8EqualityEEEPlJS6_EEE10hipError_tPvRmT3_T4_T5_T6_T7_T9_mT8_P12ihipStream_tbDpT10_ENKUlT_T0_E_clISt17integral_constantIbLb1EES17_EEDaS12_S13_EUlS12_E_NS1_11comp_targetILNS1_3genE5ELNS1_11target_archE942ELNS1_3gpuE9ELNS1_3repE0EEENS1_30default_config_static_selectorELNS0_4arch9wavefront6targetE1EEEvT1_,comdat
	.protected	_ZN7rocprim17ROCPRIM_400000_NS6detail17trampoline_kernelINS0_14default_configENS1_25partition_config_selectorILNS1_17partition_subalgoE8EtNS0_10empty_typeEbEEZZNS1_14partition_implILS5_8ELb0ES3_jPKtPS6_PKS6_NS0_5tupleIJPtS6_EEENSE_IJSB_SB_EEENS0_18inequality_wrapperIN6hipcub16HIPCUB_304000_NS8EqualityEEEPlJS6_EEE10hipError_tPvRmT3_T4_T5_T6_T7_T9_mT8_P12ihipStream_tbDpT10_ENKUlT_T0_E_clISt17integral_constantIbLb1EES17_EEDaS12_S13_EUlS12_E_NS1_11comp_targetILNS1_3genE5ELNS1_11target_archE942ELNS1_3gpuE9ELNS1_3repE0EEENS1_30default_config_static_selectorELNS0_4arch9wavefront6targetE1EEEvT1_ ; -- Begin function _ZN7rocprim17ROCPRIM_400000_NS6detail17trampoline_kernelINS0_14default_configENS1_25partition_config_selectorILNS1_17partition_subalgoE8EtNS0_10empty_typeEbEEZZNS1_14partition_implILS5_8ELb0ES3_jPKtPS6_PKS6_NS0_5tupleIJPtS6_EEENSE_IJSB_SB_EEENS0_18inequality_wrapperIN6hipcub16HIPCUB_304000_NS8EqualityEEEPlJS6_EEE10hipError_tPvRmT3_T4_T5_T6_T7_T9_mT8_P12ihipStream_tbDpT10_ENKUlT_T0_E_clISt17integral_constantIbLb1EES17_EEDaS12_S13_EUlS12_E_NS1_11comp_targetILNS1_3genE5ELNS1_11target_archE942ELNS1_3gpuE9ELNS1_3repE0EEENS1_30default_config_static_selectorELNS0_4arch9wavefront6targetE1EEEvT1_
	.globl	_ZN7rocprim17ROCPRIM_400000_NS6detail17trampoline_kernelINS0_14default_configENS1_25partition_config_selectorILNS1_17partition_subalgoE8EtNS0_10empty_typeEbEEZZNS1_14partition_implILS5_8ELb0ES3_jPKtPS6_PKS6_NS0_5tupleIJPtS6_EEENSE_IJSB_SB_EEENS0_18inequality_wrapperIN6hipcub16HIPCUB_304000_NS8EqualityEEEPlJS6_EEE10hipError_tPvRmT3_T4_T5_T6_T7_T9_mT8_P12ihipStream_tbDpT10_ENKUlT_T0_E_clISt17integral_constantIbLb1EES17_EEDaS12_S13_EUlS12_E_NS1_11comp_targetILNS1_3genE5ELNS1_11target_archE942ELNS1_3gpuE9ELNS1_3repE0EEENS1_30default_config_static_selectorELNS0_4arch9wavefront6targetE1EEEvT1_
	.p2align	8
	.type	_ZN7rocprim17ROCPRIM_400000_NS6detail17trampoline_kernelINS0_14default_configENS1_25partition_config_selectorILNS1_17partition_subalgoE8EtNS0_10empty_typeEbEEZZNS1_14partition_implILS5_8ELb0ES3_jPKtPS6_PKS6_NS0_5tupleIJPtS6_EEENSE_IJSB_SB_EEENS0_18inequality_wrapperIN6hipcub16HIPCUB_304000_NS8EqualityEEEPlJS6_EEE10hipError_tPvRmT3_T4_T5_T6_T7_T9_mT8_P12ihipStream_tbDpT10_ENKUlT_T0_E_clISt17integral_constantIbLb1EES17_EEDaS12_S13_EUlS12_E_NS1_11comp_targetILNS1_3genE5ELNS1_11target_archE942ELNS1_3gpuE9ELNS1_3repE0EEENS1_30default_config_static_selectorELNS0_4arch9wavefront6targetE1EEEvT1_,@function
_ZN7rocprim17ROCPRIM_400000_NS6detail17trampoline_kernelINS0_14default_configENS1_25partition_config_selectorILNS1_17partition_subalgoE8EtNS0_10empty_typeEbEEZZNS1_14partition_implILS5_8ELb0ES3_jPKtPS6_PKS6_NS0_5tupleIJPtS6_EEENSE_IJSB_SB_EEENS0_18inequality_wrapperIN6hipcub16HIPCUB_304000_NS8EqualityEEEPlJS6_EEE10hipError_tPvRmT3_T4_T5_T6_T7_T9_mT8_P12ihipStream_tbDpT10_ENKUlT_T0_E_clISt17integral_constantIbLb1EES17_EEDaS12_S13_EUlS12_E_NS1_11comp_targetILNS1_3genE5ELNS1_11target_archE942ELNS1_3gpuE9ELNS1_3repE0EEENS1_30default_config_static_selectorELNS0_4arch9wavefront6targetE1EEEvT1_: ; @_ZN7rocprim17ROCPRIM_400000_NS6detail17trampoline_kernelINS0_14default_configENS1_25partition_config_selectorILNS1_17partition_subalgoE8EtNS0_10empty_typeEbEEZZNS1_14partition_implILS5_8ELb0ES3_jPKtPS6_PKS6_NS0_5tupleIJPtS6_EEENSE_IJSB_SB_EEENS0_18inequality_wrapperIN6hipcub16HIPCUB_304000_NS8EqualityEEEPlJS6_EEE10hipError_tPvRmT3_T4_T5_T6_T7_T9_mT8_P12ihipStream_tbDpT10_ENKUlT_T0_E_clISt17integral_constantIbLb1EES17_EEDaS12_S13_EUlS12_E_NS1_11comp_targetILNS1_3genE5ELNS1_11target_archE942ELNS1_3gpuE9ELNS1_3repE0EEENS1_30default_config_static_selectorELNS0_4arch9wavefront6targetE1EEEvT1_
; %bb.0:
	s_load_dwordx4 s[64:67], s[0:1], 0x40
	s_load_dwordx2 s[8:9], s[0:1], 0x50
	s_load_dwordx2 s[72:73], s[0:1], 0x60
	v_cmp_ne_u32_e64 s[2:3], 0, v0
	v_cmp_eq_u32_e64 s[18:19], 0, v0
	s_and_saveexec_b64 s[4:5], s[18:19]
	s_cbranch_execz .LBB764_4
; %bb.1:
	s_mov_b64 s[10:11], exec
	v_mbcnt_lo_u32_b32 v1, s10, 0
	v_mbcnt_hi_u32_b32 v1, s11, v1
	v_cmp_eq_u32_e32 vcc, 0, v1
                                        ; implicit-def: $vgpr2
	s_and_saveexec_b64 s[6:7], vcc
	s_cbranch_execz .LBB764_3
; %bb.2:
	s_load_dwordx2 s[12:13], s[0:1], 0x70
	s_bcnt1_i32_b64 s10, s[10:11]
	v_mov_b32_e32 v2, 0
	v_mov_b32_e32 v3, s10
	s_waitcnt lgkmcnt(0)
	global_atomic_add v2, v2, v3, s[12:13] sc0
.LBB764_3:
	s_or_b64 exec, exec, s[6:7]
	s_waitcnt vmcnt(0)
	v_readfirstlane_b32 s6, v2
	v_mov_b32_e32 v2, 0
	s_nop 0
	v_add_u32_e32 v1, s6, v1
	ds_write_b32 v2, v1
.LBB764_4:
	s_or_b64 exec, exec, s[4:5]
	v_mov_b32_e32 v3, 0
	s_load_dwordx4 s[4:7], s[0:1], 0x8
	s_load_dwordx2 s[68:69], s[0:1], 0x28
	s_load_dword s10, s[0:1], 0x68
	s_waitcnt lgkmcnt(0)
	s_barrier
	ds_read_b32 v1, v3
	s_waitcnt lgkmcnt(0)
	s_barrier
	global_load_dwordx2 v[8:9], v3, s[66:67]
	s_lshl_b64 s[0:1], s[6:7], 1
	s_add_u32 s4, s4, s0
	s_movk_i32 s0, 0x3c00
	v_mul_lo_u32 v2, v1, s0
	s_mul_i32 s0, s10, 0x3c00
	s_addc_u32 s5, s5, s1
	s_add_i32 s1, s0, s6
	v_mov_b32_e32 v5, s9
	s_add_i32 s9, s10, -1
	s_sub_i32 s80, s8, s1
	s_add_u32 s0, s6, s0
	v_readfirstlane_b32 s33, v1
	s_addc_u32 s1, s7, 0
	v_mov_b32_e32 v4, s8
	s_cmp_eq_u32 s33, s9
	v_cmp_ge_u64_e32 vcc, s[0:1], v[4:5]
	s_cselect_b64 s[66:67], -1, 0
	s_and_b64 s[74:75], vcc, s[66:67]
	s_xor_b64 s[70:71], s[74:75], -1
	v_lshlrev_b64 v[4:5], 1, v[2:3]
	s_mov_b64 s[0:1], -1
	v_lshl_add_u64 v[18:19], s[4:5], 0, v[4:5]
	s_and_b64 vcc, exec, s[70:71]
	s_cbranch_vccz .LBB764_6
; %bb.5:
	v_lshlrev_b32_e32 v2, 1, v0
	v_lshl_add_u64 v[4:5], v[18:19], 0, v[2:3]
	v_add_co_u32_e32 v6, vcc, 0x1000, v4
	v_readfirstlane_b32 s0, v18
	s_nop 0
	v_addc_co_u32_e32 v7, vcc, 0, v5, vcc
	v_add_co_u32_e32 v10, vcc, 0x2000, v4
	v_readfirstlane_b32 s1, v19
	s_nop 0
	v_addc_co_u32_e32 v11, vcc, 0, v5, vcc
	s_nop 2
	global_load_ushort v1, v2, s[0:1]
	global_load_ushort v3, v2, s[0:1] offset:1024
	global_load_ushort v12, v2, s[0:1] offset:2048
	;; [unrolled: 1-line block ×3, first 2 shown]
	global_load_ushort v14, v[6:7], off
	global_load_ushort v15, v[6:7], off offset:1024
	global_load_ushort v16, v[6:7], off offset:2048
	;; [unrolled: 1-line block ×3, first 2 shown]
	global_load_ushort v20, v[10:11], off
	global_load_ushort v21, v[10:11], off offset:1024
	global_load_ushort v22, v[10:11], off offset:2048
	;; [unrolled: 1-line block ×3, first 2 shown]
	v_add_co_u32_e32 v6, vcc, 0x3000, v4
	s_mov_b64 s[0:1], 0
	s_nop 0
	v_addc_co_u32_e32 v7, vcc, 0, v5, vcc
	v_add_co_u32_e32 v10, vcc, 0x4000, v4
	s_nop 1
	v_addc_co_u32_e32 v11, vcc, 0, v5, vcc
	global_load_ushort v24, v[6:7], off
	global_load_ushort v25, v[6:7], off offset:1024
	global_load_ushort v26, v[6:7], off offset:2048
	;; [unrolled: 1-line block ×3, first 2 shown]
	global_load_ushort v28, v[10:11], off
	global_load_ushort v29, v[10:11], off offset:1024
	global_load_ushort v30, v[10:11], off offset:2048
	;; [unrolled: 1-line block ×3, first 2 shown]
	v_add_co_u32_e32 v6, vcc, 0x5000, v4
	s_nop 1
	v_addc_co_u32_e32 v7, vcc, 0, v5, vcc
	v_add_co_u32_e32 v10, vcc, 0x6000, v4
	s_nop 1
	v_addc_co_u32_e32 v11, vcc, 0, v5, vcc
	v_add_co_u32_e32 v4, vcc, 0x7000, v4
	global_load_ushort v32, v[6:7], off
	global_load_ushort v33, v[6:7], off offset:1024
	global_load_ushort v34, v[6:7], off offset:2048
	;; [unrolled: 1-line block ×3, first 2 shown]
	global_load_ushort v36, v[10:11], off
	global_load_ushort v37, v[10:11], off offset:1024
	global_load_ushort v38, v[10:11], off offset:2048
	;; [unrolled: 1-line block ×3, first 2 shown]
	v_addc_co_u32_e32 v5, vcc, 0, v5, vcc
	global_load_ushort v6, v[4:5], off
	global_load_ushort v7, v[4:5], off offset:1024
	s_waitcnt vmcnt(29)
	ds_write_b16 v2, v1
	s_waitcnt vmcnt(28)
	ds_write_b16 v2, v3 offset:1024
	s_waitcnt vmcnt(27)
	ds_write_b16 v2, v12 offset:2048
	;; [unrolled: 2-line block ×29, first 2 shown]
	s_waitcnt lgkmcnt(0)
	s_barrier
.LBB764_6:
	s_andn2_b64 vcc, exec, s[0:1]
	s_addk_i32 s80, 0x3c00
	s_cbranch_vccnz .LBB764_68
; %bb.7:
	v_cmp_gt_u32_e32 vcc, s80, v0
                                        ; implicit-def: $vgpr1
	s_and_saveexec_b64 s[0:1], vcc
	s_cbranch_execz .LBB764_9
; %bb.8:
	v_lshlrev_b32_e32 v1, 1, v0
	v_readfirstlane_b32 s4, v18
	v_readfirstlane_b32 s5, v19
	s_nop 4
	global_load_ushort v1, v1, s[4:5]
.LBB764_9:
	s_or_b64 exec, exec, s[0:1]
	v_or_b32_e32 v2, 0x200, v0
	v_cmp_gt_u32_e32 vcc, s80, v2
                                        ; implicit-def: $vgpr2
	s_and_saveexec_b64 s[0:1], vcc
	s_cbranch_execz .LBB764_11
; %bb.10:
	v_lshlrev_b32_e32 v2, 1, v0
	v_readfirstlane_b32 s4, v18
	v_readfirstlane_b32 s5, v19
	s_nop 4
	global_load_ushort v2, v2, s[4:5] offset:1024
.LBB764_11:
	s_or_b64 exec, exec, s[0:1]
	v_or_b32_e32 v3, 0x400, v0
	v_cmp_gt_u32_e32 vcc, s80, v3
                                        ; implicit-def: $vgpr3
	s_and_saveexec_b64 s[0:1], vcc
	s_cbranch_execz .LBB764_13
; %bb.12:
	v_lshlrev_b32_e32 v3, 1, v0
	v_readfirstlane_b32 s4, v18
	v_readfirstlane_b32 s5, v19
	s_nop 4
	global_load_ushort v3, v3, s[4:5] offset:2048
.LBB764_13:
	s_or_b64 exec, exec, s[0:1]
	v_or_b32_e32 v4, 0x600, v0
	v_cmp_gt_u32_e32 vcc, s80, v4
                                        ; implicit-def: $vgpr4
	s_and_saveexec_b64 s[0:1], vcc
	s_cbranch_execz .LBB764_15
; %bb.14:
	v_lshlrev_b32_e32 v4, 1, v0
	v_readfirstlane_b32 s4, v18
	v_readfirstlane_b32 s5, v19
	s_nop 4
	global_load_ushort v4, v4, s[4:5] offset:3072
.LBB764_15:
	s_or_b64 exec, exec, s[0:1]
	v_or_b32_e32 v6, 0x800, v0
	v_cmp_gt_u32_e32 vcc, s80, v6
                                        ; implicit-def: $vgpr5
	s_and_saveexec_b64 s[0:1], vcc
	s_cbranch_execz .LBB764_17
; %bb.16:
	v_lshlrev_b32_e32 v5, 1, v6
	v_readfirstlane_b32 s4, v18
	v_readfirstlane_b32 s5, v19
	s_nop 4
	global_load_ushort v5, v5, s[4:5]
.LBB764_17:
	s_or_b64 exec, exec, s[0:1]
	v_or_b32_e32 v7, 0xa00, v0
	v_cmp_gt_u32_e32 vcc, s80, v7
                                        ; implicit-def: $vgpr6
	s_and_saveexec_b64 s[0:1], vcc
	s_cbranch_execz .LBB764_19
; %bb.18:
	v_lshlrev_b32_e32 v6, 1, v7
	v_readfirstlane_b32 s4, v18
	v_readfirstlane_b32 s5, v19
	s_nop 4
	global_load_ushort v6, v6, s[4:5]
.LBB764_19:
	s_or_b64 exec, exec, s[0:1]
	v_or_b32_e32 v10, 0xc00, v0
	v_cmp_gt_u32_e32 vcc, s80, v10
                                        ; implicit-def: $vgpr7
	s_and_saveexec_b64 s[0:1], vcc
	s_cbranch_execz .LBB764_21
; %bb.20:
	v_lshlrev_b32_e32 v7, 1, v10
	v_readfirstlane_b32 s4, v18
	v_readfirstlane_b32 s5, v19
	s_nop 4
	global_load_ushort v7, v7, s[4:5]
.LBB764_21:
	s_or_b64 exec, exec, s[0:1]
	v_or_b32_e32 v11, 0xe00, v0
	v_cmp_gt_u32_e32 vcc, s80, v11
                                        ; implicit-def: $vgpr10
	s_and_saveexec_b64 s[0:1], vcc
	s_cbranch_execz .LBB764_23
; %bb.22:
	v_lshlrev_b32_e32 v10, 1, v11
	v_readfirstlane_b32 s4, v18
	v_readfirstlane_b32 s5, v19
	s_nop 4
	global_load_ushort v10, v10, s[4:5]
.LBB764_23:
	s_or_b64 exec, exec, s[0:1]
	v_or_b32_e32 v12, 0x1000, v0
	v_cmp_gt_u32_e32 vcc, s80, v12
                                        ; implicit-def: $vgpr11
	s_and_saveexec_b64 s[0:1], vcc
	s_cbranch_execz .LBB764_25
; %bb.24:
	v_lshlrev_b32_e32 v11, 1, v12
	v_readfirstlane_b32 s4, v18
	v_readfirstlane_b32 s5, v19
	s_nop 4
	global_load_ushort v11, v11, s[4:5]
.LBB764_25:
	s_or_b64 exec, exec, s[0:1]
	v_or_b32_e32 v13, 0x1200, v0
	v_cmp_gt_u32_e32 vcc, s80, v13
                                        ; implicit-def: $vgpr12
	s_and_saveexec_b64 s[0:1], vcc
	s_cbranch_execz .LBB764_27
; %bb.26:
	v_lshlrev_b32_e32 v12, 1, v13
	v_readfirstlane_b32 s4, v18
	v_readfirstlane_b32 s5, v19
	s_nop 4
	global_load_ushort v12, v12, s[4:5]
.LBB764_27:
	s_or_b64 exec, exec, s[0:1]
	v_or_b32_e32 v14, 0x1400, v0
	v_cmp_gt_u32_e32 vcc, s80, v14
                                        ; implicit-def: $vgpr13
	s_and_saveexec_b64 s[0:1], vcc
	s_cbranch_execz .LBB764_29
; %bb.28:
	v_lshlrev_b32_e32 v13, 1, v14
	v_readfirstlane_b32 s4, v18
	v_readfirstlane_b32 s5, v19
	s_nop 4
	global_load_ushort v13, v13, s[4:5]
.LBB764_29:
	s_or_b64 exec, exec, s[0:1]
	v_or_b32_e32 v15, 0x1600, v0
	v_cmp_gt_u32_e32 vcc, s80, v15
                                        ; implicit-def: $vgpr14
	s_and_saveexec_b64 s[0:1], vcc
	s_cbranch_execz .LBB764_31
; %bb.30:
	v_lshlrev_b32_e32 v14, 1, v15
	v_readfirstlane_b32 s4, v18
	v_readfirstlane_b32 s5, v19
	s_nop 4
	global_load_ushort v14, v14, s[4:5]
.LBB764_31:
	s_or_b64 exec, exec, s[0:1]
	v_or_b32_e32 v16, 0x1800, v0
	v_cmp_gt_u32_e32 vcc, s80, v16
                                        ; implicit-def: $vgpr15
	s_and_saveexec_b64 s[0:1], vcc
	s_cbranch_execz .LBB764_33
; %bb.32:
	v_lshlrev_b32_e32 v15, 1, v16
	v_readfirstlane_b32 s4, v18
	v_readfirstlane_b32 s5, v19
	s_nop 4
	global_load_ushort v15, v15, s[4:5]
.LBB764_33:
	s_or_b64 exec, exec, s[0:1]
	v_or_b32_e32 v17, 0x1a00, v0
	v_cmp_gt_u32_e32 vcc, s80, v17
                                        ; implicit-def: $vgpr16
	s_and_saveexec_b64 s[0:1], vcc
	s_cbranch_execz .LBB764_35
; %bb.34:
	v_lshlrev_b32_e32 v16, 1, v17
	v_readfirstlane_b32 s4, v18
	v_readfirstlane_b32 s5, v19
	s_nop 4
	global_load_ushort v16, v16, s[4:5]
.LBB764_35:
	s_or_b64 exec, exec, s[0:1]
	v_or_b32_e32 v20, 0x1c00, v0
	v_cmp_gt_u32_e32 vcc, s80, v20
                                        ; implicit-def: $vgpr17
	s_and_saveexec_b64 s[0:1], vcc
	s_cbranch_execz .LBB764_37
; %bb.36:
	v_lshlrev_b32_e32 v17, 1, v20
	v_readfirstlane_b32 s4, v18
	v_readfirstlane_b32 s5, v19
	s_nop 4
	global_load_ushort v17, v17, s[4:5]
.LBB764_37:
	s_or_b64 exec, exec, s[0:1]
	v_or_b32_e32 v21, 0x1e00, v0
	v_cmp_gt_u32_e32 vcc, s80, v21
                                        ; implicit-def: $vgpr20
	s_and_saveexec_b64 s[0:1], vcc
	s_cbranch_execz .LBB764_39
; %bb.38:
	v_lshlrev_b32_e32 v20, 1, v21
	v_readfirstlane_b32 s4, v18
	v_readfirstlane_b32 s5, v19
	s_nop 4
	global_load_ushort v20, v20, s[4:5]
.LBB764_39:
	s_or_b64 exec, exec, s[0:1]
	v_or_b32_e32 v22, 0x2000, v0
	v_cmp_gt_u32_e32 vcc, s80, v22
                                        ; implicit-def: $vgpr21
	s_and_saveexec_b64 s[0:1], vcc
	s_cbranch_execz .LBB764_41
; %bb.40:
	v_lshlrev_b32_e32 v21, 1, v22
	v_readfirstlane_b32 s4, v18
	v_readfirstlane_b32 s5, v19
	s_nop 4
	global_load_ushort v21, v21, s[4:5]
.LBB764_41:
	s_or_b64 exec, exec, s[0:1]
	v_or_b32_e32 v23, 0x2200, v0
	v_cmp_gt_u32_e32 vcc, s80, v23
                                        ; implicit-def: $vgpr22
	s_and_saveexec_b64 s[0:1], vcc
	s_cbranch_execz .LBB764_43
; %bb.42:
	v_lshlrev_b32_e32 v22, 1, v23
	v_readfirstlane_b32 s4, v18
	v_readfirstlane_b32 s5, v19
	s_nop 4
	global_load_ushort v22, v22, s[4:5]
.LBB764_43:
	s_or_b64 exec, exec, s[0:1]
	v_or_b32_e32 v24, 0x2400, v0
	v_cmp_gt_u32_e32 vcc, s80, v24
                                        ; implicit-def: $vgpr23
	s_and_saveexec_b64 s[0:1], vcc
	s_cbranch_execz .LBB764_45
; %bb.44:
	v_lshlrev_b32_e32 v23, 1, v24
	v_readfirstlane_b32 s4, v18
	v_readfirstlane_b32 s5, v19
	s_nop 4
	global_load_ushort v23, v23, s[4:5]
.LBB764_45:
	s_or_b64 exec, exec, s[0:1]
	v_or_b32_e32 v25, 0x2600, v0
	v_cmp_gt_u32_e32 vcc, s80, v25
                                        ; implicit-def: $vgpr24
	s_and_saveexec_b64 s[0:1], vcc
	s_cbranch_execz .LBB764_47
; %bb.46:
	v_lshlrev_b32_e32 v24, 1, v25
	v_readfirstlane_b32 s4, v18
	v_readfirstlane_b32 s5, v19
	s_nop 4
	global_load_ushort v24, v24, s[4:5]
.LBB764_47:
	s_or_b64 exec, exec, s[0:1]
	v_or_b32_e32 v26, 0x2800, v0
	v_cmp_gt_u32_e32 vcc, s80, v26
                                        ; implicit-def: $vgpr25
	s_and_saveexec_b64 s[0:1], vcc
	s_cbranch_execz .LBB764_49
; %bb.48:
	v_lshlrev_b32_e32 v25, 1, v26
	v_readfirstlane_b32 s4, v18
	v_readfirstlane_b32 s5, v19
	s_nop 4
	global_load_ushort v25, v25, s[4:5]
.LBB764_49:
	s_or_b64 exec, exec, s[0:1]
	v_or_b32_e32 v27, 0x2a00, v0
	v_cmp_gt_u32_e32 vcc, s80, v27
                                        ; implicit-def: $vgpr26
	s_and_saveexec_b64 s[0:1], vcc
	s_cbranch_execz .LBB764_51
; %bb.50:
	v_lshlrev_b32_e32 v26, 1, v27
	v_readfirstlane_b32 s4, v18
	v_readfirstlane_b32 s5, v19
	s_nop 4
	global_load_ushort v26, v26, s[4:5]
.LBB764_51:
	s_or_b64 exec, exec, s[0:1]
	v_or_b32_e32 v28, 0x2c00, v0
	v_cmp_gt_u32_e32 vcc, s80, v28
                                        ; implicit-def: $vgpr27
	s_and_saveexec_b64 s[0:1], vcc
	s_cbranch_execz .LBB764_53
; %bb.52:
	v_lshlrev_b32_e32 v27, 1, v28
	v_readfirstlane_b32 s4, v18
	v_readfirstlane_b32 s5, v19
	s_nop 4
	global_load_ushort v27, v27, s[4:5]
.LBB764_53:
	s_or_b64 exec, exec, s[0:1]
	v_or_b32_e32 v29, 0x2e00, v0
	v_cmp_gt_u32_e32 vcc, s80, v29
                                        ; implicit-def: $vgpr28
	s_and_saveexec_b64 s[0:1], vcc
	s_cbranch_execz .LBB764_55
; %bb.54:
	v_lshlrev_b32_e32 v28, 1, v29
	v_readfirstlane_b32 s4, v18
	v_readfirstlane_b32 s5, v19
	s_nop 4
	global_load_ushort v28, v28, s[4:5]
.LBB764_55:
	s_or_b64 exec, exec, s[0:1]
	v_or_b32_e32 v30, 0x3000, v0
	v_cmp_gt_u32_e32 vcc, s80, v30
                                        ; implicit-def: $vgpr29
	s_and_saveexec_b64 s[0:1], vcc
	s_cbranch_execz .LBB764_57
; %bb.56:
	v_lshlrev_b32_e32 v29, 1, v30
	v_readfirstlane_b32 s4, v18
	v_readfirstlane_b32 s5, v19
	s_nop 4
	global_load_ushort v29, v29, s[4:5]
.LBB764_57:
	s_or_b64 exec, exec, s[0:1]
	v_or_b32_e32 v31, 0x3200, v0
	v_cmp_gt_u32_e32 vcc, s80, v31
                                        ; implicit-def: $vgpr30
	s_and_saveexec_b64 s[0:1], vcc
	s_cbranch_execz .LBB764_59
; %bb.58:
	v_lshlrev_b32_e32 v30, 1, v31
	v_readfirstlane_b32 s4, v18
	v_readfirstlane_b32 s5, v19
	s_nop 4
	global_load_ushort v30, v30, s[4:5]
.LBB764_59:
	s_or_b64 exec, exec, s[0:1]
	v_or_b32_e32 v32, 0x3400, v0
	v_cmp_gt_u32_e32 vcc, s80, v32
                                        ; implicit-def: $vgpr31
	s_and_saveexec_b64 s[0:1], vcc
	s_cbranch_execz .LBB764_61
; %bb.60:
	v_lshlrev_b32_e32 v31, 1, v32
	v_readfirstlane_b32 s4, v18
	v_readfirstlane_b32 s5, v19
	s_nop 4
	global_load_ushort v31, v31, s[4:5]
.LBB764_61:
	s_or_b64 exec, exec, s[0:1]
	v_or_b32_e32 v33, 0x3600, v0
	v_cmp_gt_u32_e32 vcc, s80, v33
                                        ; implicit-def: $vgpr32
	s_and_saveexec_b64 s[0:1], vcc
	s_cbranch_execz .LBB764_63
; %bb.62:
	v_lshlrev_b32_e32 v32, 1, v33
	v_readfirstlane_b32 s4, v18
	v_readfirstlane_b32 s5, v19
	s_nop 4
	global_load_ushort v32, v32, s[4:5]
.LBB764_63:
	s_or_b64 exec, exec, s[0:1]
	v_or_b32_e32 v34, 0x3800, v0
	v_cmp_gt_u32_e32 vcc, s80, v34
                                        ; implicit-def: $vgpr33
	s_and_saveexec_b64 s[0:1], vcc
	s_cbranch_execz .LBB764_65
; %bb.64:
	v_lshlrev_b32_e32 v33, 1, v34
	v_readfirstlane_b32 s4, v18
	v_readfirstlane_b32 s5, v19
	s_nop 4
	global_load_ushort v33, v33, s[4:5]
.LBB764_65:
	s_or_b64 exec, exec, s[0:1]
	v_or_b32_e32 v35, 0x3a00, v0
	v_cmp_gt_u32_e32 vcc, s80, v35
                                        ; implicit-def: $vgpr34
	s_and_saveexec_b64 s[0:1], vcc
	s_cbranch_execz .LBB764_67
; %bb.66:
	v_lshlrev_b32_e32 v34, 1, v35
	v_readfirstlane_b32 s4, v18
	v_readfirstlane_b32 s5, v19
	s_nop 4
	global_load_ushort v34, v34, s[4:5]
.LBB764_67:
	s_or_b64 exec, exec, s[0:1]
	v_lshlrev_b32_e32 v35, 1, v0
	s_waitcnt vmcnt(0)
	ds_write_b16 v35, v1
	ds_write_b16 v35, v2 offset:1024
	ds_write_b16 v35, v3 offset:2048
	;; [unrolled: 1-line block ×29, first 2 shown]
	s_waitcnt lgkmcnt(0)
	s_barrier
.LBB764_68:
	v_mul_u32_u24_e32 v27, 30, v0
	v_lshlrev_b32_e32 v50, 1, v27
	ds_read_b32 v84, v50 offset:56
	ds_read2_b32 v[2:3], v50 offset0:12 offset1:13
	ds_read2_b32 v[4:5], v50 offset0:10 offset1:11
	;; [unrolled: 1-line block ×3, first 2 shown]
	ds_read2_b32 v[16:17], v50 offset1:1
	ds_read2_b32 v[14:15], v50 offset0:2 offset1:3
	ds_read2_b32 v[12:13], v50 offset0:4 offset1:5
	ds_read2_b32 v[10:11], v50 offset0:6 offset1:7
	s_cmp_lg_u32 s33, 0
	s_cselect_b64 s[76:77], -1, 0
	s_cmp_lg_u64 s[6:7], 0
	s_cselect_b64 s[0:1], -1, 0
	s_or_b64 s[0:1], s[0:1], s[76:77]
	v_mad_u32_u24 v20, v0, 30, 29
	v_mad_u32_u24 v21, v0, 30, 28
	s_waitcnt lgkmcnt(7)
	v_lshrrev_b32_e32 v1, 16, v84
	v_mad_u32_u24 v22, v0, 30, 27
	s_waitcnt lgkmcnt(6)
	v_lshrrev_b32_e32 v86, 16, v2
	v_lshrrev_b32_e32 v85, 16, v3
	v_mad_u32_u24 v23, v0, 30, 26
	v_mad_u32_u24 v24, v0, 30, 25
	;; [unrolled: 1-line block ×4, first 2 shown]
	s_waitcnt lgkmcnt(5)
	v_lshrrev_b32_e32 v88, 16, v4
	v_lshrrev_b32_e32 v87, 16, v5
	v_mad_u32_u24 v28, v0, 30, 22
	s_waitcnt lgkmcnt(3)
	v_lshrrev_b32_e32 v105, 16, v16
	v_lshrrev_b32_e32 v102, 16, v17
	v_or_b32_e32 v49, 1, v27
	v_mad_u32_u24 v48, v0, 30, 2
	v_mad_u32_u24 v46, v0, 30, 3
	v_mad_u32_u24 v44, v0, 30, 4
	s_waitcnt lgkmcnt(2)
	v_lshrrev_b32_e32 v100, 16, v14
	v_lshrrev_b32_e32 v98, 16, v15
	v_mad_u32_u24 v47, v0, 30, 5
	v_mad_u32_u24 v45, v0, 30, 6
	v_mad_u32_u24 v42, v0, 30, 7
	v_mad_u32_u24 v40, v0, 30, 8
	s_waitcnt lgkmcnt(1)
	v_lshrrev_b32_e32 v96, 16, v12
	v_lshrrev_b32_e32 v94, 16, v13
	v_mad_u32_u24 v43, v0, 30, 9
	;; [unrolled: 7-line block ×3, first 2 shown]
	v_mad_u32_u24 v37, v0, 30, 14
	v_mad_u32_u24 v34, v0, 30, 15
	;; [unrolled: 1-line block ×3, first 2 shown]
	v_lshrrev_b32_e32 v90, 16, v6
	v_lshrrev_b32_e32 v89, 16, v7
	v_mad_u32_u24 v35, v0, 30, 17
	v_mad_u32_u24 v33, v0, 30, 18
	;; [unrolled: 1-line block ×5, first 2 shown]
	s_mov_b64 s[78:79], 0
	s_and_b64 vcc, exec, s[0:1]
	s_barrier
	s_cbranch_vccz .LBB764_73
; %bb.69:
	global_load_ushort v18, v[18:19], off offset:-2
	v_lshlrev_b32_e32 v19, 1, v0
	s_and_b64 vcc, exec, s[70:71]
	ds_write_b16 v19, v1
	s_cbranch_vccz .LBB764_75
; %bb.70:
	s_waitcnt vmcnt(0)
	v_mov_b32_e32 v51, v18
	s_waitcnt lgkmcnt(0)
	s_barrier
	s_and_saveexec_b64 s[0:1], s[2:3]
	s_cbranch_execz .LBB764_72
; %bb.71:
	v_add_u32_e32 v51, -2, v19
	ds_read_u16 v51, v51
.LBB764_72:
	s_or_b64 exec, exec, s[0:1]
	v_cmp_ne_u16_e32 vcc, v84, v1
	s_waitcnt lgkmcnt(0)
	v_cmp_ne_u16_e64 s[0:1], v51, v16
	v_cndmask_b32_e64 v93, 0, 1, vcc
	v_cmp_ne_u16_e32 vcc, v85, v84
	s_nop 1
	v_cndmask_b32_e64 v95, 0, 1, vcc
	v_cmp_ne_u16_e32 vcc, v3, v85
	s_nop 1
	;; [unrolled: 3-line block ×28, first 2 shown]
	v_cndmask_b32_e64 v127, 0, 1, vcc
	s_branch .LBB764_79
.LBB764_73:
                                        ; implicit-def: $sgpr0_sgpr1
                                        ; implicit-def: $vgpr127
                                        ; implicit-def: $vgpr126
                                        ; implicit-def: $vgpr125
                                        ; implicit-def: $vgpr124
                                        ; implicit-def: $vgpr123
                                        ; implicit-def: $vgpr122
                                        ; implicit-def: $vgpr121
                                        ; implicit-def: $vgpr120
                                        ; implicit-def: $vgpr119
                                        ; implicit-def: $vgpr118
                                        ; implicit-def: $vgpr117
                                        ; implicit-def: $vgpr116
                                        ; implicit-def: $vgpr115
                                        ; implicit-def: $vgpr114
                                        ; implicit-def: $vgpr113
                                        ; implicit-def: $vgpr112
                                        ; implicit-def: $vgpr111
                                        ; implicit-def: $vgpr110
                                        ; implicit-def: $vgpr109
                                        ; implicit-def: $vgpr108
                                        ; implicit-def: $vgpr107
                                        ; implicit-def: $vgpr106
                                        ; implicit-def: $vgpr104
                                        ; implicit-def: $vgpr103
                                        ; implicit-def: $vgpr101
                                        ; implicit-def: $vgpr99
                                        ; implicit-def: $vgpr97
                                        ; implicit-def: $vgpr95
                                        ; implicit-def: $vgpr93
	s_branch .LBB764_80
.LBB764_74:
                                        ; implicit-def: $sgpr6
	s_branch .LBB764_88
.LBB764_75:
                                        ; implicit-def: $sgpr0_sgpr1
                                        ; implicit-def: $vgpr127
                                        ; implicit-def: $vgpr126
                                        ; implicit-def: $vgpr125
                                        ; implicit-def: $vgpr124
                                        ; implicit-def: $vgpr123
                                        ; implicit-def: $vgpr122
                                        ; implicit-def: $vgpr121
                                        ; implicit-def: $vgpr120
                                        ; implicit-def: $vgpr119
                                        ; implicit-def: $vgpr118
                                        ; implicit-def: $vgpr117
                                        ; implicit-def: $vgpr116
                                        ; implicit-def: $vgpr115
                                        ; implicit-def: $vgpr114
                                        ; implicit-def: $vgpr113
                                        ; implicit-def: $vgpr112
                                        ; implicit-def: $vgpr111
                                        ; implicit-def: $vgpr110
                                        ; implicit-def: $vgpr109
                                        ; implicit-def: $vgpr108
                                        ; implicit-def: $vgpr107
                                        ; implicit-def: $vgpr106
                                        ; implicit-def: $vgpr104
                                        ; implicit-def: $vgpr103
                                        ; implicit-def: $vgpr101
                                        ; implicit-def: $vgpr99
                                        ; implicit-def: $vgpr97
                                        ; implicit-def: $vgpr95
                                        ; implicit-def: $vgpr93
	s_cbranch_execz .LBB764_79
; %bb.76:
	s_waitcnt lgkmcnt(0)
	s_barrier
	s_and_saveexec_b64 s[0:1], s[2:3]
	s_cbranch_execz .LBB764_78
; %bb.77:
	s_waitcnt vmcnt(0)
	v_add_u32_e32 v18, -2, v19
	ds_read_u16 v18, v18
.LBB764_78:
	s_or_b64 exec, exec, s[0:1]
	v_cmp_gt_u32_e32 vcc, s80, v20
	v_cmp_ne_u16_e64 s[0:1], v84, v1
	s_and_b64 s[0:1], vcc, s[0:1]
	v_cmp_gt_u32_e32 vcc, s80, v21
	v_cndmask_b32_e64 v93, 0, 1, s[0:1]
	v_cmp_ne_u16_e64 s[0:1], v85, v84
	s_and_b64 s[0:1], vcc, s[0:1]
	v_cmp_gt_u32_e32 vcc, s80, v22
	v_cndmask_b32_e64 v95, 0, 1, s[0:1]
	;; [unrolled: 4-line block ×29, first 2 shown]
	s_waitcnt vmcnt(0) lgkmcnt(0)
	v_cmp_ne_u16_e64 s[0:1], v18, v16
	s_and_b64 s[0:1], vcc, s[0:1]
.LBB764_79:
	s_mov_b64 s[78:79], -1
	s_cbranch_execnz .LBB764_74
.LBB764_80:
	s_movk_i32 s0, 0xffc6
	s_waitcnt vmcnt(0)
	v_mad_i32_i24 v18, v0, s0, v50
	s_and_b64 vcc, exec, s[70:71]
	v_cmp_ne_u16_e64 s[0:1], v84, v1
	v_cmp_ne_u16_e64 s[4:5], v85, v84
	;; [unrolled: 1-line block ×29, first 2 shown]
	ds_write_b16 v18, v1
	s_cbranch_vccz .LBB764_84
; %bb.81:
	v_cndmask_b32_e64 v93, 0, 1, s[0:1]
	v_cndmask_b32_e64 v95, 0, 1, s[4:5]
	;; [unrolled: 1-line block ×29, first 2 shown]
	s_waitcnt lgkmcnt(0)
	s_barrier
	s_waitcnt lgkmcnt(0)
                                        ; implicit-def: $sgpr0_sgpr1
	s_and_saveexec_b64 s[4:5], s[2:3]
	s_xor_b64 s[4:5], exec, s[4:5]
	s_cbranch_execz .LBB764_83
; %bb.82:
	v_add_u32_e32 v19, -2, v18
	ds_read_u16 v19, v19
	s_or_b64 s[78:79], s[78:79], exec
	s_waitcnt lgkmcnt(0)
	v_cmp_ne_u16_e32 vcc, v19, v16
	s_and_b64 s[0:1], vcc, exec
.LBB764_83:
	s_or_b64 exec, exec, s[4:5]
	s_mov_b32 s6, 1
	s_branch .LBB764_88
.LBB764_84:
                                        ; implicit-def: $sgpr0_sgpr1
                                        ; implicit-def: $vgpr127
                                        ; implicit-def: $vgpr126
                                        ; implicit-def: $vgpr125
                                        ; implicit-def: $vgpr124
                                        ; implicit-def: $vgpr123
                                        ; implicit-def: $vgpr122
                                        ; implicit-def: $vgpr121
                                        ; implicit-def: $vgpr120
                                        ; implicit-def: $vgpr119
                                        ; implicit-def: $vgpr118
                                        ; implicit-def: $vgpr117
                                        ; implicit-def: $vgpr116
                                        ; implicit-def: $vgpr115
                                        ; implicit-def: $vgpr114
                                        ; implicit-def: $vgpr113
                                        ; implicit-def: $vgpr112
                                        ; implicit-def: $vgpr111
                                        ; implicit-def: $vgpr110
                                        ; implicit-def: $vgpr109
                                        ; implicit-def: $vgpr108
                                        ; implicit-def: $vgpr107
                                        ; implicit-def: $vgpr106
                                        ; implicit-def: $vgpr104
                                        ; implicit-def: $vgpr103
                                        ; implicit-def: $vgpr101
                                        ; implicit-def: $vgpr99
                                        ; implicit-def: $vgpr97
                                        ; implicit-def: $vgpr95
                                        ; implicit-def: $vgpr93
                                        ; implicit-def: $sgpr6
	s_cbranch_execz .LBB764_88
; %bb.85:
	v_cmp_gt_u32_e32 vcc, s80, v20
	v_cmp_ne_u16_e64 s[0:1], v84, v1
	s_and_b64 s[0:1], vcc, s[0:1]
	v_cmp_gt_u32_e32 vcc, s80, v21
	v_cndmask_b32_e64 v93, 0, 1, s[0:1]
	v_cmp_ne_u16_e64 s[0:1], v85, v84
	s_and_b64 s[0:1], vcc, s[0:1]
	v_cmp_gt_u32_e32 vcc, s80, v22
	v_cndmask_b32_e64 v95, 0, 1, s[0:1]
	;; [unrolled: 4-line block ×28, first 2 shown]
	v_cmp_ne_u16_e64 s[0:1], v16, v105
	s_and_b64 s[0:1], vcc, s[0:1]
	s_waitcnt lgkmcnt(0)
	v_cndmask_b32_e64 v127, 0, 1, s[0:1]
	s_barrier
	s_waitcnt lgkmcnt(0)
                                        ; implicit-def: $sgpr0_sgpr1
	s_and_saveexec_b64 s[4:5], s[2:3]
	s_cbranch_execz .LBB764_87
; %bb.86:
	v_add_u32_e32 v18, -2, v18
	ds_read_u16 v18, v18
	v_cmp_gt_u32_e32 vcc, s80, v27
	s_or_b64 s[78:79], s[78:79], exec
	s_waitcnt lgkmcnt(0)
	v_cmp_ne_u16_e64 s[0:1], v18, v16
	s_and_b64 s[0:1], vcc, s[0:1]
	s_and_b64 s[0:1], s[0:1], exec
.LBB764_87:
	s_or_b64 exec, exec, s[4:5]
	s_mov_b32 s6, 1
.LBB764_88:
	v_mov_b32_e32 v128, s6
	s_and_saveexec_b64 s[2:3], s[78:79]
; %bb.89:
	v_cndmask_b32_e64 v128, 0, 1, s[0:1]
; %bb.90:
	s_or_b64 exec, exec, s[2:3]
	s_andn2_b64 vcc, exec, s[74:75]
	s_cbranch_vccnz .LBB764_92
; %bb.91:
	v_cmp_gt_u32_e32 vcc, s80, v27
	s_nop 1
	v_cndmask_b32_e32 v128, 0, v128, vcc
	v_cmp_gt_u32_e32 vcc, s80, v49
	s_nop 1
	v_cndmask_b32_e32 v127, 0, v127, vcc
	;; [unrolled: 3-line block ×30, first 2 shown]
.LBB764_92:
	v_and_b32_e32 v63, 0xff, v99
	v_and_b32_e32 v65, 0xff, v97
	s_waitcnt vmcnt(0)
	v_add_u32_sdwa v18, v95, v93 dst_sel:DWORD dst_unused:UNUSED_PAD src0_sel:BYTE_0 src1_sel:BYTE_0
	v_and_b32_e32 v59, 0xff, v103
	v_and_b32_e32 v61, 0xff, v101
	v_add3_u32 v18, v18, v65, v63
	v_and_b32_e32 v55, 0xff, v106
	v_and_b32_e32 v57, 0xff, v104
	v_add3_u32 v18, v18, v61, v59
	;; [unrolled: 3-line block ×13, first 2 shown]
	v_add3_u32 v50, v18, v29, v28
	v_mbcnt_lo_u32_b32 v18, -1, 0
	v_mbcnt_hi_u32_b32 v46, -1, v18
	v_and_b32_e32 v18, 15, v46
	v_cmp_eq_u32_e64 s[14:15], 0, v18
	v_cmp_lt_u32_e64 s[12:13], 1, v18
	v_cmp_lt_u32_e64 s[10:11], 3, v18
	;; [unrolled: 1-line block ×3, first 2 shown]
	v_and_b32_e32 v18, 16, v46
	v_cmp_eq_u32_e64 s[6:7], 0, v18
	v_or_b32_e32 v18, 63, v0
	v_cmp_lt_u32_e64 s[2:3], 31, v46
	v_lshrrev_b32_e32 v48, 6, v0
	v_cmp_eq_u32_e64 s[4:5], v18, v0
	s_and_b64 vcc, exec, s[76:77]
	s_waitcnt lgkmcnt(0)
	s_barrier
	s_cbranch_vccz .LBB764_123
; %bb.93:
	v_mov_b32_dpp v18, v50 row_shr:1 row_mask:0xf bank_mask:0xf
	v_cndmask_b32_e64 v18, v18, 0, s[14:15]
	v_add_u32_e32 v18, v18, v50
	s_nop 1
	v_mov_b32_dpp v19, v18 row_shr:2 row_mask:0xf bank_mask:0xf
	v_cndmask_b32_e64 v19, 0, v19, s[12:13]
	v_add_u32_e32 v18, v18, v19
	s_nop 1
	;; [unrolled: 4-line block ×4, first 2 shown]
	v_mov_b32_dpp v19, v18 row_bcast:15 row_mask:0xf bank_mask:0xf
	v_cndmask_b32_e64 v19, v19, 0, s[6:7]
	v_add_u32_e32 v18, v18, v19
	s_nop 1
	v_mov_b32_dpp v19, v18 row_bcast:31 row_mask:0xf bank_mask:0xf
	v_cndmask_b32_e64 v19, 0, v19, s[2:3]
	v_add_u32_e32 v18, v18, v19
	s_and_saveexec_b64 s[0:1], s[4:5]
	s_cbranch_execz .LBB764_95
; %bb.94:
	v_lshlrev_b32_e32 v19, 2, v48
	ds_write_b32 v19, v18
.LBB764_95:
	s_or_b64 exec, exec, s[0:1]
	v_cmp_gt_u32_e32 vcc, 8, v0
	s_waitcnt lgkmcnt(0)
	s_barrier
	s_and_saveexec_b64 s[0:1], vcc
	s_cbranch_execz .LBB764_97
; %bb.96:
	v_lshlrev_b32_e32 v19, 2, v0
	ds_read_b32 v20, v19
	v_and_b32_e32 v21, 7, v46
	v_cmp_ne_u32_e32 vcc, 0, v21
	s_waitcnt lgkmcnt(0)
	v_mov_b32_dpp v22, v20 row_shr:1 row_mask:0xf bank_mask:0xf
	v_cndmask_b32_e32 v22, 0, v22, vcc
	v_add_u32_e32 v20, v22, v20
	v_cmp_lt_u32_e32 vcc, 1, v21
	s_nop 0
	v_mov_b32_dpp v22, v20 row_shr:2 row_mask:0xf bank_mask:0xf
	v_cndmask_b32_e32 v22, 0, v22, vcc
	v_add_u32_e32 v20, v20, v22
	v_cmp_lt_u32_e32 vcc, 3, v21
	s_nop 0
	v_mov_b32_dpp v22, v20 row_shr:4 row_mask:0xf bank_mask:0xf
	v_cndmask_b32_e32 v21, 0, v22, vcc
	v_add_u32_e32 v20, v20, v21
	ds_write_b32 v19, v20
.LBB764_97:
	s_or_b64 exec, exec, s[0:1]
	v_cmp_gt_u32_e32 vcc, 64, v0
	v_cmp_lt_u32_e64 s[0:1], 63, v0
	s_waitcnt lgkmcnt(0)
	s_barrier
	s_waitcnt lgkmcnt(0)
                                        ; implicit-def: $vgpr52
	s_and_saveexec_b64 s[16:17], s[0:1]
	s_cbranch_execz .LBB764_99
; %bb.98:
	v_lshl_add_u32 v19, v48, 2, -4
	ds_read_b32 v52, v19
	s_waitcnt lgkmcnt(0)
	v_add_u32_e32 v18, v52, v18
.LBB764_99:
	s_or_b64 exec, exec, s[16:17]
	v_add_u32_e32 v19, -1, v46
	v_and_b32_e32 v20, 64, v46
	v_cmp_lt_i32_e64 s[0:1], v19, v20
	v_cmp_eq_u32_e64 s[16:17], 0, v46
	s_nop 0
	v_cndmask_b32_e64 v19, v19, v46, s[0:1]
	v_lshlrev_b32_e32 v19, 2, v19
	ds_bpermute_b32 v54, v19, v18
	s_and_saveexec_b64 s[0:1], vcc
	s_cbranch_execz .LBB764_122
; %bb.100:
	v_mov_b32_e32 v27, 0
	ds_read_b32 v18, v27 offset:28
	s_and_saveexec_b64 s[20:21], s[16:17]
	s_cbranch_execz .LBB764_102
; %bb.101:
	s_add_i32 s22, s33, 64
	s_mov_b32 s23, 0
	s_lshl_b64 s[22:23], s[22:23], 3
	s_add_u32 s22, s72, s22
	v_mov_b32_e32 v19, 1
	s_addc_u32 s23, s73, s23
	s_waitcnt lgkmcnt(0)
	global_store_dwordx2 v27, v[18:19], s[22:23] sc1
.LBB764_102:
	s_or_b64 exec, exec, s[20:21]
	v_xad_u32 v20, v46, -1, s33
	v_add_u32_e32 v26, 64, v20
	v_lshl_add_u64 v[22:23], v[26:27], 3, s[72:73]
	global_load_dwordx2 v[24:25], v[22:23], off sc1
	s_waitcnt vmcnt(0)
	v_cmp_eq_u16_sdwa s[22:23], v25, v27 src0_sel:BYTE_0 src1_sel:DWORD
	s_and_saveexec_b64 s[20:21], s[22:23]
	s_cbranch_execz .LBB764_108
; %bb.103:
	s_mov_b32 s24, 1
	s_mov_b64 s[22:23], 0
	v_mov_b32_e32 v19, 0
.LBB764_104:                            ; =>This Loop Header: Depth=1
                                        ;     Child Loop BB764_105 Depth 2
	s_max_u32 s25, s24, 1
.LBB764_105:                            ;   Parent Loop BB764_104 Depth=1
                                        ; =>  This Inner Loop Header: Depth=2
	s_add_i32 s25, s25, -1
	s_cmp_eq_u32 s25, 0
	s_sleep 1
	s_cbranch_scc0 .LBB764_105
; %bb.106:                              ;   in Loop: Header=BB764_104 Depth=1
	global_load_dwordx2 v[24:25], v[22:23], off sc1
	s_cmp_lt_u32 s24, 32
	s_cselect_b64 s[26:27], -1, 0
	s_cmp_lg_u64 s[26:27], 0
	s_addc_u32 s24, s24, 0
	s_waitcnt vmcnt(0)
	v_cmp_ne_u16_sdwa s[26:27], v25, v19 src0_sel:BYTE_0 src1_sel:DWORD
	s_or_b64 s[22:23], s[26:27], s[22:23]
	s_andn2_b64 exec, exec, s[22:23]
	s_cbranch_execnz .LBB764_104
; %bb.107:
	s_or_b64 exec, exec, s[22:23]
.LBB764_108:
	s_or_b64 exec, exec, s[20:21]
	v_and_b32_e32 v58, 63, v46
	v_mov_b32_e32 v56, 2
	v_cmp_ne_u32_e32 vcc, 63, v58
	v_cmp_eq_u16_sdwa s[20:21], v25, v56 src0_sel:BYTE_0 src1_sel:DWORD
	v_lshlrev_b64 v[22:23], v46, -1
	v_addc_co_u32_e32 v26, vcc, 0, v46, vcc
	v_and_b32_e32 v19, s21, v23
	v_lshlrev_b32_e32 v60, 2, v26
	v_or_b32_e32 v19, 0x80000000, v19
	ds_bpermute_b32 v26, v60, v24
	v_and_b32_e32 v21, s20, v22
	v_ffbl_b32_e32 v19, v19
	v_add_u32_e32 v19, 32, v19
	v_ffbl_b32_e32 v21, v21
	v_min_u32_e32 v19, v21, v19
	v_cmp_lt_u32_e32 vcc, v58, v19
	v_add_u32_e32 v64, 2, v58
	v_add_u32_e32 v67, 4, v58
	s_waitcnt lgkmcnt(0)
	v_cndmask_b32_e32 v21, 0, v26, vcc
	v_cmp_gt_u32_e32 vcc, 62, v58
	v_add_u32_e32 v21, v21, v24
	v_add_u32_e32 v69, 8, v58
	v_cndmask_b32_e64 v24, 0, 1, vcc
	v_lshlrev_b32_e32 v24, 1, v24
	v_add_lshl_u32 v62, v24, v46, 2
	ds_bpermute_b32 v24, v62, v21
	v_cmp_le_u32_e32 vcc, v64, v19
	v_add_u32_e32 v71, 16, v58
	v_add_u32_e32 v73, 32, v58
	s_waitcnt lgkmcnt(0)
	v_cndmask_b32_e32 v24, 0, v24, vcc
	v_cmp_gt_u32_e32 vcc, 60, v58
	v_add_u32_e32 v21, v21, v24
	s_nop 0
	v_cndmask_b32_e64 v24, 0, 1, vcc
	v_lshlrev_b32_e32 v24, 2, v24
	v_add_lshl_u32 v66, v24, v46, 2
	ds_bpermute_b32 v24, v66, v21
	v_cmp_le_u32_e32 vcc, v67, v19
	s_waitcnt lgkmcnt(0)
	s_nop 0
	v_cndmask_b32_e32 v24, 0, v24, vcc
	v_cmp_gt_u32_e32 vcc, 56, v58
	v_add_u32_e32 v21, v21, v24
	s_nop 0
	v_cndmask_b32_e64 v24, 0, 1, vcc
	v_lshlrev_b32_e32 v24, 3, v24
	v_add_lshl_u32 v68, v24, v46, 2
	ds_bpermute_b32 v24, v68, v21
	v_cmp_le_u32_e32 vcc, v69, v19
	s_waitcnt lgkmcnt(0)
	s_nop 0
	;; [unrolled: 11-line block ×4, first 2 shown]
	v_cndmask_b32_e32 v19, 0, v24, vcc
	v_add_u32_e32 v24, v21, v19
	v_mov_b32_e32 v21, 0
	s_branch .LBB764_110
.LBB764_109:                            ;   in Loop: Header=BB764_110 Depth=1
	s_or_b64 exec, exec, s[20:21]
	v_cmp_eq_u16_sdwa s[20:21], v25, v56 src0_sel:BYTE_0 src1_sel:DWORD
	ds_bpermute_b32 v74, v60, v24
	v_subrev_u32_e32 v20, 64, v20
	v_and_b32_e32 v26, s21, v23
	v_or_b32_e32 v26, 0x80000000, v26
	v_and_b32_e32 v27, s20, v22
	v_ffbl_b32_e32 v26, v26
	v_add_u32_e32 v26, 32, v26
	v_ffbl_b32_e32 v27, v27
	v_min_u32_e32 v26, v27, v26
	v_cmp_lt_u32_e32 vcc, v58, v26
	s_waitcnt lgkmcnt(0)
	s_nop 0
	v_cndmask_b32_e32 v27, 0, v74, vcc
	v_add_u32_e32 v24, v27, v24
	ds_bpermute_b32 v27, v62, v24
	v_cmp_le_u32_e32 vcc, v64, v26
	s_waitcnt lgkmcnt(0)
	s_nop 0
	v_cndmask_b32_e32 v27, 0, v27, vcc
	v_add_u32_e32 v24, v24, v27
	ds_bpermute_b32 v27, v66, v24
	v_cmp_le_u32_e32 vcc, v67, v26
	;; [unrolled: 6-line block ×5, first 2 shown]
	s_waitcnt lgkmcnt(0)
	s_nop 0
	v_cndmask_b32_e32 v26, 0, v27, vcc
	v_add3_u32 v24, v26, v19, v24
.LBB764_110:                            ; =>This Loop Header: Depth=1
                                        ;     Child Loop BB764_113 Depth 2
                                        ;       Child Loop BB764_114 Depth 3
	v_cmp_ne_u16_sdwa s[20:21], v25, v56 src0_sel:BYTE_0 src1_sel:DWORD
	s_nop 1
	v_cndmask_b32_e64 v19, 0, 1, s[20:21]
	;;#ASMSTART
	;;#ASMEND
	s_nop 0
	v_cmp_ne_u32_e32 vcc, 0, v19
	s_cmp_lg_u64 vcc, exec
	v_mov_b32_e32 v19, v24
	s_cbranch_scc1 .LBB764_117
; %bb.111:                              ;   in Loop: Header=BB764_110 Depth=1
	v_lshl_add_u64 v[26:27], v[20:21], 3, s[72:73]
	global_load_dwordx2 v[24:25], v[26:27], off sc1
	s_waitcnt vmcnt(0)
	v_cmp_eq_u16_sdwa s[22:23], v25, v21 src0_sel:BYTE_0 src1_sel:DWORD
	s_and_saveexec_b64 s[20:21], s[22:23]
	s_cbranch_execz .LBB764_109
; %bb.112:                              ;   in Loop: Header=BB764_110 Depth=1
	s_mov_b32 s24, 1
	s_mov_b64 s[22:23], 0
.LBB764_113:                            ;   Parent Loop BB764_110 Depth=1
                                        ; =>  This Loop Header: Depth=2
                                        ;       Child Loop BB764_114 Depth 3
	s_max_u32 s25, s24, 1
.LBB764_114:                            ;   Parent Loop BB764_110 Depth=1
                                        ;     Parent Loop BB764_113 Depth=2
                                        ; =>    This Inner Loop Header: Depth=3
	s_add_i32 s25, s25, -1
	s_cmp_eq_u32 s25, 0
	s_sleep 1
	s_cbranch_scc0 .LBB764_114
; %bb.115:                              ;   in Loop: Header=BB764_113 Depth=2
	global_load_dwordx2 v[24:25], v[26:27], off sc1
	s_cmp_lt_u32 s24, 32
	s_cselect_b64 s[26:27], -1, 0
	s_cmp_lg_u64 s[26:27], 0
	s_addc_u32 s24, s24, 0
	s_waitcnt vmcnt(0)
	v_cmp_ne_u16_sdwa s[26:27], v25, v21 src0_sel:BYTE_0 src1_sel:DWORD
	s_or_b64 s[22:23], s[26:27], s[22:23]
	s_andn2_b64 exec, exec, s[22:23]
	s_cbranch_execnz .LBB764_113
; %bb.116:                              ;   in Loop: Header=BB764_110 Depth=1
	s_or_b64 exec, exec, s[22:23]
	s_branch .LBB764_109
.LBB764_117:                            ;   in Loop: Header=BB764_110 Depth=1
                                        ; implicit-def: $vgpr24
                                        ; implicit-def: $vgpr25
	s_cbranch_execz .LBB764_110
; %bb.118:
	s_and_saveexec_b64 s[20:21], s[16:17]
	s_cbranch_execz .LBB764_120
; %bb.119:
	s_add_i32 s22, s33, 64
	s_mov_b32 s23, 0
	s_lshl_b64 s[22:23], s[22:23], 3
	s_add_u32 s22, s72, s22
	v_add_u32_e32 v20, v19, v18
	v_mov_b32_e32 v21, 2
	s_addc_u32 s23, s73, s23
	v_mov_b32_e32 v22, 0
	global_store_dwordx2 v22, v[20:21], s[22:23] sc1
	ds_write_b64 v22, v[18:19] offset:30720
.LBB764_120:
	s_or_b64 exec, exec, s[20:21]
	s_and_b64 exec, exec, s[18:19]
	s_cbranch_execz .LBB764_122
; %bb.121:
	v_mov_b32_e32 v18, 0
	ds_write_b32 v18, v19 offset:28
.LBB764_122:
	s_or_b64 exec, exec, s[0:1]
	v_mov_b32_e32 v18, 0
	s_waitcnt lgkmcnt(0)
	s_barrier
	ds_read_b32 v20, v18 offset:28
	s_waitcnt lgkmcnt(0)
	s_barrier
	ds_read_b64 v[18:19], v18 offset:30720
	v_cndmask_b32_e64 v21, v54, v52, s[16:17]
	v_cndmask_b32_e64 v21, v21, 0, s[18:19]
	v_add_u32_e32 v76, v20, v21
	s_waitcnt lgkmcnt(0)
	v_mov_b32_e32 v20, v19
	s_branch .LBB764_133
.LBB764_123:
                                        ; implicit-def: $vgpr20
                                        ; implicit-def: $vgpr18
                                        ; implicit-def: $vgpr76
	s_cbranch_execz .LBB764_133
; %bb.124:
	s_nop 0
	v_mov_b32_dpp v18, v50 row_shr:1 row_mask:0xf bank_mask:0xf
	v_cndmask_b32_e64 v18, v18, 0, s[14:15]
	v_add_u32_e32 v18, v18, v50
	s_nop 1
	v_mov_b32_dpp v19, v18 row_shr:2 row_mask:0xf bank_mask:0xf
	v_cndmask_b32_e64 v19, 0, v19, s[12:13]
	v_add_u32_e32 v18, v18, v19
	;; [unrolled: 4-line block ×4, first 2 shown]
	s_nop 1
	v_mov_b32_dpp v19, v18 row_bcast:15 row_mask:0xf bank_mask:0xf
	v_cndmask_b32_e64 v19, v19, 0, s[6:7]
	v_add_u32_e32 v18, v18, v19
	s_nop 1
	v_mov_b32_dpp v19, v18 row_bcast:31 row_mask:0xf bank_mask:0xf
	v_cndmask_b32_e64 v19, 0, v19, s[2:3]
	v_add_u32_e32 v18, v18, v19
	s_and_saveexec_b64 s[0:1], s[4:5]
	s_cbranch_execz .LBB764_126
; %bb.125:
	v_lshlrev_b32_e32 v19, 2, v48
	ds_write_b32 v19, v18
.LBB764_126:
	s_or_b64 exec, exec, s[0:1]
	v_cmp_gt_u32_e32 vcc, 8, v0
	s_waitcnt lgkmcnt(0)
	s_barrier
	s_and_saveexec_b64 s[0:1], vcc
	s_cbranch_execz .LBB764_128
; %bb.127:
	v_lshlrev_b32_e32 v19, 2, v0
	ds_read_b32 v20, v19
	v_and_b32_e32 v21, 7, v46
	v_cmp_ne_u32_e32 vcc, 0, v21
	s_waitcnt lgkmcnt(0)
	v_mov_b32_dpp v22, v20 row_shr:1 row_mask:0xf bank_mask:0xf
	v_cndmask_b32_e32 v22, 0, v22, vcc
	v_add_u32_e32 v20, v22, v20
	v_cmp_lt_u32_e32 vcc, 1, v21
	s_nop 0
	v_mov_b32_dpp v22, v20 row_shr:2 row_mask:0xf bank_mask:0xf
	v_cndmask_b32_e32 v22, 0, v22, vcc
	v_add_u32_e32 v20, v20, v22
	v_cmp_lt_u32_e32 vcc, 3, v21
	s_nop 0
	v_mov_b32_dpp v22, v20 row_shr:4 row_mask:0xf bank_mask:0xf
	v_cndmask_b32_e32 v21, 0, v22, vcc
	v_add_u32_e32 v20, v20, v21
	ds_write_b32 v19, v20
.LBB764_128:
	s_or_b64 exec, exec, s[0:1]
	v_cmp_lt_u32_e32 vcc, 63, v0
	v_mov_b32_e32 v19, 0
	v_mov_b32_e32 v20, 0
	s_waitcnt lgkmcnt(0)
	s_barrier
	s_and_saveexec_b64 s[0:1], vcc
	s_cbranch_execz .LBB764_130
; %bb.129:
	v_lshl_add_u32 v20, v48, 2, -4
	ds_read_b32 v20, v20
.LBB764_130:
	s_or_b64 exec, exec, s[0:1]
	v_add_u32_e32 v21, -1, v46
	v_and_b32_e32 v22, 64, v46
	v_cmp_lt_i32_e32 vcc, v21, v22
	s_waitcnt lgkmcnt(0)
	v_add_u32_e32 v18, v20, v18
	v_cndmask_b32_e32 v21, v21, v46, vcc
	v_lshlrev_b32_e32 v21, 2, v21
	ds_bpermute_b32 v21, v21, v18
	ds_read_b32 v18, v19 offset:28
	s_and_saveexec_b64 s[0:1], s[18:19]
	s_cbranch_execz .LBB764_132
; %bb.131:
	v_mov_b32_e32 v22, 0
	v_mov_b32_e32 v19, 2
	s_waitcnt lgkmcnt(0)
	global_store_dwordx2 v22, v[18:19], s[72:73] offset:512 sc1
.LBB764_132:
	s_or_b64 exec, exec, s[0:1]
	v_cmp_eq_u32_e32 vcc, 0, v46
	s_waitcnt lgkmcnt(0)
	s_barrier
	v_cndmask_b32_e32 v19, v21, v20, vcc
	v_mov_b32_e32 v20, 0
	v_cndmask_b32_e64 v76, v19, 0, s[18:19]
.LBB764_133:
	v_add_u32_e32 v80, v76, v28
	v_add_u32_e32 v78, v80, v29
	;; [unrolled: 1-line block ×27, first 2 shown]
	s_movk_i32 s0, 0x201
	v_add_u32_e32 v24, v26, v65
	v_cmp_gt_u32_e32 vcc, s0, v18
	v_add_u32_sdwa v22, v24, v95 dst_sel:DWORD dst_unused:UNUSED_PAD src0_sel:DWORD src1_sel:BYTE_0
	s_mov_b64 s[0:1], -1
	s_cbranch_vccnz .LBB764_137
; %bb.134:
	s_and_b64 vcc, exec, s[0:1]
	s_cbranch_vccnz .LBB764_228
.LBB764_135:
	s_and_b64 s[0:1], s[18:19], s[66:67]
	s_and_saveexec_b64 s[2:3], s[0:1]
	s_cbranch_execnz .LBB764_302
.LBB764_136:
	s_endpgm
.LBB764_137:
	v_add_u32_e32 v19, v20, v18
	v_lshlrev_b64 v[82:83], 1, v[8:9]
	v_cmp_lt_u32_e32 vcc, v76, v19
	v_lshl_add_u64 v[82:83], s[68:69], 0, v[82:83]
	s_or_b64 s[2:3], s[70:71], vcc
	s_and_saveexec_b64 s[0:1], s[2:3]
	s_cbranch_execz .LBB764_140
; %bb.138:
	v_and_b32_e32 v21, 1, v128
	v_cmp_eq_u32_e32 vcc, 1, v21
	s_and_b64 exec, exec, vcc
	s_cbranch_execz .LBB764_140
; %bb.139:
	v_mov_b32_e32 v77, 0
	v_lshl_add_u64 v[130:131], v[76:77], 1, v[82:83]
	global_store_short v[130:131], v16, off
.LBB764_140:
	s_or_b64 exec, exec, s[0:1]
	v_cmp_lt_u32_e32 vcc, v80, v19
	s_or_b64 s[2:3], s[70:71], vcc
	s_and_saveexec_b64 s[0:1], s[2:3]
	s_cbranch_execz .LBB764_143
; %bb.141:
	v_and_b32_e32 v21, 1, v127
	v_cmp_eq_u32_e32 vcc, 1, v21
	s_and_b64 exec, exec, vcc
	s_cbranch_execz .LBB764_143
; %bb.142:
	v_mov_b32_e32 v81, 0
	v_lshl_add_u64 v[130:131], v[80:81], 1, v[82:83]
	global_store_short v[130:131], v105, off
.LBB764_143:
	s_or_b64 exec, exec, s[0:1]
	v_cmp_lt_u32_e32 vcc, v78, v19
	;; [unrolled: 15-line block ×29, first 2 shown]
	s_or_b64 s[2:3], s[70:71], vcc
	s_and_saveexec_b64 s[0:1], s[2:3]
	s_cbranch_execz .LBB764_227
; %bb.225:
	v_and_b32_e32 v19, 1, v93
	v_cmp_eq_u32_e32 vcc, 1, v19
	s_and_b64 exec, exec, vcc
	s_cbranch_execz .LBB764_227
; %bb.226:
	v_mov_b32_e32 v23, 0
	v_lshl_add_u64 v[82:83], v[22:23], 1, v[82:83]
	global_store_short v[82:83], v1, off
.LBB764_227:
	s_or_b64 exec, exec, s[0:1]
	s_branch .LBB764_135
.LBB764_228:
	v_and_b32_e32 v19, 1, v128
	v_cmp_eq_u32_e32 vcc, 1, v19
	s_and_saveexec_b64 s[0:1], vcc
	s_cbranch_execz .LBB764_230
; %bb.229:
	v_sub_u32_e32 v19, v76, v20
	v_lshlrev_b32_e32 v19, 1, v19
	ds_write_b16 v19, v16
.LBB764_230:
	s_or_b64 exec, exec, s[0:1]
	v_and_b32_e32 v16, 1, v127
	v_cmp_eq_u32_e32 vcc, 1, v16
	s_and_saveexec_b64 s[0:1], vcc
	s_cbranch_execz .LBB764_232
; %bb.231:
	v_sub_u32_e32 v16, v80, v20
	v_lshlrev_b32_e32 v16, 1, v16
	ds_write_b16 v16, v105
.LBB764_232:
	s_or_b64 exec, exec, s[0:1]
	;; [unrolled: 10-line block ×30, first 2 shown]
	v_cmp_lt_u32_e32 vcc, v0, v18
	s_waitcnt lgkmcnt(0)
	s_barrier
	s_and_saveexec_b64 s[0:1], vcc
	s_cbranch_execz .LBB764_301
; %bb.289:
	v_mov_b32_e32 v21, 0
	v_lshlrev_b64 v[2:3], 1, v[8:9]
	v_lshl_add_u64 v[2:3], s[68:69], 0, v[2:3]
	v_lshlrev_b64 v[4:5], 1, v[20:21]
	v_xad_u32 v1, v0, -1, v18
	s_movk_i32 s2, 0x5ff
	v_lshl_add_u64 v[10:11], v[2:3], 0, v[4:5]
	v_cmp_lt_u32_e32 vcc, s2, v1
	s_mov_b64 s[4:5], -1
	s_and_saveexec_b64 s[2:3], vcc
	s_cbranch_execz .LBB764_298
; %bb.290:
	v_lshrrev_b32_e32 v14, 9, v1
	v_add_u32_e32 v4, -3, v14
	v_or_b32_e32 v3, 0x600, v0
	v_or_b32_e32 v2, 0x400, v0
	v_lshrrev_b32_e32 v5, 2, v4
	v_or_b32_e32 v1, 0x200, v0
	v_add_u32_e32 v16, 1, v5
	v_cmp_lt_u32_e32 vcc, 11, v4
	v_mov_b64_e32 v[6:7], v[2:3]
	v_lshlrev_b32_e32 v15, 1, v0
	v_mov_b64_e32 v[4:5], v[0:1]
	s_and_saveexec_b64 s[4:5], vcc
	s_cbranch_execz .LBB764_294
; %bb.291:
	v_mov_b64_e32 v[6:7], v[2:3]
	v_and_b32_e32 v17, 0x7ffffffc, v16
	s_mov_b32 s8, 0
	s_mov_b64 s[6:7], 0
	v_mov_b32_e32 v13, 0
	v_mov_b32_e32 v19, v15
	v_mov_b64_e32 v[4:5], v[0:1]
.LBB764_292:                            ; =>This Inner Loop Header: Depth=1
	v_mov_b32_e32 v12, v4
	ds_read_u16 v1, v19
	ds_read_u16 v46, v19 offset:1024
	ds_read_u16 v47, v19 offset:2048
	;; [unrolled: 1-line block ×7, first 2 shown]
	v_lshl_add_u64 v[38:39], v[12:13], 1, v[10:11]
	v_mov_b32_e32 v12, v5
	v_lshl_add_u64 v[40:41], v[12:13], 1, v[10:11]
	v_mov_b32_e32 v12, v6
	ds_read_u16 v53, v19 offset:8192
	ds_read_u16 v54, v19 offset:9216
	;; [unrolled: 1-line block ×8, first 2 shown]
	v_lshl_add_u64 v[42:43], v[12:13], 1, v[10:11]
	v_mov_b32_e32 v12, v7
	v_add_u32_e32 v2, 0x800, v7
	v_mov_b32_e32 v3, v13
	v_lshl_add_u64 v[44:45], v[12:13], 1, v[10:11]
	v_add_u32_e32 v12, 0x800, v4
	v_add_u32_e32 v22, 0x800, v6
	;; [unrolled: 1-line block ×3, first 2 shown]
	v_mov_b32_e32 v25, v13
	v_mov_b32_e32 v23, v13
	v_add_u32_e32 v17, -4, v17
	v_lshl_add_u64 v[2:3], v[2:3], 1, v[10:11]
	s_waitcnt lgkmcnt(14)
	global_store_short v[38:39], v1, off
	global_store_short v[40:41], v46, off
	s_waitcnt lgkmcnt(13)
	global_store_short v[42:43], v47, off
	s_waitcnt lgkmcnt(12)
	global_store_short v[44:45], v48, off
	v_lshl_add_u64 v[38:39], v[12:13], 1, v[10:11]
	v_add_u32_e32 v12, 0x1000, v4
	v_add_u32_e32 v26, 0x1000, v7
	;; [unrolled: 1-line block ×4, first 2 shown]
	v_mov_b32_e32 v31, v13
	v_mov_b32_e32 v29, v13
	;; [unrolled: 1-line block ×3, first 2 shown]
	s_add_i32 s8, s8, 16
	v_lshl_add_u64 v[24:25], v[24:25], 1, v[10:11]
	v_lshl_add_u64 v[22:23], v[22:23], 1, v[10:11]
	v_cmp_eq_u32_e32 vcc, 0, v17
	s_waitcnt lgkmcnt(11)
	global_store_short v[38:39], v49, off
	s_waitcnt lgkmcnt(10)
	global_store_short v[24:25], v50, off
	;; [unrolled: 2-line block ×4, first 2 shown]
	v_lshl_add_u64 v[2:3], v[12:13], 1, v[10:11]
	v_add_u32_e32 v12, 0x1800, v4
	v_add_u32_e32 v32, 0x1800, v7
	;; [unrolled: 1-line block ×4, first 2 shown]
	v_mov_b32_e32 v37, v13
	v_mov_b32_e32 v35, v13
	;; [unrolled: 1-line block ×3, first 2 shown]
	v_add_u32_e32 v19, 0x4000, v19
	v_lshl_add_u64 v[30:31], v[30:31], 1, v[10:11]
	v_lshl_add_u64 v[28:29], v[28:29], 1, v[10:11]
	;; [unrolled: 1-line block ×3, first 2 shown]
	v_add_u32_e32 v5, 0x2000, v5
	v_mov_b32_e32 v21, s8
	v_add_u32_e32 v6, 0x2000, v6
	s_or_b64 s[6:7], vcc, s[6:7]
	v_add_u32_e32 v7, 0x2000, v7
	v_add_u32_e32 v4, 0x2000, v4
	s_waitcnt lgkmcnt(7)
	global_store_short v[2:3], v53, off
	s_waitcnt lgkmcnt(6)
	global_store_short v[30:31], v54, off
	;; [unrolled: 2-line block ×4, first 2 shown]
	v_lshl_add_u64 v[2:3], v[12:13], 1, v[10:11]
	v_lshl_add_u64 v[36:37], v[36:37], 1, v[10:11]
	;; [unrolled: 1-line block ×4, first 2 shown]
	s_waitcnt lgkmcnt(3)
	global_store_short v[2:3], v57, off
	s_waitcnt lgkmcnt(2)
	global_store_short v[36:37], v58, off
	;; [unrolled: 2-line block ×4, first 2 shown]
	s_andn2_b64 exec, exec, s[6:7]
	s_cbranch_execnz .LBB764_292
; %bb.293:
	s_or_b64 exec, exec, s[6:7]
.LBB764_294:
	s_or_b64 exec, exec, s[4:5]
	v_and_b32_e32 v1, 3, v16
	v_cmp_ne_u32_e32 vcc, 0, v1
	s_and_saveexec_b64 s[4:5], vcc
	s_cbranch_execz .LBB764_297
; %bb.295:
	v_lshl_or_b32 v12, v21, 10, v15
	s_mov_b64 s[6:7], 0
	v_mov_b32_e32 v3, 0
.LBB764_296:                            ; =>This Inner Loop Header: Depth=1
	ds_read_u16 v13, v12
	ds_read_u16 v15, v12 offset:1024
	ds_read_u16 v19, v12 offset:2048
	;; [unrolled: 1-line block ×3, first 2 shown]
	v_mov_b32_e32 v2, v4
	v_add_u32_e32 v1, -1, v1
	v_lshl_add_u64 v[16:17], v[2:3], 1, v[10:11]
	v_mov_b32_e32 v2, v5
	v_cmp_eq_u32_e32 vcc, 0, v1
	v_lshl_add_u64 v[22:23], v[2:3], 1, v[10:11]
	v_mov_b32_e32 v2, v6
	v_add_u32_e32 v4, 0x800, v4
	v_add_u32_e32 v12, 0x1000, v12
	;; [unrolled: 1-line block ×4, first 2 shown]
	s_or_b64 s[6:7], vcc, s[6:7]
	v_lshl_add_u64 v[24:25], v[2:3], 1, v[10:11]
	v_mov_b32_e32 v2, v7
	v_add_u32_e32 v7, 0x800, v7
	v_lshl_add_u64 v[26:27], v[2:3], 1, v[10:11]
	s_waitcnt lgkmcnt(3)
	global_store_short v[16:17], v13, off
	s_waitcnt lgkmcnt(2)
	global_store_short v[22:23], v15, off
	;; [unrolled: 2-line block ×4, first 2 shown]
	s_andn2_b64 exec, exec, s[6:7]
	s_cbranch_execnz .LBB764_296
.LBB764_297:
	s_or_b64 exec, exec, s[4:5]
	v_add_u32_e32 v1, 1, v14
	v_and_b32_e32 v2, 0xfffffc, v1
	v_cmp_ne_u32_e32 vcc, v1, v2
	v_lshl_or_b32 v0, v2, 9, v0
	s_orn2_b64 s[4:5], vcc, exec
.LBB764_298:
	s_or_b64 exec, exec, s[2:3]
	s_and_b64 exec, exec, s[4:5]
	s_cbranch_execz .LBB764_301
; %bb.299:
	v_lshlrev_b32_e32 v2, 1, v0
	s_mov_b64 s[2:3], 0
	v_mov_b32_e32 v1, 0
.LBB764_300:                            ; =>This Inner Loop Header: Depth=1
	ds_read_u16 v3, v2
	v_lshl_add_u64 v[4:5], v[0:1], 1, v[10:11]
	v_add_u32_e32 v0, 0x200, v0
	v_cmp_ge_u32_e32 vcc, v0, v18
	v_add_u32_e32 v2, 0x400, v2
	s_or_b64 s[2:3], vcc, s[2:3]
	s_waitcnt lgkmcnt(0)
	global_store_short v[4:5], v3, off
	s_andn2_b64 exec, exec, s[2:3]
	s_cbranch_execnz .LBB764_300
.LBB764_301:
	s_or_b64 exec, exec, s[0:1]
	s_and_b64 s[0:1], s[18:19], s[66:67]
	s_and_saveexec_b64 s[2:3], s[0:1]
	s_cbranch_execz .LBB764_136
.LBB764_302:
	v_mov_b32_e32 v19, 0
	v_lshl_add_u64 v[0:1], v[8:9], 0, v[18:19]
	v_mov_b32_e32 v21, v19
	v_lshl_add_u64 v[0:1], v[0:1], 0, v[20:21]
	global_store_dwordx2 v19, v[0:1], s[64:65]
	s_endpgm
	.section	.rodata,"a",@progbits
	.p2align	6, 0x0
	.amdhsa_kernel _ZN7rocprim17ROCPRIM_400000_NS6detail17trampoline_kernelINS0_14default_configENS1_25partition_config_selectorILNS1_17partition_subalgoE8EtNS0_10empty_typeEbEEZZNS1_14partition_implILS5_8ELb0ES3_jPKtPS6_PKS6_NS0_5tupleIJPtS6_EEENSE_IJSB_SB_EEENS0_18inequality_wrapperIN6hipcub16HIPCUB_304000_NS8EqualityEEEPlJS6_EEE10hipError_tPvRmT3_T4_T5_T6_T7_T9_mT8_P12ihipStream_tbDpT10_ENKUlT_T0_E_clISt17integral_constantIbLb1EES17_EEDaS12_S13_EUlS12_E_NS1_11comp_targetILNS1_3genE5ELNS1_11target_archE942ELNS1_3gpuE9ELNS1_3repE0EEENS1_30default_config_static_selectorELNS0_4arch9wavefront6targetE1EEEvT1_
		.amdhsa_group_segment_fixed_size 30728
		.amdhsa_private_segment_fixed_size 0
		.amdhsa_kernarg_size 128
		.amdhsa_user_sgpr_count 2
		.amdhsa_user_sgpr_dispatch_ptr 0
		.amdhsa_user_sgpr_queue_ptr 0
		.amdhsa_user_sgpr_kernarg_segment_ptr 1
		.amdhsa_user_sgpr_dispatch_id 0
		.amdhsa_user_sgpr_kernarg_preload_length 0
		.amdhsa_user_sgpr_kernarg_preload_offset 0
		.amdhsa_user_sgpr_private_segment_size 0
		.amdhsa_uses_dynamic_stack 0
		.amdhsa_enable_private_segment 0
		.amdhsa_system_sgpr_workgroup_id_x 1
		.amdhsa_system_sgpr_workgroup_id_y 0
		.amdhsa_system_sgpr_workgroup_id_z 0
		.amdhsa_system_sgpr_workgroup_info 0
		.amdhsa_system_vgpr_workitem_id 0
		.amdhsa_next_free_vgpr 132
		.amdhsa_next_free_sgpr 81
		.amdhsa_accum_offset 132
		.amdhsa_reserve_vcc 1
		.amdhsa_float_round_mode_32 0
		.amdhsa_float_round_mode_16_64 0
		.amdhsa_float_denorm_mode_32 3
		.amdhsa_float_denorm_mode_16_64 3
		.amdhsa_dx10_clamp 1
		.amdhsa_ieee_mode 1
		.amdhsa_fp16_overflow 0
		.amdhsa_tg_split 0
		.amdhsa_exception_fp_ieee_invalid_op 0
		.amdhsa_exception_fp_denorm_src 0
		.amdhsa_exception_fp_ieee_div_zero 0
		.amdhsa_exception_fp_ieee_overflow 0
		.amdhsa_exception_fp_ieee_underflow 0
		.amdhsa_exception_fp_ieee_inexact 0
		.amdhsa_exception_int_div_zero 0
	.end_amdhsa_kernel
	.section	.text._ZN7rocprim17ROCPRIM_400000_NS6detail17trampoline_kernelINS0_14default_configENS1_25partition_config_selectorILNS1_17partition_subalgoE8EtNS0_10empty_typeEbEEZZNS1_14partition_implILS5_8ELb0ES3_jPKtPS6_PKS6_NS0_5tupleIJPtS6_EEENSE_IJSB_SB_EEENS0_18inequality_wrapperIN6hipcub16HIPCUB_304000_NS8EqualityEEEPlJS6_EEE10hipError_tPvRmT3_T4_T5_T6_T7_T9_mT8_P12ihipStream_tbDpT10_ENKUlT_T0_E_clISt17integral_constantIbLb1EES17_EEDaS12_S13_EUlS12_E_NS1_11comp_targetILNS1_3genE5ELNS1_11target_archE942ELNS1_3gpuE9ELNS1_3repE0EEENS1_30default_config_static_selectorELNS0_4arch9wavefront6targetE1EEEvT1_,"axG",@progbits,_ZN7rocprim17ROCPRIM_400000_NS6detail17trampoline_kernelINS0_14default_configENS1_25partition_config_selectorILNS1_17partition_subalgoE8EtNS0_10empty_typeEbEEZZNS1_14partition_implILS5_8ELb0ES3_jPKtPS6_PKS6_NS0_5tupleIJPtS6_EEENSE_IJSB_SB_EEENS0_18inequality_wrapperIN6hipcub16HIPCUB_304000_NS8EqualityEEEPlJS6_EEE10hipError_tPvRmT3_T4_T5_T6_T7_T9_mT8_P12ihipStream_tbDpT10_ENKUlT_T0_E_clISt17integral_constantIbLb1EES17_EEDaS12_S13_EUlS12_E_NS1_11comp_targetILNS1_3genE5ELNS1_11target_archE942ELNS1_3gpuE9ELNS1_3repE0EEENS1_30default_config_static_selectorELNS0_4arch9wavefront6targetE1EEEvT1_,comdat
.Lfunc_end764:
	.size	_ZN7rocprim17ROCPRIM_400000_NS6detail17trampoline_kernelINS0_14default_configENS1_25partition_config_selectorILNS1_17partition_subalgoE8EtNS0_10empty_typeEbEEZZNS1_14partition_implILS5_8ELb0ES3_jPKtPS6_PKS6_NS0_5tupleIJPtS6_EEENSE_IJSB_SB_EEENS0_18inequality_wrapperIN6hipcub16HIPCUB_304000_NS8EqualityEEEPlJS6_EEE10hipError_tPvRmT3_T4_T5_T6_T7_T9_mT8_P12ihipStream_tbDpT10_ENKUlT_T0_E_clISt17integral_constantIbLb1EES17_EEDaS12_S13_EUlS12_E_NS1_11comp_targetILNS1_3genE5ELNS1_11target_archE942ELNS1_3gpuE9ELNS1_3repE0EEENS1_30default_config_static_selectorELNS0_4arch9wavefront6targetE1EEEvT1_, .Lfunc_end764-_ZN7rocprim17ROCPRIM_400000_NS6detail17trampoline_kernelINS0_14default_configENS1_25partition_config_selectorILNS1_17partition_subalgoE8EtNS0_10empty_typeEbEEZZNS1_14partition_implILS5_8ELb0ES3_jPKtPS6_PKS6_NS0_5tupleIJPtS6_EEENSE_IJSB_SB_EEENS0_18inequality_wrapperIN6hipcub16HIPCUB_304000_NS8EqualityEEEPlJS6_EEE10hipError_tPvRmT3_T4_T5_T6_T7_T9_mT8_P12ihipStream_tbDpT10_ENKUlT_T0_E_clISt17integral_constantIbLb1EES17_EEDaS12_S13_EUlS12_E_NS1_11comp_targetILNS1_3genE5ELNS1_11target_archE942ELNS1_3gpuE9ELNS1_3repE0EEENS1_30default_config_static_selectorELNS0_4arch9wavefront6targetE1EEEvT1_
                                        ; -- End function
	.section	.AMDGPU.csdata,"",@progbits
; Kernel info:
; codeLenInByte = 12820
; NumSgprs: 87
; NumVgprs: 132
; NumAgprs: 0
; TotalNumVgprs: 132
; ScratchSize: 0
; MemoryBound: 0
; FloatMode: 240
; IeeeMode: 1
; LDSByteSize: 30728 bytes/workgroup (compile time only)
; SGPRBlocks: 10
; VGPRBlocks: 16
; NumSGPRsForWavesPerEU: 87
; NumVGPRsForWavesPerEU: 132
; AccumOffset: 132
; Occupancy: 3
; WaveLimiterHint : 1
; COMPUTE_PGM_RSRC2:SCRATCH_EN: 0
; COMPUTE_PGM_RSRC2:USER_SGPR: 2
; COMPUTE_PGM_RSRC2:TRAP_HANDLER: 0
; COMPUTE_PGM_RSRC2:TGID_X_EN: 1
; COMPUTE_PGM_RSRC2:TGID_Y_EN: 0
; COMPUTE_PGM_RSRC2:TGID_Z_EN: 0
; COMPUTE_PGM_RSRC2:TIDIG_COMP_CNT: 0
; COMPUTE_PGM_RSRC3_GFX90A:ACCUM_OFFSET: 32
; COMPUTE_PGM_RSRC3_GFX90A:TG_SPLIT: 0
	.section	.text._ZN7rocprim17ROCPRIM_400000_NS6detail17trampoline_kernelINS0_14default_configENS1_25partition_config_selectorILNS1_17partition_subalgoE8EtNS0_10empty_typeEbEEZZNS1_14partition_implILS5_8ELb0ES3_jPKtPS6_PKS6_NS0_5tupleIJPtS6_EEENSE_IJSB_SB_EEENS0_18inequality_wrapperIN6hipcub16HIPCUB_304000_NS8EqualityEEEPlJS6_EEE10hipError_tPvRmT3_T4_T5_T6_T7_T9_mT8_P12ihipStream_tbDpT10_ENKUlT_T0_E_clISt17integral_constantIbLb1EES17_EEDaS12_S13_EUlS12_E_NS1_11comp_targetILNS1_3genE4ELNS1_11target_archE910ELNS1_3gpuE8ELNS1_3repE0EEENS1_30default_config_static_selectorELNS0_4arch9wavefront6targetE1EEEvT1_,"axG",@progbits,_ZN7rocprim17ROCPRIM_400000_NS6detail17trampoline_kernelINS0_14default_configENS1_25partition_config_selectorILNS1_17partition_subalgoE8EtNS0_10empty_typeEbEEZZNS1_14partition_implILS5_8ELb0ES3_jPKtPS6_PKS6_NS0_5tupleIJPtS6_EEENSE_IJSB_SB_EEENS0_18inequality_wrapperIN6hipcub16HIPCUB_304000_NS8EqualityEEEPlJS6_EEE10hipError_tPvRmT3_T4_T5_T6_T7_T9_mT8_P12ihipStream_tbDpT10_ENKUlT_T0_E_clISt17integral_constantIbLb1EES17_EEDaS12_S13_EUlS12_E_NS1_11comp_targetILNS1_3genE4ELNS1_11target_archE910ELNS1_3gpuE8ELNS1_3repE0EEENS1_30default_config_static_selectorELNS0_4arch9wavefront6targetE1EEEvT1_,comdat
	.protected	_ZN7rocprim17ROCPRIM_400000_NS6detail17trampoline_kernelINS0_14default_configENS1_25partition_config_selectorILNS1_17partition_subalgoE8EtNS0_10empty_typeEbEEZZNS1_14partition_implILS5_8ELb0ES3_jPKtPS6_PKS6_NS0_5tupleIJPtS6_EEENSE_IJSB_SB_EEENS0_18inequality_wrapperIN6hipcub16HIPCUB_304000_NS8EqualityEEEPlJS6_EEE10hipError_tPvRmT3_T4_T5_T6_T7_T9_mT8_P12ihipStream_tbDpT10_ENKUlT_T0_E_clISt17integral_constantIbLb1EES17_EEDaS12_S13_EUlS12_E_NS1_11comp_targetILNS1_3genE4ELNS1_11target_archE910ELNS1_3gpuE8ELNS1_3repE0EEENS1_30default_config_static_selectorELNS0_4arch9wavefront6targetE1EEEvT1_ ; -- Begin function _ZN7rocprim17ROCPRIM_400000_NS6detail17trampoline_kernelINS0_14default_configENS1_25partition_config_selectorILNS1_17partition_subalgoE8EtNS0_10empty_typeEbEEZZNS1_14partition_implILS5_8ELb0ES3_jPKtPS6_PKS6_NS0_5tupleIJPtS6_EEENSE_IJSB_SB_EEENS0_18inequality_wrapperIN6hipcub16HIPCUB_304000_NS8EqualityEEEPlJS6_EEE10hipError_tPvRmT3_T4_T5_T6_T7_T9_mT8_P12ihipStream_tbDpT10_ENKUlT_T0_E_clISt17integral_constantIbLb1EES17_EEDaS12_S13_EUlS12_E_NS1_11comp_targetILNS1_3genE4ELNS1_11target_archE910ELNS1_3gpuE8ELNS1_3repE0EEENS1_30default_config_static_selectorELNS0_4arch9wavefront6targetE1EEEvT1_
	.globl	_ZN7rocprim17ROCPRIM_400000_NS6detail17trampoline_kernelINS0_14default_configENS1_25partition_config_selectorILNS1_17partition_subalgoE8EtNS0_10empty_typeEbEEZZNS1_14partition_implILS5_8ELb0ES3_jPKtPS6_PKS6_NS0_5tupleIJPtS6_EEENSE_IJSB_SB_EEENS0_18inequality_wrapperIN6hipcub16HIPCUB_304000_NS8EqualityEEEPlJS6_EEE10hipError_tPvRmT3_T4_T5_T6_T7_T9_mT8_P12ihipStream_tbDpT10_ENKUlT_T0_E_clISt17integral_constantIbLb1EES17_EEDaS12_S13_EUlS12_E_NS1_11comp_targetILNS1_3genE4ELNS1_11target_archE910ELNS1_3gpuE8ELNS1_3repE0EEENS1_30default_config_static_selectorELNS0_4arch9wavefront6targetE1EEEvT1_
	.p2align	8
	.type	_ZN7rocprim17ROCPRIM_400000_NS6detail17trampoline_kernelINS0_14default_configENS1_25partition_config_selectorILNS1_17partition_subalgoE8EtNS0_10empty_typeEbEEZZNS1_14partition_implILS5_8ELb0ES3_jPKtPS6_PKS6_NS0_5tupleIJPtS6_EEENSE_IJSB_SB_EEENS0_18inequality_wrapperIN6hipcub16HIPCUB_304000_NS8EqualityEEEPlJS6_EEE10hipError_tPvRmT3_T4_T5_T6_T7_T9_mT8_P12ihipStream_tbDpT10_ENKUlT_T0_E_clISt17integral_constantIbLb1EES17_EEDaS12_S13_EUlS12_E_NS1_11comp_targetILNS1_3genE4ELNS1_11target_archE910ELNS1_3gpuE8ELNS1_3repE0EEENS1_30default_config_static_selectorELNS0_4arch9wavefront6targetE1EEEvT1_,@function
_ZN7rocprim17ROCPRIM_400000_NS6detail17trampoline_kernelINS0_14default_configENS1_25partition_config_selectorILNS1_17partition_subalgoE8EtNS0_10empty_typeEbEEZZNS1_14partition_implILS5_8ELb0ES3_jPKtPS6_PKS6_NS0_5tupleIJPtS6_EEENSE_IJSB_SB_EEENS0_18inequality_wrapperIN6hipcub16HIPCUB_304000_NS8EqualityEEEPlJS6_EEE10hipError_tPvRmT3_T4_T5_T6_T7_T9_mT8_P12ihipStream_tbDpT10_ENKUlT_T0_E_clISt17integral_constantIbLb1EES17_EEDaS12_S13_EUlS12_E_NS1_11comp_targetILNS1_3genE4ELNS1_11target_archE910ELNS1_3gpuE8ELNS1_3repE0EEENS1_30default_config_static_selectorELNS0_4arch9wavefront6targetE1EEEvT1_: ; @_ZN7rocprim17ROCPRIM_400000_NS6detail17trampoline_kernelINS0_14default_configENS1_25partition_config_selectorILNS1_17partition_subalgoE8EtNS0_10empty_typeEbEEZZNS1_14partition_implILS5_8ELb0ES3_jPKtPS6_PKS6_NS0_5tupleIJPtS6_EEENSE_IJSB_SB_EEENS0_18inequality_wrapperIN6hipcub16HIPCUB_304000_NS8EqualityEEEPlJS6_EEE10hipError_tPvRmT3_T4_T5_T6_T7_T9_mT8_P12ihipStream_tbDpT10_ENKUlT_T0_E_clISt17integral_constantIbLb1EES17_EEDaS12_S13_EUlS12_E_NS1_11comp_targetILNS1_3genE4ELNS1_11target_archE910ELNS1_3gpuE8ELNS1_3repE0EEENS1_30default_config_static_selectorELNS0_4arch9wavefront6targetE1EEEvT1_
; %bb.0:
	.section	.rodata,"a",@progbits
	.p2align	6, 0x0
	.amdhsa_kernel _ZN7rocprim17ROCPRIM_400000_NS6detail17trampoline_kernelINS0_14default_configENS1_25partition_config_selectorILNS1_17partition_subalgoE8EtNS0_10empty_typeEbEEZZNS1_14partition_implILS5_8ELb0ES3_jPKtPS6_PKS6_NS0_5tupleIJPtS6_EEENSE_IJSB_SB_EEENS0_18inequality_wrapperIN6hipcub16HIPCUB_304000_NS8EqualityEEEPlJS6_EEE10hipError_tPvRmT3_T4_T5_T6_T7_T9_mT8_P12ihipStream_tbDpT10_ENKUlT_T0_E_clISt17integral_constantIbLb1EES17_EEDaS12_S13_EUlS12_E_NS1_11comp_targetILNS1_3genE4ELNS1_11target_archE910ELNS1_3gpuE8ELNS1_3repE0EEENS1_30default_config_static_selectorELNS0_4arch9wavefront6targetE1EEEvT1_
		.amdhsa_group_segment_fixed_size 0
		.amdhsa_private_segment_fixed_size 0
		.amdhsa_kernarg_size 128
		.amdhsa_user_sgpr_count 2
		.amdhsa_user_sgpr_dispatch_ptr 0
		.amdhsa_user_sgpr_queue_ptr 0
		.amdhsa_user_sgpr_kernarg_segment_ptr 1
		.amdhsa_user_sgpr_dispatch_id 0
		.amdhsa_user_sgpr_kernarg_preload_length 0
		.amdhsa_user_sgpr_kernarg_preload_offset 0
		.amdhsa_user_sgpr_private_segment_size 0
		.amdhsa_uses_dynamic_stack 0
		.amdhsa_enable_private_segment 0
		.amdhsa_system_sgpr_workgroup_id_x 1
		.amdhsa_system_sgpr_workgroup_id_y 0
		.amdhsa_system_sgpr_workgroup_id_z 0
		.amdhsa_system_sgpr_workgroup_info 0
		.amdhsa_system_vgpr_workitem_id 0
		.amdhsa_next_free_vgpr 1
		.amdhsa_next_free_sgpr 0
		.amdhsa_accum_offset 4
		.amdhsa_reserve_vcc 0
		.amdhsa_float_round_mode_32 0
		.amdhsa_float_round_mode_16_64 0
		.amdhsa_float_denorm_mode_32 3
		.amdhsa_float_denorm_mode_16_64 3
		.amdhsa_dx10_clamp 1
		.amdhsa_ieee_mode 1
		.amdhsa_fp16_overflow 0
		.amdhsa_tg_split 0
		.amdhsa_exception_fp_ieee_invalid_op 0
		.amdhsa_exception_fp_denorm_src 0
		.amdhsa_exception_fp_ieee_div_zero 0
		.amdhsa_exception_fp_ieee_overflow 0
		.amdhsa_exception_fp_ieee_underflow 0
		.amdhsa_exception_fp_ieee_inexact 0
		.amdhsa_exception_int_div_zero 0
	.end_amdhsa_kernel
	.section	.text._ZN7rocprim17ROCPRIM_400000_NS6detail17trampoline_kernelINS0_14default_configENS1_25partition_config_selectorILNS1_17partition_subalgoE8EtNS0_10empty_typeEbEEZZNS1_14partition_implILS5_8ELb0ES3_jPKtPS6_PKS6_NS0_5tupleIJPtS6_EEENSE_IJSB_SB_EEENS0_18inequality_wrapperIN6hipcub16HIPCUB_304000_NS8EqualityEEEPlJS6_EEE10hipError_tPvRmT3_T4_T5_T6_T7_T9_mT8_P12ihipStream_tbDpT10_ENKUlT_T0_E_clISt17integral_constantIbLb1EES17_EEDaS12_S13_EUlS12_E_NS1_11comp_targetILNS1_3genE4ELNS1_11target_archE910ELNS1_3gpuE8ELNS1_3repE0EEENS1_30default_config_static_selectorELNS0_4arch9wavefront6targetE1EEEvT1_,"axG",@progbits,_ZN7rocprim17ROCPRIM_400000_NS6detail17trampoline_kernelINS0_14default_configENS1_25partition_config_selectorILNS1_17partition_subalgoE8EtNS0_10empty_typeEbEEZZNS1_14partition_implILS5_8ELb0ES3_jPKtPS6_PKS6_NS0_5tupleIJPtS6_EEENSE_IJSB_SB_EEENS0_18inequality_wrapperIN6hipcub16HIPCUB_304000_NS8EqualityEEEPlJS6_EEE10hipError_tPvRmT3_T4_T5_T6_T7_T9_mT8_P12ihipStream_tbDpT10_ENKUlT_T0_E_clISt17integral_constantIbLb1EES17_EEDaS12_S13_EUlS12_E_NS1_11comp_targetILNS1_3genE4ELNS1_11target_archE910ELNS1_3gpuE8ELNS1_3repE0EEENS1_30default_config_static_selectorELNS0_4arch9wavefront6targetE1EEEvT1_,comdat
.Lfunc_end765:
	.size	_ZN7rocprim17ROCPRIM_400000_NS6detail17trampoline_kernelINS0_14default_configENS1_25partition_config_selectorILNS1_17partition_subalgoE8EtNS0_10empty_typeEbEEZZNS1_14partition_implILS5_8ELb0ES3_jPKtPS6_PKS6_NS0_5tupleIJPtS6_EEENSE_IJSB_SB_EEENS0_18inequality_wrapperIN6hipcub16HIPCUB_304000_NS8EqualityEEEPlJS6_EEE10hipError_tPvRmT3_T4_T5_T6_T7_T9_mT8_P12ihipStream_tbDpT10_ENKUlT_T0_E_clISt17integral_constantIbLb1EES17_EEDaS12_S13_EUlS12_E_NS1_11comp_targetILNS1_3genE4ELNS1_11target_archE910ELNS1_3gpuE8ELNS1_3repE0EEENS1_30default_config_static_selectorELNS0_4arch9wavefront6targetE1EEEvT1_, .Lfunc_end765-_ZN7rocprim17ROCPRIM_400000_NS6detail17trampoline_kernelINS0_14default_configENS1_25partition_config_selectorILNS1_17partition_subalgoE8EtNS0_10empty_typeEbEEZZNS1_14partition_implILS5_8ELb0ES3_jPKtPS6_PKS6_NS0_5tupleIJPtS6_EEENSE_IJSB_SB_EEENS0_18inequality_wrapperIN6hipcub16HIPCUB_304000_NS8EqualityEEEPlJS6_EEE10hipError_tPvRmT3_T4_T5_T6_T7_T9_mT8_P12ihipStream_tbDpT10_ENKUlT_T0_E_clISt17integral_constantIbLb1EES17_EEDaS12_S13_EUlS12_E_NS1_11comp_targetILNS1_3genE4ELNS1_11target_archE910ELNS1_3gpuE8ELNS1_3repE0EEENS1_30default_config_static_selectorELNS0_4arch9wavefront6targetE1EEEvT1_
                                        ; -- End function
	.section	.AMDGPU.csdata,"",@progbits
; Kernel info:
; codeLenInByte = 0
; NumSgprs: 6
; NumVgprs: 0
; NumAgprs: 0
; TotalNumVgprs: 0
; ScratchSize: 0
; MemoryBound: 0
; FloatMode: 240
; IeeeMode: 1
; LDSByteSize: 0 bytes/workgroup (compile time only)
; SGPRBlocks: 0
; VGPRBlocks: 0
; NumSGPRsForWavesPerEU: 6
; NumVGPRsForWavesPerEU: 1
; AccumOffset: 4
; Occupancy: 8
; WaveLimiterHint : 0
; COMPUTE_PGM_RSRC2:SCRATCH_EN: 0
; COMPUTE_PGM_RSRC2:USER_SGPR: 2
; COMPUTE_PGM_RSRC2:TRAP_HANDLER: 0
; COMPUTE_PGM_RSRC2:TGID_X_EN: 1
; COMPUTE_PGM_RSRC2:TGID_Y_EN: 0
; COMPUTE_PGM_RSRC2:TGID_Z_EN: 0
; COMPUTE_PGM_RSRC2:TIDIG_COMP_CNT: 0
; COMPUTE_PGM_RSRC3_GFX90A:ACCUM_OFFSET: 0
; COMPUTE_PGM_RSRC3_GFX90A:TG_SPLIT: 0
	.section	.text._ZN7rocprim17ROCPRIM_400000_NS6detail17trampoline_kernelINS0_14default_configENS1_25partition_config_selectorILNS1_17partition_subalgoE8EtNS0_10empty_typeEbEEZZNS1_14partition_implILS5_8ELb0ES3_jPKtPS6_PKS6_NS0_5tupleIJPtS6_EEENSE_IJSB_SB_EEENS0_18inequality_wrapperIN6hipcub16HIPCUB_304000_NS8EqualityEEEPlJS6_EEE10hipError_tPvRmT3_T4_T5_T6_T7_T9_mT8_P12ihipStream_tbDpT10_ENKUlT_T0_E_clISt17integral_constantIbLb1EES17_EEDaS12_S13_EUlS12_E_NS1_11comp_targetILNS1_3genE3ELNS1_11target_archE908ELNS1_3gpuE7ELNS1_3repE0EEENS1_30default_config_static_selectorELNS0_4arch9wavefront6targetE1EEEvT1_,"axG",@progbits,_ZN7rocprim17ROCPRIM_400000_NS6detail17trampoline_kernelINS0_14default_configENS1_25partition_config_selectorILNS1_17partition_subalgoE8EtNS0_10empty_typeEbEEZZNS1_14partition_implILS5_8ELb0ES3_jPKtPS6_PKS6_NS0_5tupleIJPtS6_EEENSE_IJSB_SB_EEENS0_18inequality_wrapperIN6hipcub16HIPCUB_304000_NS8EqualityEEEPlJS6_EEE10hipError_tPvRmT3_T4_T5_T6_T7_T9_mT8_P12ihipStream_tbDpT10_ENKUlT_T0_E_clISt17integral_constantIbLb1EES17_EEDaS12_S13_EUlS12_E_NS1_11comp_targetILNS1_3genE3ELNS1_11target_archE908ELNS1_3gpuE7ELNS1_3repE0EEENS1_30default_config_static_selectorELNS0_4arch9wavefront6targetE1EEEvT1_,comdat
	.protected	_ZN7rocprim17ROCPRIM_400000_NS6detail17trampoline_kernelINS0_14default_configENS1_25partition_config_selectorILNS1_17partition_subalgoE8EtNS0_10empty_typeEbEEZZNS1_14partition_implILS5_8ELb0ES3_jPKtPS6_PKS6_NS0_5tupleIJPtS6_EEENSE_IJSB_SB_EEENS0_18inequality_wrapperIN6hipcub16HIPCUB_304000_NS8EqualityEEEPlJS6_EEE10hipError_tPvRmT3_T4_T5_T6_T7_T9_mT8_P12ihipStream_tbDpT10_ENKUlT_T0_E_clISt17integral_constantIbLb1EES17_EEDaS12_S13_EUlS12_E_NS1_11comp_targetILNS1_3genE3ELNS1_11target_archE908ELNS1_3gpuE7ELNS1_3repE0EEENS1_30default_config_static_selectorELNS0_4arch9wavefront6targetE1EEEvT1_ ; -- Begin function _ZN7rocprim17ROCPRIM_400000_NS6detail17trampoline_kernelINS0_14default_configENS1_25partition_config_selectorILNS1_17partition_subalgoE8EtNS0_10empty_typeEbEEZZNS1_14partition_implILS5_8ELb0ES3_jPKtPS6_PKS6_NS0_5tupleIJPtS6_EEENSE_IJSB_SB_EEENS0_18inequality_wrapperIN6hipcub16HIPCUB_304000_NS8EqualityEEEPlJS6_EEE10hipError_tPvRmT3_T4_T5_T6_T7_T9_mT8_P12ihipStream_tbDpT10_ENKUlT_T0_E_clISt17integral_constantIbLb1EES17_EEDaS12_S13_EUlS12_E_NS1_11comp_targetILNS1_3genE3ELNS1_11target_archE908ELNS1_3gpuE7ELNS1_3repE0EEENS1_30default_config_static_selectorELNS0_4arch9wavefront6targetE1EEEvT1_
	.globl	_ZN7rocprim17ROCPRIM_400000_NS6detail17trampoline_kernelINS0_14default_configENS1_25partition_config_selectorILNS1_17partition_subalgoE8EtNS0_10empty_typeEbEEZZNS1_14partition_implILS5_8ELb0ES3_jPKtPS6_PKS6_NS0_5tupleIJPtS6_EEENSE_IJSB_SB_EEENS0_18inequality_wrapperIN6hipcub16HIPCUB_304000_NS8EqualityEEEPlJS6_EEE10hipError_tPvRmT3_T4_T5_T6_T7_T9_mT8_P12ihipStream_tbDpT10_ENKUlT_T0_E_clISt17integral_constantIbLb1EES17_EEDaS12_S13_EUlS12_E_NS1_11comp_targetILNS1_3genE3ELNS1_11target_archE908ELNS1_3gpuE7ELNS1_3repE0EEENS1_30default_config_static_selectorELNS0_4arch9wavefront6targetE1EEEvT1_
	.p2align	8
	.type	_ZN7rocprim17ROCPRIM_400000_NS6detail17trampoline_kernelINS0_14default_configENS1_25partition_config_selectorILNS1_17partition_subalgoE8EtNS0_10empty_typeEbEEZZNS1_14partition_implILS5_8ELb0ES3_jPKtPS6_PKS6_NS0_5tupleIJPtS6_EEENSE_IJSB_SB_EEENS0_18inequality_wrapperIN6hipcub16HIPCUB_304000_NS8EqualityEEEPlJS6_EEE10hipError_tPvRmT3_T4_T5_T6_T7_T9_mT8_P12ihipStream_tbDpT10_ENKUlT_T0_E_clISt17integral_constantIbLb1EES17_EEDaS12_S13_EUlS12_E_NS1_11comp_targetILNS1_3genE3ELNS1_11target_archE908ELNS1_3gpuE7ELNS1_3repE0EEENS1_30default_config_static_selectorELNS0_4arch9wavefront6targetE1EEEvT1_,@function
_ZN7rocprim17ROCPRIM_400000_NS6detail17trampoline_kernelINS0_14default_configENS1_25partition_config_selectorILNS1_17partition_subalgoE8EtNS0_10empty_typeEbEEZZNS1_14partition_implILS5_8ELb0ES3_jPKtPS6_PKS6_NS0_5tupleIJPtS6_EEENSE_IJSB_SB_EEENS0_18inequality_wrapperIN6hipcub16HIPCUB_304000_NS8EqualityEEEPlJS6_EEE10hipError_tPvRmT3_T4_T5_T6_T7_T9_mT8_P12ihipStream_tbDpT10_ENKUlT_T0_E_clISt17integral_constantIbLb1EES17_EEDaS12_S13_EUlS12_E_NS1_11comp_targetILNS1_3genE3ELNS1_11target_archE908ELNS1_3gpuE7ELNS1_3repE0EEENS1_30default_config_static_selectorELNS0_4arch9wavefront6targetE1EEEvT1_: ; @_ZN7rocprim17ROCPRIM_400000_NS6detail17trampoline_kernelINS0_14default_configENS1_25partition_config_selectorILNS1_17partition_subalgoE8EtNS0_10empty_typeEbEEZZNS1_14partition_implILS5_8ELb0ES3_jPKtPS6_PKS6_NS0_5tupleIJPtS6_EEENSE_IJSB_SB_EEENS0_18inequality_wrapperIN6hipcub16HIPCUB_304000_NS8EqualityEEEPlJS6_EEE10hipError_tPvRmT3_T4_T5_T6_T7_T9_mT8_P12ihipStream_tbDpT10_ENKUlT_T0_E_clISt17integral_constantIbLb1EES17_EEDaS12_S13_EUlS12_E_NS1_11comp_targetILNS1_3genE3ELNS1_11target_archE908ELNS1_3gpuE7ELNS1_3repE0EEENS1_30default_config_static_selectorELNS0_4arch9wavefront6targetE1EEEvT1_
; %bb.0:
	.section	.rodata,"a",@progbits
	.p2align	6, 0x0
	.amdhsa_kernel _ZN7rocprim17ROCPRIM_400000_NS6detail17trampoline_kernelINS0_14default_configENS1_25partition_config_selectorILNS1_17partition_subalgoE8EtNS0_10empty_typeEbEEZZNS1_14partition_implILS5_8ELb0ES3_jPKtPS6_PKS6_NS0_5tupleIJPtS6_EEENSE_IJSB_SB_EEENS0_18inequality_wrapperIN6hipcub16HIPCUB_304000_NS8EqualityEEEPlJS6_EEE10hipError_tPvRmT3_T4_T5_T6_T7_T9_mT8_P12ihipStream_tbDpT10_ENKUlT_T0_E_clISt17integral_constantIbLb1EES17_EEDaS12_S13_EUlS12_E_NS1_11comp_targetILNS1_3genE3ELNS1_11target_archE908ELNS1_3gpuE7ELNS1_3repE0EEENS1_30default_config_static_selectorELNS0_4arch9wavefront6targetE1EEEvT1_
		.amdhsa_group_segment_fixed_size 0
		.amdhsa_private_segment_fixed_size 0
		.amdhsa_kernarg_size 128
		.amdhsa_user_sgpr_count 2
		.amdhsa_user_sgpr_dispatch_ptr 0
		.amdhsa_user_sgpr_queue_ptr 0
		.amdhsa_user_sgpr_kernarg_segment_ptr 1
		.amdhsa_user_sgpr_dispatch_id 0
		.amdhsa_user_sgpr_kernarg_preload_length 0
		.amdhsa_user_sgpr_kernarg_preload_offset 0
		.amdhsa_user_sgpr_private_segment_size 0
		.amdhsa_uses_dynamic_stack 0
		.amdhsa_enable_private_segment 0
		.amdhsa_system_sgpr_workgroup_id_x 1
		.amdhsa_system_sgpr_workgroup_id_y 0
		.amdhsa_system_sgpr_workgroup_id_z 0
		.amdhsa_system_sgpr_workgroup_info 0
		.amdhsa_system_vgpr_workitem_id 0
		.amdhsa_next_free_vgpr 1
		.amdhsa_next_free_sgpr 0
		.amdhsa_accum_offset 4
		.amdhsa_reserve_vcc 0
		.amdhsa_float_round_mode_32 0
		.amdhsa_float_round_mode_16_64 0
		.amdhsa_float_denorm_mode_32 3
		.amdhsa_float_denorm_mode_16_64 3
		.amdhsa_dx10_clamp 1
		.amdhsa_ieee_mode 1
		.amdhsa_fp16_overflow 0
		.amdhsa_tg_split 0
		.amdhsa_exception_fp_ieee_invalid_op 0
		.amdhsa_exception_fp_denorm_src 0
		.amdhsa_exception_fp_ieee_div_zero 0
		.amdhsa_exception_fp_ieee_overflow 0
		.amdhsa_exception_fp_ieee_underflow 0
		.amdhsa_exception_fp_ieee_inexact 0
		.amdhsa_exception_int_div_zero 0
	.end_amdhsa_kernel
	.section	.text._ZN7rocprim17ROCPRIM_400000_NS6detail17trampoline_kernelINS0_14default_configENS1_25partition_config_selectorILNS1_17partition_subalgoE8EtNS0_10empty_typeEbEEZZNS1_14partition_implILS5_8ELb0ES3_jPKtPS6_PKS6_NS0_5tupleIJPtS6_EEENSE_IJSB_SB_EEENS0_18inequality_wrapperIN6hipcub16HIPCUB_304000_NS8EqualityEEEPlJS6_EEE10hipError_tPvRmT3_T4_T5_T6_T7_T9_mT8_P12ihipStream_tbDpT10_ENKUlT_T0_E_clISt17integral_constantIbLb1EES17_EEDaS12_S13_EUlS12_E_NS1_11comp_targetILNS1_3genE3ELNS1_11target_archE908ELNS1_3gpuE7ELNS1_3repE0EEENS1_30default_config_static_selectorELNS0_4arch9wavefront6targetE1EEEvT1_,"axG",@progbits,_ZN7rocprim17ROCPRIM_400000_NS6detail17trampoline_kernelINS0_14default_configENS1_25partition_config_selectorILNS1_17partition_subalgoE8EtNS0_10empty_typeEbEEZZNS1_14partition_implILS5_8ELb0ES3_jPKtPS6_PKS6_NS0_5tupleIJPtS6_EEENSE_IJSB_SB_EEENS0_18inequality_wrapperIN6hipcub16HIPCUB_304000_NS8EqualityEEEPlJS6_EEE10hipError_tPvRmT3_T4_T5_T6_T7_T9_mT8_P12ihipStream_tbDpT10_ENKUlT_T0_E_clISt17integral_constantIbLb1EES17_EEDaS12_S13_EUlS12_E_NS1_11comp_targetILNS1_3genE3ELNS1_11target_archE908ELNS1_3gpuE7ELNS1_3repE0EEENS1_30default_config_static_selectorELNS0_4arch9wavefront6targetE1EEEvT1_,comdat
.Lfunc_end766:
	.size	_ZN7rocprim17ROCPRIM_400000_NS6detail17trampoline_kernelINS0_14default_configENS1_25partition_config_selectorILNS1_17partition_subalgoE8EtNS0_10empty_typeEbEEZZNS1_14partition_implILS5_8ELb0ES3_jPKtPS6_PKS6_NS0_5tupleIJPtS6_EEENSE_IJSB_SB_EEENS0_18inequality_wrapperIN6hipcub16HIPCUB_304000_NS8EqualityEEEPlJS6_EEE10hipError_tPvRmT3_T4_T5_T6_T7_T9_mT8_P12ihipStream_tbDpT10_ENKUlT_T0_E_clISt17integral_constantIbLb1EES17_EEDaS12_S13_EUlS12_E_NS1_11comp_targetILNS1_3genE3ELNS1_11target_archE908ELNS1_3gpuE7ELNS1_3repE0EEENS1_30default_config_static_selectorELNS0_4arch9wavefront6targetE1EEEvT1_, .Lfunc_end766-_ZN7rocprim17ROCPRIM_400000_NS6detail17trampoline_kernelINS0_14default_configENS1_25partition_config_selectorILNS1_17partition_subalgoE8EtNS0_10empty_typeEbEEZZNS1_14partition_implILS5_8ELb0ES3_jPKtPS6_PKS6_NS0_5tupleIJPtS6_EEENSE_IJSB_SB_EEENS0_18inequality_wrapperIN6hipcub16HIPCUB_304000_NS8EqualityEEEPlJS6_EEE10hipError_tPvRmT3_T4_T5_T6_T7_T9_mT8_P12ihipStream_tbDpT10_ENKUlT_T0_E_clISt17integral_constantIbLb1EES17_EEDaS12_S13_EUlS12_E_NS1_11comp_targetILNS1_3genE3ELNS1_11target_archE908ELNS1_3gpuE7ELNS1_3repE0EEENS1_30default_config_static_selectorELNS0_4arch9wavefront6targetE1EEEvT1_
                                        ; -- End function
	.section	.AMDGPU.csdata,"",@progbits
; Kernel info:
; codeLenInByte = 0
; NumSgprs: 6
; NumVgprs: 0
; NumAgprs: 0
; TotalNumVgprs: 0
; ScratchSize: 0
; MemoryBound: 0
; FloatMode: 240
; IeeeMode: 1
; LDSByteSize: 0 bytes/workgroup (compile time only)
; SGPRBlocks: 0
; VGPRBlocks: 0
; NumSGPRsForWavesPerEU: 6
; NumVGPRsForWavesPerEU: 1
; AccumOffset: 4
; Occupancy: 8
; WaveLimiterHint : 0
; COMPUTE_PGM_RSRC2:SCRATCH_EN: 0
; COMPUTE_PGM_RSRC2:USER_SGPR: 2
; COMPUTE_PGM_RSRC2:TRAP_HANDLER: 0
; COMPUTE_PGM_RSRC2:TGID_X_EN: 1
; COMPUTE_PGM_RSRC2:TGID_Y_EN: 0
; COMPUTE_PGM_RSRC2:TGID_Z_EN: 0
; COMPUTE_PGM_RSRC2:TIDIG_COMP_CNT: 0
; COMPUTE_PGM_RSRC3_GFX90A:ACCUM_OFFSET: 0
; COMPUTE_PGM_RSRC3_GFX90A:TG_SPLIT: 0
	.section	.text._ZN7rocprim17ROCPRIM_400000_NS6detail17trampoline_kernelINS0_14default_configENS1_25partition_config_selectorILNS1_17partition_subalgoE8EtNS0_10empty_typeEbEEZZNS1_14partition_implILS5_8ELb0ES3_jPKtPS6_PKS6_NS0_5tupleIJPtS6_EEENSE_IJSB_SB_EEENS0_18inequality_wrapperIN6hipcub16HIPCUB_304000_NS8EqualityEEEPlJS6_EEE10hipError_tPvRmT3_T4_T5_T6_T7_T9_mT8_P12ihipStream_tbDpT10_ENKUlT_T0_E_clISt17integral_constantIbLb1EES17_EEDaS12_S13_EUlS12_E_NS1_11comp_targetILNS1_3genE2ELNS1_11target_archE906ELNS1_3gpuE6ELNS1_3repE0EEENS1_30default_config_static_selectorELNS0_4arch9wavefront6targetE1EEEvT1_,"axG",@progbits,_ZN7rocprim17ROCPRIM_400000_NS6detail17trampoline_kernelINS0_14default_configENS1_25partition_config_selectorILNS1_17partition_subalgoE8EtNS0_10empty_typeEbEEZZNS1_14partition_implILS5_8ELb0ES3_jPKtPS6_PKS6_NS0_5tupleIJPtS6_EEENSE_IJSB_SB_EEENS0_18inequality_wrapperIN6hipcub16HIPCUB_304000_NS8EqualityEEEPlJS6_EEE10hipError_tPvRmT3_T4_T5_T6_T7_T9_mT8_P12ihipStream_tbDpT10_ENKUlT_T0_E_clISt17integral_constantIbLb1EES17_EEDaS12_S13_EUlS12_E_NS1_11comp_targetILNS1_3genE2ELNS1_11target_archE906ELNS1_3gpuE6ELNS1_3repE0EEENS1_30default_config_static_selectorELNS0_4arch9wavefront6targetE1EEEvT1_,comdat
	.protected	_ZN7rocprim17ROCPRIM_400000_NS6detail17trampoline_kernelINS0_14default_configENS1_25partition_config_selectorILNS1_17partition_subalgoE8EtNS0_10empty_typeEbEEZZNS1_14partition_implILS5_8ELb0ES3_jPKtPS6_PKS6_NS0_5tupleIJPtS6_EEENSE_IJSB_SB_EEENS0_18inequality_wrapperIN6hipcub16HIPCUB_304000_NS8EqualityEEEPlJS6_EEE10hipError_tPvRmT3_T4_T5_T6_T7_T9_mT8_P12ihipStream_tbDpT10_ENKUlT_T0_E_clISt17integral_constantIbLb1EES17_EEDaS12_S13_EUlS12_E_NS1_11comp_targetILNS1_3genE2ELNS1_11target_archE906ELNS1_3gpuE6ELNS1_3repE0EEENS1_30default_config_static_selectorELNS0_4arch9wavefront6targetE1EEEvT1_ ; -- Begin function _ZN7rocprim17ROCPRIM_400000_NS6detail17trampoline_kernelINS0_14default_configENS1_25partition_config_selectorILNS1_17partition_subalgoE8EtNS0_10empty_typeEbEEZZNS1_14partition_implILS5_8ELb0ES3_jPKtPS6_PKS6_NS0_5tupleIJPtS6_EEENSE_IJSB_SB_EEENS0_18inequality_wrapperIN6hipcub16HIPCUB_304000_NS8EqualityEEEPlJS6_EEE10hipError_tPvRmT3_T4_T5_T6_T7_T9_mT8_P12ihipStream_tbDpT10_ENKUlT_T0_E_clISt17integral_constantIbLb1EES17_EEDaS12_S13_EUlS12_E_NS1_11comp_targetILNS1_3genE2ELNS1_11target_archE906ELNS1_3gpuE6ELNS1_3repE0EEENS1_30default_config_static_selectorELNS0_4arch9wavefront6targetE1EEEvT1_
	.globl	_ZN7rocprim17ROCPRIM_400000_NS6detail17trampoline_kernelINS0_14default_configENS1_25partition_config_selectorILNS1_17partition_subalgoE8EtNS0_10empty_typeEbEEZZNS1_14partition_implILS5_8ELb0ES3_jPKtPS6_PKS6_NS0_5tupleIJPtS6_EEENSE_IJSB_SB_EEENS0_18inequality_wrapperIN6hipcub16HIPCUB_304000_NS8EqualityEEEPlJS6_EEE10hipError_tPvRmT3_T4_T5_T6_T7_T9_mT8_P12ihipStream_tbDpT10_ENKUlT_T0_E_clISt17integral_constantIbLb1EES17_EEDaS12_S13_EUlS12_E_NS1_11comp_targetILNS1_3genE2ELNS1_11target_archE906ELNS1_3gpuE6ELNS1_3repE0EEENS1_30default_config_static_selectorELNS0_4arch9wavefront6targetE1EEEvT1_
	.p2align	8
	.type	_ZN7rocprim17ROCPRIM_400000_NS6detail17trampoline_kernelINS0_14default_configENS1_25partition_config_selectorILNS1_17partition_subalgoE8EtNS0_10empty_typeEbEEZZNS1_14partition_implILS5_8ELb0ES3_jPKtPS6_PKS6_NS0_5tupleIJPtS6_EEENSE_IJSB_SB_EEENS0_18inequality_wrapperIN6hipcub16HIPCUB_304000_NS8EqualityEEEPlJS6_EEE10hipError_tPvRmT3_T4_T5_T6_T7_T9_mT8_P12ihipStream_tbDpT10_ENKUlT_T0_E_clISt17integral_constantIbLb1EES17_EEDaS12_S13_EUlS12_E_NS1_11comp_targetILNS1_3genE2ELNS1_11target_archE906ELNS1_3gpuE6ELNS1_3repE0EEENS1_30default_config_static_selectorELNS0_4arch9wavefront6targetE1EEEvT1_,@function
_ZN7rocprim17ROCPRIM_400000_NS6detail17trampoline_kernelINS0_14default_configENS1_25partition_config_selectorILNS1_17partition_subalgoE8EtNS0_10empty_typeEbEEZZNS1_14partition_implILS5_8ELb0ES3_jPKtPS6_PKS6_NS0_5tupleIJPtS6_EEENSE_IJSB_SB_EEENS0_18inequality_wrapperIN6hipcub16HIPCUB_304000_NS8EqualityEEEPlJS6_EEE10hipError_tPvRmT3_T4_T5_T6_T7_T9_mT8_P12ihipStream_tbDpT10_ENKUlT_T0_E_clISt17integral_constantIbLb1EES17_EEDaS12_S13_EUlS12_E_NS1_11comp_targetILNS1_3genE2ELNS1_11target_archE906ELNS1_3gpuE6ELNS1_3repE0EEENS1_30default_config_static_selectorELNS0_4arch9wavefront6targetE1EEEvT1_: ; @_ZN7rocprim17ROCPRIM_400000_NS6detail17trampoline_kernelINS0_14default_configENS1_25partition_config_selectorILNS1_17partition_subalgoE8EtNS0_10empty_typeEbEEZZNS1_14partition_implILS5_8ELb0ES3_jPKtPS6_PKS6_NS0_5tupleIJPtS6_EEENSE_IJSB_SB_EEENS0_18inequality_wrapperIN6hipcub16HIPCUB_304000_NS8EqualityEEEPlJS6_EEE10hipError_tPvRmT3_T4_T5_T6_T7_T9_mT8_P12ihipStream_tbDpT10_ENKUlT_T0_E_clISt17integral_constantIbLb1EES17_EEDaS12_S13_EUlS12_E_NS1_11comp_targetILNS1_3genE2ELNS1_11target_archE906ELNS1_3gpuE6ELNS1_3repE0EEENS1_30default_config_static_selectorELNS0_4arch9wavefront6targetE1EEEvT1_
; %bb.0:
	.section	.rodata,"a",@progbits
	.p2align	6, 0x0
	.amdhsa_kernel _ZN7rocprim17ROCPRIM_400000_NS6detail17trampoline_kernelINS0_14default_configENS1_25partition_config_selectorILNS1_17partition_subalgoE8EtNS0_10empty_typeEbEEZZNS1_14partition_implILS5_8ELb0ES3_jPKtPS6_PKS6_NS0_5tupleIJPtS6_EEENSE_IJSB_SB_EEENS0_18inequality_wrapperIN6hipcub16HIPCUB_304000_NS8EqualityEEEPlJS6_EEE10hipError_tPvRmT3_T4_T5_T6_T7_T9_mT8_P12ihipStream_tbDpT10_ENKUlT_T0_E_clISt17integral_constantIbLb1EES17_EEDaS12_S13_EUlS12_E_NS1_11comp_targetILNS1_3genE2ELNS1_11target_archE906ELNS1_3gpuE6ELNS1_3repE0EEENS1_30default_config_static_selectorELNS0_4arch9wavefront6targetE1EEEvT1_
		.amdhsa_group_segment_fixed_size 0
		.amdhsa_private_segment_fixed_size 0
		.amdhsa_kernarg_size 128
		.amdhsa_user_sgpr_count 2
		.amdhsa_user_sgpr_dispatch_ptr 0
		.amdhsa_user_sgpr_queue_ptr 0
		.amdhsa_user_sgpr_kernarg_segment_ptr 1
		.amdhsa_user_sgpr_dispatch_id 0
		.amdhsa_user_sgpr_kernarg_preload_length 0
		.amdhsa_user_sgpr_kernarg_preload_offset 0
		.amdhsa_user_sgpr_private_segment_size 0
		.amdhsa_uses_dynamic_stack 0
		.amdhsa_enable_private_segment 0
		.amdhsa_system_sgpr_workgroup_id_x 1
		.amdhsa_system_sgpr_workgroup_id_y 0
		.amdhsa_system_sgpr_workgroup_id_z 0
		.amdhsa_system_sgpr_workgroup_info 0
		.amdhsa_system_vgpr_workitem_id 0
		.amdhsa_next_free_vgpr 1
		.amdhsa_next_free_sgpr 0
		.amdhsa_accum_offset 4
		.amdhsa_reserve_vcc 0
		.amdhsa_float_round_mode_32 0
		.amdhsa_float_round_mode_16_64 0
		.amdhsa_float_denorm_mode_32 3
		.amdhsa_float_denorm_mode_16_64 3
		.amdhsa_dx10_clamp 1
		.amdhsa_ieee_mode 1
		.amdhsa_fp16_overflow 0
		.amdhsa_tg_split 0
		.amdhsa_exception_fp_ieee_invalid_op 0
		.amdhsa_exception_fp_denorm_src 0
		.amdhsa_exception_fp_ieee_div_zero 0
		.amdhsa_exception_fp_ieee_overflow 0
		.amdhsa_exception_fp_ieee_underflow 0
		.amdhsa_exception_fp_ieee_inexact 0
		.amdhsa_exception_int_div_zero 0
	.end_amdhsa_kernel
	.section	.text._ZN7rocprim17ROCPRIM_400000_NS6detail17trampoline_kernelINS0_14default_configENS1_25partition_config_selectorILNS1_17partition_subalgoE8EtNS0_10empty_typeEbEEZZNS1_14partition_implILS5_8ELb0ES3_jPKtPS6_PKS6_NS0_5tupleIJPtS6_EEENSE_IJSB_SB_EEENS0_18inequality_wrapperIN6hipcub16HIPCUB_304000_NS8EqualityEEEPlJS6_EEE10hipError_tPvRmT3_T4_T5_T6_T7_T9_mT8_P12ihipStream_tbDpT10_ENKUlT_T0_E_clISt17integral_constantIbLb1EES17_EEDaS12_S13_EUlS12_E_NS1_11comp_targetILNS1_3genE2ELNS1_11target_archE906ELNS1_3gpuE6ELNS1_3repE0EEENS1_30default_config_static_selectorELNS0_4arch9wavefront6targetE1EEEvT1_,"axG",@progbits,_ZN7rocprim17ROCPRIM_400000_NS6detail17trampoline_kernelINS0_14default_configENS1_25partition_config_selectorILNS1_17partition_subalgoE8EtNS0_10empty_typeEbEEZZNS1_14partition_implILS5_8ELb0ES3_jPKtPS6_PKS6_NS0_5tupleIJPtS6_EEENSE_IJSB_SB_EEENS0_18inequality_wrapperIN6hipcub16HIPCUB_304000_NS8EqualityEEEPlJS6_EEE10hipError_tPvRmT3_T4_T5_T6_T7_T9_mT8_P12ihipStream_tbDpT10_ENKUlT_T0_E_clISt17integral_constantIbLb1EES17_EEDaS12_S13_EUlS12_E_NS1_11comp_targetILNS1_3genE2ELNS1_11target_archE906ELNS1_3gpuE6ELNS1_3repE0EEENS1_30default_config_static_selectorELNS0_4arch9wavefront6targetE1EEEvT1_,comdat
.Lfunc_end767:
	.size	_ZN7rocprim17ROCPRIM_400000_NS6detail17trampoline_kernelINS0_14default_configENS1_25partition_config_selectorILNS1_17partition_subalgoE8EtNS0_10empty_typeEbEEZZNS1_14partition_implILS5_8ELb0ES3_jPKtPS6_PKS6_NS0_5tupleIJPtS6_EEENSE_IJSB_SB_EEENS0_18inequality_wrapperIN6hipcub16HIPCUB_304000_NS8EqualityEEEPlJS6_EEE10hipError_tPvRmT3_T4_T5_T6_T7_T9_mT8_P12ihipStream_tbDpT10_ENKUlT_T0_E_clISt17integral_constantIbLb1EES17_EEDaS12_S13_EUlS12_E_NS1_11comp_targetILNS1_3genE2ELNS1_11target_archE906ELNS1_3gpuE6ELNS1_3repE0EEENS1_30default_config_static_selectorELNS0_4arch9wavefront6targetE1EEEvT1_, .Lfunc_end767-_ZN7rocprim17ROCPRIM_400000_NS6detail17trampoline_kernelINS0_14default_configENS1_25partition_config_selectorILNS1_17partition_subalgoE8EtNS0_10empty_typeEbEEZZNS1_14partition_implILS5_8ELb0ES3_jPKtPS6_PKS6_NS0_5tupleIJPtS6_EEENSE_IJSB_SB_EEENS0_18inequality_wrapperIN6hipcub16HIPCUB_304000_NS8EqualityEEEPlJS6_EEE10hipError_tPvRmT3_T4_T5_T6_T7_T9_mT8_P12ihipStream_tbDpT10_ENKUlT_T0_E_clISt17integral_constantIbLb1EES17_EEDaS12_S13_EUlS12_E_NS1_11comp_targetILNS1_3genE2ELNS1_11target_archE906ELNS1_3gpuE6ELNS1_3repE0EEENS1_30default_config_static_selectorELNS0_4arch9wavefront6targetE1EEEvT1_
                                        ; -- End function
	.section	.AMDGPU.csdata,"",@progbits
; Kernel info:
; codeLenInByte = 0
; NumSgprs: 6
; NumVgprs: 0
; NumAgprs: 0
; TotalNumVgprs: 0
; ScratchSize: 0
; MemoryBound: 0
; FloatMode: 240
; IeeeMode: 1
; LDSByteSize: 0 bytes/workgroup (compile time only)
; SGPRBlocks: 0
; VGPRBlocks: 0
; NumSGPRsForWavesPerEU: 6
; NumVGPRsForWavesPerEU: 1
; AccumOffset: 4
; Occupancy: 8
; WaveLimiterHint : 0
; COMPUTE_PGM_RSRC2:SCRATCH_EN: 0
; COMPUTE_PGM_RSRC2:USER_SGPR: 2
; COMPUTE_PGM_RSRC2:TRAP_HANDLER: 0
; COMPUTE_PGM_RSRC2:TGID_X_EN: 1
; COMPUTE_PGM_RSRC2:TGID_Y_EN: 0
; COMPUTE_PGM_RSRC2:TGID_Z_EN: 0
; COMPUTE_PGM_RSRC2:TIDIG_COMP_CNT: 0
; COMPUTE_PGM_RSRC3_GFX90A:ACCUM_OFFSET: 0
; COMPUTE_PGM_RSRC3_GFX90A:TG_SPLIT: 0
	.section	.text._ZN7rocprim17ROCPRIM_400000_NS6detail17trampoline_kernelINS0_14default_configENS1_25partition_config_selectorILNS1_17partition_subalgoE8EtNS0_10empty_typeEbEEZZNS1_14partition_implILS5_8ELb0ES3_jPKtPS6_PKS6_NS0_5tupleIJPtS6_EEENSE_IJSB_SB_EEENS0_18inequality_wrapperIN6hipcub16HIPCUB_304000_NS8EqualityEEEPlJS6_EEE10hipError_tPvRmT3_T4_T5_T6_T7_T9_mT8_P12ihipStream_tbDpT10_ENKUlT_T0_E_clISt17integral_constantIbLb1EES17_EEDaS12_S13_EUlS12_E_NS1_11comp_targetILNS1_3genE10ELNS1_11target_archE1200ELNS1_3gpuE4ELNS1_3repE0EEENS1_30default_config_static_selectorELNS0_4arch9wavefront6targetE1EEEvT1_,"axG",@progbits,_ZN7rocprim17ROCPRIM_400000_NS6detail17trampoline_kernelINS0_14default_configENS1_25partition_config_selectorILNS1_17partition_subalgoE8EtNS0_10empty_typeEbEEZZNS1_14partition_implILS5_8ELb0ES3_jPKtPS6_PKS6_NS0_5tupleIJPtS6_EEENSE_IJSB_SB_EEENS0_18inequality_wrapperIN6hipcub16HIPCUB_304000_NS8EqualityEEEPlJS6_EEE10hipError_tPvRmT3_T4_T5_T6_T7_T9_mT8_P12ihipStream_tbDpT10_ENKUlT_T0_E_clISt17integral_constantIbLb1EES17_EEDaS12_S13_EUlS12_E_NS1_11comp_targetILNS1_3genE10ELNS1_11target_archE1200ELNS1_3gpuE4ELNS1_3repE0EEENS1_30default_config_static_selectorELNS0_4arch9wavefront6targetE1EEEvT1_,comdat
	.protected	_ZN7rocprim17ROCPRIM_400000_NS6detail17trampoline_kernelINS0_14default_configENS1_25partition_config_selectorILNS1_17partition_subalgoE8EtNS0_10empty_typeEbEEZZNS1_14partition_implILS5_8ELb0ES3_jPKtPS6_PKS6_NS0_5tupleIJPtS6_EEENSE_IJSB_SB_EEENS0_18inequality_wrapperIN6hipcub16HIPCUB_304000_NS8EqualityEEEPlJS6_EEE10hipError_tPvRmT3_T4_T5_T6_T7_T9_mT8_P12ihipStream_tbDpT10_ENKUlT_T0_E_clISt17integral_constantIbLb1EES17_EEDaS12_S13_EUlS12_E_NS1_11comp_targetILNS1_3genE10ELNS1_11target_archE1200ELNS1_3gpuE4ELNS1_3repE0EEENS1_30default_config_static_selectorELNS0_4arch9wavefront6targetE1EEEvT1_ ; -- Begin function _ZN7rocprim17ROCPRIM_400000_NS6detail17trampoline_kernelINS0_14default_configENS1_25partition_config_selectorILNS1_17partition_subalgoE8EtNS0_10empty_typeEbEEZZNS1_14partition_implILS5_8ELb0ES3_jPKtPS6_PKS6_NS0_5tupleIJPtS6_EEENSE_IJSB_SB_EEENS0_18inequality_wrapperIN6hipcub16HIPCUB_304000_NS8EqualityEEEPlJS6_EEE10hipError_tPvRmT3_T4_T5_T6_T7_T9_mT8_P12ihipStream_tbDpT10_ENKUlT_T0_E_clISt17integral_constantIbLb1EES17_EEDaS12_S13_EUlS12_E_NS1_11comp_targetILNS1_3genE10ELNS1_11target_archE1200ELNS1_3gpuE4ELNS1_3repE0EEENS1_30default_config_static_selectorELNS0_4arch9wavefront6targetE1EEEvT1_
	.globl	_ZN7rocprim17ROCPRIM_400000_NS6detail17trampoline_kernelINS0_14default_configENS1_25partition_config_selectorILNS1_17partition_subalgoE8EtNS0_10empty_typeEbEEZZNS1_14partition_implILS5_8ELb0ES3_jPKtPS6_PKS6_NS0_5tupleIJPtS6_EEENSE_IJSB_SB_EEENS0_18inequality_wrapperIN6hipcub16HIPCUB_304000_NS8EqualityEEEPlJS6_EEE10hipError_tPvRmT3_T4_T5_T6_T7_T9_mT8_P12ihipStream_tbDpT10_ENKUlT_T0_E_clISt17integral_constantIbLb1EES17_EEDaS12_S13_EUlS12_E_NS1_11comp_targetILNS1_3genE10ELNS1_11target_archE1200ELNS1_3gpuE4ELNS1_3repE0EEENS1_30default_config_static_selectorELNS0_4arch9wavefront6targetE1EEEvT1_
	.p2align	8
	.type	_ZN7rocprim17ROCPRIM_400000_NS6detail17trampoline_kernelINS0_14default_configENS1_25partition_config_selectorILNS1_17partition_subalgoE8EtNS0_10empty_typeEbEEZZNS1_14partition_implILS5_8ELb0ES3_jPKtPS6_PKS6_NS0_5tupleIJPtS6_EEENSE_IJSB_SB_EEENS0_18inequality_wrapperIN6hipcub16HIPCUB_304000_NS8EqualityEEEPlJS6_EEE10hipError_tPvRmT3_T4_T5_T6_T7_T9_mT8_P12ihipStream_tbDpT10_ENKUlT_T0_E_clISt17integral_constantIbLb1EES17_EEDaS12_S13_EUlS12_E_NS1_11comp_targetILNS1_3genE10ELNS1_11target_archE1200ELNS1_3gpuE4ELNS1_3repE0EEENS1_30default_config_static_selectorELNS0_4arch9wavefront6targetE1EEEvT1_,@function
_ZN7rocprim17ROCPRIM_400000_NS6detail17trampoline_kernelINS0_14default_configENS1_25partition_config_selectorILNS1_17partition_subalgoE8EtNS0_10empty_typeEbEEZZNS1_14partition_implILS5_8ELb0ES3_jPKtPS6_PKS6_NS0_5tupleIJPtS6_EEENSE_IJSB_SB_EEENS0_18inequality_wrapperIN6hipcub16HIPCUB_304000_NS8EqualityEEEPlJS6_EEE10hipError_tPvRmT3_T4_T5_T6_T7_T9_mT8_P12ihipStream_tbDpT10_ENKUlT_T0_E_clISt17integral_constantIbLb1EES17_EEDaS12_S13_EUlS12_E_NS1_11comp_targetILNS1_3genE10ELNS1_11target_archE1200ELNS1_3gpuE4ELNS1_3repE0EEENS1_30default_config_static_selectorELNS0_4arch9wavefront6targetE1EEEvT1_: ; @_ZN7rocprim17ROCPRIM_400000_NS6detail17trampoline_kernelINS0_14default_configENS1_25partition_config_selectorILNS1_17partition_subalgoE8EtNS0_10empty_typeEbEEZZNS1_14partition_implILS5_8ELb0ES3_jPKtPS6_PKS6_NS0_5tupleIJPtS6_EEENSE_IJSB_SB_EEENS0_18inequality_wrapperIN6hipcub16HIPCUB_304000_NS8EqualityEEEPlJS6_EEE10hipError_tPvRmT3_T4_T5_T6_T7_T9_mT8_P12ihipStream_tbDpT10_ENKUlT_T0_E_clISt17integral_constantIbLb1EES17_EEDaS12_S13_EUlS12_E_NS1_11comp_targetILNS1_3genE10ELNS1_11target_archE1200ELNS1_3gpuE4ELNS1_3repE0EEENS1_30default_config_static_selectorELNS0_4arch9wavefront6targetE1EEEvT1_
; %bb.0:
	.section	.rodata,"a",@progbits
	.p2align	6, 0x0
	.amdhsa_kernel _ZN7rocprim17ROCPRIM_400000_NS6detail17trampoline_kernelINS0_14default_configENS1_25partition_config_selectorILNS1_17partition_subalgoE8EtNS0_10empty_typeEbEEZZNS1_14partition_implILS5_8ELb0ES3_jPKtPS6_PKS6_NS0_5tupleIJPtS6_EEENSE_IJSB_SB_EEENS0_18inequality_wrapperIN6hipcub16HIPCUB_304000_NS8EqualityEEEPlJS6_EEE10hipError_tPvRmT3_T4_T5_T6_T7_T9_mT8_P12ihipStream_tbDpT10_ENKUlT_T0_E_clISt17integral_constantIbLb1EES17_EEDaS12_S13_EUlS12_E_NS1_11comp_targetILNS1_3genE10ELNS1_11target_archE1200ELNS1_3gpuE4ELNS1_3repE0EEENS1_30default_config_static_selectorELNS0_4arch9wavefront6targetE1EEEvT1_
		.amdhsa_group_segment_fixed_size 0
		.amdhsa_private_segment_fixed_size 0
		.amdhsa_kernarg_size 128
		.amdhsa_user_sgpr_count 2
		.amdhsa_user_sgpr_dispatch_ptr 0
		.amdhsa_user_sgpr_queue_ptr 0
		.amdhsa_user_sgpr_kernarg_segment_ptr 1
		.amdhsa_user_sgpr_dispatch_id 0
		.amdhsa_user_sgpr_kernarg_preload_length 0
		.amdhsa_user_sgpr_kernarg_preload_offset 0
		.amdhsa_user_sgpr_private_segment_size 0
		.amdhsa_uses_dynamic_stack 0
		.amdhsa_enable_private_segment 0
		.amdhsa_system_sgpr_workgroup_id_x 1
		.amdhsa_system_sgpr_workgroup_id_y 0
		.amdhsa_system_sgpr_workgroup_id_z 0
		.amdhsa_system_sgpr_workgroup_info 0
		.amdhsa_system_vgpr_workitem_id 0
		.amdhsa_next_free_vgpr 1
		.amdhsa_next_free_sgpr 0
		.amdhsa_accum_offset 4
		.amdhsa_reserve_vcc 0
		.amdhsa_float_round_mode_32 0
		.amdhsa_float_round_mode_16_64 0
		.amdhsa_float_denorm_mode_32 3
		.amdhsa_float_denorm_mode_16_64 3
		.amdhsa_dx10_clamp 1
		.amdhsa_ieee_mode 1
		.amdhsa_fp16_overflow 0
		.amdhsa_tg_split 0
		.amdhsa_exception_fp_ieee_invalid_op 0
		.amdhsa_exception_fp_denorm_src 0
		.amdhsa_exception_fp_ieee_div_zero 0
		.amdhsa_exception_fp_ieee_overflow 0
		.amdhsa_exception_fp_ieee_underflow 0
		.amdhsa_exception_fp_ieee_inexact 0
		.amdhsa_exception_int_div_zero 0
	.end_amdhsa_kernel
	.section	.text._ZN7rocprim17ROCPRIM_400000_NS6detail17trampoline_kernelINS0_14default_configENS1_25partition_config_selectorILNS1_17partition_subalgoE8EtNS0_10empty_typeEbEEZZNS1_14partition_implILS5_8ELb0ES3_jPKtPS6_PKS6_NS0_5tupleIJPtS6_EEENSE_IJSB_SB_EEENS0_18inequality_wrapperIN6hipcub16HIPCUB_304000_NS8EqualityEEEPlJS6_EEE10hipError_tPvRmT3_T4_T5_T6_T7_T9_mT8_P12ihipStream_tbDpT10_ENKUlT_T0_E_clISt17integral_constantIbLb1EES17_EEDaS12_S13_EUlS12_E_NS1_11comp_targetILNS1_3genE10ELNS1_11target_archE1200ELNS1_3gpuE4ELNS1_3repE0EEENS1_30default_config_static_selectorELNS0_4arch9wavefront6targetE1EEEvT1_,"axG",@progbits,_ZN7rocprim17ROCPRIM_400000_NS6detail17trampoline_kernelINS0_14default_configENS1_25partition_config_selectorILNS1_17partition_subalgoE8EtNS0_10empty_typeEbEEZZNS1_14partition_implILS5_8ELb0ES3_jPKtPS6_PKS6_NS0_5tupleIJPtS6_EEENSE_IJSB_SB_EEENS0_18inequality_wrapperIN6hipcub16HIPCUB_304000_NS8EqualityEEEPlJS6_EEE10hipError_tPvRmT3_T4_T5_T6_T7_T9_mT8_P12ihipStream_tbDpT10_ENKUlT_T0_E_clISt17integral_constantIbLb1EES17_EEDaS12_S13_EUlS12_E_NS1_11comp_targetILNS1_3genE10ELNS1_11target_archE1200ELNS1_3gpuE4ELNS1_3repE0EEENS1_30default_config_static_selectorELNS0_4arch9wavefront6targetE1EEEvT1_,comdat
.Lfunc_end768:
	.size	_ZN7rocprim17ROCPRIM_400000_NS6detail17trampoline_kernelINS0_14default_configENS1_25partition_config_selectorILNS1_17partition_subalgoE8EtNS0_10empty_typeEbEEZZNS1_14partition_implILS5_8ELb0ES3_jPKtPS6_PKS6_NS0_5tupleIJPtS6_EEENSE_IJSB_SB_EEENS0_18inequality_wrapperIN6hipcub16HIPCUB_304000_NS8EqualityEEEPlJS6_EEE10hipError_tPvRmT3_T4_T5_T6_T7_T9_mT8_P12ihipStream_tbDpT10_ENKUlT_T0_E_clISt17integral_constantIbLb1EES17_EEDaS12_S13_EUlS12_E_NS1_11comp_targetILNS1_3genE10ELNS1_11target_archE1200ELNS1_3gpuE4ELNS1_3repE0EEENS1_30default_config_static_selectorELNS0_4arch9wavefront6targetE1EEEvT1_, .Lfunc_end768-_ZN7rocprim17ROCPRIM_400000_NS6detail17trampoline_kernelINS0_14default_configENS1_25partition_config_selectorILNS1_17partition_subalgoE8EtNS0_10empty_typeEbEEZZNS1_14partition_implILS5_8ELb0ES3_jPKtPS6_PKS6_NS0_5tupleIJPtS6_EEENSE_IJSB_SB_EEENS0_18inequality_wrapperIN6hipcub16HIPCUB_304000_NS8EqualityEEEPlJS6_EEE10hipError_tPvRmT3_T4_T5_T6_T7_T9_mT8_P12ihipStream_tbDpT10_ENKUlT_T0_E_clISt17integral_constantIbLb1EES17_EEDaS12_S13_EUlS12_E_NS1_11comp_targetILNS1_3genE10ELNS1_11target_archE1200ELNS1_3gpuE4ELNS1_3repE0EEENS1_30default_config_static_selectorELNS0_4arch9wavefront6targetE1EEEvT1_
                                        ; -- End function
	.section	.AMDGPU.csdata,"",@progbits
; Kernel info:
; codeLenInByte = 0
; NumSgprs: 6
; NumVgprs: 0
; NumAgprs: 0
; TotalNumVgprs: 0
; ScratchSize: 0
; MemoryBound: 0
; FloatMode: 240
; IeeeMode: 1
; LDSByteSize: 0 bytes/workgroup (compile time only)
; SGPRBlocks: 0
; VGPRBlocks: 0
; NumSGPRsForWavesPerEU: 6
; NumVGPRsForWavesPerEU: 1
; AccumOffset: 4
; Occupancy: 8
; WaveLimiterHint : 0
; COMPUTE_PGM_RSRC2:SCRATCH_EN: 0
; COMPUTE_PGM_RSRC2:USER_SGPR: 2
; COMPUTE_PGM_RSRC2:TRAP_HANDLER: 0
; COMPUTE_PGM_RSRC2:TGID_X_EN: 1
; COMPUTE_PGM_RSRC2:TGID_Y_EN: 0
; COMPUTE_PGM_RSRC2:TGID_Z_EN: 0
; COMPUTE_PGM_RSRC2:TIDIG_COMP_CNT: 0
; COMPUTE_PGM_RSRC3_GFX90A:ACCUM_OFFSET: 0
; COMPUTE_PGM_RSRC3_GFX90A:TG_SPLIT: 0
	.section	.text._ZN7rocprim17ROCPRIM_400000_NS6detail17trampoline_kernelINS0_14default_configENS1_25partition_config_selectorILNS1_17partition_subalgoE8EtNS0_10empty_typeEbEEZZNS1_14partition_implILS5_8ELb0ES3_jPKtPS6_PKS6_NS0_5tupleIJPtS6_EEENSE_IJSB_SB_EEENS0_18inequality_wrapperIN6hipcub16HIPCUB_304000_NS8EqualityEEEPlJS6_EEE10hipError_tPvRmT3_T4_T5_T6_T7_T9_mT8_P12ihipStream_tbDpT10_ENKUlT_T0_E_clISt17integral_constantIbLb1EES17_EEDaS12_S13_EUlS12_E_NS1_11comp_targetILNS1_3genE9ELNS1_11target_archE1100ELNS1_3gpuE3ELNS1_3repE0EEENS1_30default_config_static_selectorELNS0_4arch9wavefront6targetE1EEEvT1_,"axG",@progbits,_ZN7rocprim17ROCPRIM_400000_NS6detail17trampoline_kernelINS0_14default_configENS1_25partition_config_selectorILNS1_17partition_subalgoE8EtNS0_10empty_typeEbEEZZNS1_14partition_implILS5_8ELb0ES3_jPKtPS6_PKS6_NS0_5tupleIJPtS6_EEENSE_IJSB_SB_EEENS0_18inequality_wrapperIN6hipcub16HIPCUB_304000_NS8EqualityEEEPlJS6_EEE10hipError_tPvRmT3_T4_T5_T6_T7_T9_mT8_P12ihipStream_tbDpT10_ENKUlT_T0_E_clISt17integral_constantIbLb1EES17_EEDaS12_S13_EUlS12_E_NS1_11comp_targetILNS1_3genE9ELNS1_11target_archE1100ELNS1_3gpuE3ELNS1_3repE0EEENS1_30default_config_static_selectorELNS0_4arch9wavefront6targetE1EEEvT1_,comdat
	.protected	_ZN7rocprim17ROCPRIM_400000_NS6detail17trampoline_kernelINS0_14default_configENS1_25partition_config_selectorILNS1_17partition_subalgoE8EtNS0_10empty_typeEbEEZZNS1_14partition_implILS5_8ELb0ES3_jPKtPS6_PKS6_NS0_5tupleIJPtS6_EEENSE_IJSB_SB_EEENS0_18inequality_wrapperIN6hipcub16HIPCUB_304000_NS8EqualityEEEPlJS6_EEE10hipError_tPvRmT3_T4_T5_T6_T7_T9_mT8_P12ihipStream_tbDpT10_ENKUlT_T0_E_clISt17integral_constantIbLb1EES17_EEDaS12_S13_EUlS12_E_NS1_11comp_targetILNS1_3genE9ELNS1_11target_archE1100ELNS1_3gpuE3ELNS1_3repE0EEENS1_30default_config_static_selectorELNS0_4arch9wavefront6targetE1EEEvT1_ ; -- Begin function _ZN7rocprim17ROCPRIM_400000_NS6detail17trampoline_kernelINS0_14default_configENS1_25partition_config_selectorILNS1_17partition_subalgoE8EtNS0_10empty_typeEbEEZZNS1_14partition_implILS5_8ELb0ES3_jPKtPS6_PKS6_NS0_5tupleIJPtS6_EEENSE_IJSB_SB_EEENS0_18inequality_wrapperIN6hipcub16HIPCUB_304000_NS8EqualityEEEPlJS6_EEE10hipError_tPvRmT3_T4_T5_T6_T7_T9_mT8_P12ihipStream_tbDpT10_ENKUlT_T0_E_clISt17integral_constantIbLb1EES17_EEDaS12_S13_EUlS12_E_NS1_11comp_targetILNS1_3genE9ELNS1_11target_archE1100ELNS1_3gpuE3ELNS1_3repE0EEENS1_30default_config_static_selectorELNS0_4arch9wavefront6targetE1EEEvT1_
	.globl	_ZN7rocprim17ROCPRIM_400000_NS6detail17trampoline_kernelINS0_14default_configENS1_25partition_config_selectorILNS1_17partition_subalgoE8EtNS0_10empty_typeEbEEZZNS1_14partition_implILS5_8ELb0ES3_jPKtPS6_PKS6_NS0_5tupleIJPtS6_EEENSE_IJSB_SB_EEENS0_18inequality_wrapperIN6hipcub16HIPCUB_304000_NS8EqualityEEEPlJS6_EEE10hipError_tPvRmT3_T4_T5_T6_T7_T9_mT8_P12ihipStream_tbDpT10_ENKUlT_T0_E_clISt17integral_constantIbLb1EES17_EEDaS12_S13_EUlS12_E_NS1_11comp_targetILNS1_3genE9ELNS1_11target_archE1100ELNS1_3gpuE3ELNS1_3repE0EEENS1_30default_config_static_selectorELNS0_4arch9wavefront6targetE1EEEvT1_
	.p2align	8
	.type	_ZN7rocprim17ROCPRIM_400000_NS6detail17trampoline_kernelINS0_14default_configENS1_25partition_config_selectorILNS1_17partition_subalgoE8EtNS0_10empty_typeEbEEZZNS1_14partition_implILS5_8ELb0ES3_jPKtPS6_PKS6_NS0_5tupleIJPtS6_EEENSE_IJSB_SB_EEENS0_18inequality_wrapperIN6hipcub16HIPCUB_304000_NS8EqualityEEEPlJS6_EEE10hipError_tPvRmT3_T4_T5_T6_T7_T9_mT8_P12ihipStream_tbDpT10_ENKUlT_T0_E_clISt17integral_constantIbLb1EES17_EEDaS12_S13_EUlS12_E_NS1_11comp_targetILNS1_3genE9ELNS1_11target_archE1100ELNS1_3gpuE3ELNS1_3repE0EEENS1_30default_config_static_selectorELNS0_4arch9wavefront6targetE1EEEvT1_,@function
_ZN7rocprim17ROCPRIM_400000_NS6detail17trampoline_kernelINS0_14default_configENS1_25partition_config_selectorILNS1_17partition_subalgoE8EtNS0_10empty_typeEbEEZZNS1_14partition_implILS5_8ELb0ES3_jPKtPS6_PKS6_NS0_5tupleIJPtS6_EEENSE_IJSB_SB_EEENS0_18inequality_wrapperIN6hipcub16HIPCUB_304000_NS8EqualityEEEPlJS6_EEE10hipError_tPvRmT3_T4_T5_T6_T7_T9_mT8_P12ihipStream_tbDpT10_ENKUlT_T0_E_clISt17integral_constantIbLb1EES17_EEDaS12_S13_EUlS12_E_NS1_11comp_targetILNS1_3genE9ELNS1_11target_archE1100ELNS1_3gpuE3ELNS1_3repE0EEENS1_30default_config_static_selectorELNS0_4arch9wavefront6targetE1EEEvT1_: ; @_ZN7rocprim17ROCPRIM_400000_NS6detail17trampoline_kernelINS0_14default_configENS1_25partition_config_selectorILNS1_17partition_subalgoE8EtNS0_10empty_typeEbEEZZNS1_14partition_implILS5_8ELb0ES3_jPKtPS6_PKS6_NS0_5tupleIJPtS6_EEENSE_IJSB_SB_EEENS0_18inequality_wrapperIN6hipcub16HIPCUB_304000_NS8EqualityEEEPlJS6_EEE10hipError_tPvRmT3_T4_T5_T6_T7_T9_mT8_P12ihipStream_tbDpT10_ENKUlT_T0_E_clISt17integral_constantIbLb1EES17_EEDaS12_S13_EUlS12_E_NS1_11comp_targetILNS1_3genE9ELNS1_11target_archE1100ELNS1_3gpuE3ELNS1_3repE0EEENS1_30default_config_static_selectorELNS0_4arch9wavefront6targetE1EEEvT1_
; %bb.0:
	.section	.rodata,"a",@progbits
	.p2align	6, 0x0
	.amdhsa_kernel _ZN7rocprim17ROCPRIM_400000_NS6detail17trampoline_kernelINS0_14default_configENS1_25partition_config_selectorILNS1_17partition_subalgoE8EtNS0_10empty_typeEbEEZZNS1_14partition_implILS5_8ELb0ES3_jPKtPS6_PKS6_NS0_5tupleIJPtS6_EEENSE_IJSB_SB_EEENS0_18inequality_wrapperIN6hipcub16HIPCUB_304000_NS8EqualityEEEPlJS6_EEE10hipError_tPvRmT3_T4_T5_T6_T7_T9_mT8_P12ihipStream_tbDpT10_ENKUlT_T0_E_clISt17integral_constantIbLb1EES17_EEDaS12_S13_EUlS12_E_NS1_11comp_targetILNS1_3genE9ELNS1_11target_archE1100ELNS1_3gpuE3ELNS1_3repE0EEENS1_30default_config_static_selectorELNS0_4arch9wavefront6targetE1EEEvT1_
		.amdhsa_group_segment_fixed_size 0
		.amdhsa_private_segment_fixed_size 0
		.amdhsa_kernarg_size 128
		.amdhsa_user_sgpr_count 2
		.amdhsa_user_sgpr_dispatch_ptr 0
		.amdhsa_user_sgpr_queue_ptr 0
		.amdhsa_user_sgpr_kernarg_segment_ptr 1
		.amdhsa_user_sgpr_dispatch_id 0
		.amdhsa_user_sgpr_kernarg_preload_length 0
		.amdhsa_user_sgpr_kernarg_preload_offset 0
		.amdhsa_user_sgpr_private_segment_size 0
		.amdhsa_uses_dynamic_stack 0
		.amdhsa_enable_private_segment 0
		.amdhsa_system_sgpr_workgroup_id_x 1
		.amdhsa_system_sgpr_workgroup_id_y 0
		.amdhsa_system_sgpr_workgroup_id_z 0
		.amdhsa_system_sgpr_workgroup_info 0
		.amdhsa_system_vgpr_workitem_id 0
		.amdhsa_next_free_vgpr 1
		.amdhsa_next_free_sgpr 0
		.amdhsa_accum_offset 4
		.amdhsa_reserve_vcc 0
		.amdhsa_float_round_mode_32 0
		.amdhsa_float_round_mode_16_64 0
		.amdhsa_float_denorm_mode_32 3
		.amdhsa_float_denorm_mode_16_64 3
		.amdhsa_dx10_clamp 1
		.amdhsa_ieee_mode 1
		.amdhsa_fp16_overflow 0
		.amdhsa_tg_split 0
		.amdhsa_exception_fp_ieee_invalid_op 0
		.amdhsa_exception_fp_denorm_src 0
		.amdhsa_exception_fp_ieee_div_zero 0
		.amdhsa_exception_fp_ieee_overflow 0
		.amdhsa_exception_fp_ieee_underflow 0
		.amdhsa_exception_fp_ieee_inexact 0
		.amdhsa_exception_int_div_zero 0
	.end_amdhsa_kernel
	.section	.text._ZN7rocprim17ROCPRIM_400000_NS6detail17trampoline_kernelINS0_14default_configENS1_25partition_config_selectorILNS1_17partition_subalgoE8EtNS0_10empty_typeEbEEZZNS1_14partition_implILS5_8ELb0ES3_jPKtPS6_PKS6_NS0_5tupleIJPtS6_EEENSE_IJSB_SB_EEENS0_18inequality_wrapperIN6hipcub16HIPCUB_304000_NS8EqualityEEEPlJS6_EEE10hipError_tPvRmT3_T4_T5_T6_T7_T9_mT8_P12ihipStream_tbDpT10_ENKUlT_T0_E_clISt17integral_constantIbLb1EES17_EEDaS12_S13_EUlS12_E_NS1_11comp_targetILNS1_3genE9ELNS1_11target_archE1100ELNS1_3gpuE3ELNS1_3repE0EEENS1_30default_config_static_selectorELNS0_4arch9wavefront6targetE1EEEvT1_,"axG",@progbits,_ZN7rocprim17ROCPRIM_400000_NS6detail17trampoline_kernelINS0_14default_configENS1_25partition_config_selectorILNS1_17partition_subalgoE8EtNS0_10empty_typeEbEEZZNS1_14partition_implILS5_8ELb0ES3_jPKtPS6_PKS6_NS0_5tupleIJPtS6_EEENSE_IJSB_SB_EEENS0_18inequality_wrapperIN6hipcub16HIPCUB_304000_NS8EqualityEEEPlJS6_EEE10hipError_tPvRmT3_T4_T5_T6_T7_T9_mT8_P12ihipStream_tbDpT10_ENKUlT_T0_E_clISt17integral_constantIbLb1EES17_EEDaS12_S13_EUlS12_E_NS1_11comp_targetILNS1_3genE9ELNS1_11target_archE1100ELNS1_3gpuE3ELNS1_3repE0EEENS1_30default_config_static_selectorELNS0_4arch9wavefront6targetE1EEEvT1_,comdat
.Lfunc_end769:
	.size	_ZN7rocprim17ROCPRIM_400000_NS6detail17trampoline_kernelINS0_14default_configENS1_25partition_config_selectorILNS1_17partition_subalgoE8EtNS0_10empty_typeEbEEZZNS1_14partition_implILS5_8ELb0ES3_jPKtPS6_PKS6_NS0_5tupleIJPtS6_EEENSE_IJSB_SB_EEENS0_18inequality_wrapperIN6hipcub16HIPCUB_304000_NS8EqualityEEEPlJS6_EEE10hipError_tPvRmT3_T4_T5_T6_T7_T9_mT8_P12ihipStream_tbDpT10_ENKUlT_T0_E_clISt17integral_constantIbLb1EES17_EEDaS12_S13_EUlS12_E_NS1_11comp_targetILNS1_3genE9ELNS1_11target_archE1100ELNS1_3gpuE3ELNS1_3repE0EEENS1_30default_config_static_selectorELNS0_4arch9wavefront6targetE1EEEvT1_, .Lfunc_end769-_ZN7rocprim17ROCPRIM_400000_NS6detail17trampoline_kernelINS0_14default_configENS1_25partition_config_selectorILNS1_17partition_subalgoE8EtNS0_10empty_typeEbEEZZNS1_14partition_implILS5_8ELb0ES3_jPKtPS6_PKS6_NS0_5tupleIJPtS6_EEENSE_IJSB_SB_EEENS0_18inequality_wrapperIN6hipcub16HIPCUB_304000_NS8EqualityEEEPlJS6_EEE10hipError_tPvRmT3_T4_T5_T6_T7_T9_mT8_P12ihipStream_tbDpT10_ENKUlT_T0_E_clISt17integral_constantIbLb1EES17_EEDaS12_S13_EUlS12_E_NS1_11comp_targetILNS1_3genE9ELNS1_11target_archE1100ELNS1_3gpuE3ELNS1_3repE0EEENS1_30default_config_static_selectorELNS0_4arch9wavefront6targetE1EEEvT1_
                                        ; -- End function
	.section	.AMDGPU.csdata,"",@progbits
; Kernel info:
; codeLenInByte = 0
; NumSgprs: 6
; NumVgprs: 0
; NumAgprs: 0
; TotalNumVgprs: 0
; ScratchSize: 0
; MemoryBound: 0
; FloatMode: 240
; IeeeMode: 1
; LDSByteSize: 0 bytes/workgroup (compile time only)
; SGPRBlocks: 0
; VGPRBlocks: 0
; NumSGPRsForWavesPerEU: 6
; NumVGPRsForWavesPerEU: 1
; AccumOffset: 4
; Occupancy: 8
; WaveLimiterHint : 0
; COMPUTE_PGM_RSRC2:SCRATCH_EN: 0
; COMPUTE_PGM_RSRC2:USER_SGPR: 2
; COMPUTE_PGM_RSRC2:TRAP_HANDLER: 0
; COMPUTE_PGM_RSRC2:TGID_X_EN: 1
; COMPUTE_PGM_RSRC2:TGID_Y_EN: 0
; COMPUTE_PGM_RSRC2:TGID_Z_EN: 0
; COMPUTE_PGM_RSRC2:TIDIG_COMP_CNT: 0
; COMPUTE_PGM_RSRC3_GFX90A:ACCUM_OFFSET: 0
; COMPUTE_PGM_RSRC3_GFX90A:TG_SPLIT: 0
	.section	.text._ZN7rocprim17ROCPRIM_400000_NS6detail17trampoline_kernelINS0_14default_configENS1_25partition_config_selectorILNS1_17partition_subalgoE8EtNS0_10empty_typeEbEEZZNS1_14partition_implILS5_8ELb0ES3_jPKtPS6_PKS6_NS0_5tupleIJPtS6_EEENSE_IJSB_SB_EEENS0_18inequality_wrapperIN6hipcub16HIPCUB_304000_NS8EqualityEEEPlJS6_EEE10hipError_tPvRmT3_T4_T5_T6_T7_T9_mT8_P12ihipStream_tbDpT10_ENKUlT_T0_E_clISt17integral_constantIbLb1EES17_EEDaS12_S13_EUlS12_E_NS1_11comp_targetILNS1_3genE8ELNS1_11target_archE1030ELNS1_3gpuE2ELNS1_3repE0EEENS1_30default_config_static_selectorELNS0_4arch9wavefront6targetE1EEEvT1_,"axG",@progbits,_ZN7rocprim17ROCPRIM_400000_NS6detail17trampoline_kernelINS0_14default_configENS1_25partition_config_selectorILNS1_17partition_subalgoE8EtNS0_10empty_typeEbEEZZNS1_14partition_implILS5_8ELb0ES3_jPKtPS6_PKS6_NS0_5tupleIJPtS6_EEENSE_IJSB_SB_EEENS0_18inequality_wrapperIN6hipcub16HIPCUB_304000_NS8EqualityEEEPlJS6_EEE10hipError_tPvRmT3_T4_T5_T6_T7_T9_mT8_P12ihipStream_tbDpT10_ENKUlT_T0_E_clISt17integral_constantIbLb1EES17_EEDaS12_S13_EUlS12_E_NS1_11comp_targetILNS1_3genE8ELNS1_11target_archE1030ELNS1_3gpuE2ELNS1_3repE0EEENS1_30default_config_static_selectorELNS0_4arch9wavefront6targetE1EEEvT1_,comdat
	.protected	_ZN7rocprim17ROCPRIM_400000_NS6detail17trampoline_kernelINS0_14default_configENS1_25partition_config_selectorILNS1_17partition_subalgoE8EtNS0_10empty_typeEbEEZZNS1_14partition_implILS5_8ELb0ES3_jPKtPS6_PKS6_NS0_5tupleIJPtS6_EEENSE_IJSB_SB_EEENS0_18inequality_wrapperIN6hipcub16HIPCUB_304000_NS8EqualityEEEPlJS6_EEE10hipError_tPvRmT3_T4_T5_T6_T7_T9_mT8_P12ihipStream_tbDpT10_ENKUlT_T0_E_clISt17integral_constantIbLb1EES17_EEDaS12_S13_EUlS12_E_NS1_11comp_targetILNS1_3genE8ELNS1_11target_archE1030ELNS1_3gpuE2ELNS1_3repE0EEENS1_30default_config_static_selectorELNS0_4arch9wavefront6targetE1EEEvT1_ ; -- Begin function _ZN7rocprim17ROCPRIM_400000_NS6detail17trampoline_kernelINS0_14default_configENS1_25partition_config_selectorILNS1_17partition_subalgoE8EtNS0_10empty_typeEbEEZZNS1_14partition_implILS5_8ELb0ES3_jPKtPS6_PKS6_NS0_5tupleIJPtS6_EEENSE_IJSB_SB_EEENS0_18inequality_wrapperIN6hipcub16HIPCUB_304000_NS8EqualityEEEPlJS6_EEE10hipError_tPvRmT3_T4_T5_T6_T7_T9_mT8_P12ihipStream_tbDpT10_ENKUlT_T0_E_clISt17integral_constantIbLb1EES17_EEDaS12_S13_EUlS12_E_NS1_11comp_targetILNS1_3genE8ELNS1_11target_archE1030ELNS1_3gpuE2ELNS1_3repE0EEENS1_30default_config_static_selectorELNS0_4arch9wavefront6targetE1EEEvT1_
	.globl	_ZN7rocprim17ROCPRIM_400000_NS6detail17trampoline_kernelINS0_14default_configENS1_25partition_config_selectorILNS1_17partition_subalgoE8EtNS0_10empty_typeEbEEZZNS1_14partition_implILS5_8ELb0ES3_jPKtPS6_PKS6_NS0_5tupleIJPtS6_EEENSE_IJSB_SB_EEENS0_18inequality_wrapperIN6hipcub16HIPCUB_304000_NS8EqualityEEEPlJS6_EEE10hipError_tPvRmT3_T4_T5_T6_T7_T9_mT8_P12ihipStream_tbDpT10_ENKUlT_T0_E_clISt17integral_constantIbLb1EES17_EEDaS12_S13_EUlS12_E_NS1_11comp_targetILNS1_3genE8ELNS1_11target_archE1030ELNS1_3gpuE2ELNS1_3repE0EEENS1_30default_config_static_selectorELNS0_4arch9wavefront6targetE1EEEvT1_
	.p2align	8
	.type	_ZN7rocprim17ROCPRIM_400000_NS6detail17trampoline_kernelINS0_14default_configENS1_25partition_config_selectorILNS1_17partition_subalgoE8EtNS0_10empty_typeEbEEZZNS1_14partition_implILS5_8ELb0ES3_jPKtPS6_PKS6_NS0_5tupleIJPtS6_EEENSE_IJSB_SB_EEENS0_18inequality_wrapperIN6hipcub16HIPCUB_304000_NS8EqualityEEEPlJS6_EEE10hipError_tPvRmT3_T4_T5_T6_T7_T9_mT8_P12ihipStream_tbDpT10_ENKUlT_T0_E_clISt17integral_constantIbLb1EES17_EEDaS12_S13_EUlS12_E_NS1_11comp_targetILNS1_3genE8ELNS1_11target_archE1030ELNS1_3gpuE2ELNS1_3repE0EEENS1_30default_config_static_selectorELNS0_4arch9wavefront6targetE1EEEvT1_,@function
_ZN7rocprim17ROCPRIM_400000_NS6detail17trampoline_kernelINS0_14default_configENS1_25partition_config_selectorILNS1_17partition_subalgoE8EtNS0_10empty_typeEbEEZZNS1_14partition_implILS5_8ELb0ES3_jPKtPS6_PKS6_NS0_5tupleIJPtS6_EEENSE_IJSB_SB_EEENS0_18inequality_wrapperIN6hipcub16HIPCUB_304000_NS8EqualityEEEPlJS6_EEE10hipError_tPvRmT3_T4_T5_T6_T7_T9_mT8_P12ihipStream_tbDpT10_ENKUlT_T0_E_clISt17integral_constantIbLb1EES17_EEDaS12_S13_EUlS12_E_NS1_11comp_targetILNS1_3genE8ELNS1_11target_archE1030ELNS1_3gpuE2ELNS1_3repE0EEENS1_30default_config_static_selectorELNS0_4arch9wavefront6targetE1EEEvT1_: ; @_ZN7rocprim17ROCPRIM_400000_NS6detail17trampoline_kernelINS0_14default_configENS1_25partition_config_selectorILNS1_17partition_subalgoE8EtNS0_10empty_typeEbEEZZNS1_14partition_implILS5_8ELb0ES3_jPKtPS6_PKS6_NS0_5tupleIJPtS6_EEENSE_IJSB_SB_EEENS0_18inequality_wrapperIN6hipcub16HIPCUB_304000_NS8EqualityEEEPlJS6_EEE10hipError_tPvRmT3_T4_T5_T6_T7_T9_mT8_P12ihipStream_tbDpT10_ENKUlT_T0_E_clISt17integral_constantIbLb1EES17_EEDaS12_S13_EUlS12_E_NS1_11comp_targetILNS1_3genE8ELNS1_11target_archE1030ELNS1_3gpuE2ELNS1_3repE0EEENS1_30default_config_static_selectorELNS0_4arch9wavefront6targetE1EEEvT1_
; %bb.0:
	.section	.rodata,"a",@progbits
	.p2align	6, 0x0
	.amdhsa_kernel _ZN7rocprim17ROCPRIM_400000_NS6detail17trampoline_kernelINS0_14default_configENS1_25partition_config_selectorILNS1_17partition_subalgoE8EtNS0_10empty_typeEbEEZZNS1_14partition_implILS5_8ELb0ES3_jPKtPS6_PKS6_NS0_5tupleIJPtS6_EEENSE_IJSB_SB_EEENS0_18inequality_wrapperIN6hipcub16HIPCUB_304000_NS8EqualityEEEPlJS6_EEE10hipError_tPvRmT3_T4_T5_T6_T7_T9_mT8_P12ihipStream_tbDpT10_ENKUlT_T0_E_clISt17integral_constantIbLb1EES17_EEDaS12_S13_EUlS12_E_NS1_11comp_targetILNS1_3genE8ELNS1_11target_archE1030ELNS1_3gpuE2ELNS1_3repE0EEENS1_30default_config_static_selectorELNS0_4arch9wavefront6targetE1EEEvT1_
		.amdhsa_group_segment_fixed_size 0
		.amdhsa_private_segment_fixed_size 0
		.amdhsa_kernarg_size 128
		.amdhsa_user_sgpr_count 2
		.amdhsa_user_sgpr_dispatch_ptr 0
		.amdhsa_user_sgpr_queue_ptr 0
		.amdhsa_user_sgpr_kernarg_segment_ptr 1
		.amdhsa_user_sgpr_dispatch_id 0
		.amdhsa_user_sgpr_kernarg_preload_length 0
		.amdhsa_user_sgpr_kernarg_preload_offset 0
		.amdhsa_user_sgpr_private_segment_size 0
		.amdhsa_uses_dynamic_stack 0
		.amdhsa_enable_private_segment 0
		.amdhsa_system_sgpr_workgroup_id_x 1
		.amdhsa_system_sgpr_workgroup_id_y 0
		.amdhsa_system_sgpr_workgroup_id_z 0
		.amdhsa_system_sgpr_workgroup_info 0
		.amdhsa_system_vgpr_workitem_id 0
		.amdhsa_next_free_vgpr 1
		.amdhsa_next_free_sgpr 0
		.amdhsa_accum_offset 4
		.amdhsa_reserve_vcc 0
		.amdhsa_float_round_mode_32 0
		.amdhsa_float_round_mode_16_64 0
		.amdhsa_float_denorm_mode_32 3
		.amdhsa_float_denorm_mode_16_64 3
		.amdhsa_dx10_clamp 1
		.amdhsa_ieee_mode 1
		.amdhsa_fp16_overflow 0
		.amdhsa_tg_split 0
		.amdhsa_exception_fp_ieee_invalid_op 0
		.amdhsa_exception_fp_denorm_src 0
		.amdhsa_exception_fp_ieee_div_zero 0
		.amdhsa_exception_fp_ieee_overflow 0
		.amdhsa_exception_fp_ieee_underflow 0
		.amdhsa_exception_fp_ieee_inexact 0
		.amdhsa_exception_int_div_zero 0
	.end_amdhsa_kernel
	.section	.text._ZN7rocprim17ROCPRIM_400000_NS6detail17trampoline_kernelINS0_14default_configENS1_25partition_config_selectorILNS1_17partition_subalgoE8EtNS0_10empty_typeEbEEZZNS1_14partition_implILS5_8ELb0ES3_jPKtPS6_PKS6_NS0_5tupleIJPtS6_EEENSE_IJSB_SB_EEENS0_18inequality_wrapperIN6hipcub16HIPCUB_304000_NS8EqualityEEEPlJS6_EEE10hipError_tPvRmT3_T4_T5_T6_T7_T9_mT8_P12ihipStream_tbDpT10_ENKUlT_T0_E_clISt17integral_constantIbLb1EES17_EEDaS12_S13_EUlS12_E_NS1_11comp_targetILNS1_3genE8ELNS1_11target_archE1030ELNS1_3gpuE2ELNS1_3repE0EEENS1_30default_config_static_selectorELNS0_4arch9wavefront6targetE1EEEvT1_,"axG",@progbits,_ZN7rocprim17ROCPRIM_400000_NS6detail17trampoline_kernelINS0_14default_configENS1_25partition_config_selectorILNS1_17partition_subalgoE8EtNS0_10empty_typeEbEEZZNS1_14partition_implILS5_8ELb0ES3_jPKtPS6_PKS6_NS0_5tupleIJPtS6_EEENSE_IJSB_SB_EEENS0_18inequality_wrapperIN6hipcub16HIPCUB_304000_NS8EqualityEEEPlJS6_EEE10hipError_tPvRmT3_T4_T5_T6_T7_T9_mT8_P12ihipStream_tbDpT10_ENKUlT_T0_E_clISt17integral_constantIbLb1EES17_EEDaS12_S13_EUlS12_E_NS1_11comp_targetILNS1_3genE8ELNS1_11target_archE1030ELNS1_3gpuE2ELNS1_3repE0EEENS1_30default_config_static_selectorELNS0_4arch9wavefront6targetE1EEEvT1_,comdat
.Lfunc_end770:
	.size	_ZN7rocprim17ROCPRIM_400000_NS6detail17trampoline_kernelINS0_14default_configENS1_25partition_config_selectorILNS1_17partition_subalgoE8EtNS0_10empty_typeEbEEZZNS1_14partition_implILS5_8ELb0ES3_jPKtPS6_PKS6_NS0_5tupleIJPtS6_EEENSE_IJSB_SB_EEENS0_18inequality_wrapperIN6hipcub16HIPCUB_304000_NS8EqualityEEEPlJS6_EEE10hipError_tPvRmT3_T4_T5_T6_T7_T9_mT8_P12ihipStream_tbDpT10_ENKUlT_T0_E_clISt17integral_constantIbLb1EES17_EEDaS12_S13_EUlS12_E_NS1_11comp_targetILNS1_3genE8ELNS1_11target_archE1030ELNS1_3gpuE2ELNS1_3repE0EEENS1_30default_config_static_selectorELNS0_4arch9wavefront6targetE1EEEvT1_, .Lfunc_end770-_ZN7rocprim17ROCPRIM_400000_NS6detail17trampoline_kernelINS0_14default_configENS1_25partition_config_selectorILNS1_17partition_subalgoE8EtNS0_10empty_typeEbEEZZNS1_14partition_implILS5_8ELb0ES3_jPKtPS6_PKS6_NS0_5tupleIJPtS6_EEENSE_IJSB_SB_EEENS0_18inequality_wrapperIN6hipcub16HIPCUB_304000_NS8EqualityEEEPlJS6_EEE10hipError_tPvRmT3_T4_T5_T6_T7_T9_mT8_P12ihipStream_tbDpT10_ENKUlT_T0_E_clISt17integral_constantIbLb1EES17_EEDaS12_S13_EUlS12_E_NS1_11comp_targetILNS1_3genE8ELNS1_11target_archE1030ELNS1_3gpuE2ELNS1_3repE0EEENS1_30default_config_static_selectorELNS0_4arch9wavefront6targetE1EEEvT1_
                                        ; -- End function
	.section	.AMDGPU.csdata,"",@progbits
; Kernel info:
; codeLenInByte = 0
; NumSgprs: 6
; NumVgprs: 0
; NumAgprs: 0
; TotalNumVgprs: 0
; ScratchSize: 0
; MemoryBound: 0
; FloatMode: 240
; IeeeMode: 1
; LDSByteSize: 0 bytes/workgroup (compile time only)
; SGPRBlocks: 0
; VGPRBlocks: 0
; NumSGPRsForWavesPerEU: 6
; NumVGPRsForWavesPerEU: 1
; AccumOffset: 4
; Occupancy: 8
; WaveLimiterHint : 0
; COMPUTE_PGM_RSRC2:SCRATCH_EN: 0
; COMPUTE_PGM_RSRC2:USER_SGPR: 2
; COMPUTE_PGM_RSRC2:TRAP_HANDLER: 0
; COMPUTE_PGM_RSRC2:TGID_X_EN: 1
; COMPUTE_PGM_RSRC2:TGID_Y_EN: 0
; COMPUTE_PGM_RSRC2:TGID_Z_EN: 0
; COMPUTE_PGM_RSRC2:TIDIG_COMP_CNT: 0
; COMPUTE_PGM_RSRC3_GFX90A:ACCUM_OFFSET: 0
; COMPUTE_PGM_RSRC3_GFX90A:TG_SPLIT: 0
	.section	.text._ZN7rocprim17ROCPRIM_400000_NS6detail17trampoline_kernelINS0_14default_configENS1_25partition_config_selectorILNS1_17partition_subalgoE8EtNS0_10empty_typeEbEEZZNS1_14partition_implILS5_8ELb0ES3_jPKtPS6_PKS6_NS0_5tupleIJPtS6_EEENSE_IJSB_SB_EEENS0_18inequality_wrapperIN6hipcub16HIPCUB_304000_NS8EqualityEEEPlJS6_EEE10hipError_tPvRmT3_T4_T5_T6_T7_T9_mT8_P12ihipStream_tbDpT10_ENKUlT_T0_E_clISt17integral_constantIbLb1EES16_IbLb0EEEEDaS12_S13_EUlS12_E_NS1_11comp_targetILNS1_3genE0ELNS1_11target_archE4294967295ELNS1_3gpuE0ELNS1_3repE0EEENS1_30default_config_static_selectorELNS0_4arch9wavefront6targetE1EEEvT1_,"axG",@progbits,_ZN7rocprim17ROCPRIM_400000_NS6detail17trampoline_kernelINS0_14default_configENS1_25partition_config_selectorILNS1_17partition_subalgoE8EtNS0_10empty_typeEbEEZZNS1_14partition_implILS5_8ELb0ES3_jPKtPS6_PKS6_NS0_5tupleIJPtS6_EEENSE_IJSB_SB_EEENS0_18inequality_wrapperIN6hipcub16HIPCUB_304000_NS8EqualityEEEPlJS6_EEE10hipError_tPvRmT3_T4_T5_T6_T7_T9_mT8_P12ihipStream_tbDpT10_ENKUlT_T0_E_clISt17integral_constantIbLb1EES16_IbLb0EEEEDaS12_S13_EUlS12_E_NS1_11comp_targetILNS1_3genE0ELNS1_11target_archE4294967295ELNS1_3gpuE0ELNS1_3repE0EEENS1_30default_config_static_selectorELNS0_4arch9wavefront6targetE1EEEvT1_,comdat
	.protected	_ZN7rocprim17ROCPRIM_400000_NS6detail17trampoline_kernelINS0_14default_configENS1_25partition_config_selectorILNS1_17partition_subalgoE8EtNS0_10empty_typeEbEEZZNS1_14partition_implILS5_8ELb0ES3_jPKtPS6_PKS6_NS0_5tupleIJPtS6_EEENSE_IJSB_SB_EEENS0_18inequality_wrapperIN6hipcub16HIPCUB_304000_NS8EqualityEEEPlJS6_EEE10hipError_tPvRmT3_T4_T5_T6_T7_T9_mT8_P12ihipStream_tbDpT10_ENKUlT_T0_E_clISt17integral_constantIbLb1EES16_IbLb0EEEEDaS12_S13_EUlS12_E_NS1_11comp_targetILNS1_3genE0ELNS1_11target_archE4294967295ELNS1_3gpuE0ELNS1_3repE0EEENS1_30default_config_static_selectorELNS0_4arch9wavefront6targetE1EEEvT1_ ; -- Begin function _ZN7rocprim17ROCPRIM_400000_NS6detail17trampoline_kernelINS0_14default_configENS1_25partition_config_selectorILNS1_17partition_subalgoE8EtNS0_10empty_typeEbEEZZNS1_14partition_implILS5_8ELb0ES3_jPKtPS6_PKS6_NS0_5tupleIJPtS6_EEENSE_IJSB_SB_EEENS0_18inequality_wrapperIN6hipcub16HIPCUB_304000_NS8EqualityEEEPlJS6_EEE10hipError_tPvRmT3_T4_T5_T6_T7_T9_mT8_P12ihipStream_tbDpT10_ENKUlT_T0_E_clISt17integral_constantIbLb1EES16_IbLb0EEEEDaS12_S13_EUlS12_E_NS1_11comp_targetILNS1_3genE0ELNS1_11target_archE4294967295ELNS1_3gpuE0ELNS1_3repE0EEENS1_30default_config_static_selectorELNS0_4arch9wavefront6targetE1EEEvT1_
	.globl	_ZN7rocprim17ROCPRIM_400000_NS6detail17trampoline_kernelINS0_14default_configENS1_25partition_config_selectorILNS1_17partition_subalgoE8EtNS0_10empty_typeEbEEZZNS1_14partition_implILS5_8ELb0ES3_jPKtPS6_PKS6_NS0_5tupleIJPtS6_EEENSE_IJSB_SB_EEENS0_18inequality_wrapperIN6hipcub16HIPCUB_304000_NS8EqualityEEEPlJS6_EEE10hipError_tPvRmT3_T4_T5_T6_T7_T9_mT8_P12ihipStream_tbDpT10_ENKUlT_T0_E_clISt17integral_constantIbLb1EES16_IbLb0EEEEDaS12_S13_EUlS12_E_NS1_11comp_targetILNS1_3genE0ELNS1_11target_archE4294967295ELNS1_3gpuE0ELNS1_3repE0EEENS1_30default_config_static_selectorELNS0_4arch9wavefront6targetE1EEEvT1_
	.p2align	8
	.type	_ZN7rocprim17ROCPRIM_400000_NS6detail17trampoline_kernelINS0_14default_configENS1_25partition_config_selectorILNS1_17partition_subalgoE8EtNS0_10empty_typeEbEEZZNS1_14partition_implILS5_8ELb0ES3_jPKtPS6_PKS6_NS0_5tupleIJPtS6_EEENSE_IJSB_SB_EEENS0_18inequality_wrapperIN6hipcub16HIPCUB_304000_NS8EqualityEEEPlJS6_EEE10hipError_tPvRmT3_T4_T5_T6_T7_T9_mT8_P12ihipStream_tbDpT10_ENKUlT_T0_E_clISt17integral_constantIbLb1EES16_IbLb0EEEEDaS12_S13_EUlS12_E_NS1_11comp_targetILNS1_3genE0ELNS1_11target_archE4294967295ELNS1_3gpuE0ELNS1_3repE0EEENS1_30default_config_static_selectorELNS0_4arch9wavefront6targetE1EEEvT1_,@function
_ZN7rocprim17ROCPRIM_400000_NS6detail17trampoline_kernelINS0_14default_configENS1_25partition_config_selectorILNS1_17partition_subalgoE8EtNS0_10empty_typeEbEEZZNS1_14partition_implILS5_8ELb0ES3_jPKtPS6_PKS6_NS0_5tupleIJPtS6_EEENSE_IJSB_SB_EEENS0_18inequality_wrapperIN6hipcub16HIPCUB_304000_NS8EqualityEEEPlJS6_EEE10hipError_tPvRmT3_T4_T5_T6_T7_T9_mT8_P12ihipStream_tbDpT10_ENKUlT_T0_E_clISt17integral_constantIbLb1EES16_IbLb0EEEEDaS12_S13_EUlS12_E_NS1_11comp_targetILNS1_3genE0ELNS1_11target_archE4294967295ELNS1_3gpuE0ELNS1_3repE0EEENS1_30default_config_static_selectorELNS0_4arch9wavefront6targetE1EEEvT1_: ; @_ZN7rocprim17ROCPRIM_400000_NS6detail17trampoline_kernelINS0_14default_configENS1_25partition_config_selectorILNS1_17partition_subalgoE8EtNS0_10empty_typeEbEEZZNS1_14partition_implILS5_8ELb0ES3_jPKtPS6_PKS6_NS0_5tupleIJPtS6_EEENSE_IJSB_SB_EEENS0_18inequality_wrapperIN6hipcub16HIPCUB_304000_NS8EqualityEEEPlJS6_EEE10hipError_tPvRmT3_T4_T5_T6_T7_T9_mT8_P12ihipStream_tbDpT10_ENKUlT_T0_E_clISt17integral_constantIbLb1EES16_IbLb0EEEEDaS12_S13_EUlS12_E_NS1_11comp_targetILNS1_3genE0ELNS1_11target_archE4294967295ELNS1_3gpuE0ELNS1_3repE0EEENS1_30default_config_static_selectorELNS0_4arch9wavefront6targetE1EEEvT1_
; %bb.0:
	.section	.rodata,"a",@progbits
	.p2align	6, 0x0
	.amdhsa_kernel _ZN7rocprim17ROCPRIM_400000_NS6detail17trampoline_kernelINS0_14default_configENS1_25partition_config_selectorILNS1_17partition_subalgoE8EtNS0_10empty_typeEbEEZZNS1_14partition_implILS5_8ELb0ES3_jPKtPS6_PKS6_NS0_5tupleIJPtS6_EEENSE_IJSB_SB_EEENS0_18inequality_wrapperIN6hipcub16HIPCUB_304000_NS8EqualityEEEPlJS6_EEE10hipError_tPvRmT3_T4_T5_T6_T7_T9_mT8_P12ihipStream_tbDpT10_ENKUlT_T0_E_clISt17integral_constantIbLb1EES16_IbLb0EEEEDaS12_S13_EUlS12_E_NS1_11comp_targetILNS1_3genE0ELNS1_11target_archE4294967295ELNS1_3gpuE0ELNS1_3repE0EEENS1_30default_config_static_selectorELNS0_4arch9wavefront6targetE1EEEvT1_
		.amdhsa_group_segment_fixed_size 0
		.amdhsa_private_segment_fixed_size 0
		.amdhsa_kernarg_size 112
		.amdhsa_user_sgpr_count 2
		.amdhsa_user_sgpr_dispatch_ptr 0
		.amdhsa_user_sgpr_queue_ptr 0
		.amdhsa_user_sgpr_kernarg_segment_ptr 1
		.amdhsa_user_sgpr_dispatch_id 0
		.amdhsa_user_sgpr_kernarg_preload_length 0
		.amdhsa_user_sgpr_kernarg_preload_offset 0
		.amdhsa_user_sgpr_private_segment_size 0
		.amdhsa_uses_dynamic_stack 0
		.amdhsa_enable_private_segment 0
		.amdhsa_system_sgpr_workgroup_id_x 1
		.amdhsa_system_sgpr_workgroup_id_y 0
		.amdhsa_system_sgpr_workgroup_id_z 0
		.amdhsa_system_sgpr_workgroup_info 0
		.amdhsa_system_vgpr_workitem_id 0
		.amdhsa_next_free_vgpr 1
		.amdhsa_next_free_sgpr 0
		.amdhsa_accum_offset 4
		.amdhsa_reserve_vcc 0
		.amdhsa_float_round_mode_32 0
		.amdhsa_float_round_mode_16_64 0
		.amdhsa_float_denorm_mode_32 3
		.amdhsa_float_denorm_mode_16_64 3
		.amdhsa_dx10_clamp 1
		.amdhsa_ieee_mode 1
		.amdhsa_fp16_overflow 0
		.amdhsa_tg_split 0
		.amdhsa_exception_fp_ieee_invalid_op 0
		.amdhsa_exception_fp_denorm_src 0
		.amdhsa_exception_fp_ieee_div_zero 0
		.amdhsa_exception_fp_ieee_overflow 0
		.amdhsa_exception_fp_ieee_underflow 0
		.amdhsa_exception_fp_ieee_inexact 0
		.amdhsa_exception_int_div_zero 0
	.end_amdhsa_kernel
	.section	.text._ZN7rocprim17ROCPRIM_400000_NS6detail17trampoline_kernelINS0_14default_configENS1_25partition_config_selectorILNS1_17partition_subalgoE8EtNS0_10empty_typeEbEEZZNS1_14partition_implILS5_8ELb0ES3_jPKtPS6_PKS6_NS0_5tupleIJPtS6_EEENSE_IJSB_SB_EEENS0_18inequality_wrapperIN6hipcub16HIPCUB_304000_NS8EqualityEEEPlJS6_EEE10hipError_tPvRmT3_T4_T5_T6_T7_T9_mT8_P12ihipStream_tbDpT10_ENKUlT_T0_E_clISt17integral_constantIbLb1EES16_IbLb0EEEEDaS12_S13_EUlS12_E_NS1_11comp_targetILNS1_3genE0ELNS1_11target_archE4294967295ELNS1_3gpuE0ELNS1_3repE0EEENS1_30default_config_static_selectorELNS0_4arch9wavefront6targetE1EEEvT1_,"axG",@progbits,_ZN7rocprim17ROCPRIM_400000_NS6detail17trampoline_kernelINS0_14default_configENS1_25partition_config_selectorILNS1_17partition_subalgoE8EtNS0_10empty_typeEbEEZZNS1_14partition_implILS5_8ELb0ES3_jPKtPS6_PKS6_NS0_5tupleIJPtS6_EEENSE_IJSB_SB_EEENS0_18inequality_wrapperIN6hipcub16HIPCUB_304000_NS8EqualityEEEPlJS6_EEE10hipError_tPvRmT3_T4_T5_T6_T7_T9_mT8_P12ihipStream_tbDpT10_ENKUlT_T0_E_clISt17integral_constantIbLb1EES16_IbLb0EEEEDaS12_S13_EUlS12_E_NS1_11comp_targetILNS1_3genE0ELNS1_11target_archE4294967295ELNS1_3gpuE0ELNS1_3repE0EEENS1_30default_config_static_selectorELNS0_4arch9wavefront6targetE1EEEvT1_,comdat
.Lfunc_end771:
	.size	_ZN7rocprim17ROCPRIM_400000_NS6detail17trampoline_kernelINS0_14default_configENS1_25partition_config_selectorILNS1_17partition_subalgoE8EtNS0_10empty_typeEbEEZZNS1_14partition_implILS5_8ELb0ES3_jPKtPS6_PKS6_NS0_5tupleIJPtS6_EEENSE_IJSB_SB_EEENS0_18inequality_wrapperIN6hipcub16HIPCUB_304000_NS8EqualityEEEPlJS6_EEE10hipError_tPvRmT3_T4_T5_T6_T7_T9_mT8_P12ihipStream_tbDpT10_ENKUlT_T0_E_clISt17integral_constantIbLb1EES16_IbLb0EEEEDaS12_S13_EUlS12_E_NS1_11comp_targetILNS1_3genE0ELNS1_11target_archE4294967295ELNS1_3gpuE0ELNS1_3repE0EEENS1_30default_config_static_selectorELNS0_4arch9wavefront6targetE1EEEvT1_, .Lfunc_end771-_ZN7rocprim17ROCPRIM_400000_NS6detail17trampoline_kernelINS0_14default_configENS1_25partition_config_selectorILNS1_17partition_subalgoE8EtNS0_10empty_typeEbEEZZNS1_14partition_implILS5_8ELb0ES3_jPKtPS6_PKS6_NS0_5tupleIJPtS6_EEENSE_IJSB_SB_EEENS0_18inequality_wrapperIN6hipcub16HIPCUB_304000_NS8EqualityEEEPlJS6_EEE10hipError_tPvRmT3_T4_T5_T6_T7_T9_mT8_P12ihipStream_tbDpT10_ENKUlT_T0_E_clISt17integral_constantIbLb1EES16_IbLb0EEEEDaS12_S13_EUlS12_E_NS1_11comp_targetILNS1_3genE0ELNS1_11target_archE4294967295ELNS1_3gpuE0ELNS1_3repE0EEENS1_30default_config_static_selectorELNS0_4arch9wavefront6targetE1EEEvT1_
                                        ; -- End function
	.section	.AMDGPU.csdata,"",@progbits
; Kernel info:
; codeLenInByte = 0
; NumSgprs: 6
; NumVgprs: 0
; NumAgprs: 0
; TotalNumVgprs: 0
; ScratchSize: 0
; MemoryBound: 0
; FloatMode: 240
; IeeeMode: 1
; LDSByteSize: 0 bytes/workgroup (compile time only)
; SGPRBlocks: 0
; VGPRBlocks: 0
; NumSGPRsForWavesPerEU: 6
; NumVGPRsForWavesPerEU: 1
; AccumOffset: 4
; Occupancy: 8
; WaveLimiterHint : 0
; COMPUTE_PGM_RSRC2:SCRATCH_EN: 0
; COMPUTE_PGM_RSRC2:USER_SGPR: 2
; COMPUTE_PGM_RSRC2:TRAP_HANDLER: 0
; COMPUTE_PGM_RSRC2:TGID_X_EN: 1
; COMPUTE_PGM_RSRC2:TGID_Y_EN: 0
; COMPUTE_PGM_RSRC2:TGID_Z_EN: 0
; COMPUTE_PGM_RSRC2:TIDIG_COMP_CNT: 0
; COMPUTE_PGM_RSRC3_GFX90A:ACCUM_OFFSET: 0
; COMPUTE_PGM_RSRC3_GFX90A:TG_SPLIT: 0
	.section	.text._ZN7rocprim17ROCPRIM_400000_NS6detail17trampoline_kernelINS0_14default_configENS1_25partition_config_selectorILNS1_17partition_subalgoE8EtNS0_10empty_typeEbEEZZNS1_14partition_implILS5_8ELb0ES3_jPKtPS6_PKS6_NS0_5tupleIJPtS6_EEENSE_IJSB_SB_EEENS0_18inequality_wrapperIN6hipcub16HIPCUB_304000_NS8EqualityEEEPlJS6_EEE10hipError_tPvRmT3_T4_T5_T6_T7_T9_mT8_P12ihipStream_tbDpT10_ENKUlT_T0_E_clISt17integral_constantIbLb1EES16_IbLb0EEEEDaS12_S13_EUlS12_E_NS1_11comp_targetILNS1_3genE5ELNS1_11target_archE942ELNS1_3gpuE9ELNS1_3repE0EEENS1_30default_config_static_selectorELNS0_4arch9wavefront6targetE1EEEvT1_,"axG",@progbits,_ZN7rocprim17ROCPRIM_400000_NS6detail17trampoline_kernelINS0_14default_configENS1_25partition_config_selectorILNS1_17partition_subalgoE8EtNS0_10empty_typeEbEEZZNS1_14partition_implILS5_8ELb0ES3_jPKtPS6_PKS6_NS0_5tupleIJPtS6_EEENSE_IJSB_SB_EEENS0_18inequality_wrapperIN6hipcub16HIPCUB_304000_NS8EqualityEEEPlJS6_EEE10hipError_tPvRmT3_T4_T5_T6_T7_T9_mT8_P12ihipStream_tbDpT10_ENKUlT_T0_E_clISt17integral_constantIbLb1EES16_IbLb0EEEEDaS12_S13_EUlS12_E_NS1_11comp_targetILNS1_3genE5ELNS1_11target_archE942ELNS1_3gpuE9ELNS1_3repE0EEENS1_30default_config_static_selectorELNS0_4arch9wavefront6targetE1EEEvT1_,comdat
	.protected	_ZN7rocprim17ROCPRIM_400000_NS6detail17trampoline_kernelINS0_14default_configENS1_25partition_config_selectorILNS1_17partition_subalgoE8EtNS0_10empty_typeEbEEZZNS1_14partition_implILS5_8ELb0ES3_jPKtPS6_PKS6_NS0_5tupleIJPtS6_EEENSE_IJSB_SB_EEENS0_18inequality_wrapperIN6hipcub16HIPCUB_304000_NS8EqualityEEEPlJS6_EEE10hipError_tPvRmT3_T4_T5_T6_T7_T9_mT8_P12ihipStream_tbDpT10_ENKUlT_T0_E_clISt17integral_constantIbLb1EES16_IbLb0EEEEDaS12_S13_EUlS12_E_NS1_11comp_targetILNS1_3genE5ELNS1_11target_archE942ELNS1_3gpuE9ELNS1_3repE0EEENS1_30default_config_static_selectorELNS0_4arch9wavefront6targetE1EEEvT1_ ; -- Begin function _ZN7rocprim17ROCPRIM_400000_NS6detail17trampoline_kernelINS0_14default_configENS1_25partition_config_selectorILNS1_17partition_subalgoE8EtNS0_10empty_typeEbEEZZNS1_14partition_implILS5_8ELb0ES3_jPKtPS6_PKS6_NS0_5tupleIJPtS6_EEENSE_IJSB_SB_EEENS0_18inequality_wrapperIN6hipcub16HIPCUB_304000_NS8EqualityEEEPlJS6_EEE10hipError_tPvRmT3_T4_T5_T6_T7_T9_mT8_P12ihipStream_tbDpT10_ENKUlT_T0_E_clISt17integral_constantIbLb1EES16_IbLb0EEEEDaS12_S13_EUlS12_E_NS1_11comp_targetILNS1_3genE5ELNS1_11target_archE942ELNS1_3gpuE9ELNS1_3repE0EEENS1_30default_config_static_selectorELNS0_4arch9wavefront6targetE1EEEvT1_
	.globl	_ZN7rocprim17ROCPRIM_400000_NS6detail17trampoline_kernelINS0_14default_configENS1_25partition_config_selectorILNS1_17partition_subalgoE8EtNS0_10empty_typeEbEEZZNS1_14partition_implILS5_8ELb0ES3_jPKtPS6_PKS6_NS0_5tupleIJPtS6_EEENSE_IJSB_SB_EEENS0_18inequality_wrapperIN6hipcub16HIPCUB_304000_NS8EqualityEEEPlJS6_EEE10hipError_tPvRmT3_T4_T5_T6_T7_T9_mT8_P12ihipStream_tbDpT10_ENKUlT_T0_E_clISt17integral_constantIbLb1EES16_IbLb0EEEEDaS12_S13_EUlS12_E_NS1_11comp_targetILNS1_3genE5ELNS1_11target_archE942ELNS1_3gpuE9ELNS1_3repE0EEENS1_30default_config_static_selectorELNS0_4arch9wavefront6targetE1EEEvT1_
	.p2align	8
	.type	_ZN7rocprim17ROCPRIM_400000_NS6detail17trampoline_kernelINS0_14default_configENS1_25partition_config_selectorILNS1_17partition_subalgoE8EtNS0_10empty_typeEbEEZZNS1_14partition_implILS5_8ELb0ES3_jPKtPS6_PKS6_NS0_5tupleIJPtS6_EEENSE_IJSB_SB_EEENS0_18inequality_wrapperIN6hipcub16HIPCUB_304000_NS8EqualityEEEPlJS6_EEE10hipError_tPvRmT3_T4_T5_T6_T7_T9_mT8_P12ihipStream_tbDpT10_ENKUlT_T0_E_clISt17integral_constantIbLb1EES16_IbLb0EEEEDaS12_S13_EUlS12_E_NS1_11comp_targetILNS1_3genE5ELNS1_11target_archE942ELNS1_3gpuE9ELNS1_3repE0EEENS1_30default_config_static_selectorELNS0_4arch9wavefront6targetE1EEEvT1_,@function
_ZN7rocprim17ROCPRIM_400000_NS6detail17trampoline_kernelINS0_14default_configENS1_25partition_config_selectorILNS1_17partition_subalgoE8EtNS0_10empty_typeEbEEZZNS1_14partition_implILS5_8ELb0ES3_jPKtPS6_PKS6_NS0_5tupleIJPtS6_EEENSE_IJSB_SB_EEENS0_18inequality_wrapperIN6hipcub16HIPCUB_304000_NS8EqualityEEEPlJS6_EEE10hipError_tPvRmT3_T4_T5_T6_T7_T9_mT8_P12ihipStream_tbDpT10_ENKUlT_T0_E_clISt17integral_constantIbLb1EES16_IbLb0EEEEDaS12_S13_EUlS12_E_NS1_11comp_targetILNS1_3genE5ELNS1_11target_archE942ELNS1_3gpuE9ELNS1_3repE0EEENS1_30default_config_static_selectorELNS0_4arch9wavefront6targetE1EEEvT1_: ; @_ZN7rocprim17ROCPRIM_400000_NS6detail17trampoline_kernelINS0_14default_configENS1_25partition_config_selectorILNS1_17partition_subalgoE8EtNS0_10empty_typeEbEEZZNS1_14partition_implILS5_8ELb0ES3_jPKtPS6_PKS6_NS0_5tupleIJPtS6_EEENSE_IJSB_SB_EEENS0_18inequality_wrapperIN6hipcub16HIPCUB_304000_NS8EqualityEEEPlJS6_EEE10hipError_tPvRmT3_T4_T5_T6_T7_T9_mT8_P12ihipStream_tbDpT10_ENKUlT_T0_E_clISt17integral_constantIbLb1EES16_IbLb0EEEEDaS12_S13_EUlS12_E_NS1_11comp_targetILNS1_3genE5ELNS1_11target_archE942ELNS1_3gpuE9ELNS1_3repE0EEENS1_30default_config_static_selectorELNS0_4arch9wavefront6targetE1EEEvT1_
; %bb.0:
	s_load_dwordx2 s[8:9], s[0:1], 0x50
	s_load_dwordx4 s[4:7], s[0:1], 0x8
	s_load_dwordx4 s[64:67], s[0:1], 0x40
	s_load_dword s3, s[0:1], 0x68
	s_waitcnt lgkmcnt(0)
	v_mov_b32_e32 v3, s9
	s_lshl_b64 s[10:11], s[6:7], 1
	s_add_u32 s10, s4, s10
	s_mul_i32 s9, s3, 0x3c00
	s_addc_u32 s11, s5, s11
	s_add_i32 s12, s3, -1
	s_add_i32 s3, s9, s6
	s_sub_i32 s3, s8, s3
	v_mov_b32_e32 v2, s8
	s_add_u32 s8, s6, s9
	s_addc_u32 s9, s7, 0
	s_cmp_eq_u32 s2, s12
	s_load_dwordx2 s[66:67], s[66:67], 0x0
	v_cmp_ge_u64_e32 vcc, s[8:9], v[2:3]
	s_cselect_b64 s[68:69], -1, 0
	s_mul_i32 s4, s2, 0x3c00
	s_mov_b32 s5, 0
	s_and_b64 s[72:73], s[68:69], vcc
	s_xor_b64 s[70:71], s[72:73], -1
	s_lshl_b64 s[4:5], s[4:5], 1
	s_add_u32 s4, s10, s4
	s_mov_b64 s[8:9], -1
	s_addc_u32 s5, s11, s5
	s_and_b64 vcc, exec, s[70:71]
	s_cbranch_vccz .LBB772_2
; %bb.1:
	v_lshlrev_b32_e32 v2, 1, v0
	v_mov_b32_e32 v3, 0
	v_lshl_add_u64 v[4:5], s[4:5], 0, v[2:3]
	v_add_co_u32_e32 v6, vcc, 0x1000, v4
	global_load_ushort v1, v2, s[4:5]
	global_load_ushort v3, v2, s[4:5] offset:1024
	global_load_ushort v10, v2, s[4:5] offset:2048
	;; [unrolled: 1-line block ×3, first 2 shown]
	v_addc_co_u32_e32 v7, vcc, 0, v5, vcc
	v_add_co_u32_e32 v8, vcc, 0x2000, v4
	s_mov_b64 s[8:9], 0
	s_nop 0
	v_addc_co_u32_e32 v9, vcc, 0, v5, vcc
	global_load_ushort v12, v[6:7], off
	global_load_ushort v13, v[6:7], off offset:1024
	global_load_ushort v14, v[6:7], off offset:2048
	;; [unrolled: 1-line block ×3, first 2 shown]
	global_load_ushort v16, v[8:9], off
	global_load_ushort v17, v[8:9], off offset:1024
	global_load_ushort v18, v[8:9], off offset:2048
	;; [unrolled: 1-line block ×3, first 2 shown]
	v_add_co_u32_e32 v6, vcc, 0x3000, v4
	s_nop 1
	v_addc_co_u32_e32 v7, vcc, 0, v5, vcc
	v_add_co_u32_e32 v8, vcc, 0x4000, v4
	s_nop 1
	v_addc_co_u32_e32 v9, vcc, 0, v5, vcc
	global_load_ushort v20, v[6:7], off
	global_load_ushort v21, v[6:7], off offset:1024
	global_load_ushort v22, v[6:7], off offset:2048
	;; [unrolled: 1-line block ×3, first 2 shown]
	global_load_ushort v24, v[8:9], off
	global_load_ushort v25, v[8:9], off offset:1024
	global_load_ushort v26, v[8:9], off offset:2048
	;; [unrolled: 1-line block ×3, first 2 shown]
	v_add_co_u32_e32 v6, vcc, 0x5000, v4
	s_nop 1
	v_addc_co_u32_e32 v7, vcc, 0, v5, vcc
	v_add_co_u32_e32 v8, vcc, 0x6000, v4
	s_nop 1
	v_addc_co_u32_e32 v9, vcc, 0, v5, vcc
	v_add_co_u32_e32 v4, vcc, 0x7000, v4
	global_load_ushort v28, v[6:7], off
	global_load_ushort v29, v[6:7], off offset:1024
	global_load_ushort v30, v[6:7], off offset:2048
	;; [unrolled: 1-line block ×3, first 2 shown]
	global_load_ushort v32, v[8:9], off
	global_load_ushort v33, v[8:9], off offset:1024
	global_load_ushort v34, v[8:9], off offset:2048
	;; [unrolled: 1-line block ×3, first 2 shown]
	v_addc_co_u32_e32 v5, vcc, 0, v5, vcc
	global_load_ushort v6, v[4:5], off
	global_load_ushort v7, v[4:5], off offset:1024
	s_waitcnt vmcnt(29)
	ds_write_b16 v2, v1
	s_waitcnt vmcnt(28)
	ds_write_b16 v2, v3 offset:1024
	s_waitcnt vmcnt(27)
	ds_write_b16 v2, v10 offset:2048
	;; [unrolled: 2-line block ×29, first 2 shown]
	s_waitcnt lgkmcnt(0)
	s_barrier
.LBB772_2:
	s_andn2_b64 vcc, exec, s[8:9]
	s_addk_i32 s3, 0x3c00
	s_cbranch_vccnz .LBB772_64
; %bb.3:
	v_cmp_gt_u32_e32 vcc, s3, v0
                                        ; implicit-def: $vgpr1
	s_and_saveexec_b64 s[8:9], vcc
	s_cbranch_execz .LBB772_5
; %bb.4:
	v_lshlrev_b32_e32 v1, 1, v0
	global_load_ushort v1, v1, s[4:5]
.LBB772_5:
	s_or_b64 exec, exec, s[8:9]
	v_or_b32_e32 v2, 0x200, v0
	v_cmp_gt_u32_e32 vcc, s3, v2
                                        ; implicit-def: $vgpr2
	s_and_saveexec_b64 s[8:9], vcc
	s_cbranch_execz .LBB772_7
; %bb.6:
	v_lshlrev_b32_e32 v2, 1, v0
	global_load_ushort v2, v2, s[4:5] offset:1024
.LBB772_7:
	s_or_b64 exec, exec, s[8:9]
	v_or_b32_e32 v3, 0x400, v0
	v_cmp_gt_u32_e32 vcc, s3, v3
                                        ; implicit-def: $vgpr3
	s_and_saveexec_b64 s[8:9], vcc
	s_cbranch_execz .LBB772_9
; %bb.8:
	v_lshlrev_b32_e32 v3, 1, v0
	global_load_ushort v3, v3, s[4:5] offset:2048
.LBB772_9:
	s_or_b64 exec, exec, s[8:9]
	v_or_b32_e32 v4, 0x600, v0
	v_cmp_gt_u32_e32 vcc, s3, v4
                                        ; implicit-def: $vgpr4
	s_and_saveexec_b64 s[8:9], vcc
	s_cbranch_execz .LBB772_11
; %bb.10:
	v_lshlrev_b32_e32 v4, 1, v0
	global_load_ushort v4, v4, s[4:5] offset:3072
.LBB772_11:
	s_or_b64 exec, exec, s[8:9]
	v_or_b32_e32 v6, 0x800, v0
	v_cmp_gt_u32_e32 vcc, s3, v6
                                        ; implicit-def: $vgpr5
	s_and_saveexec_b64 s[8:9], vcc
	s_cbranch_execz .LBB772_13
; %bb.12:
	v_lshlrev_b32_e32 v5, 1, v6
	global_load_ushort v5, v5, s[4:5]
.LBB772_13:
	s_or_b64 exec, exec, s[8:9]
	v_or_b32_e32 v7, 0xa00, v0
	v_cmp_gt_u32_e32 vcc, s3, v7
                                        ; implicit-def: $vgpr6
	s_and_saveexec_b64 s[8:9], vcc
	s_cbranch_execz .LBB772_15
; %bb.14:
	v_lshlrev_b32_e32 v6, 1, v7
	global_load_ushort v6, v6, s[4:5]
.LBB772_15:
	s_or_b64 exec, exec, s[8:9]
	v_or_b32_e32 v8, 0xc00, v0
	v_cmp_gt_u32_e32 vcc, s3, v8
                                        ; implicit-def: $vgpr7
	s_and_saveexec_b64 s[8:9], vcc
	s_cbranch_execz .LBB772_17
; %bb.16:
	v_lshlrev_b32_e32 v7, 1, v8
	global_load_ushort v7, v7, s[4:5]
.LBB772_17:
	s_or_b64 exec, exec, s[8:9]
	v_or_b32_e32 v9, 0xe00, v0
	v_cmp_gt_u32_e32 vcc, s3, v9
                                        ; implicit-def: $vgpr8
	s_and_saveexec_b64 s[8:9], vcc
	s_cbranch_execz .LBB772_19
; %bb.18:
	v_lshlrev_b32_e32 v8, 1, v9
	global_load_ushort v8, v8, s[4:5]
.LBB772_19:
	s_or_b64 exec, exec, s[8:9]
	v_or_b32_e32 v10, 0x1000, v0
	v_cmp_gt_u32_e32 vcc, s3, v10
                                        ; implicit-def: $vgpr9
	s_and_saveexec_b64 s[8:9], vcc
	s_cbranch_execz .LBB772_21
; %bb.20:
	v_lshlrev_b32_e32 v9, 1, v10
	global_load_ushort v9, v9, s[4:5]
.LBB772_21:
	s_or_b64 exec, exec, s[8:9]
	v_or_b32_e32 v11, 0x1200, v0
	v_cmp_gt_u32_e32 vcc, s3, v11
                                        ; implicit-def: $vgpr10
	s_and_saveexec_b64 s[8:9], vcc
	s_cbranch_execz .LBB772_23
; %bb.22:
	v_lshlrev_b32_e32 v10, 1, v11
	global_load_ushort v10, v10, s[4:5]
.LBB772_23:
	s_or_b64 exec, exec, s[8:9]
	v_or_b32_e32 v12, 0x1400, v0
	v_cmp_gt_u32_e32 vcc, s3, v12
                                        ; implicit-def: $vgpr11
	s_and_saveexec_b64 s[8:9], vcc
	s_cbranch_execz .LBB772_25
; %bb.24:
	v_lshlrev_b32_e32 v11, 1, v12
	global_load_ushort v11, v11, s[4:5]
.LBB772_25:
	s_or_b64 exec, exec, s[8:9]
	v_or_b32_e32 v13, 0x1600, v0
	v_cmp_gt_u32_e32 vcc, s3, v13
                                        ; implicit-def: $vgpr12
	s_and_saveexec_b64 s[8:9], vcc
	s_cbranch_execz .LBB772_27
; %bb.26:
	v_lshlrev_b32_e32 v12, 1, v13
	global_load_ushort v12, v12, s[4:5]
.LBB772_27:
	s_or_b64 exec, exec, s[8:9]
	v_or_b32_e32 v14, 0x1800, v0
	v_cmp_gt_u32_e32 vcc, s3, v14
                                        ; implicit-def: $vgpr13
	s_and_saveexec_b64 s[8:9], vcc
	s_cbranch_execz .LBB772_29
; %bb.28:
	v_lshlrev_b32_e32 v13, 1, v14
	global_load_ushort v13, v13, s[4:5]
.LBB772_29:
	s_or_b64 exec, exec, s[8:9]
	v_or_b32_e32 v15, 0x1a00, v0
	v_cmp_gt_u32_e32 vcc, s3, v15
                                        ; implicit-def: $vgpr14
	s_and_saveexec_b64 s[8:9], vcc
	s_cbranch_execz .LBB772_31
; %bb.30:
	v_lshlrev_b32_e32 v14, 1, v15
	global_load_ushort v14, v14, s[4:5]
.LBB772_31:
	s_or_b64 exec, exec, s[8:9]
	v_or_b32_e32 v16, 0x1c00, v0
	v_cmp_gt_u32_e32 vcc, s3, v16
                                        ; implicit-def: $vgpr15
	s_and_saveexec_b64 s[8:9], vcc
	s_cbranch_execz .LBB772_33
; %bb.32:
	v_lshlrev_b32_e32 v15, 1, v16
	global_load_ushort v15, v15, s[4:5]
.LBB772_33:
	s_or_b64 exec, exec, s[8:9]
	v_or_b32_e32 v17, 0x1e00, v0
	v_cmp_gt_u32_e32 vcc, s3, v17
                                        ; implicit-def: $vgpr16
	s_and_saveexec_b64 s[8:9], vcc
	s_cbranch_execz .LBB772_35
; %bb.34:
	v_lshlrev_b32_e32 v16, 1, v17
	global_load_ushort v16, v16, s[4:5]
.LBB772_35:
	s_or_b64 exec, exec, s[8:9]
	v_or_b32_e32 v18, 0x2000, v0
	v_cmp_gt_u32_e32 vcc, s3, v18
                                        ; implicit-def: $vgpr17
	s_and_saveexec_b64 s[8:9], vcc
	s_cbranch_execz .LBB772_37
; %bb.36:
	v_lshlrev_b32_e32 v17, 1, v18
	global_load_ushort v17, v17, s[4:5]
.LBB772_37:
	s_or_b64 exec, exec, s[8:9]
	v_or_b32_e32 v19, 0x2200, v0
	v_cmp_gt_u32_e32 vcc, s3, v19
                                        ; implicit-def: $vgpr18
	s_and_saveexec_b64 s[8:9], vcc
	s_cbranch_execz .LBB772_39
; %bb.38:
	v_lshlrev_b32_e32 v18, 1, v19
	global_load_ushort v18, v18, s[4:5]
.LBB772_39:
	s_or_b64 exec, exec, s[8:9]
	v_or_b32_e32 v20, 0x2400, v0
	v_cmp_gt_u32_e32 vcc, s3, v20
                                        ; implicit-def: $vgpr19
	s_and_saveexec_b64 s[8:9], vcc
	s_cbranch_execz .LBB772_41
; %bb.40:
	v_lshlrev_b32_e32 v19, 1, v20
	global_load_ushort v19, v19, s[4:5]
.LBB772_41:
	s_or_b64 exec, exec, s[8:9]
	v_or_b32_e32 v21, 0x2600, v0
	v_cmp_gt_u32_e32 vcc, s3, v21
                                        ; implicit-def: $vgpr20
	s_and_saveexec_b64 s[8:9], vcc
	s_cbranch_execz .LBB772_43
; %bb.42:
	v_lshlrev_b32_e32 v20, 1, v21
	global_load_ushort v20, v20, s[4:5]
.LBB772_43:
	s_or_b64 exec, exec, s[8:9]
	v_or_b32_e32 v22, 0x2800, v0
	v_cmp_gt_u32_e32 vcc, s3, v22
                                        ; implicit-def: $vgpr21
	s_and_saveexec_b64 s[8:9], vcc
	s_cbranch_execz .LBB772_45
; %bb.44:
	v_lshlrev_b32_e32 v21, 1, v22
	global_load_ushort v21, v21, s[4:5]
.LBB772_45:
	s_or_b64 exec, exec, s[8:9]
	v_or_b32_e32 v23, 0x2a00, v0
	v_cmp_gt_u32_e32 vcc, s3, v23
                                        ; implicit-def: $vgpr22
	s_and_saveexec_b64 s[8:9], vcc
	s_cbranch_execz .LBB772_47
; %bb.46:
	v_lshlrev_b32_e32 v22, 1, v23
	global_load_ushort v22, v22, s[4:5]
.LBB772_47:
	s_or_b64 exec, exec, s[8:9]
	v_or_b32_e32 v24, 0x2c00, v0
	v_cmp_gt_u32_e32 vcc, s3, v24
                                        ; implicit-def: $vgpr23
	s_and_saveexec_b64 s[8:9], vcc
	s_cbranch_execz .LBB772_49
; %bb.48:
	v_lshlrev_b32_e32 v23, 1, v24
	global_load_ushort v23, v23, s[4:5]
.LBB772_49:
	s_or_b64 exec, exec, s[8:9]
	v_or_b32_e32 v25, 0x2e00, v0
	v_cmp_gt_u32_e32 vcc, s3, v25
                                        ; implicit-def: $vgpr24
	s_and_saveexec_b64 s[8:9], vcc
	s_cbranch_execz .LBB772_51
; %bb.50:
	v_lshlrev_b32_e32 v24, 1, v25
	global_load_ushort v24, v24, s[4:5]
.LBB772_51:
	s_or_b64 exec, exec, s[8:9]
	v_or_b32_e32 v26, 0x3000, v0
	v_cmp_gt_u32_e32 vcc, s3, v26
                                        ; implicit-def: $vgpr25
	s_and_saveexec_b64 s[8:9], vcc
	s_cbranch_execz .LBB772_53
; %bb.52:
	v_lshlrev_b32_e32 v25, 1, v26
	global_load_ushort v25, v25, s[4:5]
.LBB772_53:
	s_or_b64 exec, exec, s[8:9]
	v_or_b32_e32 v27, 0x3200, v0
	v_cmp_gt_u32_e32 vcc, s3, v27
                                        ; implicit-def: $vgpr26
	s_and_saveexec_b64 s[8:9], vcc
	s_cbranch_execz .LBB772_55
; %bb.54:
	v_lshlrev_b32_e32 v26, 1, v27
	global_load_ushort v26, v26, s[4:5]
.LBB772_55:
	s_or_b64 exec, exec, s[8:9]
	v_or_b32_e32 v28, 0x3400, v0
	v_cmp_gt_u32_e32 vcc, s3, v28
                                        ; implicit-def: $vgpr27
	s_and_saveexec_b64 s[8:9], vcc
	s_cbranch_execz .LBB772_57
; %bb.56:
	v_lshlrev_b32_e32 v27, 1, v28
	global_load_ushort v27, v27, s[4:5]
.LBB772_57:
	s_or_b64 exec, exec, s[8:9]
	v_or_b32_e32 v29, 0x3600, v0
	v_cmp_gt_u32_e32 vcc, s3, v29
                                        ; implicit-def: $vgpr28
	s_and_saveexec_b64 s[8:9], vcc
	s_cbranch_execz .LBB772_59
; %bb.58:
	v_lshlrev_b32_e32 v28, 1, v29
	global_load_ushort v28, v28, s[4:5]
.LBB772_59:
	s_or_b64 exec, exec, s[8:9]
	v_or_b32_e32 v30, 0x3800, v0
	v_cmp_gt_u32_e32 vcc, s3, v30
                                        ; implicit-def: $vgpr29
	s_and_saveexec_b64 s[8:9], vcc
	s_cbranch_execz .LBB772_61
; %bb.60:
	v_lshlrev_b32_e32 v29, 1, v30
	global_load_ushort v29, v29, s[4:5]
.LBB772_61:
	s_or_b64 exec, exec, s[8:9]
	v_or_b32_e32 v31, 0x3a00, v0
	v_cmp_gt_u32_e32 vcc, s3, v31
                                        ; implicit-def: $vgpr30
	s_and_saveexec_b64 s[8:9], vcc
	s_cbranch_execz .LBB772_63
; %bb.62:
	v_lshlrev_b32_e32 v30, 1, v31
	global_load_ushort v30, v30, s[4:5]
.LBB772_63:
	s_or_b64 exec, exec, s[8:9]
	v_lshlrev_b32_e32 v31, 1, v0
	s_waitcnt vmcnt(0)
	ds_write_b16 v31, v1
	ds_write_b16 v31, v2 offset:1024
	ds_write_b16 v31, v3 offset:2048
	;; [unrolled: 1-line block ×29, first 2 shown]
	s_waitcnt lgkmcnt(0)
	s_barrier
.LBB772_64:
	v_mul_u32_u24_e32 v23, 30, v0
	v_lshlrev_b32_e32 v46, 1, v23
	s_waitcnt lgkmcnt(0)
	ds_read_b32 v80, v46 offset:56
	ds_read2_b32 v[2:3], v46 offset0:12 offset1:13
	ds_read2_b32 v[4:5], v46 offset0:10 offset1:11
	;; [unrolled: 1-line block ×3, first 2 shown]
	ds_read2_b32 v[14:15], v46 offset1:1
	ds_read2_b32 v[12:13], v46 offset0:2 offset1:3
	ds_read2_b32 v[10:11], v46 offset0:4 offset1:5
	;; [unrolled: 1-line block ×3, first 2 shown]
	s_cmp_lg_u32 s2, 0
	s_cselect_b64 s[74:75], -1, 0
	s_cmp_lg_u64 s[6:7], 0
	s_cselect_b64 s[6:7], -1, 0
	s_or_b64 s[6:7], s[74:75], s[6:7]
	v_mad_u32_u24 v16, v0, 30, 29
	v_mad_u32_u24 v17, v0, 30, 28
	s_waitcnt lgkmcnt(7)
	v_lshrrev_b32_e32 v1, 16, v80
	v_mad_u32_u24 v18, v0, 30, 27
	s_waitcnt lgkmcnt(6)
	v_lshrrev_b32_e32 v82, 16, v2
	v_lshrrev_b32_e32 v81, 16, v3
	v_mad_u32_u24 v19, v0, 30, 26
	v_mad_u32_u24 v20, v0, 30, 25
	;; [unrolled: 1-line block ×4, first 2 shown]
	s_waitcnt lgkmcnt(5)
	v_lshrrev_b32_e32 v84, 16, v4
	v_lshrrev_b32_e32 v83, 16, v5
	v_mad_u32_u24 v24, v0, 30, 22
	s_waitcnt lgkmcnt(3)
	v_lshrrev_b32_e32 v100, 16, v14
	v_lshrrev_b32_e32 v98, 16, v15
	v_or_b32_e32 v45, 1, v23
	v_mad_u32_u24 v44, v0, 30, 2
	v_mad_u32_u24 v42, v0, 30, 3
	v_mad_u32_u24 v40, v0, 30, 4
	s_waitcnt lgkmcnt(2)
	v_lshrrev_b32_e32 v96, 16, v12
	v_lshrrev_b32_e32 v94, 16, v13
	v_mad_u32_u24 v43, v0, 30, 5
	v_mad_u32_u24 v41, v0, 30, 6
	v_mad_u32_u24 v38, v0, 30, 7
	v_mad_u32_u24 v36, v0, 30, 8
	s_waitcnt lgkmcnt(1)
	v_lshrrev_b32_e32 v92, 16, v10
	v_lshrrev_b32_e32 v90, 16, v11
	v_mad_u32_u24 v39, v0, 30, 9
	;; [unrolled: 7-line block ×3, first 2 shown]
	v_mad_u32_u24 v33, v0, 30, 14
	v_mad_u32_u24 v30, v0, 30, 15
	;; [unrolled: 1-line block ×3, first 2 shown]
	v_lshrrev_b32_e32 v86, 16, v6
	v_lshrrev_b32_e32 v85, 16, v7
	v_mad_u32_u24 v31, v0, 30, 17
	v_mad_u32_u24 v29, v0, 30, 18
	v_mad_u32_u24 v27, v0, 30, 19
	v_mad_u32_u24 v26, v0, 30, 20
	v_mad_u32_u24 v25, v0, 30, 21
	s_mov_b64 s[76:77], 0
	s_and_b64 vcc, exec, s[6:7]
	s_barrier
	s_cbranch_vccz .LBB772_69
; %bb.65:
	v_mov_b32_e32 v47, 0
	global_load_ushort v47, v47, s[4:5] offset:-2
	v_lshlrev_b32_e32 v48, 1, v0
	s_and_b64 vcc, exec, s[70:71]
	ds_write_b16 v48, v1
	s_cbranch_vccz .LBB772_71
; %bb.66:
	v_cmp_ne_u32_e32 vcc, 0, v0
	s_waitcnt vmcnt(0)
	v_mov_b32_e32 v49, v47
	s_waitcnt lgkmcnt(0)
	s_barrier
	s_and_saveexec_b64 s[4:5], vcc
	s_cbranch_execz .LBB772_68
; %bb.67:
	v_add_u32_e32 v49, -2, v48
	ds_read_u16 v49, v49
.LBB772_68:
	s_or_b64 exec, exec, s[4:5]
	v_cmp_ne_u16_e32 vcc, v80, v1
	s_waitcnt lgkmcnt(0)
	v_cmp_ne_u16_e64 s[4:5], v49, v14
	v_cndmask_b32_e64 v89, 0, 1, vcc
	v_cmp_ne_u16_e32 vcc, v81, v80
	s_nop 1
	v_cndmask_b32_e64 v91, 0, 1, vcc
	v_cmp_ne_u16_e32 vcc, v3, v81
	s_nop 1
	v_cndmask_b32_e64 v93, 0, 1, vcc
	v_cmp_ne_u16_e32 vcc, v82, v3
	s_nop 1
	v_cndmask_b32_e64 v95, 0, 1, vcc
	v_cmp_ne_u16_e32 vcc, v2, v82
	s_nop 1
	v_cndmask_b32_e64 v97, 0, 1, vcc
	v_cmp_ne_u16_e32 vcc, v83, v2
	s_nop 1
	v_cndmask_b32_e64 v99, 0, 1, vcc
	v_cmp_ne_u16_e32 vcc, v5, v83
	s_nop 1
	v_cndmask_b32_e64 v101, 0, 1, vcc
	v_cmp_ne_u16_e32 vcc, v84, v5
	s_nop 1
	v_cndmask_b32_e64 v102, 0, 1, vcc
	v_cmp_ne_u16_e32 vcc, v4, v84
	s_nop 1
	v_cndmask_b32_e64 v103, 0, 1, vcc
	v_cmp_ne_u16_e32 vcc, v85, v4
	s_nop 1
	v_cndmask_b32_e64 v104, 0, 1, vcc
	v_cmp_ne_u16_e32 vcc, v7, v85
	s_nop 1
	v_cndmask_b32_e64 v105, 0, 1, vcc
	v_cmp_ne_u16_e32 vcc, v86, v7
	s_nop 1
	v_cndmask_b32_e64 v106, 0, 1, vcc
	v_cmp_ne_u16_e32 vcc, v6, v86
	s_nop 1
	v_cndmask_b32_e64 v107, 0, 1, vcc
	v_cmp_ne_u16_e32 vcc, v87, v6
	s_nop 1
	v_cndmask_b32_e64 v108, 0, 1, vcc
	v_cmp_ne_u16_e32 vcc, v9, v87
	s_nop 1
	v_cndmask_b32_e64 v109, 0, 1, vcc
	v_cmp_ne_u16_e32 vcc, v88, v9
	s_nop 1
	v_cndmask_b32_e64 v110, 0, 1, vcc
	v_cmp_ne_u16_e32 vcc, v8, v88
	s_nop 1
	v_cndmask_b32_e64 v111, 0, 1, vcc
	v_cmp_ne_u16_e32 vcc, v90, v8
	s_nop 1
	v_cndmask_b32_e64 v112, 0, 1, vcc
	v_cmp_ne_u16_e32 vcc, v11, v90
	s_nop 1
	v_cndmask_b32_e64 v113, 0, 1, vcc
	v_cmp_ne_u16_e32 vcc, v92, v11
	s_nop 1
	v_cndmask_b32_e64 v114, 0, 1, vcc
	v_cmp_ne_u16_e32 vcc, v10, v92
	s_nop 1
	v_cndmask_b32_e64 v115, 0, 1, vcc
	v_cmp_ne_u16_e32 vcc, v94, v10
	s_nop 1
	v_cndmask_b32_e64 v116, 0, 1, vcc
	v_cmp_ne_u16_e32 vcc, v13, v94
	s_nop 1
	v_cndmask_b32_e64 v117, 0, 1, vcc
	v_cmp_ne_u16_e32 vcc, v96, v13
	s_nop 1
	v_cndmask_b32_e64 v118, 0, 1, vcc
	v_cmp_ne_u16_e32 vcc, v12, v96
	s_nop 1
	v_cndmask_b32_e64 v119, 0, 1, vcc
	v_cmp_ne_u16_e32 vcc, v98, v12
	s_nop 1
	v_cndmask_b32_e64 v120, 0, 1, vcc
	v_cmp_ne_u16_e32 vcc, v15, v98
	s_nop 1
	v_cndmask_b32_e64 v121, 0, 1, vcc
	v_cmp_ne_u16_e32 vcc, v100, v15
	s_nop 1
	v_cndmask_b32_e64 v122, 0, 1, vcc
	v_cmp_ne_u16_e32 vcc, v14, v100
	s_nop 1
	v_cndmask_b32_e64 v123, 0, 1, vcc
	s_branch .LBB772_75
.LBB772_69:
                                        ; implicit-def: $sgpr4_sgpr5
                                        ; implicit-def: $vgpr123
                                        ; implicit-def: $vgpr122
                                        ; implicit-def: $vgpr121
                                        ; implicit-def: $vgpr120
                                        ; implicit-def: $vgpr119
                                        ; implicit-def: $vgpr118
                                        ; implicit-def: $vgpr117
                                        ; implicit-def: $vgpr116
                                        ; implicit-def: $vgpr115
                                        ; implicit-def: $vgpr114
                                        ; implicit-def: $vgpr113
                                        ; implicit-def: $vgpr112
                                        ; implicit-def: $vgpr111
                                        ; implicit-def: $vgpr110
                                        ; implicit-def: $vgpr109
                                        ; implicit-def: $vgpr108
                                        ; implicit-def: $vgpr107
                                        ; implicit-def: $vgpr106
                                        ; implicit-def: $vgpr105
                                        ; implicit-def: $vgpr104
                                        ; implicit-def: $vgpr103
                                        ; implicit-def: $vgpr102
                                        ; implicit-def: $vgpr101
                                        ; implicit-def: $vgpr99
                                        ; implicit-def: $vgpr97
                                        ; implicit-def: $vgpr95
                                        ; implicit-def: $vgpr93
                                        ; implicit-def: $vgpr91
                                        ; implicit-def: $vgpr89
	s_branch .LBB772_76
.LBB772_70:
                                        ; implicit-def: $sgpr8
	s_branch .LBB772_84
.LBB772_71:
                                        ; implicit-def: $sgpr4_sgpr5
                                        ; implicit-def: $vgpr123
                                        ; implicit-def: $vgpr122
                                        ; implicit-def: $vgpr121
                                        ; implicit-def: $vgpr120
                                        ; implicit-def: $vgpr119
                                        ; implicit-def: $vgpr118
                                        ; implicit-def: $vgpr117
                                        ; implicit-def: $vgpr116
                                        ; implicit-def: $vgpr115
                                        ; implicit-def: $vgpr114
                                        ; implicit-def: $vgpr113
                                        ; implicit-def: $vgpr112
                                        ; implicit-def: $vgpr111
                                        ; implicit-def: $vgpr110
                                        ; implicit-def: $vgpr109
                                        ; implicit-def: $vgpr108
                                        ; implicit-def: $vgpr107
                                        ; implicit-def: $vgpr106
                                        ; implicit-def: $vgpr105
                                        ; implicit-def: $vgpr104
                                        ; implicit-def: $vgpr103
                                        ; implicit-def: $vgpr102
                                        ; implicit-def: $vgpr101
                                        ; implicit-def: $vgpr99
                                        ; implicit-def: $vgpr97
                                        ; implicit-def: $vgpr95
                                        ; implicit-def: $vgpr93
                                        ; implicit-def: $vgpr91
                                        ; implicit-def: $vgpr89
	s_cbranch_execz .LBB772_75
; %bb.72:
	v_cmp_ne_u32_e32 vcc, 0, v0
	s_waitcnt lgkmcnt(0)
	s_barrier
	s_and_saveexec_b64 s[4:5], vcc
	s_cbranch_execz .LBB772_74
; %bb.73:
	s_waitcnt vmcnt(0)
	v_add_u32_e32 v47, -2, v48
	ds_read_u16 v47, v47
.LBB772_74:
	s_or_b64 exec, exec, s[4:5]
	v_cmp_gt_u32_e32 vcc, s3, v16
	v_cmp_ne_u16_e64 s[4:5], v80, v1
	s_and_b64 s[4:5], vcc, s[4:5]
	v_cmp_gt_u32_e32 vcc, s3, v17
	v_cndmask_b32_e64 v89, 0, 1, s[4:5]
	v_cmp_ne_u16_e64 s[4:5], v81, v80
	s_and_b64 s[4:5], vcc, s[4:5]
	v_cmp_gt_u32_e32 vcc, s3, v18
	v_cndmask_b32_e64 v91, 0, 1, s[4:5]
	;; [unrolled: 4-line block ×29, first 2 shown]
	s_waitcnt vmcnt(0) lgkmcnt(0)
	v_cmp_ne_u16_e64 s[4:5], v47, v14
	s_and_b64 s[4:5], vcc, s[4:5]
.LBB772_75:
	s_mov_b64 s[76:77], -1
	s_cbranch_execnz .LBB772_70
.LBB772_76:
	s_movk_i32 s4, 0xffc6
	v_mad_i32_i24 v46, v0, s4, v46
	s_and_b64 vcc, exec, s[70:71]
	v_cmp_ne_u16_e64 s[62:63], v80, v1
	v_cmp_ne_u16_e64 s[4:5], v81, v80
	;; [unrolled: 1-line block ×29, first 2 shown]
	ds_write_b16 v46, v1
	s_cbranch_vccz .LBB772_80
; %bb.77:
	v_cndmask_b32_e64 v89, 0, 1, s[62:63]
	v_cndmask_b32_e64 v91, 0, 1, s[4:5]
	;; [unrolled: 1-line block ×29, first 2 shown]
	v_cmp_ne_u32_e32 vcc, 0, v0
	s_waitcnt lgkmcnt(0)
	s_barrier
	s_waitcnt lgkmcnt(0)
                                        ; implicit-def: $sgpr4_sgpr5
	s_and_saveexec_b64 s[6:7], vcc
	s_xor_b64 s[6:7], exec, s[6:7]
	s_cbranch_execz .LBB772_79
; %bb.78:
	s_waitcnt vmcnt(0)
	v_add_u32_e32 v47, -2, v46
	ds_read_u16 v47, v47
	s_or_b64 s[76:77], s[76:77], exec
	s_waitcnt lgkmcnt(0)
	v_cmp_ne_u16_e32 vcc, v47, v14
	s_and_b64 s[4:5], vcc, exec
.LBB772_79:
	s_or_b64 exec, exec, s[6:7]
	s_mov_b32 s8, 1
	s_branch .LBB772_84
.LBB772_80:
                                        ; implicit-def: $sgpr4_sgpr5
                                        ; implicit-def: $vgpr123
                                        ; implicit-def: $vgpr122
                                        ; implicit-def: $vgpr121
                                        ; implicit-def: $vgpr120
                                        ; implicit-def: $vgpr119
                                        ; implicit-def: $vgpr118
                                        ; implicit-def: $vgpr117
                                        ; implicit-def: $vgpr116
                                        ; implicit-def: $vgpr115
                                        ; implicit-def: $vgpr114
                                        ; implicit-def: $vgpr113
                                        ; implicit-def: $vgpr112
                                        ; implicit-def: $vgpr111
                                        ; implicit-def: $vgpr110
                                        ; implicit-def: $vgpr109
                                        ; implicit-def: $vgpr108
                                        ; implicit-def: $vgpr107
                                        ; implicit-def: $vgpr106
                                        ; implicit-def: $vgpr105
                                        ; implicit-def: $vgpr104
                                        ; implicit-def: $vgpr103
                                        ; implicit-def: $vgpr102
                                        ; implicit-def: $vgpr101
                                        ; implicit-def: $vgpr99
                                        ; implicit-def: $vgpr97
                                        ; implicit-def: $vgpr95
                                        ; implicit-def: $vgpr93
                                        ; implicit-def: $vgpr91
                                        ; implicit-def: $vgpr89
                                        ; implicit-def: $sgpr8
	s_cbranch_execz .LBB772_84
; %bb.81:
	v_cmp_gt_u32_e32 vcc, s3, v16
	v_cmp_ne_u16_e64 s[4:5], v80, v1
	s_and_b64 s[4:5], vcc, s[4:5]
	v_cmp_gt_u32_e32 vcc, s3, v17
	v_cndmask_b32_e64 v89, 0, 1, s[4:5]
	v_cmp_ne_u16_e64 s[4:5], v81, v80
	s_and_b64 s[4:5], vcc, s[4:5]
	v_cmp_gt_u32_e32 vcc, s3, v18
	v_cndmask_b32_e64 v91, 0, 1, s[4:5]
	;; [unrolled: 4-line block ×28, first 2 shown]
	v_cmp_ne_u16_e64 s[4:5], v14, v100
	s_and_b64 s[4:5], vcc, s[4:5]
	v_cmp_ne_u32_e32 vcc, 0, v0
	v_cndmask_b32_e64 v123, 0, 1, s[4:5]
	s_waitcnt lgkmcnt(0)
	s_barrier
	s_waitcnt lgkmcnt(0)
                                        ; implicit-def: $sgpr4_sgpr5
	s_and_saveexec_b64 s[6:7], vcc
	s_cbranch_execz .LBB772_83
; %bb.82:
	v_add_u32_e32 v46, -2, v46
	ds_read_u16 v46, v46
	v_cmp_gt_u32_e32 vcc, s3, v23
	s_or_b64 s[76:77], s[76:77], exec
	s_waitcnt lgkmcnt(0)
	v_cmp_ne_u16_e64 s[4:5], v46, v14
	s_and_b64 s[4:5], vcc, s[4:5]
	s_and_b64 s[4:5], s[4:5], exec
.LBB772_83:
	s_or_b64 exec, exec, s[6:7]
	s_mov_b32 s8, 1
.LBB772_84:
	v_mov_b32_e32 v124, s8
	s_and_saveexec_b64 s[6:7], s[76:77]
; %bb.85:
	v_cndmask_b32_e64 v124, 0, 1, s[4:5]
; %bb.86:
	s_or_b64 exec, exec, s[6:7]
	s_load_dwordx2 s[20:21], s[0:1], 0x60
	s_andn2_b64 vcc, exec, s[72:73]
	s_cbranch_vccnz .LBB772_88
; %bb.87:
	v_cmp_gt_u32_e32 vcc, s3, v23
	s_nop 1
	v_cndmask_b32_e32 v124, 0, v124, vcc
	v_cmp_gt_u32_e32 vcc, s3, v45
	s_nop 1
	v_cndmask_b32_e32 v123, 0, v123, vcc
	;; [unrolled: 3-line block ×30, first 2 shown]
.LBB772_88:
	v_and_b32_e32 v61, 0xff, v95
	v_and_b32_e32 v63, 0xff, v93
	v_add_u32_sdwa v16, v91, v89 dst_sel:DWORD dst_unused:UNUSED_PAD src0_sel:BYTE_0 src1_sel:BYTE_0
	v_and_b32_e32 v57, 0xff, v99
	v_and_b32_e32 v59, 0xff, v97
	v_add3_u32 v16, v16, v63, v61
	v_and_b32_e32 v53, 0xff, v102
	v_and_b32_e32 v55, 0xff, v101
	v_add3_u32 v16, v16, v59, v57
	;; [unrolled: 3-line block ×3, first 2 shown]
	v_and_b32_e32 v45, 0xff, v106
	s_waitcnt vmcnt(0)
	v_and_b32_e32 v47, 0xff, v105
	v_add3_u32 v16, v16, v51, v49
	v_and_b32_e32 v42, 0xff, v108
	v_and_b32_e32 v43, 0xff, v107
	v_add3_u32 v16, v16, v47, v45
	v_and_b32_e32 v40, 0xff, v110
	;; [unrolled: 3-line block ×9, first 2 shown]
	v_and_b32_e32 v27, 0xff, v123
	v_add3_u32 v16, v16, v29, v28
	v_add3_u32 v48, v16, v27, v26
	v_mbcnt_lo_u32_b32 v16, -1, 0
	v_mbcnt_hi_u32_b32 v44, -1, v16
	v_and_b32_e32 v16, 15, v44
	v_cmp_eq_u32_e64 s[14:15], 0, v16
	v_cmp_lt_u32_e64 s[12:13], 1, v16
	v_cmp_lt_u32_e64 s[10:11], 3, v16
	;; [unrolled: 1-line block ×3, first 2 shown]
	v_and_b32_e32 v16, 16, v44
	v_cmp_eq_u32_e64 s[6:7], 0, v16
	v_or_b32_e32 v16, 63, v0
	v_cmp_lt_u32_e64 s[18:19], 31, v44
	v_lshrrev_b32_e32 v46, 6, v0
	v_cmp_eq_u32_e64 s[4:5], v16, v0
	s_and_b64 vcc, exec, s[74:75]
	s_waitcnt lgkmcnt(0)
	s_barrier
	s_cbranch_vccz .LBB772_119
; %bb.89:
	v_mov_b32_dpp v16, v48 row_shr:1 row_mask:0xf bank_mask:0xf
	v_cndmask_b32_e64 v16, v16, 0, s[14:15]
	v_add_u32_e32 v16, v16, v48
	s_nop 1
	v_mov_b32_dpp v17, v16 row_shr:2 row_mask:0xf bank_mask:0xf
	v_cndmask_b32_e64 v17, 0, v17, s[12:13]
	v_add_u32_e32 v16, v16, v17
	s_nop 1
	;; [unrolled: 4-line block ×4, first 2 shown]
	v_mov_b32_dpp v17, v16 row_bcast:15 row_mask:0xf bank_mask:0xf
	v_cndmask_b32_e64 v17, v17, 0, s[6:7]
	v_add_u32_e32 v16, v16, v17
	s_nop 1
	v_mov_b32_dpp v17, v16 row_bcast:31 row_mask:0xf bank_mask:0xf
	v_cndmask_b32_e64 v17, 0, v17, s[18:19]
	v_add_u32_e32 v16, v16, v17
	s_and_saveexec_b64 s[16:17], s[4:5]
	s_cbranch_execz .LBB772_91
; %bb.90:
	v_lshlrev_b32_e32 v17, 2, v46
	ds_write_b32 v17, v16
.LBB772_91:
	s_or_b64 exec, exec, s[16:17]
	v_cmp_gt_u32_e32 vcc, 8, v0
	s_waitcnt lgkmcnt(0)
	s_barrier
	s_and_saveexec_b64 s[16:17], vcc
	s_cbranch_execz .LBB772_93
; %bb.92:
	v_lshlrev_b32_e32 v17, 2, v0
	ds_read_b32 v18, v17
	v_and_b32_e32 v19, 7, v44
	v_cmp_ne_u32_e32 vcc, 0, v19
	s_waitcnt lgkmcnt(0)
	v_mov_b32_dpp v20, v18 row_shr:1 row_mask:0xf bank_mask:0xf
	v_cndmask_b32_e32 v20, 0, v20, vcc
	v_add_u32_e32 v18, v20, v18
	v_cmp_lt_u32_e32 vcc, 1, v19
	s_nop 0
	v_mov_b32_dpp v20, v18 row_shr:2 row_mask:0xf bank_mask:0xf
	v_cndmask_b32_e32 v20, 0, v20, vcc
	v_add_u32_e32 v18, v18, v20
	v_cmp_lt_u32_e32 vcc, 3, v19
	s_nop 0
	v_mov_b32_dpp v20, v18 row_shr:4 row_mask:0xf bank_mask:0xf
	v_cndmask_b32_e32 v19, 0, v20, vcc
	v_add_u32_e32 v18, v18, v19
	ds_write_b32 v17, v18
.LBB772_93:
	s_or_b64 exec, exec, s[16:17]
	v_cmp_gt_u32_e32 vcc, 64, v0
	v_cmp_lt_u32_e64 s[16:17], 63, v0
	s_waitcnt lgkmcnt(0)
	s_barrier
	s_waitcnt lgkmcnt(0)
                                        ; implicit-def: $vgpr50
	s_and_saveexec_b64 s[22:23], s[16:17]
	s_cbranch_execz .LBB772_95
; %bb.94:
	v_lshl_add_u32 v17, v46, 2, -4
	ds_read_b32 v50, v17
	s_waitcnt lgkmcnt(0)
	v_add_u32_e32 v16, v50, v16
.LBB772_95:
	s_or_b64 exec, exec, s[22:23]
	v_add_u32_e32 v17, -1, v44
	v_and_b32_e32 v18, 64, v44
	v_cmp_lt_i32_e64 s[16:17], v17, v18
	s_nop 1
	v_cndmask_b32_e64 v17, v17, v44, s[16:17]
	v_lshlrev_b32_e32 v17, 2, v17
	ds_bpermute_b32 v52, v17, v16
	v_cmp_eq_u32_e64 s[16:17], 0, v44
	s_and_saveexec_b64 s[22:23], vcc
	s_cbranch_execz .LBB772_118
; %bb.96:
	v_mov_b32_e32 v25, 0
	ds_read_b32 v16, v25 offset:28
	s_and_saveexec_b64 s[24:25], s[16:17]
	s_cbranch_execz .LBB772_98
; %bb.97:
	s_add_i32 s26, s2, 64
	s_mov_b32 s27, 0
	s_lshl_b64 s[26:27], s[26:27], 3
	s_add_u32 s26, s20, s26
	v_mov_b32_e32 v17, 1
	s_addc_u32 s27, s21, s27
	s_waitcnt lgkmcnt(0)
	global_store_dwordx2 v25, v[16:17], s[26:27] sc1
.LBB772_98:
	s_or_b64 exec, exec, s[24:25]
	v_xad_u32 v18, v44, -1, s2
	v_add_u32_e32 v24, 64, v18
	v_lshl_add_u64 v[20:21], v[24:25], 3, s[20:21]
	global_load_dwordx2 v[22:23], v[20:21], off sc1
	s_waitcnt vmcnt(0)
	v_cmp_eq_u16_sdwa s[26:27], v23, v25 src0_sel:BYTE_0 src1_sel:DWORD
	s_and_saveexec_b64 s[24:25], s[26:27]
	s_cbranch_execz .LBB772_104
; %bb.99:
	s_mov_b32 s3, 1
	s_mov_b64 s[26:27], 0
	v_mov_b32_e32 v17, 0
.LBB772_100:                            ; =>This Loop Header: Depth=1
                                        ;     Child Loop BB772_101 Depth 2
	s_max_u32 s28, s3, 1
.LBB772_101:                            ;   Parent Loop BB772_100 Depth=1
                                        ; =>  This Inner Loop Header: Depth=2
	s_add_i32 s28, s28, -1
	s_cmp_eq_u32 s28, 0
	s_sleep 1
	s_cbranch_scc0 .LBB772_101
; %bb.102:                              ;   in Loop: Header=BB772_100 Depth=1
	global_load_dwordx2 v[22:23], v[20:21], off sc1
	s_cmp_lt_u32 s3, 32
	s_cselect_b64 s[28:29], -1, 0
	s_cmp_lg_u64 s[28:29], 0
	s_addc_u32 s3, s3, 0
	s_waitcnt vmcnt(0)
	v_cmp_ne_u16_sdwa s[28:29], v23, v17 src0_sel:BYTE_0 src1_sel:DWORD
	s_or_b64 s[26:27], s[28:29], s[26:27]
	s_andn2_b64 exec, exec, s[26:27]
	s_cbranch_execnz .LBB772_100
; %bb.103:
	s_or_b64 exec, exec, s[26:27]
.LBB772_104:
	s_or_b64 exec, exec, s[24:25]
	v_and_b32_e32 v56, 63, v44
	v_mov_b32_e32 v54, 2
	v_cmp_ne_u32_e32 vcc, 63, v56
	v_cmp_eq_u16_sdwa s[24:25], v23, v54 src0_sel:BYTE_0 src1_sel:DWORD
	v_lshlrev_b64 v[20:21], v44, -1
	v_addc_co_u32_e32 v24, vcc, 0, v44, vcc
	v_and_b32_e32 v17, s25, v21
	v_lshlrev_b32_e32 v58, 2, v24
	v_or_b32_e32 v17, 0x80000000, v17
	ds_bpermute_b32 v24, v58, v22
	v_and_b32_e32 v19, s24, v20
	v_ffbl_b32_e32 v17, v17
	v_add_u32_e32 v17, 32, v17
	v_ffbl_b32_e32 v19, v19
	v_min_u32_e32 v17, v19, v17
	v_cmp_lt_u32_e32 vcc, v56, v17
	v_add_u32_e32 v62, 2, v56
	v_add_u32_e32 v65, 4, v56
	s_waitcnt lgkmcnt(0)
	v_cndmask_b32_e32 v19, 0, v24, vcc
	v_cmp_gt_u32_e32 vcc, 62, v56
	v_add_u32_e32 v19, v19, v22
	v_add_u32_e32 v67, 8, v56
	v_cndmask_b32_e64 v22, 0, 1, vcc
	v_lshlrev_b32_e32 v22, 1, v22
	v_add_lshl_u32 v60, v22, v44, 2
	ds_bpermute_b32 v22, v60, v19
	v_cmp_le_u32_e32 vcc, v62, v17
	v_add_u32_e32 v69, 16, v56
	v_add_u32_e32 v71, 32, v56
	s_waitcnt lgkmcnt(0)
	v_cndmask_b32_e32 v22, 0, v22, vcc
	v_cmp_gt_u32_e32 vcc, 60, v56
	v_add_u32_e32 v19, v19, v22
	s_nop 0
	v_cndmask_b32_e64 v22, 0, 1, vcc
	v_lshlrev_b32_e32 v22, 2, v22
	v_add_lshl_u32 v64, v22, v44, 2
	ds_bpermute_b32 v22, v64, v19
	v_cmp_le_u32_e32 vcc, v65, v17
	s_waitcnt lgkmcnt(0)
	s_nop 0
	v_cndmask_b32_e32 v22, 0, v22, vcc
	v_cmp_gt_u32_e32 vcc, 56, v56
	v_add_u32_e32 v19, v19, v22
	s_nop 0
	v_cndmask_b32_e64 v22, 0, 1, vcc
	v_lshlrev_b32_e32 v22, 3, v22
	v_add_lshl_u32 v66, v22, v44, 2
	ds_bpermute_b32 v22, v66, v19
	v_cmp_le_u32_e32 vcc, v67, v17
	s_waitcnt lgkmcnt(0)
	s_nop 0
	;; [unrolled: 11-line block ×4, first 2 shown]
	v_cndmask_b32_e32 v17, 0, v22, vcc
	v_add_u32_e32 v22, v19, v17
	v_mov_b32_e32 v19, 0
	s_branch .LBB772_106
.LBB772_105:                            ;   in Loop: Header=BB772_106 Depth=1
	s_or_b64 exec, exec, s[24:25]
	v_cmp_eq_u16_sdwa s[24:25], v23, v54 src0_sel:BYTE_0 src1_sel:DWORD
	ds_bpermute_b32 v72, v58, v22
	v_subrev_u32_e32 v18, 64, v18
	v_and_b32_e32 v24, s25, v21
	v_or_b32_e32 v24, 0x80000000, v24
	v_and_b32_e32 v25, s24, v20
	v_ffbl_b32_e32 v24, v24
	v_add_u32_e32 v24, 32, v24
	v_ffbl_b32_e32 v25, v25
	v_min_u32_e32 v24, v25, v24
	v_cmp_lt_u32_e32 vcc, v56, v24
	s_waitcnt lgkmcnt(0)
	s_nop 0
	v_cndmask_b32_e32 v25, 0, v72, vcc
	v_add_u32_e32 v22, v25, v22
	ds_bpermute_b32 v25, v60, v22
	v_cmp_le_u32_e32 vcc, v62, v24
	s_waitcnt lgkmcnt(0)
	s_nop 0
	v_cndmask_b32_e32 v25, 0, v25, vcc
	v_add_u32_e32 v22, v22, v25
	ds_bpermute_b32 v25, v64, v22
	v_cmp_le_u32_e32 vcc, v65, v24
	;; [unrolled: 6-line block ×5, first 2 shown]
	s_waitcnt lgkmcnt(0)
	s_nop 0
	v_cndmask_b32_e32 v24, 0, v25, vcc
	v_add3_u32 v22, v24, v17, v22
.LBB772_106:                            ; =>This Loop Header: Depth=1
                                        ;     Child Loop BB772_109 Depth 2
                                        ;       Child Loop BB772_110 Depth 3
	v_cmp_ne_u16_sdwa s[24:25], v23, v54 src0_sel:BYTE_0 src1_sel:DWORD
	s_nop 1
	v_cndmask_b32_e64 v17, 0, 1, s[24:25]
	;;#ASMSTART
	;;#ASMEND
	s_nop 0
	v_cmp_ne_u32_e32 vcc, 0, v17
	s_cmp_lg_u64 vcc, exec
	v_mov_b32_e32 v17, v22
	s_cbranch_scc1 .LBB772_113
; %bb.107:                              ;   in Loop: Header=BB772_106 Depth=1
	v_lshl_add_u64 v[24:25], v[18:19], 3, s[20:21]
	global_load_dwordx2 v[22:23], v[24:25], off sc1
	s_waitcnt vmcnt(0)
	v_cmp_eq_u16_sdwa s[26:27], v23, v19 src0_sel:BYTE_0 src1_sel:DWORD
	s_and_saveexec_b64 s[24:25], s[26:27]
	s_cbranch_execz .LBB772_105
; %bb.108:                              ;   in Loop: Header=BB772_106 Depth=1
	s_mov_b32 s3, 1
	s_mov_b64 s[26:27], 0
.LBB772_109:                            ;   Parent Loop BB772_106 Depth=1
                                        ; =>  This Loop Header: Depth=2
                                        ;       Child Loop BB772_110 Depth 3
	s_max_u32 s28, s3, 1
.LBB772_110:                            ;   Parent Loop BB772_106 Depth=1
                                        ;     Parent Loop BB772_109 Depth=2
                                        ; =>    This Inner Loop Header: Depth=3
	s_add_i32 s28, s28, -1
	s_cmp_eq_u32 s28, 0
	s_sleep 1
	s_cbranch_scc0 .LBB772_110
; %bb.111:                              ;   in Loop: Header=BB772_109 Depth=2
	global_load_dwordx2 v[22:23], v[24:25], off sc1
	s_cmp_lt_u32 s3, 32
	s_cselect_b64 s[28:29], -1, 0
	s_cmp_lg_u64 s[28:29], 0
	s_addc_u32 s3, s3, 0
	s_waitcnt vmcnt(0)
	v_cmp_ne_u16_sdwa s[28:29], v23, v19 src0_sel:BYTE_0 src1_sel:DWORD
	s_or_b64 s[26:27], s[28:29], s[26:27]
	s_andn2_b64 exec, exec, s[26:27]
	s_cbranch_execnz .LBB772_109
; %bb.112:                              ;   in Loop: Header=BB772_106 Depth=1
	s_or_b64 exec, exec, s[26:27]
	s_branch .LBB772_105
.LBB772_113:                            ;   in Loop: Header=BB772_106 Depth=1
                                        ; implicit-def: $vgpr22
                                        ; implicit-def: $vgpr23
	s_cbranch_execz .LBB772_106
; %bb.114:
	s_and_saveexec_b64 s[24:25], s[16:17]
	s_cbranch_execz .LBB772_116
; %bb.115:
	s_add_i32 s2, s2, 64
	s_mov_b32 s3, 0
	s_lshl_b64 s[2:3], s[2:3], 3
	s_add_u32 s2, s20, s2
	v_add_u32_e32 v18, v17, v16
	v_mov_b32_e32 v19, 2
	s_addc_u32 s3, s21, s3
	v_mov_b32_e32 v20, 0
	global_store_dwordx2 v20, v[18:19], s[2:3] sc1
	ds_write_b64 v20, v[16:17] offset:30720
.LBB772_116:
	s_or_b64 exec, exec, s[24:25]
	v_cmp_eq_u32_e32 vcc, 0, v0
	s_and_b64 exec, exec, vcc
	s_cbranch_execz .LBB772_118
; %bb.117:
	v_mov_b32_e32 v16, 0
	ds_write_b32 v16, v17 offset:28
.LBB772_118:
	s_or_b64 exec, exec, s[22:23]
	v_mov_b32_e32 v16, 0
	s_waitcnt lgkmcnt(0)
	s_barrier
	ds_read_b32 v19, v16 offset:28
	s_waitcnt lgkmcnt(0)
	s_barrier
	ds_read_b64 v[16:17], v16 offset:30720
	v_cndmask_b32_e64 v18, v52, v50, s[16:17]
	v_cmp_ne_u32_e32 vcc, 0, v0
	s_nop 1
	v_cndmask_b32_e32 v18, 0, v18, vcc
	v_add_u32_e32 v72, v19, v18
	s_waitcnt lgkmcnt(0)
	v_mov_b32_e32 v18, v17
	s_load_dwordx2 s[2:3], s[0:1], 0x28
	s_branch .LBB772_129
.LBB772_119:
                                        ; implicit-def: $vgpr18
                                        ; implicit-def: $vgpr16
                                        ; implicit-def: $vgpr72
	s_load_dwordx2 s[2:3], s[0:1], 0x28
	s_cbranch_execz .LBB772_129
; %bb.120:
	v_mov_b32_dpp v16, v48 row_shr:1 row_mask:0xf bank_mask:0xf
	v_cndmask_b32_e64 v16, v16, 0, s[14:15]
	v_add_u32_e32 v16, v16, v48
	s_nop 1
	v_mov_b32_dpp v17, v16 row_shr:2 row_mask:0xf bank_mask:0xf
	v_cndmask_b32_e64 v17, 0, v17, s[12:13]
	v_add_u32_e32 v16, v16, v17
	s_nop 1
	v_mov_b32_dpp v17, v16 row_shr:4 row_mask:0xf bank_mask:0xf
	v_cndmask_b32_e64 v17, 0, v17, s[10:11]
	v_add_u32_e32 v16, v16, v17
	s_nop 1
	v_mov_b32_dpp v17, v16 row_shr:8 row_mask:0xf bank_mask:0xf
	v_cndmask_b32_e64 v17, 0, v17, s[8:9]
	v_add_u32_e32 v16, v16, v17
	s_nop 1
	v_mov_b32_dpp v17, v16 row_bcast:15 row_mask:0xf bank_mask:0xf
	v_cndmask_b32_e64 v17, v17, 0, s[6:7]
	v_add_u32_e32 v16, v16, v17
	s_nop 1
	v_mov_b32_dpp v17, v16 row_bcast:31 row_mask:0xf bank_mask:0xf
	v_cndmask_b32_e64 v17, 0, v17, s[18:19]
	v_add_u32_e32 v16, v16, v17
	s_and_saveexec_b64 s[0:1], s[4:5]
	s_cbranch_execz .LBB772_122
; %bb.121:
	v_lshlrev_b32_e32 v17, 2, v46
	ds_write_b32 v17, v16
.LBB772_122:
	s_or_b64 exec, exec, s[0:1]
	v_cmp_gt_u32_e32 vcc, 8, v0
	s_waitcnt lgkmcnt(0)
	s_barrier
	s_and_saveexec_b64 s[0:1], vcc
	s_cbranch_execz .LBB772_124
; %bb.123:
	v_lshlrev_b32_e32 v17, 2, v0
	ds_read_b32 v18, v17
	v_and_b32_e32 v19, 7, v44
	v_cmp_ne_u32_e32 vcc, 0, v19
	s_waitcnt lgkmcnt(0)
	v_mov_b32_dpp v20, v18 row_shr:1 row_mask:0xf bank_mask:0xf
	v_cndmask_b32_e32 v20, 0, v20, vcc
	v_add_u32_e32 v18, v20, v18
	v_cmp_lt_u32_e32 vcc, 1, v19
	s_nop 0
	v_mov_b32_dpp v20, v18 row_shr:2 row_mask:0xf bank_mask:0xf
	v_cndmask_b32_e32 v20, 0, v20, vcc
	v_add_u32_e32 v18, v18, v20
	v_cmp_lt_u32_e32 vcc, 3, v19
	s_nop 0
	v_mov_b32_dpp v20, v18 row_shr:4 row_mask:0xf bank_mask:0xf
	v_cndmask_b32_e32 v19, 0, v20, vcc
	v_add_u32_e32 v18, v18, v19
	ds_write_b32 v17, v18
.LBB772_124:
	s_or_b64 exec, exec, s[0:1]
	v_cmp_lt_u32_e32 vcc, 63, v0
	v_mov_b32_e32 v17, 0
	v_mov_b32_e32 v18, 0
	s_waitcnt lgkmcnt(0)
	s_barrier
	s_and_saveexec_b64 s[0:1], vcc
	s_cbranch_execz .LBB772_126
; %bb.125:
	v_lshl_add_u32 v18, v46, 2, -4
	ds_read_b32 v18, v18
.LBB772_126:
	s_or_b64 exec, exec, s[0:1]
	v_add_u32_e32 v19, -1, v44
	v_and_b32_e32 v20, 64, v44
	v_cmp_lt_i32_e32 vcc, v19, v20
	s_waitcnt lgkmcnt(0)
	v_add_u32_e32 v16, v18, v16
	v_cndmask_b32_e32 v19, v19, v44, vcc
	v_lshlrev_b32_e32 v19, 2, v19
	ds_bpermute_b32 v19, v19, v16
	ds_read_b32 v16, v17 offset:28
	v_cmp_eq_u32_e32 vcc, 0, v0
	s_and_saveexec_b64 s[0:1], vcc
	s_cbranch_execz .LBB772_128
; %bb.127:
	v_mov_b32_e32 v20, 0
	v_mov_b32_e32 v17, 2
	s_waitcnt lgkmcnt(0)
	global_store_dwordx2 v20, v[16:17], s[20:21] offset:512 sc1
.LBB772_128:
	s_or_b64 exec, exec, s[0:1]
	v_cmp_eq_u32_e64 s[0:1], 0, v44
	s_waitcnt lgkmcnt(0)
	s_barrier
	v_cndmask_b32_e64 v17, v19, v18, s[0:1]
	v_mov_b32_e32 v18, 0
	v_cndmask_b32_e64 v72, v17, 0, vcc
.LBB772_129:
	v_add_u32_e32 v78, v72, v26
	v_add_u32_e32 v76, v78, v27
	;; [unrolled: 1-line block ×27, first 2 shown]
	s_movk_i32 s0, 0x201
	v_add_u32_e32 v22, v24, v63
	v_cmp_gt_u32_e32 vcc, s0, v16
	v_add_u32_sdwa v20, v22, v91 dst_sel:DWORD dst_unused:UNUSED_PAD src0_sel:DWORD src1_sel:BYTE_0
	s_mov_b64 s[0:1], -1
	s_cbranch_vccnz .LBB772_133
; %bb.130:
	s_and_b64 vcc, exec, s[0:1]
	s_cbranch_vccnz .LBB772_224
.LBB772_131:
	v_cmp_eq_u32_e32 vcc, 0, v0
	s_and_b64 s[0:1], vcc, s[68:69]
	s_waitcnt lgkmcnt(0)
	s_and_saveexec_b64 s[2:3], s[0:1]
	s_cbranch_execnz .LBB772_298
.LBB772_132:
	s_endpgm
.LBB772_133:
	v_add_u32_e32 v17, v18, v16
	s_lshl_b64 s[0:1], s[66:67], 1
	s_waitcnt lgkmcnt(0)
	s_add_u32 s0, s2, s0
	v_cmp_lt_u32_e32 vcc, v72, v17
	s_addc_u32 s1, s3, s1
	s_or_b64 s[6:7], s[70:71], vcc
	s_and_saveexec_b64 s[4:5], s[6:7]
	s_cbranch_execz .LBB772_136
; %bb.134:
	v_and_b32_e32 v19, 1, v124
	v_cmp_eq_u32_e32 vcc, 1, v19
	s_and_b64 exec, exec, vcc
	s_cbranch_execz .LBB772_136
; %bb.135:
	v_mov_b32_e32 v73, 0
	v_lshl_add_u64 v[126:127], v[72:73], 1, s[0:1]
	global_store_short v[126:127], v14, off
.LBB772_136:
	s_or_b64 exec, exec, s[4:5]
	v_cmp_lt_u32_e32 vcc, v78, v17
	s_or_b64 s[6:7], s[70:71], vcc
	s_and_saveexec_b64 s[4:5], s[6:7]
	s_cbranch_execz .LBB772_139
; %bb.137:
	v_and_b32_e32 v19, 1, v123
	v_cmp_eq_u32_e32 vcc, 1, v19
	s_and_b64 exec, exec, vcc
	s_cbranch_execz .LBB772_139
; %bb.138:
	v_mov_b32_e32 v79, 0
	v_lshl_add_u64 v[126:127], v[78:79], 1, s[0:1]
	global_store_short v[126:127], v100, off
.LBB772_139:
	s_or_b64 exec, exec, s[4:5]
	v_cmp_lt_u32_e32 vcc, v76, v17
	;; [unrolled: 15-line block ×29, first 2 shown]
	s_or_b64 s[6:7], s[70:71], vcc
	s_and_saveexec_b64 s[4:5], s[6:7]
	s_cbranch_execz .LBB772_223
; %bb.221:
	v_and_b32_e32 v17, 1, v89
	v_cmp_eq_u32_e32 vcc, 1, v17
	s_and_b64 exec, exec, vcc
	s_cbranch_execz .LBB772_223
; %bb.222:
	v_mov_b32_e32 v21, 0
	v_lshl_add_u64 v[126:127], v[20:21], 1, s[0:1]
	global_store_short v[126:127], v1, off
.LBB772_223:
	s_or_b64 exec, exec, s[4:5]
	s_branch .LBB772_131
.LBB772_224:
	v_and_b32_e32 v17, 1, v124
	v_cmp_eq_u32_e32 vcc, 1, v17
	s_and_saveexec_b64 s[0:1], vcc
	s_cbranch_execz .LBB772_226
; %bb.225:
	v_sub_u32_e32 v17, v72, v18
	v_lshlrev_b32_e32 v17, 1, v17
	ds_write_b16 v17, v14
.LBB772_226:
	s_or_b64 exec, exec, s[0:1]
	v_and_b32_e32 v14, 1, v123
	v_cmp_eq_u32_e32 vcc, 1, v14
	s_and_saveexec_b64 s[0:1], vcc
	s_cbranch_execz .LBB772_228
; %bb.227:
	v_sub_u32_e32 v14, v78, v18
	v_lshlrev_b32_e32 v14, 1, v14
	ds_write_b16 v14, v100
.LBB772_228:
	s_or_b64 exec, exec, s[0:1]
	;; [unrolled: 10-line block ×30, first 2 shown]
	v_cmp_lt_u32_e32 vcc, v0, v16
	s_waitcnt lgkmcnt(0)
	s_barrier
	s_and_saveexec_b64 s[0:1], vcc
	s_cbranch_execz .LBB772_297
; %bb.285:
	s_lshl_b64 s[4:5], s[66:67], 1
	v_mov_b32_e32 v19, 0
	s_add_u32 s2, s2, s4
	s_addc_u32 s3, s3, s5
	v_lshlrev_b64 v[2:3], 1, v[18:19]
	v_lshl_add_u64 v[8:9], s[2:3], 0, v[2:3]
	v_xad_u32 v1, v0, -1, v16
	s_movk_i32 s2, 0x5ff
	v_cmp_lt_u32_e32 vcc, s2, v1
	s_mov_b64 s[4:5], -1
	v_mov_b32_e32 v2, v0
	s_and_saveexec_b64 s[2:3], vcc
	s_cbranch_execz .LBB772_294
; %bb.286:
	v_lshrrev_b32_e32 v12, 9, v1
	v_add_u32_e32 v4, -3, v12
	v_or_b32_e32 v3, 0x600, v0
	v_or_b32_e32 v2, 0x400, v0
	v_lshrrev_b32_e32 v5, 2, v4
	v_or_b32_e32 v1, 0x200, v0
	v_add_u32_e32 v14, 1, v5
	v_cmp_lt_u32_e32 vcc, 11, v4
	v_mov_b64_e32 v[6:7], v[2:3]
	v_lshlrev_b32_e32 v13, 1, v0
	v_mov_b64_e32 v[4:5], v[0:1]
	s_and_saveexec_b64 s[4:5], vcc
	s_cbranch_execz .LBB772_290
; %bb.287:
	v_mov_b64_e32 v[6:7], v[2:3]
	v_and_b32_e32 v15, 0x7ffffffc, v14
	s_mov_b32 s8, 0
	s_mov_b64 s[6:7], 0
	v_mov_b32_e32 v11, 0
	v_mov_b32_e32 v17, v13
	v_mov_b64_e32 v[4:5], v[0:1]
.LBB772_288:                            ; =>This Inner Loop Header: Depth=1
	v_mov_b32_e32 v10, v4
	ds_read_u16 v1, v17
	ds_read_u16 v44, v17 offset:1024
	ds_read_u16 v45, v17 offset:2048
	;; [unrolled: 1-line block ×7, first 2 shown]
	v_lshl_add_u64 v[36:37], v[10:11], 1, v[8:9]
	v_mov_b32_e32 v10, v5
	v_lshl_add_u64 v[38:39], v[10:11], 1, v[8:9]
	v_mov_b32_e32 v10, v6
	ds_read_u16 v51, v17 offset:8192
	ds_read_u16 v52, v17 offset:9216
	;; [unrolled: 1-line block ×8, first 2 shown]
	v_lshl_add_u64 v[40:41], v[10:11], 1, v[8:9]
	v_mov_b32_e32 v10, v7
	v_add_u32_e32 v2, 0x800, v7
	v_mov_b32_e32 v3, v11
	v_lshl_add_u64 v[42:43], v[10:11], 1, v[8:9]
	v_add_u32_e32 v10, 0x800, v4
	v_add_u32_e32 v20, 0x800, v6
	v_add_u32_e32 v22, 0x800, v5
	v_mov_b32_e32 v23, v11
	v_mov_b32_e32 v21, v11
	v_add_u32_e32 v15, -4, v15
	v_lshl_add_u64 v[2:3], v[2:3], 1, v[8:9]
	s_waitcnt lgkmcnt(14)
	global_store_short v[36:37], v1, off
	global_store_short v[38:39], v44, off
	s_waitcnt lgkmcnt(13)
	global_store_short v[40:41], v45, off
	s_waitcnt lgkmcnt(12)
	global_store_short v[42:43], v46, off
	v_lshl_add_u64 v[36:37], v[10:11], 1, v[8:9]
	v_add_u32_e32 v10, 0x1000, v4
	v_add_u32_e32 v24, 0x1000, v7
	;; [unrolled: 1-line block ×4, first 2 shown]
	v_mov_b32_e32 v29, v11
	v_mov_b32_e32 v27, v11
	;; [unrolled: 1-line block ×3, first 2 shown]
	s_add_i32 s8, s8, 16
	v_lshl_add_u64 v[22:23], v[22:23], 1, v[8:9]
	v_lshl_add_u64 v[20:21], v[20:21], 1, v[8:9]
	v_cmp_eq_u32_e32 vcc, 0, v15
	s_waitcnt lgkmcnt(11)
	global_store_short v[36:37], v47, off
	s_waitcnt lgkmcnt(10)
	global_store_short v[22:23], v48, off
	;; [unrolled: 2-line block ×4, first 2 shown]
	v_lshl_add_u64 v[2:3], v[10:11], 1, v[8:9]
	v_add_u32_e32 v10, 0x1800, v4
	v_add_u32_e32 v30, 0x1800, v7
	;; [unrolled: 1-line block ×4, first 2 shown]
	v_mov_b32_e32 v35, v11
	v_mov_b32_e32 v33, v11
	;; [unrolled: 1-line block ×3, first 2 shown]
	v_add_u32_e32 v17, 0x4000, v17
	v_lshl_add_u64 v[28:29], v[28:29], 1, v[8:9]
	v_lshl_add_u64 v[26:27], v[26:27], 1, v[8:9]
	;; [unrolled: 1-line block ×3, first 2 shown]
	v_add_u32_e32 v5, 0x2000, v5
	v_mov_b32_e32 v19, s8
	v_add_u32_e32 v6, 0x2000, v6
	s_or_b64 s[6:7], vcc, s[6:7]
	v_add_u32_e32 v7, 0x2000, v7
	v_add_u32_e32 v4, 0x2000, v4
	s_waitcnt lgkmcnt(7)
	global_store_short v[2:3], v51, off
	s_waitcnt lgkmcnt(6)
	global_store_short v[28:29], v52, off
	;; [unrolled: 2-line block ×4, first 2 shown]
	v_lshl_add_u64 v[2:3], v[10:11], 1, v[8:9]
	v_lshl_add_u64 v[34:35], v[34:35], 1, v[8:9]
	;; [unrolled: 1-line block ×4, first 2 shown]
	s_waitcnt lgkmcnt(3)
	global_store_short v[2:3], v55, off
	s_waitcnt lgkmcnt(2)
	global_store_short v[34:35], v56, off
	;; [unrolled: 2-line block ×4, first 2 shown]
	s_andn2_b64 exec, exec, s[6:7]
	s_cbranch_execnz .LBB772_288
; %bb.289:
	s_or_b64 exec, exec, s[6:7]
.LBB772_290:
	s_or_b64 exec, exec, s[4:5]
	v_and_b32_e32 v1, 3, v14
	v_cmp_ne_u32_e32 vcc, 0, v1
	s_and_saveexec_b64 s[4:5], vcc
	s_cbranch_execz .LBB772_293
; %bb.291:
	v_lshl_or_b32 v10, v19, 10, v13
	s_mov_b64 s[6:7], 0
	v_mov_b32_e32 v3, 0
.LBB772_292:                            ; =>This Inner Loop Header: Depth=1
	ds_read_u16 v11, v10
	ds_read_u16 v13, v10 offset:1024
	ds_read_u16 v17, v10 offset:2048
	;; [unrolled: 1-line block ×3, first 2 shown]
	v_mov_b32_e32 v2, v4
	v_add_u32_e32 v1, -1, v1
	v_lshl_add_u64 v[14:15], v[2:3], 1, v[8:9]
	v_mov_b32_e32 v2, v5
	v_cmp_eq_u32_e32 vcc, 0, v1
	v_lshl_add_u64 v[20:21], v[2:3], 1, v[8:9]
	v_mov_b32_e32 v2, v6
	v_add_u32_e32 v4, 0x800, v4
	v_add_u32_e32 v10, 0x1000, v10
	;; [unrolled: 1-line block ×4, first 2 shown]
	s_or_b64 s[6:7], vcc, s[6:7]
	v_lshl_add_u64 v[22:23], v[2:3], 1, v[8:9]
	v_mov_b32_e32 v2, v7
	v_add_u32_e32 v7, 0x800, v7
	v_lshl_add_u64 v[24:25], v[2:3], 1, v[8:9]
	s_waitcnt lgkmcnt(3)
	global_store_short v[14:15], v11, off
	s_waitcnt lgkmcnt(2)
	global_store_short v[20:21], v13, off
	;; [unrolled: 2-line block ×4, first 2 shown]
	s_andn2_b64 exec, exec, s[6:7]
	s_cbranch_execnz .LBB772_292
.LBB772_293:
	s_or_b64 exec, exec, s[4:5]
	v_add_u32_e32 v1, 1, v12
	v_and_b32_e32 v3, 0xfffffc, v1
	v_cmp_ne_u32_e32 vcc, v1, v3
	v_lshl_or_b32 v2, v3, 9, v0
	s_orn2_b64 s[4:5], vcc, exec
.LBB772_294:
	s_or_b64 exec, exec, s[2:3]
	s_and_b64 exec, exec, s[4:5]
	s_cbranch_execz .LBB772_297
; %bb.295:
	v_lshlrev_b32_e32 v1, 1, v2
	s_mov_b64 s[2:3], 0
	v_mov_b32_e32 v3, 0
.LBB772_296:                            ; =>This Inner Loop Header: Depth=1
	ds_read_u16 v6, v1
	v_lshl_add_u64 v[4:5], v[2:3], 1, v[8:9]
	v_add_u32_e32 v2, 0x200, v2
	v_cmp_ge_u32_e32 vcc, v2, v16
	v_add_u32_e32 v1, 0x400, v1
	s_or_b64 s[2:3], vcc, s[2:3]
	s_waitcnt lgkmcnt(0)
	global_store_short v[4:5], v6, off
	s_andn2_b64 exec, exec, s[2:3]
	s_cbranch_execnz .LBB772_296
.LBB772_297:
	s_or_b64 exec, exec, s[0:1]
	v_cmp_eq_u32_e32 vcc, 0, v0
	s_and_b64 s[0:1], vcc, s[68:69]
	s_and_saveexec_b64 s[2:3], s[0:1]
	s_cbranch_execz .LBB772_132
.LBB772_298:
	v_mov_b32_e32 v17, 0
	v_lshl_add_u64 v[0:1], s[66:67], 0, v[16:17]
	v_mov_b32_e32 v19, v17
	v_lshl_add_u64 v[0:1], v[0:1], 0, v[18:19]
	global_store_dwordx2 v17, v[0:1], s[64:65]
	s_endpgm
	.section	.rodata,"a",@progbits
	.p2align	6, 0x0
	.amdhsa_kernel _ZN7rocprim17ROCPRIM_400000_NS6detail17trampoline_kernelINS0_14default_configENS1_25partition_config_selectorILNS1_17partition_subalgoE8EtNS0_10empty_typeEbEEZZNS1_14partition_implILS5_8ELb0ES3_jPKtPS6_PKS6_NS0_5tupleIJPtS6_EEENSE_IJSB_SB_EEENS0_18inequality_wrapperIN6hipcub16HIPCUB_304000_NS8EqualityEEEPlJS6_EEE10hipError_tPvRmT3_T4_T5_T6_T7_T9_mT8_P12ihipStream_tbDpT10_ENKUlT_T0_E_clISt17integral_constantIbLb1EES16_IbLb0EEEEDaS12_S13_EUlS12_E_NS1_11comp_targetILNS1_3genE5ELNS1_11target_archE942ELNS1_3gpuE9ELNS1_3repE0EEENS1_30default_config_static_selectorELNS0_4arch9wavefront6targetE1EEEvT1_
		.amdhsa_group_segment_fixed_size 30728
		.amdhsa_private_segment_fixed_size 0
		.amdhsa_kernarg_size 112
		.amdhsa_user_sgpr_count 2
		.amdhsa_user_sgpr_dispatch_ptr 0
		.amdhsa_user_sgpr_queue_ptr 0
		.amdhsa_user_sgpr_kernarg_segment_ptr 1
		.amdhsa_user_sgpr_dispatch_id 0
		.amdhsa_user_sgpr_kernarg_preload_length 0
		.amdhsa_user_sgpr_kernarg_preload_offset 0
		.amdhsa_user_sgpr_private_segment_size 0
		.amdhsa_uses_dynamic_stack 0
		.amdhsa_enable_private_segment 0
		.amdhsa_system_sgpr_workgroup_id_x 1
		.amdhsa_system_sgpr_workgroup_id_y 0
		.amdhsa_system_sgpr_workgroup_id_z 0
		.amdhsa_system_sgpr_workgroup_info 0
		.amdhsa_system_vgpr_workitem_id 0
		.amdhsa_next_free_vgpr 128
		.amdhsa_next_free_sgpr 78
		.amdhsa_accum_offset 128
		.amdhsa_reserve_vcc 1
		.amdhsa_float_round_mode_32 0
		.amdhsa_float_round_mode_16_64 0
		.amdhsa_float_denorm_mode_32 3
		.amdhsa_float_denorm_mode_16_64 3
		.amdhsa_dx10_clamp 1
		.amdhsa_ieee_mode 1
		.amdhsa_fp16_overflow 0
		.amdhsa_tg_split 0
		.amdhsa_exception_fp_ieee_invalid_op 0
		.amdhsa_exception_fp_denorm_src 0
		.amdhsa_exception_fp_ieee_div_zero 0
		.amdhsa_exception_fp_ieee_overflow 0
		.amdhsa_exception_fp_ieee_underflow 0
		.amdhsa_exception_fp_ieee_inexact 0
		.amdhsa_exception_int_div_zero 0
	.end_amdhsa_kernel
	.section	.text._ZN7rocprim17ROCPRIM_400000_NS6detail17trampoline_kernelINS0_14default_configENS1_25partition_config_selectorILNS1_17partition_subalgoE8EtNS0_10empty_typeEbEEZZNS1_14partition_implILS5_8ELb0ES3_jPKtPS6_PKS6_NS0_5tupleIJPtS6_EEENSE_IJSB_SB_EEENS0_18inequality_wrapperIN6hipcub16HIPCUB_304000_NS8EqualityEEEPlJS6_EEE10hipError_tPvRmT3_T4_T5_T6_T7_T9_mT8_P12ihipStream_tbDpT10_ENKUlT_T0_E_clISt17integral_constantIbLb1EES16_IbLb0EEEEDaS12_S13_EUlS12_E_NS1_11comp_targetILNS1_3genE5ELNS1_11target_archE942ELNS1_3gpuE9ELNS1_3repE0EEENS1_30default_config_static_selectorELNS0_4arch9wavefront6targetE1EEEvT1_,"axG",@progbits,_ZN7rocprim17ROCPRIM_400000_NS6detail17trampoline_kernelINS0_14default_configENS1_25partition_config_selectorILNS1_17partition_subalgoE8EtNS0_10empty_typeEbEEZZNS1_14partition_implILS5_8ELb0ES3_jPKtPS6_PKS6_NS0_5tupleIJPtS6_EEENSE_IJSB_SB_EEENS0_18inequality_wrapperIN6hipcub16HIPCUB_304000_NS8EqualityEEEPlJS6_EEE10hipError_tPvRmT3_T4_T5_T6_T7_T9_mT8_P12ihipStream_tbDpT10_ENKUlT_T0_E_clISt17integral_constantIbLb1EES16_IbLb0EEEEDaS12_S13_EUlS12_E_NS1_11comp_targetILNS1_3genE5ELNS1_11target_archE942ELNS1_3gpuE9ELNS1_3repE0EEENS1_30default_config_static_selectorELNS0_4arch9wavefront6targetE1EEEvT1_,comdat
.Lfunc_end772:
	.size	_ZN7rocprim17ROCPRIM_400000_NS6detail17trampoline_kernelINS0_14default_configENS1_25partition_config_selectorILNS1_17partition_subalgoE8EtNS0_10empty_typeEbEEZZNS1_14partition_implILS5_8ELb0ES3_jPKtPS6_PKS6_NS0_5tupleIJPtS6_EEENSE_IJSB_SB_EEENS0_18inequality_wrapperIN6hipcub16HIPCUB_304000_NS8EqualityEEEPlJS6_EEE10hipError_tPvRmT3_T4_T5_T6_T7_T9_mT8_P12ihipStream_tbDpT10_ENKUlT_T0_E_clISt17integral_constantIbLb1EES16_IbLb0EEEEDaS12_S13_EUlS12_E_NS1_11comp_targetILNS1_3genE5ELNS1_11target_archE942ELNS1_3gpuE9ELNS1_3repE0EEENS1_30default_config_static_selectorELNS0_4arch9wavefront6targetE1EEEvT1_, .Lfunc_end772-_ZN7rocprim17ROCPRIM_400000_NS6detail17trampoline_kernelINS0_14default_configENS1_25partition_config_selectorILNS1_17partition_subalgoE8EtNS0_10empty_typeEbEEZZNS1_14partition_implILS5_8ELb0ES3_jPKtPS6_PKS6_NS0_5tupleIJPtS6_EEENSE_IJSB_SB_EEENS0_18inequality_wrapperIN6hipcub16HIPCUB_304000_NS8EqualityEEEPlJS6_EEE10hipError_tPvRmT3_T4_T5_T6_T7_T9_mT8_P12ihipStream_tbDpT10_ENKUlT_T0_E_clISt17integral_constantIbLb1EES16_IbLb0EEEEDaS12_S13_EUlS12_E_NS1_11comp_targetILNS1_3genE5ELNS1_11target_archE942ELNS1_3gpuE9ELNS1_3repE0EEENS1_30default_config_static_selectorELNS0_4arch9wavefront6targetE1EEEvT1_
                                        ; -- End function
	.section	.AMDGPU.csdata,"",@progbits
; Kernel info:
; codeLenInByte = 12352
; NumSgprs: 84
; NumVgprs: 128
; NumAgprs: 0
; TotalNumVgprs: 128
; ScratchSize: 0
; MemoryBound: 0
; FloatMode: 240
; IeeeMode: 1
; LDSByteSize: 30728 bytes/workgroup (compile time only)
; SGPRBlocks: 10
; VGPRBlocks: 15
; NumSGPRsForWavesPerEU: 84
; NumVGPRsForWavesPerEU: 128
; AccumOffset: 128
; Occupancy: 4
; WaveLimiterHint : 1
; COMPUTE_PGM_RSRC2:SCRATCH_EN: 0
; COMPUTE_PGM_RSRC2:USER_SGPR: 2
; COMPUTE_PGM_RSRC2:TRAP_HANDLER: 0
; COMPUTE_PGM_RSRC2:TGID_X_EN: 1
; COMPUTE_PGM_RSRC2:TGID_Y_EN: 0
; COMPUTE_PGM_RSRC2:TGID_Z_EN: 0
; COMPUTE_PGM_RSRC2:TIDIG_COMP_CNT: 0
; COMPUTE_PGM_RSRC3_GFX90A:ACCUM_OFFSET: 31
; COMPUTE_PGM_RSRC3_GFX90A:TG_SPLIT: 0
	.section	.text._ZN7rocprim17ROCPRIM_400000_NS6detail17trampoline_kernelINS0_14default_configENS1_25partition_config_selectorILNS1_17partition_subalgoE8EtNS0_10empty_typeEbEEZZNS1_14partition_implILS5_8ELb0ES3_jPKtPS6_PKS6_NS0_5tupleIJPtS6_EEENSE_IJSB_SB_EEENS0_18inequality_wrapperIN6hipcub16HIPCUB_304000_NS8EqualityEEEPlJS6_EEE10hipError_tPvRmT3_T4_T5_T6_T7_T9_mT8_P12ihipStream_tbDpT10_ENKUlT_T0_E_clISt17integral_constantIbLb1EES16_IbLb0EEEEDaS12_S13_EUlS12_E_NS1_11comp_targetILNS1_3genE4ELNS1_11target_archE910ELNS1_3gpuE8ELNS1_3repE0EEENS1_30default_config_static_selectorELNS0_4arch9wavefront6targetE1EEEvT1_,"axG",@progbits,_ZN7rocprim17ROCPRIM_400000_NS6detail17trampoline_kernelINS0_14default_configENS1_25partition_config_selectorILNS1_17partition_subalgoE8EtNS0_10empty_typeEbEEZZNS1_14partition_implILS5_8ELb0ES3_jPKtPS6_PKS6_NS0_5tupleIJPtS6_EEENSE_IJSB_SB_EEENS0_18inequality_wrapperIN6hipcub16HIPCUB_304000_NS8EqualityEEEPlJS6_EEE10hipError_tPvRmT3_T4_T5_T6_T7_T9_mT8_P12ihipStream_tbDpT10_ENKUlT_T0_E_clISt17integral_constantIbLb1EES16_IbLb0EEEEDaS12_S13_EUlS12_E_NS1_11comp_targetILNS1_3genE4ELNS1_11target_archE910ELNS1_3gpuE8ELNS1_3repE0EEENS1_30default_config_static_selectorELNS0_4arch9wavefront6targetE1EEEvT1_,comdat
	.protected	_ZN7rocprim17ROCPRIM_400000_NS6detail17trampoline_kernelINS0_14default_configENS1_25partition_config_selectorILNS1_17partition_subalgoE8EtNS0_10empty_typeEbEEZZNS1_14partition_implILS5_8ELb0ES3_jPKtPS6_PKS6_NS0_5tupleIJPtS6_EEENSE_IJSB_SB_EEENS0_18inequality_wrapperIN6hipcub16HIPCUB_304000_NS8EqualityEEEPlJS6_EEE10hipError_tPvRmT3_T4_T5_T6_T7_T9_mT8_P12ihipStream_tbDpT10_ENKUlT_T0_E_clISt17integral_constantIbLb1EES16_IbLb0EEEEDaS12_S13_EUlS12_E_NS1_11comp_targetILNS1_3genE4ELNS1_11target_archE910ELNS1_3gpuE8ELNS1_3repE0EEENS1_30default_config_static_selectorELNS0_4arch9wavefront6targetE1EEEvT1_ ; -- Begin function _ZN7rocprim17ROCPRIM_400000_NS6detail17trampoline_kernelINS0_14default_configENS1_25partition_config_selectorILNS1_17partition_subalgoE8EtNS0_10empty_typeEbEEZZNS1_14partition_implILS5_8ELb0ES3_jPKtPS6_PKS6_NS0_5tupleIJPtS6_EEENSE_IJSB_SB_EEENS0_18inequality_wrapperIN6hipcub16HIPCUB_304000_NS8EqualityEEEPlJS6_EEE10hipError_tPvRmT3_T4_T5_T6_T7_T9_mT8_P12ihipStream_tbDpT10_ENKUlT_T0_E_clISt17integral_constantIbLb1EES16_IbLb0EEEEDaS12_S13_EUlS12_E_NS1_11comp_targetILNS1_3genE4ELNS1_11target_archE910ELNS1_3gpuE8ELNS1_3repE0EEENS1_30default_config_static_selectorELNS0_4arch9wavefront6targetE1EEEvT1_
	.globl	_ZN7rocprim17ROCPRIM_400000_NS6detail17trampoline_kernelINS0_14default_configENS1_25partition_config_selectorILNS1_17partition_subalgoE8EtNS0_10empty_typeEbEEZZNS1_14partition_implILS5_8ELb0ES3_jPKtPS6_PKS6_NS0_5tupleIJPtS6_EEENSE_IJSB_SB_EEENS0_18inequality_wrapperIN6hipcub16HIPCUB_304000_NS8EqualityEEEPlJS6_EEE10hipError_tPvRmT3_T4_T5_T6_T7_T9_mT8_P12ihipStream_tbDpT10_ENKUlT_T0_E_clISt17integral_constantIbLb1EES16_IbLb0EEEEDaS12_S13_EUlS12_E_NS1_11comp_targetILNS1_3genE4ELNS1_11target_archE910ELNS1_3gpuE8ELNS1_3repE0EEENS1_30default_config_static_selectorELNS0_4arch9wavefront6targetE1EEEvT1_
	.p2align	8
	.type	_ZN7rocprim17ROCPRIM_400000_NS6detail17trampoline_kernelINS0_14default_configENS1_25partition_config_selectorILNS1_17partition_subalgoE8EtNS0_10empty_typeEbEEZZNS1_14partition_implILS5_8ELb0ES3_jPKtPS6_PKS6_NS0_5tupleIJPtS6_EEENSE_IJSB_SB_EEENS0_18inequality_wrapperIN6hipcub16HIPCUB_304000_NS8EqualityEEEPlJS6_EEE10hipError_tPvRmT3_T4_T5_T6_T7_T9_mT8_P12ihipStream_tbDpT10_ENKUlT_T0_E_clISt17integral_constantIbLb1EES16_IbLb0EEEEDaS12_S13_EUlS12_E_NS1_11comp_targetILNS1_3genE4ELNS1_11target_archE910ELNS1_3gpuE8ELNS1_3repE0EEENS1_30default_config_static_selectorELNS0_4arch9wavefront6targetE1EEEvT1_,@function
_ZN7rocprim17ROCPRIM_400000_NS6detail17trampoline_kernelINS0_14default_configENS1_25partition_config_selectorILNS1_17partition_subalgoE8EtNS0_10empty_typeEbEEZZNS1_14partition_implILS5_8ELb0ES3_jPKtPS6_PKS6_NS0_5tupleIJPtS6_EEENSE_IJSB_SB_EEENS0_18inequality_wrapperIN6hipcub16HIPCUB_304000_NS8EqualityEEEPlJS6_EEE10hipError_tPvRmT3_T4_T5_T6_T7_T9_mT8_P12ihipStream_tbDpT10_ENKUlT_T0_E_clISt17integral_constantIbLb1EES16_IbLb0EEEEDaS12_S13_EUlS12_E_NS1_11comp_targetILNS1_3genE4ELNS1_11target_archE910ELNS1_3gpuE8ELNS1_3repE0EEENS1_30default_config_static_selectorELNS0_4arch9wavefront6targetE1EEEvT1_: ; @_ZN7rocprim17ROCPRIM_400000_NS6detail17trampoline_kernelINS0_14default_configENS1_25partition_config_selectorILNS1_17partition_subalgoE8EtNS0_10empty_typeEbEEZZNS1_14partition_implILS5_8ELb0ES3_jPKtPS6_PKS6_NS0_5tupleIJPtS6_EEENSE_IJSB_SB_EEENS0_18inequality_wrapperIN6hipcub16HIPCUB_304000_NS8EqualityEEEPlJS6_EEE10hipError_tPvRmT3_T4_T5_T6_T7_T9_mT8_P12ihipStream_tbDpT10_ENKUlT_T0_E_clISt17integral_constantIbLb1EES16_IbLb0EEEEDaS12_S13_EUlS12_E_NS1_11comp_targetILNS1_3genE4ELNS1_11target_archE910ELNS1_3gpuE8ELNS1_3repE0EEENS1_30default_config_static_selectorELNS0_4arch9wavefront6targetE1EEEvT1_
; %bb.0:
	.section	.rodata,"a",@progbits
	.p2align	6, 0x0
	.amdhsa_kernel _ZN7rocprim17ROCPRIM_400000_NS6detail17trampoline_kernelINS0_14default_configENS1_25partition_config_selectorILNS1_17partition_subalgoE8EtNS0_10empty_typeEbEEZZNS1_14partition_implILS5_8ELb0ES3_jPKtPS6_PKS6_NS0_5tupleIJPtS6_EEENSE_IJSB_SB_EEENS0_18inequality_wrapperIN6hipcub16HIPCUB_304000_NS8EqualityEEEPlJS6_EEE10hipError_tPvRmT3_T4_T5_T6_T7_T9_mT8_P12ihipStream_tbDpT10_ENKUlT_T0_E_clISt17integral_constantIbLb1EES16_IbLb0EEEEDaS12_S13_EUlS12_E_NS1_11comp_targetILNS1_3genE4ELNS1_11target_archE910ELNS1_3gpuE8ELNS1_3repE0EEENS1_30default_config_static_selectorELNS0_4arch9wavefront6targetE1EEEvT1_
		.amdhsa_group_segment_fixed_size 0
		.amdhsa_private_segment_fixed_size 0
		.amdhsa_kernarg_size 112
		.amdhsa_user_sgpr_count 2
		.amdhsa_user_sgpr_dispatch_ptr 0
		.amdhsa_user_sgpr_queue_ptr 0
		.amdhsa_user_sgpr_kernarg_segment_ptr 1
		.amdhsa_user_sgpr_dispatch_id 0
		.amdhsa_user_sgpr_kernarg_preload_length 0
		.amdhsa_user_sgpr_kernarg_preload_offset 0
		.amdhsa_user_sgpr_private_segment_size 0
		.amdhsa_uses_dynamic_stack 0
		.amdhsa_enable_private_segment 0
		.amdhsa_system_sgpr_workgroup_id_x 1
		.amdhsa_system_sgpr_workgroup_id_y 0
		.amdhsa_system_sgpr_workgroup_id_z 0
		.amdhsa_system_sgpr_workgroup_info 0
		.amdhsa_system_vgpr_workitem_id 0
		.amdhsa_next_free_vgpr 1
		.amdhsa_next_free_sgpr 0
		.amdhsa_accum_offset 4
		.amdhsa_reserve_vcc 0
		.amdhsa_float_round_mode_32 0
		.amdhsa_float_round_mode_16_64 0
		.amdhsa_float_denorm_mode_32 3
		.amdhsa_float_denorm_mode_16_64 3
		.amdhsa_dx10_clamp 1
		.amdhsa_ieee_mode 1
		.amdhsa_fp16_overflow 0
		.amdhsa_tg_split 0
		.amdhsa_exception_fp_ieee_invalid_op 0
		.amdhsa_exception_fp_denorm_src 0
		.amdhsa_exception_fp_ieee_div_zero 0
		.amdhsa_exception_fp_ieee_overflow 0
		.amdhsa_exception_fp_ieee_underflow 0
		.amdhsa_exception_fp_ieee_inexact 0
		.amdhsa_exception_int_div_zero 0
	.end_amdhsa_kernel
	.section	.text._ZN7rocprim17ROCPRIM_400000_NS6detail17trampoline_kernelINS0_14default_configENS1_25partition_config_selectorILNS1_17partition_subalgoE8EtNS0_10empty_typeEbEEZZNS1_14partition_implILS5_8ELb0ES3_jPKtPS6_PKS6_NS0_5tupleIJPtS6_EEENSE_IJSB_SB_EEENS0_18inequality_wrapperIN6hipcub16HIPCUB_304000_NS8EqualityEEEPlJS6_EEE10hipError_tPvRmT3_T4_T5_T6_T7_T9_mT8_P12ihipStream_tbDpT10_ENKUlT_T0_E_clISt17integral_constantIbLb1EES16_IbLb0EEEEDaS12_S13_EUlS12_E_NS1_11comp_targetILNS1_3genE4ELNS1_11target_archE910ELNS1_3gpuE8ELNS1_3repE0EEENS1_30default_config_static_selectorELNS0_4arch9wavefront6targetE1EEEvT1_,"axG",@progbits,_ZN7rocprim17ROCPRIM_400000_NS6detail17trampoline_kernelINS0_14default_configENS1_25partition_config_selectorILNS1_17partition_subalgoE8EtNS0_10empty_typeEbEEZZNS1_14partition_implILS5_8ELb0ES3_jPKtPS6_PKS6_NS0_5tupleIJPtS6_EEENSE_IJSB_SB_EEENS0_18inequality_wrapperIN6hipcub16HIPCUB_304000_NS8EqualityEEEPlJS6_EEE10hipError_tPvRmT3_T4_T5_T6_T7_T9_mT8_P12ihipStream_tbDpT10_ENKUlT_T0_E_clISt17integral_constantIbLb1EES16_IbLb0EEEEDaS12_S13_EUlS12_E_NS1_11comp_targetILNS1_3genE4ELNS1_11target_archE910ELNS1_3gpuE8ELNS1_3repE0EEENS1_30default_config_static_selectorELNS0_4arch9wavefront6targetE1EEEvT1_,comdat
.Lfunc_end773:
	.size	_ZN7rocprim17ROCPRIM_400000_NS6detail17trampoline_kernelINS0_14default_configENS1_25partition_config_selectorILNS1_17partition_subalgoE8EtNS0_10empty_typeEbEEZZNS1_14partition_implILS5_8ELb0ES3_jPKtPS6_PKS6_NS0_5tupleIJPtS6_EEENSE_IJSB_SB_EEENS0_18inequality_wrapperIN6hipcub16HIPCUB_304000_NS8EqualityEEEPlJS6_EEE10hipError_tPvRmT3_T4_T5_T6_T7_T9_mT8_P12ihipStream_tbDpT10_ENKUlT_T0_E_clISt17integral_constantIbLb1EES16_IbLb0EEEEDaS12_S13_EUlS12_E_NS1_11comp_targetILNS1_3genE4ELNS1_11target_archE910ELNS1_3gpuE8ELNS1_3repE0EEENS1_30default_config_static_selectorELNS0_4arch9wavefront6targetE1EEEvT1_, .Lfunc_end773-_ZN7rocprim17ROCPRIM_400000_NS6detail17trampoline_kernelINS0_14default_configENS1_25partition_config_selectorILNS1_17partition_subalgoE8EtNS0_10empty_typeEbEEZZNS1_14partition_implILS5_8ELb0ES3_jPKtPS6_PKS6_NS0_5tupleIJPtS6_EEENSE_IJSB_SB_EEENS0_18inequality_wrapperIN6hipcub16HIPCUB_304000_NS8EqualityEEEPlJS6_EEE10hipError_tPvRmT3_T4_T5_T6_T7_T9_mT8_P12ihipStream_tbDpT10_ENKUlT_T0_E_clISt17integral_constantIbLb1EES16_IbLb0EEEEDaS12_S13_EUlS12_E_NS1_11comp_targetILNS1_3genE4ELNS1_11target_archE910ELNS1_3gpuE8ELNS1_3repE0EEENS1_30default_config_static_selectorELNS0_4arch9wavefront6targetE1EEEvT1_
                                        ; -- End function
	.section	.AMDGPU.csdata,"",@progbits
; Kernel info:
; codeLenInByte = 0
; NumSgprs: 6
; NumVgprs: 0
; NumAgprs: 0
; TotalNumVgprs: 0
; ScratchSize: 0
; MemoryBound: 0
; FloatMode: 240
; IeeeMode: 1
; LDSByteSize: 0 bytes/workgroup (compile time only)
; SGPRBlocks: 0
; VGPRBlocks: 0
; NumSGPRsForWavesPerEU: 6
; NumVGPRsForWavesPerEU: 1
; AccumOffset: 4
; Occupancy: 8
; WaveLimiterHint : 0
; COMPUTE_PGM_RSRC2:SCRATCH_EN: 0
; COMPUTE_PGM_RSRC2:USER_SGPR: 2
; COMPUTE_PGM_RSRC2:TRAP_HANDLER: 0
; COMPUTE_PGM_RSRC2:TGID_X_EN: 1
; COMPUTE_PGM_RSRC2:TGID_Y_EN: 0
; COMPUTE_PGM_RSRC2:TGID_Z_EN: 0
; COMPUTE_PGM_RSRC2:TIDIG_COMP_CNT: 0
; COMPUTE_PGM_RSRC3_GFX90A:ACCUM_OFFSET: 0
; COMPUTE_PGM_RSRC3_GFX90A:TG_SPLIT: 0
	.section	.text._ZN7rocprim17ROCPRIM_400000_NS6detail17trampoline_kernelINS0_14default_configENS1_25partition_config_selectorILNS1_17partition_subalgoE8EtNS0_10empty_typeEbEEZZNS1_14partition_implILS5_8ELb0ES3_jPKtPS6_PKS6_NS0_5tupleIJPtS6_EEENSE_IJSB_SB_EEENS0_18inequality_wrapperIN6hipcub16HIPCUB_304000_NS8EqualityEEEPlJS6_EEE10hipError_tPvRmT3_T4_T5_T6_T7_T9_mT8_P12ihipStream_tbDpT10_ENKUlT_T0_E_clISt17integral_constantIbLb1EES16_IbLb0EEEEDaS12_S13_EUlS12_E_NS1_11comp_targetILNS1_3genE3ELNS1_11target_archE908ELNS1_3gpuE7ELNS1_3repE0EEENS1_30default_config_static_selectorELNS0_4arch9wavefront6targetE1EEEvT1_,"axG",@progbits,_ZN7rocprim17ROCPRIM_400000_NS6detail17trampoline_kernelINS0_14default_configENS1_25partition_config_selectorILNS1_17partition_subalgoE8EtNS0_10empty_typeEbEEZZNS1_14partition_implILS5_8ELb0ES3_jPKtPS6_PKS6_NS0_5tupleIJPtS6_EEENSE_IJSB_SB_EEENS0_18inequality_wrapperIN6hipcub16HIPCUB_304000_NS8EqualityEEEPlJS6_EEE10hipError_tPvRmT3_T4_T5_T6_T7_T9_mT8_P12ihipStream_tbDpT10_ENKUlT_T0_E_clISt17integral_constantIbLb1EES16_IbLb0EEEEDaS12_S13_EUlS12_E_NS1_11comp_targetILNS1_3genE3ELNS1_11target_archE908ELNS1_3gpuE7ELNS1_3repE0EEENS1_30default_config_static_selectorELNS0_4arch9wavefront6targetE1EEEvT1_,comdat
	.protected	_ZN7rocprim17ROCPRIM_400000_NS6detail17trampoline_kernelINS0_14default_configENS1_25partition_config_selectorILNS1_17partition_subalgoE8EtNS0_10empty_typeEbEEZZNS1_14partition_implILS5_8ELb0ES3_jPKtPS6_PKS6_NS0_5tupleIJPtS6_EEENSE_IJSB_SB_EEENS0_18inequality_wrapperIN6hipcub16HIPCUB_304000_NS8EqualityEEEPlJS6_EEE10hipError_tPvRmT3_T4_T5_T6_T7_T9_mT8_P12ihipStream_tbDpT10_ENKUlT_T0_E_clISt17integral_constantIbLb1EES16_IbLb0EEEEDaS12_S13_EUlS12_E_NS1_11comp_targetILNS1_3genE3ELNS1_11target_archE908ELNS1_3gpuE7ELNS1_3repE0EEENS1_30default_config_static_selectorELNS0_4arch9wavefront6targetE1EEEvT1_ ; -- Begin function _ZN7rocprim17ROCPRIM_400000_NS6detail17trampoline_kernelINS0_14default_configENS1_25partition_config_selectorILNS1_17partition_subalgoE8EtNS0_10empty_typeEbEEZZNS1_14partition_implILS5_8ELb0ES3_jPKtPS6_PKS6_NS0_5tupleIJPtS6_EEENSE_IJSB_SB_EEENS0_18inequality_wrapperIN6hipcub16HIPCUB_304000_NS8EqualityEEEPlJS6_EEE10hipError_tPvRmT3_T4_T5_T6_T7_T9_mT8_P12ihipStream_tbDpT10_ENKUlT_T0_E_clISt17integral_constantIbLb1EES16_IbLb0EEEEDaS12_S13_EUlS12_E_NS1_11comp_targetILNS1_3genE3ELNS1_11target_archE908ELNS1_3gpuE7ELNS1_3repE0EEENS1_30default_config_static_selectorELNS0_4arch9wavefront6targetE1EEEvT1_
	.globl	_ZN7rocprim17ROCPRIM_400000_NS6detail17trampoline_kernelINS0_14default_configENS1_25partition_config_selectorILNS1_17partition_subalgoE8EtNS0_10empty_typeEbEEZZNS1_14partition_implILS5_8ELb0ES3_jPKtPS6_PKS6_NS0_5tupleIJPtS6_EEENSE_IJSB_SB_EEENS0_18inequality_wrapperIN6hipcub16HIPCUB_304000_NS8EqualityEEEPlJS6_EEE10hipError_tPvRmT3_T4_T5_T6_T7_T9_mT8_P12ihipStream_tbDpT10_ENKUlT_T0_E_clISt17integral_constantIbLb1EES16_IbLb0EEEEDaS12_S13_EUlS12_E_NS1_11comp_targetILNS1_3genE3ELNS1_11target_archE908ELNS1_3gpuE7ELNS1_3repE0EEENS1_30default_config_static_selectorELNS0_4arch9wavefront6targetE1EEEvT1_
	.p2align	8
	.type	_ZN7rocprim17ROCPRIM_400000_NS6detail17trampoline_kernelINS0_14default_configENS1_25partition_config_selectorILNS1_17partition_subalgoE8EtNS0_10empty_typeEbEEZZNS1_14partition_implILS5_8ELb0ES3_jPKtPS6_PKS6_NS0_5tupleIJPtS6_EEENSE_IJSB_SB_EEENS0_18inequality_wrapperIN6hipcub16HIPCUB_304000_NS8EqualityEEEPlJS6_EEE10hipError_tPvRmT3_T4_T5_T6_T7_T9_mT8_P12ihipStream_tbDpT10_ENKUlT_T0_E_clISt17integral_constantIbLb1EES16_IbLb0EEEEDaS12_S13_EUlS12_E_NS1_11comp_targetILNS1_3genE3ELNS1_11target_archE908ELNS1_3gpuE7ELNS1_3repE0EEENS1_30default_config_static_selectorELNS0_4arch9wavefront6targetE1EEEvT1_,@function
_ZN7rocprim17ROCPRIM_400000_NS6detail17trampoline_kernelINS0_14default_configENS1_25partition_config_selectorILNS1_17partition_subalgoE8EtNS0_10empty_typeEbEEZZNS1_14partition_implILS5_8ELb0ES3_jPKtPS6_PKS6_NS0_5tupleIJPtS6_EEENSE_IJSB_SB_EEENS0_18inequality_wrapperIN6hipcub16HIPCUB_304000_NS8EqualityEEEPlJS6_EEE10hipError_tPvRmT3_T4_T5_T6_T7_T9_mT8_P12ihipStream_tbDpT10_ENKUlT_T0_E_clISt17integral_constantIbLb1EES16_IbLb0EEEEDaS12_S13_EUlS12_E_NS1_11comp_targetILNS1_3genE3ELNS1_11target_archE908ELNS1_3gpuE7ELNS1_3repE0EEENS1_30default_config_static_selectorELNS0_4arch9wavefront6targetE1EEEvT1_: ; @_ZN7rocprim17ROCPRIM_400000_NS6detail17trampoline_kernelINS0_14default_configENS1_25partition_config_selectorILNS1_17partition_subalgoE8EtNS0_10empty_typeEbEEZZNS1_14partition_implILS5_8ELb0ES3_jPKtPS6_PKS6_NS0_5tupleIJPtS6_EEENSE_IJSB_SB_EEENS0_18inequality_wrapperIN6hipcub16HIPCUB_304000_NS8EqualityEEEPlJS6_EEE10hipError_tPvRmT3_T4_T5_T6_T7_T9_mT8_P12ihipStream_tbDpT10_ENKUlT_T0_E_clISt17integral_constantIbLb1EES16_IbLb0EEEEDaS12_S13_EUlS12_E_NS1_11comp_targetILNS1_3genE3ELNS1_11target_archE908ELNS1_3gpuE7ELNS1_3repE0EEENS1_30default_config_static_selectorELNS0_4arch9wavefront6targetE1EEEvT1_
; %bb.0:
	.section	.rodata,"a",@progbits
	.p2align	6, 0x0
	.amdhsa_kernel _ZN7rocprim17ROCPRIM_400000_NS6detail17trampoline_kernelINS0_14default_configENS1_25partition_config_selectorILNS1_17partition_subalgoE8EtNS0_10empty_typeEbEEZZNS1_14partition_implILS5_8ELb0ES3_jPKtPS6_PKS6_NS0_5tupleIJPtS6_EEENSE_IJSB_SB_EEENS0_18inequality_wrapperIN6hipcub16HIPCUB_304000_NS8EqualityEEEPlJS6_EEE10hipError_tPvRmT3_T4_T5_T6_T7_T9_mT8_P12ihipStream_tbDpT10_ENKUlT_T0_E_clISt17integral_constantIbLb1EES16_IbLb0EEEEDaS12_S13_EUlS12_E_NS1_11comp_targetILNS1_3genE3ELNS1_11target_archE908ELNS1_3gpuE7ELNS1_3repE0EEENS1_30default_config_static_selectorELNS0_4arch9wavefront6targetE1EEEvT1_
		.amdhsa_group_segment_fixed_size 0
		.amdhsa_private_segment_fixed_size 0
		.amdhsa_kernarg_size 112
		.amdhsa_user_sgpr_count 2
		.amdhsa_user_sgpr_dispatch_ptr 0
		.amdhsa_user_sgpr_queue_ptr 0
		.amdhsa_user_sgpr_kernarg_segment_ptr 1
		.amdhsa_user_sgpr_dispatch_id 0
		.amdhsa_user_sgpr_kernarg_preload_length 0
		.amdhsa_user_sgpr_kernarg_preload_offset 0
		.amdhsa_user_sgpr_private_segment_size 0
		.amdhsa_uses_dynamic_stack 0
		.amdhsa_enable_private_segment 0
		.amdhsa_system_sgpr_workgroup_id_x 1
		.amdhsa_system_sgpr_workgroup_id_y 0
		.amdhsa_system_sgpr_workgroup_id_z 0
		.amdhsa_system_sgpr_workgroup_info 0
		.amdhsa_system_vgpr_workitem_id 0
		.amdhsa_next_free_vgpr 1
		.amdhsa_next_free_sgpr 0
		.amdhsa_accum_offset 4
		.amdhsa_reserve_vcc 0
		.amdhsa_float_round_mode_32 0
		.amdhsa_float_round_mode_16_64 0
		.amdhsa_float_denorm_mode_32 3
		.amdhsa_float_denorm_mode_16_64 3
		.amdhsa_dx10_clamp 1
		.amdhsa_ieee_mode 1
		.amdhsa_fp16_overflow 0
		.amdhsa_tg_split 0
		.amdhsa_exception_fp_ieee_invalid_op 0
		.amdhsa_exception_fp_denorm_src 0
		.amdhsa_exception_fp_ieee_div_zero 0
		.amdhsa_exception_fp_ieee_overflow 0
		.amdhsa_exception_fp_ieee_underflow 0
		.amdhsa_exception_fp_ieee_inexact 0
		.amdhsa_exception_int_div_zero 0
	.end_amdhsa_kernel
	.section	.text._ZN7rocprim17ROCPRIM_400000_NS6detail17trampoline_kernelINS0_14default_configENS1_25partition_config_selectorILNS1_17partition_subalgoE8EtNS0_10empty_typeEbEEZZNS1_14partition_implILS5_8ELb0ES3_jPKtPS6_PKS6_NS0_5tupleIJPtS6_EEENSE_IJSB_SB_EEENS0_18inequality_wrapperIN6hipcub16HIPCUB_304000_NS8EqualityEEEPlJS6_EEE10hipError_tPvRmT3_T4_T5_T6_T7_T9_mT8_P12ihipStream_tbDpT10_ENKUlT_T0_E_clISt17integral_constantIbLb1EES16_IbLb0EEEEDaS12_S13_EUlS12_E_NS1_11comp_targetILNS1_3genE3ELNS1_11target_archE908ELNS1_3gpuE7ELNS1_3repE0EEENS1_30default_config_static_selectorELNS0_4arch9wavefront6targetE1EEEvT1_,"axG",@progbits,_ZN7rocprim17ROCPRIM_400000_NS6detail17trampoline_kernelINS0_14default_configENS1_25partition_config_selectorILNS1_17partition_subalgoE8EtNS0_10empty_typeEbEEZZNS1_14partition_implILS5_8ELb0ES3_jPKtPS6_PKS6_NS0_5tupleIJPtS6_EEENSE_IJSB_SB_EEENS0_18inequality_wrapperIN6hipcub16HIPCUB_304000_NS8EqualityEEEPlJS6_EEE10hipError_tPvRmT3_T4_T5_T6_T7_T9_mT8_P12ihipStream_tbDpT10_ENKUlT_T0_E_clISt17integral_constantIbLb1EES16_IbLb0EEEEDaS12_S13_EUlS12_E_NS1_11comp_targetILNS1_3genE3ELNS1_11target_archE908ELNS1_3gpuE7ELNS1_3repE0EEENS1_30default_config_static_selectorELNS0_4arch9wavefront6targetE1EEEvT1_,comdat
.Lfunc_end774:
	.size	_ZN7rocprim17ROCPRIM_400000_NS6detail17trampoline_kernelINS0_14default_configENS1_25partition_config_selectorILNS1_17partition_subalgoE8EtNS0_10empty_typeEbEEZZNS1_14partition_implILS5_8ELb0ES3_jPKtPS6_PKS6_NS0_5tupleIJPtS6_EEENSE_IJSB_SB_EEENS0_18inequality_wrapperIN6hipcub16HIPCUB_304000_NS8EqualityEEEPlJS6_EEE10hipError_tPvRmT3_T4_T5_T6_T7_T9_mT8_P12ihipStream_tbDpT10_ENKUlT_T0_E_clISt17integral_constantIbLb1EES16_IbLb0EEEEDaS12_S13_EUlS12_E_NS1_11comp_targetILNS1_3genE3ELNS1_11target_archE908ELNS1_3gpuE7ELNS1_3repE0EEENS1_30default_config_static_selectorELNS0_4arch9wavefront6targetE1EEEvT1_, .Lfunc_end774-_ZN7rocprim17ROCPRIM_400000_NS6detail17trampoline_kernelINS0_14default_configENS1_25partition_config_selectorILNS1_17partition_subalgoE8EtNS0_10empty_typeEbEEZZNS1_14partition_implILS5_8ELb0ES3_jPKtPS6_PKS6_NS0_5tupleIJPtS6_EEENSE_IJSB_SB_EEENS0_18inequality_wrapperIN6hipcub16HIPCUB_304000_NS8EqualityEEEPlJS6_EEE10hipError_tPvRmT3_T4_T5_T6_T7_T9_mT8_P12ihipStream_tbDpT10_ENKUlT_T0_E_clISt17integral_constantIbLb1EES16_IbLb0EEEEDaS12_S13_EUlS12_E_NS1_11comp_targetILNS1_3genE3ELNS1_11target_archE908ELNS1_3gpuE7ELNS1_3repE0EEENS1_30default_config_static_selectorELNS0_4arch9wavefront6targetE1EEEvT1_
                                        ; -- End function
	.section	.AMDGPU.csdata,"",@progbits
; Kernel info:
; codeLenInByte = 0
; NumSgprs: 6
; NumVgprs: 0
; NumAgprs: 0
; TotalNumVgprs: 0
; ScratchSize: 0
; MemoryBound: 0
; FloatMode: 240
; IeeeMode: 1
; LDSByteSize: 0 bytes/workgroup (compile time only)
; SGPRBlocks: 0
; VGPRBlocks: 0
; NumSGPRsForWavesPerEU: 6
; NumVGPRsForWavesPerEU: 1
; AccumOffset: 4
; Occupancy: 8
; WaveLimiterHint : 0
; COMPUTE_PGM_RSRC2:SCRATCH_EN: 0
; COMPUTE_PGM_RSRC2:USER_SGPR: 2
; COMPUTE_PGM_RSRC2:TRAP_HANDLER: 0
; COMPUTE_PGM_RSRC2:TGID_X_EN: 1
; COMPUTE_PGM_RSRC2:TGID_Y_EN: 0
; COMPUTE_PGM_RSRC2:TGID_Z_EN: 0
; COMPUTE_PGM_RSRC2:TIDIG_COMP_CNT: 0
; COMPUTE_PGM_RSRC3_GFX90A:ACCUM_OFFSET: 0
; COMPUTE_PGM_RSRC3_GFX90A:TG_SPLIT: 0
	.section	.text._ZN7rocprim17ROCPRIM_400000_NS6detail17trampoline_kernelINS0_14default_configENS1_25partition_config_selectorILNS1_17partition_subalgoE8EtNS0_10empty_typeEbEEZZNS1_14partition_implILS5_8ELb0ES3_jPKtPS6_PKS6_NS0_5tupleIJPtS6_EEENSE_IJSB_SB_EEENS0_18inequality_wrapperIN6hipcub16HIPCUB_304000_NS8EqualityEEEPlJS6_EEE10hipError_tPvRmT3_T4_T5_T6_T7_T9_mT8_P12ihipStream_tbDpT10_ENKUlT_T0_E_clISt17integral_constantIbLb1EES16_IbLb0EEEEDaS12_S13_EUlS12_E_NS1_11comp_targetILNS1_3genE2ELNS1_11target_archE906ELNS1_3gpuE6ELNS1_3repE0EEENS1_30default_config_static_selectorELNS0_4arch9wavefront6targetE1EEEvT1_,"axG",@progbits,_ZN7rocprim17ROCPRIM_400000_NS6detail17trampoline_kernelINS0_14default_configENS1_25partition_config_selectorILNS1_17partition_subalgoE8EtNS0_10empty_typeEbEEZZNS1_14partition_implILS5_8ELb0ES3_jPKtPS6_PKS6_NS0_5tupleIJPtS6_EEENSE_IJSB_SB_EEENS0_18inequality_wrapperIN6hipcub16HIPCUB_304000_NS8EqualityEEEPlJS6_EEE10hipError_tPvRmT3_T4_T5_T6_T7_T9_mT8_P12ihipStream_tbDpT10_ENKUlT_T0_E_clISt17integral_constantIbLb1EES16_IbLb0EEEEDaS12_S13_EUlS12_E_NS1_11comp_targetILNS1_3genE2ELNS1_11target_archE906ELNS1_3gpuE6ELNS1_3repE0EEENS1_30default_config_static_selectorELNS0_4arch9wavefront6targetE1EEEvT1_,comdat
	.protected	_ZN7rocprim17ROCPRIM_400000_NS6detail17trampoline_kernelINS0_14default_configENS1_25partition_config_selectorILNS1_17partition_subalgoE8EtNS0_10empty_typeEbEEZZNS1_14partition_implILS5_8ELb0ES3_jPKtPS6_PKS6_NS0_5tupleIJPtS6_EEENSE_IJSB_SB_EEENS0_18inequality_wrapperIN6hipcub16HIPCUB_304000_NS8EqualityEEEPlJS6_EEE10hipError_tPvRmT3_T4_T5_T6_T7_T9_mT8_P12ihipStream_tbDpT10_ENKUlT_T0_E_clISt17integral_constantIbLb1EES16_IbLb0EEEEDaS12_S13_EUlS12_E_NS1_11comp_targetILNS1_3genE2ELNS1_11target_archE906ELNS1_3gpuE6ELNS1_3repE0EEENS1_30default_config_static_selectorELNS0_4arch9wavefront6targetE1EEEvT1_ ; -- Begin function _ZN7rocprim17ROCPRIM_400000_NS6detail17trampoline_kernelINS0_14default_configENS1_25partition_config_selectorILNS1_17partition_subalgoE8EtNS0_10empty_typeEbEEZZNS1_14partition_implILS5_8ELb0ES3_jPKtPS6_PKS6_NS0_5tupleIJPtS6_EEENSE_IJSB_SB_EEENS0_18inequality_wrapperIN6hipcub16HIPCUB_304000_NS8EqualityEEEPlJS6_EEE10hipError_tPvRmT3_T4_T5_T6_T7_T9_mT8_P12ihipStream_tbDpT10_ENKUlT_T0_E_clISt17integral_constantIbLb1EES16_IbLb0EEEEDaS12_S13_EUlS12_E_NS1_11comp_targetILNS1_3genE2ELNS1_11target_archE906ELNS1_3gpuE6ELNS1_3repE0EEENS1_30default_config_static_selectorELNS0_4arch9wavefront6targetE1EEEvT1_
	.globl	_ZN7rocprim17ROCPRIM_400000_NS6detail17trampoline_kernelINS0_14default_configENS1_25partition_config_selectorILNS1_17partition_subalgoE8EtNS0_10empty_typeEbEEZZNS1_14partition_implILS5_8ELb0ES3_jPKtPS6_PKS6_NS0_5tupleIJPtS6_EEENSE_IJSB_SB_EEENS0_18inequality_wrapperIN6hipcub16HIPCUB_304000_NS8EqualityEEEPlJS6_EEE10hipError_tPvRmT3_T4_T5_T6_T7_T9_mT8_P12ihipStream_tbDpT10_ENKUlT_T0_E_clISt17integral_constantIbLb1EES16_IbLb0EEEEDaS12_S13_EUlS12_E_NS1_11comp_targetILNS1_3genE2ELNS1_11target_archE906ELNS1_3gpuE6ELNS1_3repE0EEENS1_30default_config_static_selectorELNS0_4arch9wavefront6targetE1EEEvT1_
	.p2align	8
	.type	_ZN7rocprim17ROCPRIM_400000_NS6detail17trampoline_kernelINS0_14default_configENS1_25partition_config_selectorILNS1_17partition_subalgoE8EtNS0_10empty_typeEbEEZZNS1_14partition_implILS5_8ELb0ES3_jPKtPS6_PKS6_NS0_5tupleIJPtS6_EEENSE_IJSB_SB_EEENS0_18inequality_wrapperIN6hipcub16HIPCUB_304000_NS8EqualityEEEPlJS6_EEE10hipError_tPvRmT3_T4_T5_T6_T7_T9_mT8_P12ihipStream_tbDpT10_ENKUlT_T0_E_clISt17integral_constantIbLb1EES16_IbLb0EEEEDaS12_S13_EUlS12_E_NS1_11comp_targetILNS1_3genE2ELNS1_11target_archE906ELNS1_3gpuE6ELNS1_3repE0EEENS1_30default_config_static_selectorELNS0_4arch9wavefront6targetE1EEEvT1_,@function
_ZN7rocprim17ROCPRIM_400000_NS6detail17trampoline_kernelINS0_14default_configENS1_25partition_config_selectorILNS1_17partition_subalgoE8EtNS0_10empty_typeEbEEZZNS1_14partition_implILS5_8ELb0ES3_jPKtPS6_PKS6_NS0_5tupleIJPtS6_EEENSE_IJSB_SB_EEENS0_18inequality_wrapperIN6hipcub16HIPCUB_304000_NS8EqualityEEEPlJS6_EEE10hipError_tPvRmT3_T4_T5_T6_T7_T9_mT8_P12ihipStream_tbDpT10_ENKUlT_T0_E_clISt17integral_constantIbLb1EES16_IbLb0EEEEDaS12_S13_EUlS12_E_NS1_11comp_targetILNS1_3genE2ELNS1_11target_archE906ELNS1_3gpuE6ELNS1_3repE0EEENS1_30default_config_static_selectorELNS0_4arch9wavefront6targetE1EEEvT1_: ; @_ZN7rocprim17ROCPRIM_400000_NS6detail17trampoline_kernelINS0_14default_configENS1_25partition_config_selectorILNS1_17partition_subalgoE8EtNS0_10empty_typeEbEEZZNS1_14partition_implILS5_8ELb0ES3_jPKtPS6_PKS6_NS0_5tupleIJPtS6_EEENSE_IJSB_SB_EEENS0_18inequality_wrapperIN6hipcub16HIPCUB_304000_NS8EqualityEEEPlJS6_EEE10hipError_tPvRmT3_T4_T5_T6_T7_T9_mT8_P12ihipStream_tbDpT10_ENKUlT_T0_E_clISt17integral_constantIbLb1EES16_IbLb0EEEEDaS12_S13_EUlS12_E_NS1_11comp_targetILNS1_3genE2ELNS1_11target_archE906ELNS1_3gpuE6ELNS1_3repE0EEENS1_30default_config_static_selectorELNS0_4arch9wavefront6targetE1EEEvT1_
; %bb.0:
	.section	.rodata,"a",@progbits
	.p2align	6, 0x0
	.amdhsa_kernel _ZN7rocprim17ROCPRIM_400000_NS6detail17trampoline_kernelINS0_14default_configENS1_25partition_config_selectorILNS1_17partition_subalgoE8EtNS0_10empty_typeEbEEZZNS1_14partition_implILS5_8ELb0ES3_jPKtPS6_PKS6_NS0_5tupleIJPtS6_EEENSE_IJSB_SB_EEENS0_18inequality_wrapperIN6hipcub16HIPCUB_304000_NS8EqualityEEEPlJS6_EEE10hipError_tPvRmT3_T4_T5_T6_T7_T9_mT8_P12ihipStream_tbDpT10_ENKUlT_T0_E_clISt17integral_constantIbLb1EES16_IbLb0EEEEDaS12_S13_EUlS12_E_NS1_11comp_targetILNS1_3genE2ELNS1_11target_archE906ELNS1_3gpuE6ELNS1_3repE0EEENS1_30default_config_static_selectorELNS0_4arch9wavefront6targetE1EEEvT1_
		.amdhsa_group_segment_fixed_size 0
		.amdhsa_private_segment_fixed_size 0
		.amdhsa_kernarg_size 112
		.amdhsa_user_sgpr_count 2
		.amdhsa_user_sgpr_dispatch_ptr 0
		.amdhsa_user_sgpr_queue_ptr 0
		.amdhsa_user_sgpr_kernarg_segment_ptr 1
		.amdhsa_user_sgpr_dispatch_id 0
		.amdhsa_user_sgpr_kernarg_preload_length 0
		.amdhsa_user_sgpr_kernarg_preload_offset 0
		.amdhsa_user_sgpr_private_segment_size 0
		.amdhsa_uses_dynamic_stack 0
		.amdhsa_enable_private_segment 0
		.amdhsa_system_sgpr_workgroup_id_x 1
		.amdhsa_system_sgpr_workgroup_id_y 0
		.amdhsa_system_sgpr_workgroup_id_z 0
		.amdhsa_system_sgpr_workgroup_info 0
		.amdhsa_system_vgpr_workitem_id 0
		.amdhsa_next_free_vgpr 1
		.amdhsa_next_free_sgpr 0
		.amdhsa_accum_offset 4
		.amdhsa_reserve_vcc 0
		.amdhsa_float_round_mode_32 0
		.amdhsa_float_round_mode_16_64 0
		.amdhsa_float_denorm_mode_32 3
		.amdhsa_float_denorm_mode_16_64 3
		.amdhsa_dx10_clamp 1
		.amdhsa_ieee_mode 1
		.amdhsa_fp16_overflow 0
		.amdhsa_tg_split 0
		.amdhsa_exception_fp_ieee_invalid_op 0
		.amdhsa_exception_fp_denorm_src 0
		.amdhsa_exception_fp_ieee_div_zero 0
		.amdhsa_exception_fp_ieee_overflow 0
		.amdhsa_exception_fp_ieee_underflow 0
		.amdhsa_exception_fp_ieee_inexact 0
		.amdhsa_exception_int_div_zero 0
	.end_amdhsa_kernel
	.section	.text._ZN7rocprim17ROCPRIM_400000_NS6detail17trampoline_kernelINS0_14default_configENS1_25partition_config_selectorILNS1_17partition_subalgoE8EtNS0_10empty_typeEbEEZZNS1_14partition_implILS5_8ELb0ES3_jPKtPS6_PKS6_NS0_5tupleIJPtS6_EEENSE_IJSB_SB_EEENS0_18inequality_wrapperIN6hipcub16HIPCUB_304000_NS8EqualityEEEPlJS6_EEE10hipError_tPvRmT3_T4_T5_T6_T7_T9_mT8_P12ihipStream_tbDpT10_ENKUlT_T0_E_clISt17integral_constantIbLb1EES16_IbLb0EEEEDaS12_S13_EUlS12_E_NS1_11comp_targetILNS1_3genE2ELNS1_11target_archE906ELNS1_3gpuE6ELNS1_3repE0EEENS1_30default_config_static_selectorELNS0_4arch9wavefront6targetE1EEEvT1_,"axG",@progbits,_ZN7rocprim17ROCPRIM_400000_NS6detail17trampoline_kernelINS0_14default_configENS1_25partition_config_selectorILNS1_17partition_subalgoE8EtNS0_10empty_typeEbEEZZNS1_14partition_implILS5_8ELb0ES3_jPKtPS6_PKS6_NS0_5tupleIJPtS6_EEENSE_IJSB_SB_EEENS0_18inequality_wrapperIN6hipcub16HIPCUB_304000_NS8EqualityEEEPlJS6_EEE10hipError_tPvRmT3_T4_T5_T6_T7_T9_mT8_P12ihipStream_tbDpT10_ENKUlT_T0_E_clISt17integral_constantIbLb1EES16_IbLb0EEEEDaS12_S13_EUlS12_E_NS1_11comp_targetILNS1_3genE2ELNS1_11target_archE906ELNS1_3gpuE6ELNS1_3repE0EEENS1_30default_config_static_selectorELNS0_4arch9wavefront6targetE1EEEvT1_,comdat
.Lfunc_end775:
	.size	_ZN7rocprim17ROCPRIM_400000_NS6detail17trampoline_kernelINS0_14default_configENS1_25partition_config_selectorILNS1_17partition_subalgoE8EtNS0_10empty_typeEbEEZZNS1_14partition_implILS5_8ELb0ES3_jPKtPS6_PKS6_NS0_5tupleIJPtS6_EEENSE_IJSB_SB_EEENS0_18inequality_wrapperIN6hipcub16HIPCUB_304000_NS8EqualityEEEPlJS6_EEE10hipError_tPvRmT3_T4_T5_T6_T7_T9_mT8_P12ihipStream_tbDpT10_ENKUlT_T0_E_clISt17integral_constantIbLb1EES16_IbLb0EEEEDaS12_S13_EUlS12_E_NS1_11comp_targetILNS1_3genE2ELNS1_11target_archE906ELNS1_3gpuE6ELNS1_3repE0EEENS1_30default_config_static_selectorELNS0_4arch9wavefront6targetE1EEEvT1_, .Lfunc_end775-_ZN7rocprim17ROCPRIM_400000_NS6detail17trampoline_kernelINS0_14default_configENS1_25partition_config_selectorILNS1_17partition_subalgoE8EtNS0_10empty_typeEbEEZZNS1_14partition_implILS5_8ELb0ES3_jPKtPS6_PKS6_NS0_5tupleIJPtS6_EEENSE_IJSB_SB_EEENS0_18inequality_wrapperIN6hipcub16HIPCUB_304000_NS8EqualityEEEPlJS6_EEE10hipError_tPvRmT3_T4_T5_T6_T7_T9_mT8_P12ihipStream_tbDpT10_ENKUlT_T0_E_clISt17integral_constantIbLb1EES16_IbLb0EEEEDaS12_S13_EUlS12_E_NS1_11comp_targetILNS1_3genE2ELNS1_11target_archE906ELNS1_3gpuE6ELNS1_3repE0EEENS1_30default_config_static_selectorELNS0_4arch9wavefront6targetE1EEEvT1_
                                        ; -- End function
	.section	.AMDGPU.csdata,"",@progbits
; Kernel info:
; codeLenInByte = 0
; NumSgprs: 6
; NumVgprs: 0
; NumAgprs: 0
; TotalNumVgprs: 0
; ScratchSize: 0
; MemoryBound: 0
; FloatMode: 240
; IeeeMode: 1
; LDSByteSize: 0 bytes/workgroup (compile time only)
; SGPRBlocks: 0
; VGPRBlocks: 0
; NumSGPRsForWavesPerEU: 6
; NumVGPRsForWavesPerEU: 1
; AccumOffset: 4
; Occupancy: 8
; WaveLimiterHint : 0
; COMPUTE_PGM_RSRC2:SCRATCH_EN: 0
; COMPUTE_PGM_RSRC2:USER_SGPR: 2
; COMPUTE_PGM_RSRC2:TRAP_HANDLER: 0
; COMPUTE_PGM_RSRC2:TGID_X_EN: 1
; COMPUTE_PGM_RSRC2:TGID_Y_EN: 0
; COMPUTE_PGM_RSRC2:TGID_Z_EN: 0
; COMPUTE_PGM_RSRC2:TIDIG_COMP_CNT: 0
; COMPUTE_PGM_RSRC3_GFX90A:ACCUM_OFFSET: 0
; COMPUTE_PGM_RSRC3_GFX90A:TG_SPLIT: 0
	.section	.text._ZN7rocprim17ROCPRIM_400000_NS6detail17trampoline_kernelINS0_14default_configENS1_25partition_config_selectorILNS1_17partition_subalgoE8EtNS0_10empty_typeEbEEZZNS1_14partition_implILS5_8ELb0ES3_jPKtPS6_PKS6_NS0_5tupleIJPtS6_EEENSE_IJSB_SB_EEENS0_18inequality_wrapperIN6hipcub16HIPCUB_304000_NS8EqualityEEEPlJS6_EEE10hipError_tPvRmT3_T4_T5_T6_T7_T9_mT8_P12ihipStream_tbDpT10_ENKUlT_T0_E_clISt17integral_constantIbLb1EES16_IbLb0EEEEDaS12_S13_EUlS12_E_NS1_11comp_targetILNS1_3genE10ELNS1_11target_archE1200ELNS1_3gpuE4ELNS1_3repE0EEENS1_30default_config_static_selectorELNS0_4arch9wavefront6targetE1EEEvT1_,"axG",@progbits,_ZN7rocprim17ROCPRIM_400000_NS6detail17trampoline_kernelINS0_14default_configENS1_25partition_config_selectorILNS1_17partition_subalgoE8EtNS0_10empty_typeEbEEZZNS1_14partition_implILS5_8ELb0ES3_jPKtPS6_PKS6_NS0_5tupleIJPtS6_EEENSE_IJSB_SB_EEENS0_18inequality_wrapperIN6hipcub16HIPCUB_304000_NS8EqualityEEEPlJS6_EEE10hipError_tPvRmT3_T4_T5_T6_T7_T9_mT8_P12ihipStream_tbDpT10_ENKUlT_T0_E_clISt17integral_constantIbLb1EES16_IbLb0EEEEDaS12_S13_EUlS12_E_NS1_11comp_targetILNS1_3genE10ELNS1_11target_archE1200ELNS1_3gpuE4ELNS1_3repE0EEENS1_30default_config_static_selectorELNS0_4arch9wavefront6targetE1EEEvT1_,comdat
	.protected	_ZN7rocprim17ROCPRIM_400000_NS6detail17trampoline_kernelINS0_14default_configENS1_25partition_config_selectorILNS1_17partition_subalgoE8EtNS0_10empty_typeEbEEZZNS1_14partition_implILS5_8ELb0ES3_jPKtPS6_PKS6_NS0_5tupleIJPtS6_EEENSE_IJSB_SB_EEENS0_18inequality_wrapperIN6hipcub16HIPCUB_304000_NS8EqualityEEEPlJS6_EEE10hipError_tPvRmT3_T4_T5_T6_T7_T9_mT8_P12ihipStream_tbDpT10_ENKUlT_T0_E_clISt17integral_constantIbLb1EES16_IbLb0EEEEDaS12_S13_EUlS12_E_NS1_11comp_targetILNS1_3genE10ELNS1_11target_archE1200ELNS1_3gpuE4ELNS1_3repE0EEENS1_30default_config_static_selectorELNS0_4arch9wavefront6targetE1EEEvT1_ ; -- Begin function _ZN7rocprim17ROCPRIM_400000_NS6detail17trampoline_kernelINS0_14default_configENS1_25partition_config_selectorILNS1_17partition_subalgoE8EtNS0_10empty_typeEbEEZZNS1_14partition_implILS5_8ELb0ES3_jPKtPS6_PKS6_NS0_5tupleIJPtS6_EEENSE_IJSB_SB_EEENS0_18inequality_wrapperIN6hipcub16HIPCUB_304000_NS8EqualityEEEPlJS6_EEE10hipError_tPvRmT3_T4_T5_T6_T7_T9_mT8_P12ihipStream_tbDpT10_ENKUlT_T0_E_clISt17integral_constantIbLb1EES16_IbLb0EEEEDaS12_S13_EUlS12_E_NS1_11comp_targetILNS1_3genE10ELNS1_11target_archE1200ELNS1_3gpuE4ELNS1_3repE0EEENS1_30default_config_static_selectorELNS0_4arch9wavefront6targetE1EEEvT1_
	.globl	_ZN7rocprim17ROCPRIM_400000_NS6detail17trampoline_kernelINS0_14default_configENS1_25partition_config_selectorILNS1_17partition_subalgoE8EtNS0_10empty_typeEbEEZZNS1_14partition_implILS5_8ELb0ES3_jPKtPS6_PKS6_NS0_5tupleIJPtS6_EEENSE_IJSB_SB_EEENS0_18inequality_wrapperIN6hipcub16HIPCUB_304000_NS8EqualityEEEPlJS6_EEE10hipError_tPvRmT3_T4_T5_T6_T7_T9_mT8_P12ihipStream_tbDpT10_ENKUlT_T0_E_clISt17integral_constantIbLb1EES16_IbLb0EEEEDaS12_S13_EUlS12_E_NS1_11comp_targetILNS1_3genE10ELNS1_11target_archE1200ELNS1_3gpuE4ELNS1_3repE0EEENS1_30default_config_static_selectorELNS0_4arch9wavefront6targetE1EEEvT1_
	.p2align	8
	.type	_ZN7rocprim17ROCPRIM_400000_NS6detail17trampoline_kernelINS0_14default_configENS1_25partition_config_selectorILNS1_17partition_subalgoE8EtNS0_10empty_typeEbEEZZNS1_14partition_implILS5_8ELb0ES3_jPKtPS6_PKS6_NS0_5tupleIJPtS6_EEENSE_IJSB_SB_EEENS0_18inequality_wrapperIN6hipcub16HIPCUB_304000_NS8EqualityEEEPlJS6_EEE10hipError_tPvRmT3_T4_T5_T6_T7_T9_mT8_P12ihipStream_tbDpT10_ENKUlT_T0_E_clISt17integral_constantIbLb1EES16_IbLb0EEEEDaS12_S13_EUlS12_E_NS1_11comp_targetILNS1_3genE10ELNS1_11target_archE1200ELNS1_3gpuE4ELNS1_3repE0EEENS1_30default_config_static_selectorELNS0_4arch9wavefront6targetE1EEEvT1_,@function
_ZN7rocprim17ROCPRIM_400000_NS6detail17trampoline_kernelINS0_14default_configENS1_25partition_config_selectorILNS1_17partition_subalgoE8EtNS0_10empty_typeEbEEZZNS1_14partition_implILS5_8ELb0ES3_jPKtPS6_PKS6_NS0_5tupleIJPtS6_EEENSE_IJSB_SB_EEENS0_18inequality_wrapperIN6hipcub16HIPCUB_304000_NS8EqualityEEEPlJS6_EEE10hipError_tPvRmT3_T4_T5_T6_T7_T9_mT8_P12ihipStream_tbDpT10_ENKUlT_T0_E_clISt17integral_constantIbLb1EES16_IbLb0EEEEDaS12_S13_EUlS12_E_NS1_11comp_targetILNS1_3genE10ELNS1_11target_archE1200ELNS1_3gpuE4ELNS1_3repE0EEENS1_30default_config_static_selectorELNS0_4arch9wavefront6targetE1EEEvT1_: ; @_ZN7rocprim17ROCPRIM_400000_NS6detail17trampoline_kernelINS0_14default_configENS1_25partition_config_selectorILNS1_17partition_subalgoE8EtNS0_10empty_typeEbEEZZNS1_14partition_implILS5_8ELb0ES3_jPKtPS6_PKS6_NS0_5tupleIJPtS6_EEENSE_IJSB_SB_EEENS0_18inequality_wrapperIN6hipcub16HIPCUB_304000_NS8EqualityEEEPlJS6_EEE10hipError_tPvRmT3_T4_T5_T6_T7_T9_mT8_P12ihipStream_tbDpT10_ENKUlT_T0_E_clISt17integral_constantIbLb1EES16_IbLb0EEEEDaS12_S13_EUlS12_E_NS1_11comp_targetILNS1_3genE10ELNS1_11target_archE1200ELNS1_3gpuE4ELNS1_3repE0EEENS1_30default_config_static_selectorELNS0_4arch9wavefront6targetE1EEEvT1_
; %bb.0:
	.section	.rodata,"a",@progbits
	.p2align	6, 0x0
	.amdhsa_kernel _ZN7rocprim17ROCPRIM_400000_NS6detail17trampoline_kernelINS0_14default_configENS1_25partition_config_selectorILNS1_17partition_subalgoE8EtNS0_10empty_typeEbEEZZNS1_14partition_implILS5_8ELb0ES3_jPKtPS6_PKS6_NS0_5tupleIJPtS6_EEENSE_IJSB_SB_EEENS0_18inequality_wrapperIN6hipcub16HIPCUB_304000_NS8EqualityEEEPlJS6_EEE10hipError_tPvRmT3_T4_T5_T6_T7_T9_mT8_P12ihipStream_tbDpT10_ENKUlT_T0_E_clISt17integral_constantIbLb1EES16_IbLb0EEEEDaS12_S13_EUlS12_E_NS1_11comp_targetILNS1_3genE10ELNS1_11target_archE1200ELNS1_3gpuE4ELNS1_3repE0EEENS1_30default_config_static_selectorELNS0_4arch9wavefront6targetE1EEEvT1_
		.amdhsa_group_segment_fixed_size 0
		.amdhsa_private_segment_fixed_size 0
		.amdhsa_kernarg_size 112
		.amdhsa_user_sgpr_count 2
		.amdhsa_user_sgpr_dispatch_ptr 0
		.amdhsa_user_sgpr_queue_ptr 0
		.amdhsa_user_sgpr_kernarg_segment_ptr 1
		.amdhsa_user_sgpr_dispatch_id 0
		.amdhsa_user_sgpr_kernarg_preload_length 0
		.amdhsa_user_sgpr_kernarg_preload_offset 0
		.amdhsa_user_sgpr_private_segment_size 0
		.amdhsa_uses_dynamic_stack 0
		.amdhsa_enable_private_segment 0
		.amdhsa_system_sgpr_workgroup_id_x 1
		.amdhsa_system_sgpr_workgroup_id_y 0
		.amdhsa_system_sgpr_workgroup_id_z 0
		.amdhsa_system_sgpr_workgroup_info 0
		.amdhsa_system_vgpr_workitem_id 0
		.amdhsa_next_free_vgpr 1
		.amdhsa_next_free_sgpr 0
		.amdhsa_accum_offset 4
		.amdhsa_reserve_vcc 0
		.amdhsa_float_round_mode_32 0
		.amdhsa_float_round_mode_16_64 0
		.amdhsa_float_denorm_mode_32 3
		.amdhsa_float_denorm_mode_16_64 3
		.amdhsa_dx10_clamp 1
		.amdhsa_ieee_mode 1
		.amdhsa_fp16_overflow 0
		.amdhsa_tg_split 0
		.amdhsa_exception_fp_ieee_invalid_op 0
		.amdhsa_exception_fp_denorm_src 0
		.amdhsa_exception_fp_ieee_div_zero 0
		.amdhsa_exception_fp_ieee_overflow 0
		.amdhsa_exception_fp_ieee_underflow 0
		.amdhsa_exception_fp_ieee_inexact 0
		.amdhsa_exception_int_div_zero 0
	.end_amdhsa_kernel
	.section	.text._ZN7rocprim17ROCPRIM_400000_NS6detail17trampoline_kernelINS0_14default_configENS1_25partition_config_selectorILNS1_17partition_subalgoE8EtNS0_10empty_typeEbEEZZNS1_14partition_implILS5_8ELb0ES3_jPKtPS6_PKS6_NS0_5tupleIJPtS6_EEENSE_IJSB_SB_EEENS0_18inequality_wrapperIN6hipcub16HIPCUB_304000_NS8EqualityEEEPlJS6_EEE10hipError_tPvRmT3_T4_T5_T6_T7_T9_mT8_P12ihipStream_tbDpT10_ENKUlT_T0_E_clISt17integral_constantIbLb1EES16_IbLb0EEEEDaS12_S13_EUlS12_E_NS1_11comp_targetILNS1_3genE10ELNS1_11target_archE1200ELNS1_3gpuE4ELNS1_3repE0EEENS1_30default_config_static_selectorELNS0_4arch9wavefront6targetE1EEEvT1_,"axG",@progbits,_ZN7rocprim17ROCPRIM_400000_NS6detail17trampoline_kernelINS0_14default_configENS1_25partition_config_selectorILNS1_17partition_subalgoE8EtNS0_10empty_typeEbEEZZNS1_14partition_implILS5_8ELb0ES3_jPKtPS6_PKS6_NS0_5tupleIJPtS6_EEENSE_IJSB_SB_EEENS0_18inequality_wrapperIN6hipcub16HIPCUB_304000_NS8EqualityEEEPlJS6_EEE10hipError_tPvRmT3_T4_T5_T6_T7_T9_mT8_P12ihipStream_tbDpT10_ENKUlT_T0_E_clISt17integral_constantIbLb1EES16_IbLb0EEEEDaS12_S13_EUlS12_E_NS1_11comp_targetILNS1_3genE10ELNS1_11target_archE1200ELNS1_3gpuE4ELNS1_3repE0EEENS1_30default_config_static_selectorELNS0_4arch9wavefront6targetE1EEEvT1_,comdat
.Lfunc_end776:
	.size	_ZN7rocprim17ROCPRIM_400000_NS6detail17trampoline_kernelINS0_14default_configENS1_25partition_config_selectorILNS1_17partition_subalgoE8EtNS0_10empty_typeEbEEZZNS1_14partition_implILS5_8ELb0ES3_jPKtPS6_PKS6_NS0_5tupleIJPtS6_EEENSE_IJSB_SB_EEENS0_18inequality_wrapperIN6hipcub16HIPCUB_304000_NS8EqualityEEEPlJS6_EEE10hipError_tPvRmT3_T4_T5_T6_T7_T9_mT8_P12ihipStream_tbDpT10_ENKUlT_T0_E_clISt17integral_constantIbLb1EES16_IbLb0EEEEDaS12_S13_EUlS12_E_NS1_11comp_targetILNS1_3genE10ELNS1_11target_archE1200ELNS1_3gpuE4ELNS1_3repE0EEENS1_30default_config_static_selectorELNS0_4arch9wavefront6targetE1EEEvT1_, .Lfunc_end776-_ZN7rocprim17ROCPRIM_400000_NS6detail17trampoline_kernelINS0_14default_configENS1_25partition_config_selectorILNS1_17partition_subalgoE8EtNS0_10empty_typeEbEEZZNS1_14partition_implILS5_8ELb0ES3_jPKtPS6_PKS6_NS0_5tupleIJPtS6_EEENSE_IJSB_SB_EEENS0_18inequality_wrapperIN6hipcub16HIPCUB_304000_NS8EqualityEEEPlJS6_EEE10hipError_tPvRmT3_T4_T5_T6_T7_T9_mT8_P12ihipStream_tbDpT10_ENKUlT_T0_E_clISt17integral_constantIbLb1EES16_IbLb0EEEEDaS12_S13_EUlS12_E_NS1_11comp_targetILNS1_3genE10ELNS1_11target_archE1200ELNS1_3gpuE4ELNS1_3repE0EEENS1_30default_config_static_selectorELNS0_4arch9wavefront6targetE1EEEvT1_
                                        ; -- End function
	.section	.AMDGPU.csdata,"",@progbits
; Kernel info:
; codeLenInByte = 0
; NumSgprs: 6
; NumVgprs: 0
; NumAgprs: 0
; TotalNumVgprs: 0
; ScratchSize: 0
; MemoryBound: 0
; FloatMode: 240
; IeeeMode: 1
; LDSByteSize: 0 bytes/workgroup (compile time only)
; SGPRBlocks: 0
; VGPRBlocks: 0
; NumSGPRsForWavesPerEU: 6
; NumVGPRsForWavesPerEU: 1
; AccumOffset: 4
; Occupancy: 8
; WaveLimiterHint : 0
; COMPUTE_PGM_RSRC2:SCRATCH_EN: 0
; COMPUTE_PGM_RSRC2:USER_SGPR: 2
; COMPUTE_PGM_RSRC2:TRAP_HANDLER: 0
; COMPUTE_PGM_RSRC2:TGID_X_EN: 1
; COMPUTE_PGM_RSRC2:TGID_Y_EN: 0
; COMPUTE_PGM_RSRC2:TGID_Z_EN: 0
; COMPUTE_PGM_RSRC2:TIDIG_COMP_CNT: 0
; COMPUTE_PGM_RSRC3_GFX90A:ACCUM_OFFSET: 0
; COMPUTE_PGM_RSRC3_GFX90A:TG_SPLIT: 0
	.section	.text._ZN7rocprim17ROCPRIM_400000_NS6detail17trampoline_kernelINS0_14default_configENS1_25partition_config_selectorILNS1_17partition_subalgoE8EtNS0_10empty_typeEbEEZZNS1_14partition_implILS5_8ELb0ES3_jPKtPS6_PKS6_NS0_5tupleIJPtS6_EEENSE_IJSB_SB_EEENS0_18inequality_wrapperIN6hipcub16HIPCUB_304000_NS8EqualityEEEPlJS6_EEE10hipError_tPvRmT3_T4_T5_T6_T7_T9_mT8_P12ihipStream_tbDpT10_ENKUlT_T0_E_clISt17integral_constantIbLb1EES16_IbLb0EEEEDaS12_S13_EUlS12_E_NS1_11comp_targetILNS1_3genE9ELNS1_11target_archE1100ELNS1_3gpuE3ELNS1_3repE0EEENS1_30default_config_static_selectorELNS0_4arch9wavefront6targetE1EEEvT1_,"axG",@progbits,_ZN7rocprim17ROCPRIM_400000_NS6detail17trampoline_kernelINS0_14default_configENS1_25partition_config_selectorILNS1_17partition_subalgoE8EtNS0_10empty_typeEbEEZZNS1_14partition_implILS5_8ELb0ES3_jPKtPS6_PKS6_NS0_5tupleIJPtS6_EEENSE_IJSB_SB_EEENS0_18inequality_wrapperIN6hipcub16HIPCUB_304000_NS8EqualityEEEPlJS6_EEE10hipError_tPvRmT3_T4_T5_T6_T7_T9_mT8_P12ihipStream_tbDpT10_ENKUlT_T0_E_clISt17integral_constantIbLb1EES16_IbLb0EEEEDaS12_S13_EUlS12_E_NS1_11comp_targetILNS1_3genE9ELNS1_11target_archE1100ELNS1_3gpuE3ELNS1_3repE0EEENS1_30default_config_static_selectorELNS0_4arch9wavefront6targetE1EEEvT1_,comdat
	.protected	_ZN7rocprim17ROCPRIM_400000_NS6detail17trampoline_kernelINS0_14default_configENS1_25partition_config_selectorILNS1_17partition_subalgoE8EtNS0_10empty_typeEbEEZZNS1_14partition_implILS5_8ELb0ES3_jPKtPS6_PKS6_NS0_5tupleIJPtS6_EEENSE_IJSB_SB_EEENS0_18inequality_wrapperIN6hipcub16HIPCUB_304000_NS8EqualityEEEPlJS6_EEE10hipError_tPvRmT3_T4_T5_T6_T7_T9_mT8_P12ihipStream_tbDpT10_ENKUlT_T0_E_clISt17integral_constantIbLb1EES16_IbLb0EEEEDaS12_S13_EUlS12_E_NS1_11comp_targetILNS1_3genE9ELNS1_11target_archE1100ELNS1_3gpuE3ELNS1_3repE0EEENS1_30default_config_static_selectorELNS0_4arch9wavefront6targetE1EEEvT1_ ; -- Begin function _ZN7rocprim17ROCPRIM_400000_NS6detail17trampoline_kernelINS0_14default_configENS1_25partition_config_selectorILNS1_17partition_subalgoE8EtNS0_10empty_typeEbEEZZNS1_14partition_implILS5_8ELb0ES3_jPKtPS6_PKS6_NS0_5tupleIJPtS6_EEENSE_IJSB_SB_EEENS0_18inequality_wrapperIN6hipcub16HIPCUB_304000_NS8EqualityEEEPlJS6_EEE10hipError_tPvRmT3_T4_T5_T6_T7_T9_mT8_P12ihipStream_tbDpT10_ENKUlT_T0_E_clISt17integral_constantIbLb1EES16_IbLb0EEEEDaS12_S13_EUlS12_E_NS1_11comp_targetILNS1_3genE9ELNS1_11target_archE1100ELNS1_3gpuE3ELNS1_3repE0EEENS1_30default_config_static_selectorELNS0_4arch9wavefront6targetE1EEEvT1_
	.globl	_ZN7rocprim17ROCPRIM_400000_NS6detail17trampoline_kernelINS0_14default_configENS1_25partition_config_selectorILNS1_17partition_subalgoE8EtNS0_10empty_typeEbEEZZNS1_14partition_implILS5_8ELb0ES3_jPKtPS6_PKS6_NS0_5tupleIJPtS6_EEENSE_IJSB_SB_EEENS0_18inequality_wrapperIN6hipcub16HIPCUB_304000_NS8EqualityEEEPlJS6_EEE10hipError_tPvRmT3_T4_T5_T6_T7_T9_mT8_P12ihipStream_tbDpT10_ENKUlT_T0_E_clISt17integral_constantIbLb1EES16_IbLb0EEEEDaS12_S13_EUlS12_E_NS1_11comp_targetILNS1_3genE9ELNS1_11target_archE1100ELNS1_3gpuE3ELNS1_3repE0EEENS1_30default_config_static_selectorELNS0_4arch9wavefront6targetE1EEEvT1_
	.p2align	8
	.type	_ZN7rocprim17ROCPRIM_400000_NS6detail17trampoline_kernelINS0_14default_configENS1_25partition_config_selectorILNS1_17partition_subalgoE8EtNS0_10empty_typeEbEEZZNS1_14partition_implILS5_8ELb0ES3_jPKtPS6_PKS6_NS0_5tupleIJPtS6_EEENSE_IJSB_SB_EEENS0_18inequality_wrapperIN6hipcub16HIPCUB_304000_NS8EqualityEEEPlJS6_EEE10hipError_tPvRmT3_T4_T5_T6_T7_T9_mT8_P12ihipStream_tbDpT10_ENKUlT_T0_E_clISt17integral_constantIbLb1EES16_IbLb0EEEEDaS12_S13_EUlS12_E_NS1_11comp_targetILNS1_3genE9ELNS1_11target_archE1100ELNS1_3gpuE3ELNS1_3repE0EEENS1_30default_config_static_selectorELNS0_4arch9wavefront6targetE1EEEvT1_,@function
_ZN7rocprim17ROCPRIM_400000_NS6detail17trampoline_kernelINS0_14default_configENS1_25partition_config_selectorILNS1_17partition_subalgoE8EtNS0_10empty_typeEbEEZZNS1_14partition_implILS5_8ELb0ES3_jPKtPS6_PKS6_NS0_5tupleIJPtS6_EEENSE_IJSB_SB_EEENS0_18inequality_wrapperIN6hipcub16HIPCUB_304000_NS8EqualityEEEPlJS6_EEE10hipError_tPvRmT3_T4_T5_T6_T7_T9_mT8_P12ihipStream_tbDpT10_ENKUlT_T0_E_clISt17integral_constantIbLb1EES16_IbLb0EEEEDaS12_S13_EUlS12_E_NS1_11comp_targetILNS1_3genE9ELNS1_11target_archE1100ELNS1_3gpuE3ELNS1_3repE0EEENS1_30default_config_static_selectorELNS0_4arch9wavefront6targetE1EEEvT1_: ; @_ZN7rocprim17ROCPRIM_400000_NS6detail17trampoline_kernelINS0_14default_configENS1_25partition_config_selectorILNS1_17partition_subalgoE8EtNS0_10empty_typeEbEEZZNS1_14partition_implILS5_8ELb0ES3_jPKtPS6_PKS6_NS0_5tupleIJPtS6_EEENSE_IJSB_SB_EEENS0_18inequality_wrapperIN6hipcub16HIPCUB_304000_NS8EqualityEEEPlJS6_EEE10hipError_tPvRmT3_T4_T5_T6_T7_T9_mT8_P12ihipStream_tbDpT10_ENKUlT_T0_E_clISt17integral_constantIbLb1EES16_IbLb0EEEEDaS12_S13_EUlS12_E_NS1_11comp_targetILNS1_3genE9ELNS1_11target_archE1100ELNS1_3gpuE3ELNS1_3repE0EEENS1_30default_config_static_selectorELNS0_4arch9wavefront6targetE1EEEvT1_
; %bb.0:
	.section	.rodata,"a",@progbits
	.p2align	6, 0x0
	.amdhsa_kernel _ZN7rocprim17ROCPRIM_400000_NS6detail17trampoline_kernelINS0_14default_configENS1_25partition_config_selectorILNS1_17partition_subalgoE8EtNS0_10empty_typeEbEEZZNS1_14partition_implILS5_8ELb0ES3_jPKtPS6_PKS6_NS0_5tupleIJPtS6_EEENSE_IJSB_SB_EEENS0_18inequality_wrapperIN6hipcub16HIPCUB_304000_NS8EqualityEEEPlJS6_EEE10hipError_tPvRmT3_T4_T5_T6_T7_T9_mT8_P12ihipStream_tbDpT10_ENKUlT_T0_E_clISt17integral_constantIbLb1EES16_IbLb0EEEEDaS12_S13_EUlS12_E_NS1_11comp_targetILNS1_3genE9ELNS1_11target_archE1100ELNS1_3gpuE3ELNS1_3repE0EEENS1_30default_config_static_selectorELNS0_4arch9wavefront6targetE1EEEvT1_
		.amdhsa_group_segment_fixed_size 0
		.amdhsa_private_segment_fixed_size 0
		.amdhsa_kernarg_size 112
		.amdhsa_user_sgpr_count 2
		.amdhsa_user_sgpr_dispatch_ptr 0
		.amdhsa_user_sgpr_queue_ptr 0
		.amdhsa_user_sgpr_kernarg_segment_ptr 1
		.amdhsa_user_sgpr_dispatch_id 0
		.amdhsa_user_sgpr_kernarg_preload_length 0
		.amdhsa_user_sgpr_kernarg_preload_offset 0
		.amdhsa_user_sgpr_private_segment_size 0
		.amdhsa_uses_dynamic_stack 0
		.amdhsa_enable_private_segment 0
		.amdhsa_system_sgpr_workgroup_id_x 1
		.amdhsa_system_sgpr_workgroup_id_y 0
		.amdhsa_system_sgpr_workgroup_id_z 0
		.amdhsa_system_sgpr_workgroup_info 0
		.amdhsa_system_vgpr_workitem_id 0
		.amdhsa_next_free_vgpr 1
		.amdhsa_next_free_sgpr 0
		.amdhsa_accum_offset 4
		.amdhsa_reserve_vcc 0
		.amdhsa_float_round_mode_32 0
		.amdhsa_float_round_mode_16_64 0
		.amdhsa_float_denorm_mode_32 3
		.amdhsa_float_denorm_mode_16_64 3
		.amdhsa_dx10_clamp 1
		.amdhsa_ieee_mode 1
		.amdhsa_fp16_overflow 0
		.amdhsa_tg_split 0
		.amdhsa_exception_fp_ieee_invalid_op 0
		.amdhsa_exception_fp_denorm_src 0
		.amdhsa_exception_fp_ieee_div_zero 0
		.amdhsa_exception_fp_ieee_overflow 0
		.amdhsa_exception_fp_ieee_underflow 0
		.amdhsa_exception_fp_ieee_inexact 0
		.amdhsa_exception_int_div_zero 0
	.end_amdhsa_kernel
	.section	.text._ZN7rocprim17ROCPRIM_400000_NS6detail17trampoline_kernelINS0_14default_configENS1_25partition_config_selectorILNS1_17partition_subalgoE8EtNS0_10empty_typeEbEEZZNS1_14partition_implILS5_8ELb0ES3_jPKtPS6_PKS6_NS0_5tupleIJPtS6_EEENSE_IJSB_SB_EEENS0_18inequality_wrapperIN6hipcub16HIPCUB_304000_NS8EqualityEEEPlJS6_EEE10hipError_tPvRmT3_T4_T5_T6_T7_T9_mT8_P12ihipStream_tbDpT10_ENKUlT_T0_E_clISt17integral_constantIbLb1EES16_IbLb0EEEEDaS12_S13_EUlS12_E_NS1_11comp_targetILNS1_3genE9ELNS1_11target_archE1100ELNS1_3gpuE3ELNS1_3repE0EEENS1_30default_config_static_selectorELNS0_4arch9wavefront6targetE1EEEvT1_,"axG",@progbits,_ZN7rocprim17ROCPRIM_400000_NS6detail17trampoline_kernelINS0_14default_configENS1_25partition_config_selectorILNS1_17partition_subalgoE8EtNS0_10empty_typeEbEEZZNS1_14partition_implILS5_8ELb0ES3_jPKtPS6_PKS6_NS0_5tupleIJPtS6_EEENSE_IJSB_SB_EEENS0_18inequality_wrapperIN6hipcub16HIPCUB_304000_NS8EqualityEEEPlJS6_EEE10hipError_tPvRmT3_T4_T5_T6_T7_T9_mT8_P12ihipStream_tbDpT10_ENKUlT_T0_E_clISt17integral_constantIbLb1EES16_IbLb0EEEEDaS12_S13_EUlS12_E_NS1_11comp_targetILNS1_3genE9ELNS1_11target_archE1100ELNS1_3gpuE3ELNS1_3repE0EEENS1_30default_config_static_selectorELNS0_4arch9wavefront6targetE1EEEvT1_,comdat
.Lfunc_end777:
	.size	_ZN7rocprim17ROCPRIM_400000_NS6detail17trampoline_kernelINS0_14default_configENS1_25partition_config_selectorILNS1_17partition_subalgoE8EtNS0_10empty_typeEbEEZZNS1_14partition_implILS5_8ELb0ES3_jPKtPS6_PKS6_NS0_5tupleIJPtS6_EEENSE_IJSB_SB_EEENS0_18inequality_wrapperIN6hipcub16HIPCUB_304000_NS8EqualityEEEPlJS6_EEE10hipError_tPvRmT3_T4_T5_T6_T7_T9_mT8_P12ihipStream_tbDpT10_ENKUlT_T0_E_clISt17integral_constantIbLb1EES16_IbLb0EEEEDaS12_S13_EUlS12_E_NS1_11comp_targetILNS1_3genE9ELNS1_11target_archE1100ELNS1_3gpuE3ELNS1_3repE0EEENS1_30default_config_static_selectorELNS0_4arch9wavefront6targetE1EEEvT1_, .Lfunc_end777-_ZN7rocprim17ROCPRIM_400000_NS6detail17trampoline_kernelINS0_14default_configENS1_25partition_config_selectorILNS1_17partition_subalgoE8EtNS0_10empty_typeEbEEZZNS1_14partition_implILS5_8ELb0ES3_jPKtPS6_PKS6_NS0_5tupleIJPtS6_EEENSE_IJSB_SB_EEENS0_18inequality_wrapperIN6hipcub16HIPCUB_304000_NS8EqualityEEEPlJS6_EEE10hipError_tPvRmT3_T4_T5_T6_T7_T9_mT8_P12ihipStream_tbDpT10_ENKUlT_T0_E_clISt17integral_constantIbLb1EES16_IbLb0EEEEDaS12_S13_EUlS12_E_NS1_11comp_targetILNS1_3genE9ELNS1_11target_archE1100ELNS1_3gpuE3ELNS1_3repE0EEENS1_30default_config_static_selectorELNS0_4arch9wavefront6targetE1EEEvT1_
                                        ; -- End function
	.section	.AMDGPU.csdata,"",@progbits
; Kernel info:
; codeLenInByte = 0
; NumSgprs: 6
; NumVgprs: 0
; NumAgprs: 0
; TotalNumVgprs: 0
; ScratchSize: 0
; MemoryBound: 0
; FloatMode: 240
; IeeeMode: 1
; LDSByteSize: 0 bytes/workgroup (compile time only)
; SGPRBlocks: 0
; VGPRBlocks: 0
; NumSGPRsForWavesPerEU: 6
; NumVGPRsForWavesPerEU: 1
; AccumOffset: 4
; Occupancy: 8
; WaveLimiterHint : 0
; COMPUTE_PGM_RSRC2:SCRATCH_EN: 0
; COMPUTE_PGM_RSRC2:USER_SGPR: 2
; COMPUTE_PGM_RSRC2:TRAP_HANDLER: 0
; COMPUTE_PGM_RSRC2:TGID_X_EN: 1
; COMPUTE_PGM_RSRC2:TGID_Y_EN: 0
; COMPUTE_PGM_RSRC2:TGID_Z_EN: 0
; COMPUTE_PGM_RSRC2:TIDIG_COMP_CNT: 0
; COMPUTE_PGM_RSRC3_GFX90A:ACCUM_OFFSET: 0
; COMPUTE_PGM_RSRC3_GFX90A:TG_SPLIT: 0
	.section	.text._ZN7rocprim17ROCPRIM_400000_NS6detail17trampoline_kernelINS0_14default_configENS1_25partition_config_selectorILNS1_17partition_subalgoE8EtNS0_10empty_typeEbEEZZNS1_14partition_implILS5_8ELb0ES3_jPKtPS6_PKS6_NS0_5tupleIJPtS6_EEENSE_IJSB_SB_EEENS0_18inequality_wrapperIN6hipcub16HIPCUB_304000_NS8EqualityEEEPlJS6_EEE10hipError_tPvRmT3_T4_T5_T6_T7_T9_mT8_P12ihipStream_tbDpT10_ENKUlT_T0_E_clISt17integral_constantIbLb1EES16_IbLb0EEEEDaS12_S13_EUlS12_E_NS1_11comp_targetILNS1_3genE8ELNS1_11target_archE1030ELNS1_3gpuE2ELNS1_3repE0EEENS1_30default_config_static_selectorELNS0_4arch9wavefront6targetE1EEEvT1_,"axG",@progbits,_ZN7rocprim17ROCPRIM_400000_NS6detail17trampoline_kernelINS0_14default_configENS1_25partition_config_selectorILNS1_17partition_subalgoE8EtNS0_10empty_typeEbEEZZNS1_14partition_implILS5_8ELb0ES3_jPKtPS6_PKS6_NS0_5tupleIJPtS6_EEENSE_IJSB_SB_EEENS0_18inequality_wrapperIN6hipcub16HIPCUB_304000_NS8EqualityEEEPlJS6_EEE10hipError_tPvRmT3_T4_T5_T6_T7_T9_mT8_P12ihipStream_tbDpT10_ENKUlT_T0_E_clISt17integral_constantIbLb1EES16_IbLb0EEEEDaS12_S13_EUlS12_E_NS1_11comp_targetILNS1_3genE8ELNS1_11target_archE1030ELNS1_3gpuE2ELNS1_3repE0EEENS1_30default_config_static_selectorELNS0_4arch9wavefront6targetE1EEEvT1_,comdat
	.protected	_ZN7rocprim17ROCPRIM_400000_NS6detail17trampoline_kernelINS0_14default_configENS1_25partition_config_selectorILNS1_17partition_subalgoE8EtNS0_10empty_typeEbEEZZNS1_14partition_implILS5_8ELb0ES3_jPKtPS6_PKS6_NS0_5tupleIJPtS6_EEENSE_IJSB_SB_EEENS0_18inequality_wrapperIN6hipcub16HIPCUB_304000_NS8EqualityEEEPlJS6_EEE10hipError_tPvRmT3_T4_T5_T6_T7_T9_mT8_P12ihipStream_tbDpT10_ENKUlT_T0_E_clISt17integral_constantIbLb1EES16_IbLb0EEEEDaS12_S13_EUlS12_E_NS1_11comp_targetILNS1_3genE8ELNS1_11target_archE1030ELNS1_3gpuE2ELNS1_3repE0EEENS1_30default_config_static_selectorELNS0_4arch9wavefront6targetE1EEEvT1_ ; -- Begin function _ZN7rocprim17ROCPRIM_400000_NS6detail17trampoline_kernelINS0_14default_configENS1_25partition_config_selectorILNS1_17partition_subalgoE8EtNS0_10empty_typeEbEEZZNS1_14partition_implILS5_8ELb0ES3_jPKtPS6_PKS6_NS0_5tupleIJPtS6_EEENSE_IJSB_SB_EEENS0_18inequality_wrapperIN6hipcub16HIPCUB_304000_NS8EqualityEEEPlJS6_EEE10hipError_tPvRmT3_T4_T5_T6_T7_T9_mT8_P12ihipStream_tbDpT10_ENKUlT_T0_E_clISt17integral_constantIbLb1EES16_IbLb0EEEEDaS12_S13_EUlS12_E_NS1_11comp_targetILNS1_3genE8ELNS1_11target_archE1030ELNS1_3gpuE2ELNS1_3repE0EEENS1_30default_config_static_selectorELNS0_4arch9wavefront6targetE1EEEvT1_
	.globl	_ZN7rocprim17ROCPRIM_400000_NS6detail17trampoline_kernelINS0_14default_configENS1_25partition_config_selectorILNS1_17partition_subalgoE8EtNS0_10empty_typeEbEEZZNS1_14partition_implILS5_8ELb0ES3_jPKtPS6_PKS6_NS0_5tupleIJPtS6_EEENSE_IJSB_SB_EEENS0_18inequality_wrapperIN6hipcub16HIPCUB_304000_NS8EqualityEEEPlJS6_EEE10hipError_tPvRmT3_T4_T5_T6_T7_T9_mT8_P12ihipStream_tbDpT10_ENKUlT_T0_E_clISt17integral_constantIbLb1EES16_IbLb0EEEEDaS12_S13_EUlS12_E_NS1_11comp_targetILNS1_3genE8ELNS1_11target_archE1030ELNS1_3gpuE2ELNS1_3repE0EEENS1_30default_config_static_selectorELNS0_4arch9wavefront6targetE1EEEvT1_
	.p2align	8
	.type	_ZN7rocprim17ROCPRIM_400000_NS6detail17trampoline_kernelINS0_14default_configENS1_25partition_config_selectorILNS1_17partition_subalgoE8EtNS0_10empty_typeEbEEZZNS1_14partition_implILS5_8ELb0ES3_jPKtPS6_PKS6_NS0_5tupleIJPtS6_EEENSE_IJSB_SB_EEENS0_18inequality_wrapperIN6hipcub16HIPCUB_304000_NS8EqualityEEEPlJS6_EEE10hipError_tPvRmT3_T4_T5_T6_T7_T9_mT8_P12ihipStream_tbDpT10_ENKUlT_T0_E_clISt17integral_constantIbLb1EES16_IbLb0EEEEDaS12_S13_EUlS12_E_NS1_11comp_targetILNS1_3genE8ELNS1_11target_archE1030ELNS1_3gpuE2ELNS1_3repE0EEENS1_30default_config_static_selectorELNS0_4arch9wavefront6targetE1EEEvT1_,@function
_ZN7rocprim17ROCPRIM_400000_NS6detail17trampoline_kernelINS0_14default_configENS1_25partition_config_selectorILNS1_17partition_subalgoE8EtNS0_10empty_typeEbEEZZNS1_14partition_implILS5_8ELb0ES3_jPKtPS6_PKS6_NS0_5tupleIJPtS6_EEENSE_IJSB_SB_EEENS0_18inequality_wrapperIN6hipcub16HIPCUB_304000_NS8EqualityEEEPlJS6_EEE10hipError_tPvRmT3_T4_T5_T6_T7_T9_mT8_P12ihipStream_tbDpT10_ENKUlT_T0_E_clISt17integral_constantIbLb1EES16_IbLb0EEEEDaS12_S13_EUlS12_E_NS1_11comp_targetILNS1_3genE8ELNS1_11target_archE1030ELNS1_3gpuE2ELNS1_3repE0EEENS1_30default_config_static_selectorELNS0_4arch9wavefront6targetE1EEEvT1_: ; @_ZN7rocprim17ROCPRIM_400000_NS6detail17trampoline_kernelINS0_14default_configENS1_25partition_config_selectorILNS1_17partition_subalgoE8EtNS0_10empty_typeEbEEZZNS1_14partition_implILS5_8ELb0ES3_jPKtPS6_PKS6_NS0_5tupleIJPtS6_EEENSE_IJSB_SB_EEENS0_18inequality_wrapperIN6hipcub16HIPCUB_304000_NS8EqualityEEEPlJS6_EEE10hipError_tPvRmT3_T4_T5_T6_T7_T9_mT8_P12ihipStream_tbDpT10_ENKUlT_T0_E_clISt17integral_constantIbLb1EES16_IbLb0EEEEDaS12_S13_EUlS12_E_NS1_11comp_targetILNS1_3genE8ELNS1_11target_archE1030ELNS1_3gpuE2ELNS1_3repE0EEENS1_30default_config_static_selectorELNS0_4arch9wavefront6targetE1EEEvT1_
; %bb.0:
	.section	.rodata,"a",@progbits
	.p2align	6, 0x0
	.amdhsa_kernel _ZN7rocprim17ROCPRIM_400000_NS6detail17trampoline_kernelINS0_14default_configENS1_25partition_config_selectorILNS1_17partition_subalgoE8EtNS0_10empty_typeEbEEZZNS1_14partition_implILS5_8ELb0ES3_jPKtPS6_PKS6_NS0_5tupleIJPtS6_EEENSE_IJSB_SB_EEENS0_18inequality_wrapperIN6hipcub16HIPCUB_304000_NS8EqualityEEEPlJS6_EEE10hipError_tPvRmT3_T4_T5_T6_T7_T9_mT8_P12ihipStream_tbDpT10_ENKUlT_T0_E_clISt17integral_constantIbLb1EES16_IbLb0EEEEDaS12_S13_EUlS12_E_NS1_11comp_targetILNS1_3genE8ELNS1_11target_archE1030ELNS1_3gpuE2ELNS1_3repE0EEENS1_30default_config_static_selectorELNS0_4arch9wavefront6targetE1EEEvT1_
		.amdhsa_group_segment_fixed_size 0
		.amdhsa_private_segment_fixed_size 0
		.amdhsa_kernarg_size 112
		.amdhsa_user_sgpr_count 2
		.amdhsa_user_sgpr_dispatch_ptr 0
		.amdhsa_user_sgpr_queue_ptr 0
		.amdhsa_user_sgpr_kernarg_segment_ptr 1
		.amdhsa_user_sgpr_dispatch_id 0
		.amdhsa_user_sgpr_kernarg_preload_length 0
		.amdhsa_user_sgpr_kernarg_preload_offset 0
		.amdhsa_user_sgpr_private_segment_size 0
		.amdhsa_uses_dynamic_stack 0
		.amdhsa_enable_private_segment 0
		.amdhsa_system_sgpr_workgroup_id_x 1
		.amdhsa_system_sgpr_workgroup_id_y 0
		.amdhsa_system_sgpr_workgroup_id_z 0
		.amdhsa_system_sgpr_workgroup_info 0
		.amdhsa_system_vgpr_workitem_id 0
		.amdhsa_next_free_vgpr 1
		.amdhsa_next_free_sgpr 0
		.amdhsa_accum_offset 4
		.amdhsa_reserve_vcc 0
		.amdhsa_float_round_mode_32 0
		.amdhsa_float_round_mode_16_64 0
		.amdhsa_float_denorm_mode_32 3
		.amdhsa_float_denorm_mode_16_64 3
		.amdhsa_dx10_clamp 1
		.amdhsa_ieee_mode 1
		.amdhsa_fp16_overflow 0
		.amdhsa_tg_split 0
		.amdhsa_exception_fp_ieee_invalid_op 0
		.amdhsa_exception_fp_denorm_src 0
		.amdhsa_exception_fp_ieee_div_zero 0
		.amdhsa_exception_fp_ieee_overflow 0
		.amdhsa_exception_fp_ieee_underflow 0
		.amdhsa_exception_fp_ieee_inexact 0
		.amdhsa_exception_int_div_zero 0
	.end_amdhsa_kernel
	.section	.text._ZN7rocprim17ROCPRIM_400000_NS6detail17trampoline_kernelINS0_14default_configENS1_25partition_config_selectorILNS1_17partition_subalgoE8EtNS0_10empty_typeEbEEZZNS1_14partition_implILS5_8ELb0ES3_jPKtPS6_PKS6_NS0_5tupleIJPtS6_EEENSE_IJSB_SB_EEENS0_18inequality_wrapperIN6hipcub16HIPCUB_304000_NS8EqualityEEEPlJS6_EEE10hipError_tPvRmT3_T4_T5_T6_T7_T9_mT8_P12ihipStream_tbDpT10_ENKUlT_T0_E_clISt17integral_constantIbLb1EES16_IbLb0EEEEDaS12_S13_EUlS12_E_NS1_11comp_targetILNS1_3genE8ELNS1_11target_archE1030ELNS1_3gpuE2ELNS1_3repE0EEENS1_30default_config_static_selectorELNS0_4arch9wavefront6targetE1EEEvT1_,"axG",@progbits,_ZN7rocprim17ROCPRIM_400000_NS6detail17trampoline_kernelINS0_14default_configENS1_25partition_config_selectorILNS1_17partition_subalgoE8EtNS0_10empty_typeEbEEZZNS1_14partition_implILS5_8ELb0ES3_jPKtPS6_PKS6_NS0_5tupleIJPtS6_EEENSE_IJSB_SB_EEENS0_18inequality_wrapperIN6hipcub16HIPCUB_304000_NS8EqualityEEEPlJS6_EEE10hipError_tPvRmT3_T4_T5_T6_T7_T9_mT8_P12ihipStream_tbDpT10_ENKUlT_T0_E_clISt17integral_constantIbLb1EES16_IbLb0EEEEDaS12_S13_EUlS12_E_NS1_11comp_targetILNS1_3genE8ELNS1_11target_archE1030ELNS1_3gpuE2ELNS1_3repE0EEENS1_30default_config_static_selectorELNS0_4arch9wavefront6targetE1EEEvT1_,comdat
.Lfunc_end778:
	.size	_ZN7rocprim17ROCPRIM_400000_NS6detail17trampoline_kernelINS0_14default_configENS1_25partition_config_selectorILNS1_17partition_subalgoE8EtNS0_10empty_typeEbEEZZNS1_14partition_implILS5_8ELb0ES3_jPKtPS6_PKS6_NS0_5tupleIJPtS6_EEENSE_IJSB_SB_EEENS0_18inequality_wrapperIN6hipcub16HIPCUB_304000_NS8EqualityEEEPlJS6_EEE10hipError_tPvRmT3_T4_T5_T6_T7_T9_mT8_P12ihipStream_tbDpT10_ENKUlT_T0_E_clISt17integral_constantIbLb1EES16_IbLb0EEEEDaS12_S13_EUlS12_E_NS1_11comp_targetILNS1_3genE8ELNS1_11target_archE1030ELNS1_3gpuE2ELNS1_3repE0EEENS1_30default_config_static_selectorELNS0_4arch9wavefront6targetE1EEEvT1_, .Lfunc_end778-_ZN7rocprim17ROCPRIM_400000_NS6detail17trampoline_kernelINS0_14default_configENS1_25partition_config_selectorILNS1_17partition_subalgoE8EtNS0_10empty_typeEbEEZZNS1_14partition_implILS5_8ELb0ES3_jPKtPS6_PKS6_NS0_5tupleIJPtS6_EEENSE_IJSB_SB_EEENS0_18inequality_wrapperIN6hipcub16HIPCUB_304000_NS8EqualityEEEPlJS6_EEE10hipError_tPvRmT3_T4_T5_T6_T7_T9_mT8_P12ihipStream_tbDpT10_ENKUlT_T0_E_clISt17integral_constantIbLb1EES16_IbLb0EEEEDaS12_S13_EUlS12_E_NS1_11comp_targetILNS1_3genE8ELNS1_11target_archE1030ELNS1_3gpuE2ELNS1_3repE0EEENS1_30default_config_static_selectorELNS0_4arch9wavefront6targetE1EEEvT1_
                                        ; -- End function
	.section	.AMDGPU.csdata,"",@progbits
; Kernel info:
; codeLenInByte = 0
; NumSgprs: 6
; NumVgprs: 0
; NumAgprs: 0
; TotalNumVgprs: 0
; ScratchSize: 0
; MemoryBound: 0
; FloatMode: 240
; IeeeMode: 1
; LDSByteSize: 0 bytes/workgroup (compile time only)
; SGPRBlocks: 0
; VGPRBlocks: 0
; NumSGPRsForWavesPerEU: 6
; NumVGPRsForWavesPerEU: 1
; AccumOffset: 4
; Occupancy: 8
; WaveLimiterHint : 0
; COMPUTE_PGM_RSRC2:SCRATCH_EN: 0
; COMPUTE_PGM_RSRC2:USER_SGPR: 2
; COMPUTE_PGM_RSRC2:TRAP_HANDLER: 0
; COMPUTE_PGM_RSRC2:TGID_X_EN: 1
; COMPUTE_PGM_RSRC2:TGID_Y_EN: 0
; COMPUTE_PGM_RSRC2:TGID_Z_EN: 0
; COMPUTE_PGM_RSRC2:TIDIG_COMP_CNT: 0
; COMPUTE_PGM_RSRC3_GFX90A:ACCUM_OFFSET: 0
; COMPUTE_PGM_RSRC3_GFX90A:TG_SPLIT: 0
	.section	.text._ZN7rocprim17ROCPRIM_400000_NS6detail17trampoline_kernelINS0_14default_configENS1_25partition_config_selectorILNS1_17partition_subalgoE8EtNS0_10empty_typeEbEEZZNS1_14partition_implILS5_8ELb0ES3_jPKtPS6_PKS6_NS0_5tupleIJPtS6_EEENSE_IJSB_SB_EEENS0_18inequality_wrapperIN6hipcub16HIPCUB_304000_NS8EqualityEEEPlJS6_EEE10hipError_tPvRmT3_T4_T5_T6_T7_T9_mT8_P12ihipStream_tbDpT10_ENKUlT_T0_E_clISt17integral_constantIbLb0EES16_IbLb1EEEEDaS12_S13_EUlS12_E_NS1_11comp_targetILNS1_3genE0ELNS1_11target_archE4294967295ELNS1_3gpuE0ELNS1_3repE0EEENS1_30default_config_static_selectorELNS0_4arch9wavefront6targetE1EEEvT1_,"axG",@progbits,_ZN7rocprim17ROCPRIM_400000_NS6detail17trampoline_kernelINS0_14default_configENS1_25partition_config_selectorILNS1_17partition_subalgoE8EtNS0_10empty_typeEbEEZZNS1_14partition_implILS5_8ELb0ES3_jPKtPS6_PKS6_NS0_5tupleIJPtS6_EEENSE_IJSB_SB_EEENS0_18inequality_wrapperIN6hipcub16HIPCUB_304000_NS8EqualityEEEPlJS6_EEE10hipError_tPvRmT3_T4_T5_T6_T7_T9_mT8_P12ihipStream_tbDpT10_ENKUlT_T0_E_clISt17integral_constantIbLb0EES16_IbLb1EEEEDaS12_S13_EUlS12_E_NS1_11comp_targetILNS1_3genE0ELNS1_11target_archE4294967295ELNS1_3gpuE0ELNS1_3repE0EEENS1_30default_config_static_selectorELNS0_4arch9wavefront6targetE1EEEvT1_,comdat
	.protected	_ZN7rocprim17ROCPRIM_400000_NS6detail17trampoline_kernelINS0_14default_configENS1_25partition_config_selectorILNS1_17partition_subalgoE8EtNS0_10empty_typeEbEEZZNS1_14partition_implILS5_8ELb0ES3_jPKtPS6_PKS6_NS0_5tupleIJPtS6_EEENSE_IJSB_SB_EEENS0_18inequality_wrapperIN6hipcub16HIPCUB_304000_NS8EqualityEEEPlJS6_EEE10hipError_tPvRmT3_T4_T5_T6_T7_T9_mT8_P12ihipStream_tbDpT10_ENKUlT_T0_E_clISt17integral_constantIbLb0EES16_IbLb1EEEEDaS12_S13_EUlS12_E_NS1_11comp_targetILNS1_3genE0ELNS1_11target_archE4294967295ELNS1_3gpuE0ELNS1_3repE0EEENS1_30default_config_static_selectorELNS0_4arch9wavefront6targetE1EEEvT1_ ; -- Begin function _ZN7rocprim17ROCPRIM_400000_NS6detail17trampoline_kernelINS0_14default_configENS1_25partition_config_selectorILNS1_17partition_subalgoE8EtNS0_10empty_typeEbEEZZNS1_14partition_implILS5_8ELb0ES3_jPKtPS6_PKS6_NS0_5tupleIJPtS6_EEENSE_IJSB_SB_EEENS0_18inequality_wrapperIN6hipcub16HIPCUB_304000_NS8EqualityEEEPlJS6_EEE10hipError_tPvRmT3_T4_T5_T6_T7_T9_mT8_P12ihipStream_tbDpT10_ENKUlT_T0_E_clISt17integral_constantIbLb0EES16_IbLb1EEEEDaS12_S13_EUlS12_E_NS1_11comp_targetILNS1_3genE0ELNS1_11target_archE4294967295ELNS1_3gpuE0ELNS1_3repE0EEENS1_30default_config_static_selectorELNS0_4arch9wavefront6targetE1EEEvT1_
	.globl	_ZN7rocprim17ROCPRIM_400000_NS6detail17trampoline_kernelINS0_14default_configENS1_25partition_config_selectorILNS1_17partition_subalgoE8EtNS0_10empty_typeEbEEZZNS1_14partition_implILS5_8ELb0ES3_jPKtPS6_PKS6_NS0_5tupleIJPtS6_EEENSE_IJSB_SB_EEENS0_18inequality_wrapperIN6hipcub16HIPCUB_304000_NS8EqualityEEEPlJS6_EEE10hipError_tPvRmT3_T4_T5_T6_T7_T9_mT8_P12ihipStream_tbDpT10_ENKUlT_T0_E_clISt17integral_constantIbLb0EES16_IbLb1EEEEDaS12_S13_EUlS12_E_NS1_11comp_targetILNS1_3genE0ELNS1_11target_archE4294967295ELNS1_3gpuE0ELNS1_3repE0EEENS1_30default_config_static_selectorELNS0_4arch9wavefront6targetE1EEEvT1_
	.p2align	8
	.type	_ZN7rocprim17ROCPRIM_400000_NS6detail17trampoline_kernelINS0_14default_configENS1_25partition_config_selectorILNS1_17partition_subalgoE8EtNS0_10empty_typeEbEEZZNS1_14partition_implILS5_8ELb0ES3_jPKtPS6_PKS6_NS0_5tupleIJPtS6_EEENSE_IJSB_SB_EEENS0_18inequality_wrapperIN6hipcub16HIPCUB_304000_NS8EqualityEEEPlJS6_EEE10hipError_tPvRmT3_T4_T5_T6_T7_T9_mT8_P12ihipStream_tbDpT10_ENKUlT_T0_E_clISt17integral_constantIbLb0EES16_IbLb1EEEEDaS12_S13_EUlS12_E_NS1_11comp_targetILNS1_3genE0ELNS1_11target_archE4294967295ELNS1_3gpuE0ELNS1_3repE0EEENS1_30default_config_static_selectorELNS0_4arch9wavefront6targetE1EEEvT1_,@function
_ZN7rocprim17ROCPRIM_400000_NS6detail17trampoline_kernelINS0_14default_configENS1_25partition_config_selectorILNS1_17partition_subalgoE8EtNS0_10empty_typeEbEEZZNS1_14partition_implILS5_8ELb0ES3_jPKtPS6_PKS6_NS0_5tupleIJPtS6_EEENSE_IJSB_SB_EEENS0_18inequality_wrapperIN6hipcub16HIPCUB_304000_NS8EqualityEEEPlJS6_EEE10hipError_tPvRmT3_T4_T5_T6_T7_T9_mT8_P12ihipStream_tbDpT10_ENKUlT_T0_E_clISt17integral_constantIbLb0EES16_IbLb1EEEEDaS12_S13_EUlS12_E_NS1_11comp_targetILNS1_3genE0ELNS1_11target_archE4294967295ELNS1_3gpuE0ELNS1_3repE0EEENS1_30default_config_static_selectorELNS0_4arch9wavefront6targetE1EEEvT1_: ; @_ZN7rocprim17ROCPRIM_400000_NS6detail17trampoline_kernelINS0_14default_configENS1_25partition_config_selectorILNS1_17partition_subalgoE8EtNS0_10empty_typeEbEEZZNS1_14partition_implILS5_8ELb0ES3_jPKtPS6_PKS6_NS0_5tupleIJPtS6_EEENSE_IJSB_SB_EEENS0_18inequality_wrapperIN6hipcub16HIPCUB_304000_NS8EqualityEEEPlJS6_EEE10hipError_tPvRmT3_T4_T5_T6_T7_T9_mT8_P12ihipStream_tbDpT10_ENKUlT_T0_E_clISt17integral_constantIbLb0EES16_IbLb1EEEEDaS12_S13_EUlS12_E_NS1_11comp_targetILNS1_3genE0ELNS1_11target_archE4294967295ELNS1_3gpuE0ELNS1_3repE0EEENS1_30default_config_static_selectorELNS0_4arch9wavefront6targetE1EEEvT1_
; %bb.0:
	.section	.rodata,"a",@progbits
	.p2align	6, 0x0
	.amdhsa_kernel _ZN7rocprim17ROCPRIM_400000_NS6detail17trampoline_kernelINS0_14default_configENS1_25partition_config_selectorILNS1_17partition_subalgoE8EtNS0_10empty_typeEbEEZZNS1_14partition_implILS5_8ELb0ES3_jPKtPS6_PKS6_NS0_5tupleIJPtS6_EEENSE_IJSB_SB_EEENS0_18inequality_wrapperIN6hipcub16HIPCUB_304000_NS8EqualityEEEPlJS6_EEE10hipError_tPvRmT3_T4_T5_T6_T7_T9_mT8_P12ihipStream_tbDpT10_ENKUlT_T0_E_clISt17integral_constantIbLb0EES16_IbLb1EEEEDaS12_S13_EUlS12_E_NS1_11comp_targetILNS1_3genE0ELNS1_11target_archE4294967295ELNS1_3gpuE0ELNS1_3repE0EEENS1_30default_config_static_selectorELNS0_4arch9wavefront6targetE1EEEvT1_
		.amdhsa_group_segment_fixed_size 0
		.amdhsa_private_segment_fixed_size 0
		.amdhsa_kernarg_size 128
		.amdhsa_user_sgpr_count 2
		.amdhsa_user_sgpr_dispatch_ptr 0
		.amdhsa_user_sgpr_queue_ptr 0
		.amdhsa_user_sgpr_kernarg_segment_ptr 1
		.amdhsa_user_sgpr_dispatch_id 0
		.amdhsa_user_sgpr_kernarg_preload_length 0
		.amdhsa_user_sgpr_kernarg_preload_offset 0
		.amdhsa_user_sgpr_private_segment_size 0
		.amdhsa_uses_dynamic_stack 0
		.amdhsa_enable_private_segment 0
		.amdhsa_system_sgpr_workgroup_id_x 1
		.amdhsa_system_sgpr_workgroup_id_y 0
		.amdhsa_system_sgpr_workgroup_id_z 0
		.amdhsa_system_sgpr_workgroup_info 0
		.amdhsa_system_vgpr_workitem_id 0
		.amdhsa_next_free_vgpr 1
		.amdhsa_next_free_sgpr 0
		.amdhsa_accum_offset 4
		.amdhsa_reserve_vcc 0
		.amdhsa_float_round_mode_32 0
		.amdhsa_float_round_mode_16_64 0
		.amdhsa_float_denorm_mode_32 3
		.amdhsa_float_denorm_mode_16_64 3
		.amdhsa_dx10_clamp 1
		.amdhsa_ieee_mode 1
		.amdhsa_fp16_overflow 0
		.amdhsa_tg_split 0
		.amdhsa_exception_fp_ieee_invalid_op 0
		.amdhsa_exception_fp_denorm_src 0
		.amdhsa_exception_fp_ieee_div_zero 0
		.amdhsa_exception_fp_ieee_overflow 0
		.amdhsa_exception_fp_ieee_underflow 0
		.amdhsa_exception_fp_ieee_inexact 0
		.amdhsa_exception_int_div_zero 0
	.end_amdhsa_kernel
	.section	.text._ZN7rocprim17ROCPRIM_400000_NS6detail17trampoline_kernelINS0_14default_configENS1_25partition_config_selectorILNS1_17partition_subalgoE8EtNS0_10empty_typeEbEEZZNS1_14partition_implILS5_8ELb0ES3_jPKtPS6_PKS6_NS0_5tupleIJPtS6_EEENSE_IJSB_SB_EEENS0_18inequality_wrapperIN6hipcub16HIPCUB_304000_NS8EqualityEEEPlJS6_EEE10hipError_tPvRmT3_T4_T5_T6_T7_T9_mT8_P12ihipStream_tbDpT10_ENKUlT_T0_E_clISt17integral_constantIbLb0EES16_IbLb1EEEEDaS12_S13_EUlS12_E_NS1_11comp_targetILNS1_3genE0ELNS1_11target_archE4294967295ELNS1_3gpuE0ELNS1_3repE0EEENS1_30default_config_static_selectorELNS0_4arch9wavefront6targetE1EEEvT1_,"axG",@progbits,_ZN7rocprim17ROCPRIM_400000_NS6detail17trampoline_kernelINS0_14default_configENS1_25partition_config_selectorILNS1_17partition_subalgoE8EtNS0_10empty_typeEbEEZZNS1_14partition_implILS5_8ELb0ES3_jPKtPS6_PKS6_NS0_5tupleIJPtS6_EEENSE_IJSB_SB_EEENS0_18inequality_wrapperIN6hipcub16HIPCUB_304000_NS8EqualityEEEPlJS6_EEE10hipError_tPvRmT3_T4_T5_T6_T7_T9_mT8_P12ihipStream_tbDpT10_ENKUlT_T0_E_clISt17integral_constantIbLb0EES16_IbLb1EEEEDaS12_S13_EUlS12_E_NS1_11comp_targetILNS1_3genE0ELNS1_11target_archE4294967295ELNS1_3gpuE0ELNS1_3repE0EEENS1_30default_config_static_selectorELNS0_4arch9wavefront6targetE1EEEvT1_,comdat
.Lfunc_end779:
	.size	_ZN7rocprim17ROCPRIM_400000_NS6detail17trampoline_kernelINS0_14default_configENS1_25partition_config_selectorILNS1_17partition_subalgoE8EtNS0_10empty_typeEbEEZZNS1_14partition_implILS5_8ELb0ES3_jPKtPS6_PKS6_NS0_5tupleIJPtS6_EEENSE_IJSB_SB_EEENS0_18inequality_wrapperIN6hipcub16HIPCUB_304000_NS8EqualityEEEPlJS6_EEE10hipError_tPvRmT3_T4_T5_T6_T7_T9_mT8_P12ihipStream_tbDpT10_ENKUlT_T0_E_clISt17integral_constantIbLb0EES16_IbLb1EEEEDaS12_S13_EUlS12_E_NS1_11comp_targetILNS1_3genE0ELNS1_11target_archE4294967295ELNS1_3gpuE0ELNS1_3repE0EEENS1_30default_config_static_selectorELNS0_4arch9wavefront6targetE1EEEvT1_, .Lfunc_end779-_ZN7rocprim17ROCPRIM_400000_NS6detail17trampoline_kernelINS0_14default_configENS1_25partition_config_selectorILNS1_17partition_subalgoE8EtNS0_10empty_typeEbEEZZNS1_14partition_implILS5_8ELb0ES3_jPKtPS6_PKS6_NS0_5tupleIJPtS6_EEENSE_IJSB_SB_EEENS0_18inequality_wrapperIN6hipcub16HIPCUB_304000_NS8EqualityEEEPlJS6_EEE10hipError_tPvRmT3_T4_T5_T6_T7_T9_mT8_P12ihipStream_tbDpT10_ENKUlT_T0_E_clISt17integral_constantIbLb0EES16_IbLb1EEEEDaS12_S13_EUlS12_E_NS1_11comp_targetILNS1_3genE0ELNS1_11target_archE4294967295ELNS1_3gpuE0ELNS1_3repE0EEENS1_30default_config_static_selectorELNS0_4arch9wavefront6targetE1EEEvT1_
                                        ; -- End function
	.section	.AMDGPU.csdata,"",@progbits
; Kernel info:
; codeLenInByte = 0
; NumSgprs: 6
; NumVgprs: 0
; NumAgprs: 0
; TotalNumVgprs: 0
; ScratchSize: 0
; MemoryBound: 0
; FloatMode: 240
; IeeeMode: 1
; LDSByteSize: 0 bytes/workgroup (compile time only)
; SGPRBlocks: 0
; VGPRBlocks: 0
; NumSGPRsForWavesPerEU: 6
; NumVGPRsForWavesPerEU: 1
; AccumOffset: 4
; Occupancy: 8
; WaveLimiterHint : 0
; COMPUTE_PGM_RSRC2:SCRATCH_EN: 0
; COMPUTE_PGM_RSRC2:USER_SGPR: 2
; COMPUTE_PGM_RSRC2:TRAP_HANDLER: 0
; COMPUTE_PGM_RSRC2:TGID_X_EN: 1
; COMPUTE_PGM_RSRC2:TGID_Y_EN: 0
; COMPUTE_PGM_RSRC2:TGID_Z_EN: 0
; COMPUTE_PGM_RSRC2:TIDIG_COMP_CNT: 0
; COMPUTE_PGM_RSRC3_GFX90A:ACCUM_OFFSET: 0
; COMPUTE_PGM_RSRC3_GFX90A:TG_SPLIT: 0
	.section	.text._ZN7rocprim17ROCPRIM_400000_NS6detail17trampoline_kernelINS0_14default_configENS1_25partition_config_selectorILNS1_17partition_subalgoE8EtNS0_10empty_typeEbEEZZNS1_14partition_implILS5_8ELb0ES3_jPKtPS6_PKS6_NS0_5tupleIJPtS6_EEENSE_IJSB_SB_EEENS0_18inequality_wrapperIN6hipcub16HIPCUB_304000_NS8EqualityEEEPlJS6_EEE10hipError_tPvRmT3_T4_T5_T6_T7_T9_mT8_P12ihipStream_tbDpT10_ENKUlT_T0_E_clISt17integral_constantIbLb0EES16_IbLb1EEEEDaS12_S13_EUlS12_E_NS1_11comp_targetILNS1_3genE5ELNS1_11target_archE942ELNS1_3gpuE9ELNS1_3repE0EEENS1_30default_config_static_selectorELNS0_4arch9wavefront6targetE1EEEvT1_,"axG",@progbits,_ZN7rocprim17ROCPRIM_400000_NS6detail17trampoline_kernelINS0_14default_configENS1_25partition_config_selectorILNS1_17partition_subalgoE8EtNS0_10empty_typeEbEEZZNS1_14partition_implILS5_8ELb0ES3_jPKtPS6_PKS6_NS0_5tupleIJPtS6_EEENSE_IJSB_SB_EEENS0_18inequality_wrapperIN6hipcub16HIPCUB_304000_NS8EqualityEEEPlJS6_EEE10hipError_tPvRmT3_T4_T5_T6_T7_T9_mT8_P12ihipStream_tbDpT10_ENKUlT_T0_E_clISt17integral_constantIbLb0EES16_IbLb1EEEEDaS12_S13_EUlS12_E_NS1_11comp_targetILNS1_3genE5ELNS1_11target_archE942ELNS1_3gpuE9ELNS1_3repE0EEENS1_30default_config_static_selectorELNS0_4arch9wavefront6targetE1EEEvT1_,comdat
	.protected	_ZN7rocprim17ROCPRIM_400000_NS6detail17trampoline_kernelINS0_14default_configENS1_25partition_config_selectorILNS1_17partition_subalgoE8EtNS0_10empty_typeEbEEZZNS1_14partition_implILS5_8ELb0ES3_jPKtPS6_PKS6_NS0_5tupleIJPtS6_EEENSE_IJSB_SB_EEENS0_18inequality_wrapperIN6hipcub16HIPCUB_304000_NS8EqualityEEEPlJS6_EEE10hipError_tPvRmT3_T4_T5_T6_T7_T9_mT8_P12ihipStream_tbDpT10_ENKUlT_T0_E_clISt17integral_constantIbLb0EES16_IbLb1EEEEDaS12_S13_EUlS12_E_NS1_11comp_targetILNS1_3genE5ELNS1_11target_archE942ELNS1_3gpuE9ELNS1_3repE0EEENS1_30default_config_static_selectorELNS0_4arch9wavefront6targetE1EEEvT1_ ; -- Begin function _ZN7rocprim17ROCPRIM_400000_NS6detail17trampoline_kernelINS0_14default_configENS1_25partition_config_selectorILNS1_17partition_subalgoE8EtNS0_10empty_typeEbEEZZNS1_14partition_implILS5_8ELb0ES3_jPKtPS6_PKS6_NS0_5tupleIJPtS6_EEENSE_IJSB_SB_EEENS0_18inequality_wrapperIN6hipcub16HIPCUB_304000_NS8EqualityEEEPlJS6_EEE10hipError_tPvRmT3_T4_T5_T6_T7_T9_mT8_P12ihipStream_tbDpT10_ENKUlT_T0_E_clISt17integral_constantIbLb0EES16_IbLb1EEEEDaS12_S13_EUlS12_E_NS1_11comp_targetILNS1_3genE5ELNS1_11target_archE942ELNS1_3gpuE9ELNS1_3repE0EEENS1_30default_config_static_selectorELNS0_4arch9wavefront6targetE1EEEvT1_
	.globl	_ZN7rocprim17ROCPRIM_400000_NS6detail17trampoline_kernelINS0_14default_configENS1_25partition_config_selectorILNS1_17partition_subalgoE8EtNS0_10empty_typeEbEEZZNS1_14partition_implILS5_8ELb0ES3_jPKtPS6_PKS6_NS0_5tupleIJPtS6_EEENSE_IJSB_SB_EEENS0_18inequality_wrapperIN6hipcub16HIPCUB_304000_NS8EqualityEEEPlJS6_EEE10hipError_tPvRmT3_T4_T5_T6_T7_T9_mT8_P12ihipStream_tbDpT10_ENKUlT_T0_E_clISt17integral_constantIbLb0EES16_IbLb1EEEEDaS12_S13_EUlS12_E_NS1_11comp_targetILNS1_3genE5ELNS1_11target_archE942ELNS1_3gpuE9ELNS1_3repE0EEENS1_30default_config_static_selectorELNS0_4arch9wavefront6targetE1EEEvT1_
	.p2align	8
	.type	_ZN7rocprim17ROCPRIM_400000_NS6detail17trampoline_kernelINS0_14default_configENS1_25partition_config_selectorILNS1_17partition_subalgoE8EtNS0_10empty_typeEbEEZZNS1_14partition_implILS5_8ELb0ES3_jPKtPS6_PKS6_NS0_5tupleIJPtS6_EEENSE_IJSB_SB_EEENS0_18inequality_wrapperIN6hipcub16HIPCUB_304000_NS8EqualityEEEPlJS6_EEE10hipError_tPvRmT3_T4_T5_T6_T7_T9_mT8_P12ihipStream_tbDpT10_ENKUlT_T0_E_clISt17integral_constantIbLb0EES16_IbLb1EEEEDaS12_S13_EUlS12_E_NS1_11comp_targetILNS1_3genE5ELNS1_11target_archE942ELNS1_3gpuE9ELNS1_3repE0EEENS1_30default_config_static_selectorELNS0_4arch9wavefront6targetE1EEEvT1_,@function
_ZN7rocprim17ROCPRIM_400000_NS6detail17trampoline_kernelINS0_14default_configENS1_25partition_config_selectorILNS1_17partition_subalgoE8EtNS0_10empty_typeEbEEZZNS1_14partition_implILS5_8ELb0ES3_jPKtPS6_PKS6_NS0_5tupleIJPtS6_EEENSE_IJSB_SB_EEENS0_18inequality_wrapperIN6hipcub16HIPCUB_304000_NS8EqualityEEEPlJS6_EEE10hipError_tPvRmT3_T4_T5_T6_T7_T9_mT8_P12ihipStream_tbDpT10_ENKUlT_T0_E_clISt17integral_constantIbLb0EES16_IbLb1EEEEDaS12_S13_EUlS12_E_NS1_11comp_targetILNS1_3genE5ELNS1_11target_archE942ELNS1_3gpuE9ELNS1_3repE0EEENS1_30default_config_static_selectorELNS0_4arch9wavefront6targetE1EEEvT1_: ; @_ZN7rocprim17ROCPRIM_400000_NS6detail17trampoline_kernelINS0_14default_configENS1_25partition_config_selectorILNS1_17partition_subalgoE8EtNS0_10empty_typeEbEEZZNS1_14partition_implILS5_8ELb0ES3_jPKtPS6_PKS6_NS0_5tupleIJPtS6_EEENSE_IJSB_SB_EEENS0_18inequality_wrapperIN6hipcub16HIPCUB_304000_NS8EqualityEEEPlJS6_EEE10hipError_tPvRmT3_T4_T5_T6_T7_T9_mT8_P12ihipStream_tbDpT10_ENKUlT_T0_E_clISt17integral_constantIbLb0EES16_IbLb1EEEEDaS12_S13_EUlS12_E_NS1_11comp_targetILNS1_3genE5ELNS1_11target_archE942ELNS1_3gpuE9ELNS1_3repE0EEENS1_30default_config_static_selectorELNS0_4arch9wavefront6targetE1EEEvT1_
; %bb.0:
	s_load_dwordx4 s[64:67], s[0:1], 0x40
	s_load_dwordx2 s[8:9], s[0:1], 0x50
	s_load_dwordx2 s[72:73], s[0:1], 0x60
	v_cmp_ne_u32_e64 s[2:3], 0, v0
	v_cmp_eq_u32_e64 s[18:19], 0, v0
	s_and_saveexec_b64 s[4:5], s[18:19]
	s_cbranch_execz .LBB780_4
; %bb.1:
	s_mov_b64 s[10:11], exec
	v_mbcnt_lo_u32_b32 v1, s10, 0
	v_mbcnt_hi_u32_b32 v1, s11, v1
	v_cmp_eq_u32_e32 vcc, 0, v1
                                        ; implicit-def: $vgpr2
	s_and_saveexec_b64 s[6:7], vcc
	s_cbranch_execz .LBB780_3
; %bb.2:
	s_load_dwordx2 s[12:13], s[0:1], 0x70
	s_bcnt1_i32_b64 s10, s[10:11]
	v_mov_b32_e32 v2, 0
	v_mov_b32_e32 v3, s10
	s_waitcnt lgkmcnt(0)
	global_atomic_add v2, v2, v3, s[12:13] sc0
.LBB780_3:
	s_or_b64 exec, exec, s[6:7]
	s_waitcnt vmcnt(0)
	v_readfirstlane_b32 s6, v2
	v_mov_b32_e32 v2, 0
	s_nop 0
	v_add_u32_e32 v1, s6, v1
	ds_write_b32 v2, v1
.LBB780_4:
	s_or_b64 exec, exec, s[4:5]
	v_mov_b32_e32 v3, 0
	s_load_dwordx4 s[4:7], s[0:1], 0x8
	s_load_dwordx2 s[68:69], s[0:1], 0x28
	s_load_dword s10, s[0:1], 0x68
	s_waitcnt lgkmcnt(0)
	s_barrier
	ds_read_b32 v1, v3
	s_waitcnt lgkmcnt(0)
	s_barrier
	global_load_dwordx2 v[8:9], v3, s[66:67]
	s_lshl_b64 s[0:1], s[6:7], 1
	s_add_u32 s4, s4, s0
	s_movk_i32 s0, 0x3c00
	v_mul_lo_u32 v2, v1, s0
	s_mul_i32 s0, s10, 0x3c00
	s_addc_u32 s5, s5, s1
	s_add_i32 s1, s0, s6
	v_mov_b32_e32 v5, s9
	s_add_i32 s9, s10, -1
	s_sub_i32 s80, s8, s1
	s_add_u32 s0, s6, s0
	v_readfirstlane_b32 s33, v1
	s_addc_u32 s1, s7, 0
	v_mov_b32_e32 v4, s8
	s_cmp_eq_u32 s33, s9
	v_cmp_ge_u64_e32 vcc, s[0:1], v[4:5]
	s_cselect_b64 s[66:67], -1, 0
	s_and_b64 s[74:75], vcc, s[66:67]
	s_xor_b64 s[70:71], s[74:75], -1
	v_lshlrev_b64 v[4:5], 1, v[2:3]
	s_mov_b64 s[0:1], -1
	v_lshl_add_u64 v[18:19], s[4:5], 0, v[4:5]
	s_and_b64 vcc, exec, s[70:71]
	s_cbranch_vccz .LBB780_6
; %bb.5:
	v_lshlrev_b32_e32 v2, 1, v0
	v_lshl_add_u64 v[4:5], v[18:19], 0, v[2:3]
	v_add_co_u32_e32 v6, vcc, 0x1000, v4
	v_readfirstlane_b32 s0, v18
	s_nop 0
	v_addc_co_u32_e32 v7, vcc, 0, v5, vcc
	v_add_co_u32_e32 v10, vcc, 0x2000, v4
	v_readfirstlane_b32 s1, v19
	s_nop 0
	v_addc_co_u32_e32 v11, vcc, 0, v5, vcc
	s_nop 2
	global_load_ushort v1, v2, s[0:1]
	global_load_ushort v3, v2, s[0:1] offset:1024
	global_load_ushort v12, v2, s[0:1] offset:2048
	;; [unrolled: 1-line block ×3, first 2 shown]
	global_load_ushort v14, v[6:7], off
	global_load_ushort v15, v[6:7], off offset:1024
	global_load_ushort v16, v[6:7], off offset:2048
	global_load_ushort v17, v[6:7], off offset:3072
	global_load_ushort v20, v[10:11], off
	global_load_ushort v21, v[10:11], off offset:1024
	global_load_ushort v22, v[10:11], off offset:2048
	;; [unrolled: 1-line block ×3, first 2 shown]
	v_add_co_u32_e32 v6, vcc, 0x3000, v4
	s_mov_b64 s[0:1], 0
	s_nop 0
	v_addc_co_u32_e32 v7, vcc, 0, v5, vcc
	v_add_co_u32_e32 v10, vcc, 0x4000, v4
	s_nop 1
	v_addc_co_u32_e32 v11, vcc, 0, v5, vcc
	global_load_ushort v24, v[6:7], off
	global_load_ushort v25, v[6:7], off offset:1024
	global_load_ushort v26, v[6:7], off offset:2048
	;; [unrolled: 1-line block ×3, first 2 shown]
	global_load_ushort v28, v[10:11], off
	global_load_ushort v29, v[10:11], off offset:1024
	global_load_ushort v30, v[10:11], off offset:2048
	;; [unrolled: 1-line block ×3, first 2 shown]
	v_add_co_u32_e32 v6, vcc, 0x5000, v4
	s_nop 1
	v_addc_co_u32_e32 v7, vcc, 0, v5, vcc
	v_add_co_u32_e32 v10, vcc, 0x6000, v4
	s_nop 1
	v_addc_co_u32_e32 v11, vcc, 0, v5, vcc
	v_add_co_u32_e32 v4, vcc, 0x7000, v4
	global_load_ushort v32, v[6:7], off
	global_load_ushort v33, v[6:7], off offset:1024
	global_load_ushort v34, v[6:7], off offset:2048
	;; [unrolled: 1-line block ×3, first 2 shown]
	global_load_ushort v36, v[10:11], off
	global_load_ushort v37, v[10:11], off offset:1024
	global_load_ushort v38, v[10:11], off offset:2048
	;; [unrolled: 1-line block ×3, first 2 shown]
	v_addc_co_u32_e32 v5, vcc, 0, v5, vcc
	global_load_ushort v6, v[4:5], off
	global_load_ushort v7, v[4:5], off offset:1024
	s_waitcnt vmcnt(29)
	ds_write_b16 v2, v1
	s_waitcnt vmcnt(28)
	ds_write_b16 v2, v3 offset:1024
	s_waitcnt vmcnt(27)
	ds_write_b16 v2, v12 offset:2048
	;; [unrolled: 2-line block ×29, first 2 shown]
	s_waitcnt lgkmcnt(0)
	s_barrier
.LBB780_6:
	s_andn2_b64 vcc, exec, s[0:1]
	s_addk_i32 s80, 0x3c00
	s_cbranch_vccnz .LBB780_68
; %bb.7:
	v_cmp_gt_u32_e32 vcc, s80, v0
                                        ; implicit-def: $vgpr1
	s_and_saveexec_b64 s[0:1], vcc
	s_cbranch_execz .LBB780_9
; %bb.8:
	v_lshlrev_b32_e32 v1, 1, v0
	v_readfirstlane_b32 s4, v18
	v_readfirstlane_b32 s5, v19
	s_nop 4
	global_load_ushort v1, v1, s[4:5]
.LBB780_9:
	s_or_b64 exec, exec, s[0:1]
	v_or_b32_e32 v2, 0x200, v0
	v_cmp_gt_u32_e32 vcc, s80, v2
                                        ; implicit-def: $vgpr2
	s_and_saveexec_b64 s[0:1], vcc
	s_cbranch_execz .LBB780_11
; %bb.10:
	v_lshlrev_b32_e32 v2, 1, v0
	v_readfirstlane_b32 s4, v18
	v_readfirstlane_b32 s5, v19
	s_nop 4
	global_load_ushort v2, v2, s[4:5] offset:1024
.LBB780_11:
	s_or_b64 exec, exec, s[0:1]
	v_or_b32_e32 v3, 0x400, v0
	v_cmp_gt_u32_e32 vcc, s80, v3
                                        ; implicit-def: $vgpr3
	s_and_saveexec_b64 s[0:1], vcc
	s_cbranch_execz .LBB780_13
; %bb.12:
	v_lshlrev_b32_e32 v3, 1, v0
	v_readfirstlane_b32 s4, v18
	v_readfirstlane_b32 s5, v19
	s_nop 4
	global_load_ushort v3, v3, s[4:5] offset:2048
.LBB780_13:
	s_or_b64 exec, exec, s[0:1]
	v_or_b32_e32 v4, 0x600, v0
	v_cmp_gt_u32_e32 vcc, s80, v4
                                        ; implicit-def: $vgpr4
	s_and_saveexec_b64 s[0:1], vcc
	s_cbranch_execz .LBB780_15
; %bb.14:
	v_lshlrev_b32_e32 v4, 1, v0
	v_readfirstlane_b32 s4, v18
	v_readfirstlane_b32 s5, v19
	s_nop 4
	global_load_ushort v4, v4, s[4:5] offset:3072
.LBB780_15:
	s_or_b64 exec, exec, s[0:1]
	v_or_b32_e32 v6, 0x800, v0
	v_cmp_gt_u32_e32 vcc, s80, v6
                                        ; implicit-def: $vgpr5
	s_and_saveexec_b64 s[0:1], vcc
	s_cbranch_execz .LBB780_17
; %bb.16:
	v_lshlrev_b32_e32 v5, 1, v6
	v_readfirstlane_b32 s4, v18
	v_readfirstlane_b32 s5, v19
	s_nop 4
	global_load_ushort v5, v5, s[4:5]
.LBB780_17:
	s_or_b64 exec, exec, s[0:1]
	v_or_b32_e32 v7, 0xa00, v0
	v_cmp_gt_u32_e32 vcc, s80, v7
                                        ; implicit-def: $vgpr6
	s_and_saveexec_b64 s[0:1], vcc
	s_cbranch_execz .LBB780_19
; %bb.18:
	v_lshlrev_b32_e32 v6, 1, v7
	v_readfirstlane_b32 s4, v18
	v_readfirstlane_b32 s5, v19
	s_nop 4
	global_load_ushort v6, v6, s[4:5]
.LBB780_19:
	s_or_b64 exec, exec, s[0:1]
	v_or_b32_e32 v10, 0xc00, v0
	v_cmp_gt_u32_e32 vcc, s80, v10
                                        ; implicit-def: $vgpr7
	s_and_saveexec_b64 s[0:1], vcc
	s_cbranch_execz .LBB780_21
; %bb.20:
	v_lshlrev_b32_e32 v7, 1, v10
	v_readfirstlane_b32 s4, v18
	v_readfirstlane_b32 s5, v19
	s_nop 4
	global_load_ushort v7, v7, s[4:5]
.LBB780_21:
	s_or_b64 exec, exec, s[0:1]
	v_or_b32_e32 v11, 0xe00, v0
	v_cmp_gt_u32_e32 vcc, s80, v11
                                        ; implicit-def: $vgpr10
	s_and_saveexec_b64 s[0:1], vcc
	s_cbranch_execz .LBB780_23
; %bb.22:
	v_lshlrev_b32_e32 v10, 1, v11
	v_readfirstlane_b32 s4, v18
	v_readfirstlane_b32 s5, v19
	s_nop 4
	global_load_ushort v10, v10, s[4:5]
.LBB780_23:
	s_or_b64 exec, exec, s[0:1]
	v_or_b32_e32 v12, 0x1000, v0
	v_cmp_gt_u32_e32 vcc, s80, v12
                                        ; implicit-def: $vgpr11
	s_and_saveexec_b64 s[0:1], vcc
	s_cbranch_execz .LBB780_25
; %bb.24:
	v_lshlrev_b32_e32 v11, 1, v12
	v_readfirstlane_b32 s4, v18
	v_readfirstlane_b32 s5, v19
	s_nop 4
	global_load_ushort v11, v11, s[4:5]
.LBB780_25:
	s_or_b64 exec, exec, s[0:1]
	v_or_b32_e32 v13, 0x1200, v0
	v_cmp_gt_u32_e32 vcc, s80, v13
                                        ; implicit-def: $vgpr12
	s_and_saveexec_b64 s[0:1], vcc
	s_cbranch_execz .LBB780_27
; %bb.26:
	v_lshlrev_b32_e32 v12, 1, v13
	v_readfirstlane_b32 s4, v18
	v_readfirstlane_b32 s5, v19
	s_nop 4
	global_load_ushort v12, v12, s[4:5]
.LBB780_27:
	s_or_b64 exec, exec, s[0:1]
	v_or_b32_e32 v14, 0x1400, v0
	v_cmp_gt_u32_e32 vcc, s80, v14
                                        ; implicit-def: $vgpr13
	s_and_saveexec_b64 s[0:1], vcc
	s_cbranch_execz .LBB780_29
; %bb.28:
	v_lshlrev_b32_e32 v13, 1, v14
	v_readfirstlane_b32 s4, v18
	v_readfirstlane_b32 s5, v19
	s_nop 4
	global_load_ushort v13, v13, s[4:5]
.LBB780_29:
	s_or_b64 exec, exec, s[0:1]
	v_or_b32_e32 v15, 0x1600, v0
	v_cmp_gt_u32_e32 vcc, s80, v15
                                        ; implicit-def: $vgpr14
	s_and_saveexec_b64 s[0:1], vcc
	s_cbranch_execz .LBB780_31
; %bb.30:
	v_lshlrev_b32_e32 v14, 1, v15
	v_readfirstlane_b32 s4, v18
	v_readfirstlane_b32 s5, v19
	s_nop 4
	global_load_ushort v14, v14, s[4:5]
.LBB780_31:
	s_or_b64 exec, exec, s[0:1]
	v_or_b32_e32 v16, 0x1800, v0
	v_cmp_gt_u32_e32 vcc, s80, v16
                                        ; implicit-def: $vgpr15
	s_and_saveexec_b64 s[0:1], vcc
	s_cbranch_execz .LBB780_33
; %bb.32:
	v_lshlrev_b32_e32 v15, 1, v16
	v_readfirstlane_b32 s4, v18
	v_readfirstlane_b32 s5, v19
	s_nop 4
	global_load_ushort v15, v15, s[4:5]
.LBB780_33:
	s_or_b64 exec, exec, s[0:1]
	v_or_b32_e32 v17, 0x1a00, v0
	v_cmp_gt_u32_e32 vcc, s80, v17
                                        ; implicit-def: $vgpr16
	s_and_saveexec_b64 s[0:1], vcc
	s_cbranch_execz .LBB780_35
; %bb.34:
	v_lshlrev_b32_e32 v16, 1, v17
	v_readfirstlane_b32 s4, v18
	v_readfirstlane_b32 s5, v19
	s_nop 4
	global_load_ushort v16, v16, s[4:5]
.LBB780_35:
	s_or_b64 exec, exec, s[0:1]
	v_or_b32_e32 v20, 0x1c00, v0
	v_cmp_gt_u32_e32 vcc, s80, v20
                                        ; implicit-def: $vgpr17
	s_and_saveexec_b64 s[0:1], vcc
	s_cbranch_execz .LBB780_37
; %bb.36:
	v_lshlrev_b32_e32 v17, 1, v20
	v_readfirstlane_b32 s4, v18
	v_readfirstlane_b32 s5, v19
	s_nop 4
	global_load_ushort v17, v17, s[4:5]
.LBB780_37:
	s_or_b64 exec, exec, s[0:1]
	v_or_b32_e32 v21, 0x1e00, v0
	v_cmp_gt_u32_e32 vcc, s80, v21
                                        ; implicit-def: $vgpr20
	s_and_saveexec_b64 s[0:1], vcc
	s_cbranch_execz .LBB780_39
; %bb.38:
	v_lshlrev_b32_e32 v20, 1, v21
	v_readfirstlane_b32 s4, v18
	v_readfirstlane_b32 s5, v19
	s_nop 4
	global_load_ushort v20, v20, s[4:5]
.LBB780_39:
	s_or_b64 exec, exec, s[0:1]
	v_or_b32_e32 v22, 0x2000, v0
	v_cmp_gt_u32_e32 vcc, s80, v22
                                        ; implicit-def: $vgpr21
	s_and_saveexec_b64 s[0:1], vcc
	s_cbranch_execz .LBB780_41
; %bb.40:
	v_lshlrev_b32_e32 v21, 1, v22
	v_readfirstlane_b32 s4, v18
	v_readfirstlane_b32 s5, v19
	s_nop 4
	global_load_ushort v21, v21, s[4:5]
.LBB780_41:
	s_or_b64 exec, exec, s[0:1]
	v_or_b32_e32 v23, 0x2200, v0
	v_cmp_gt_u32_e32 vcc, s80, v23
                                        ; implicit-def: $vgpr22
	s_and_saveexec_b64 s[0:1], vcc
	s_cbranch_execz .LBB780_43
; %bb.42:
	v_lshlrev_b32_e32 v22, 1, v23
	v_readfirstlane_b32 s4, v18
	v_readfirstlane_b32 s5, v19
	s_nop 4
	global_load_ushort v22, v22, s[4:5]
.LBB780_43:
	s_or_b64 exec, exec, s[0:1]
	v_or_b32_e32 v24, 0x2400, v0
	v_cmp_gt_u32_e32 vcc, s80, v24
                                        ; implicit-def: $vgpr23
	s_and_saveexec_b64 s[0:1], vcc
	s_cbranch_execz .LBB780_45
; %bb.44:
	v_lshlrev_b32_e32 v23, 1, v24
	v_readfirstlane_b32 s4, v18
	v_readfirstlane_b32 s5, v19
	s_nop 4
	global_load_ushort v23, v23, s[4:5]
.LBB780_45:
	s_or_b64 exec, exec, s[0:1]
	v_or_b32_e32 v25, 0x2600, v0
	v_cmp_gt_u32_e32 vcc, s80, v25
                                        ; implicit-def: $vgpr24
	s_and_saveexec_b64 s[0:1], vcc
	s_cbranch_execz .LBB780_47
; %bb.46:
	v_lshlrev_b32_e32 v24, 1, v25
	v_readfirstlane_b32 s4, v18
	v_readfirstlane_b32 s5, v19
	s_nop 4
	global_load_ushort v24, v24, s[4:5]
.LBB780_47:
	s_or_b64 exec, exec, s[0:1]
	v_or_b32_e32 v26, 0x2800, v0
	v_cmp_gt_u32_e32 vcc, s80, v26
                                        ; implicit-def: $vgpr25
	s_and_saveexec_b64 s[0:1], vcc
	s_cbranch_execz .LBB780_49
; %bb.48:
	v_lshlrev_b32_e32 v25, 1, v26
	v_readfirstlane_b32 s4, v18
	v_readfirstlane_b32 s5, v19
	s_nop 4
	global_load_ushort v25, v25, s[4:5]
.LBB780_49:
	s_or_b64 exec, exec, s[0:1]
	v_or_b32_e32 v27, 0x2a00, v0
	v_cmp_gt_u32_e32 vcc, s80, v27
                                        ; implicit-def: $vgpr26
	s_and_saveexec_b64 s[0:1], vcc
	s_cbranch_execz .LBB780_51
; %bb.50:
	v_lshlrev_b32_e32 v26, 1, v27
	v_readfirstlane_b32 s4, v18
	v_readfirstlane_b32 s5, v19
	s_nop 4
	global_load_ushort v26, v26, s[4:5]
.LBB780_51:
	s_or_b64 exec, exec, s[0:1]
	v_or_b32_e32 v28, 0x2c00, v0
	v_cmp_gt_u32_e32 vcc, s80, v28
                                        ; implicit-def: $vgpr27
	s_and_saveexec_b64 s[0:1], vcc
	s_cbranch_execz .LBB780_53
; %bb.52:
	v_lshlrev_b32_e32 v27, 1, v28
	v_readfirstlane_b32 s4, v18
	v_readfirstlane_b32 s5, v19
	s_nop 4
	global_load_ushort v27, v27, s[4:5]
.LBB780_53:
	s_or_b64 exec, exec, s[0:1]
	v_or_b32_e32 v29, 0x2e00, v0
	v_cmp_gt_u32_e32 vcc, s80, v29
                                        ; implicit-def: $vgpr28
	s_and_saveexec_b64 s[0:1], vcc
	s_cbranch_execz .LBB780_55
; %bb.54:
	v_lshlrev_b32_e32 v28, 1, v29
	v_readfirstlane_b32 s4, v18
	v_readfirstlane_b32 s5, v19
	s_nop 4
	global_load_ushort v28, v28, s[4:5]
.LBB780_55:
	s_or_b64 exec, exec, s[0:1]
	v_or_b32_e32 v30, 0x3000, v0
	v_cmp_gt_u32_e32 vcc, s80, v30
                                        ; implicit-def: $vgpr29
	s_and_saveexec_b64 s[0:1], vcc
	s_cbranch_execz .LBB780_57
; %bb.56:
	v_lshlrev_b32_e32 v29, 1, v30
	v_readfirstlane_b32 s4, v18
	v_readfirstlane_b32 s5, v19
	s_nop 4
	global_load_ushort v29, v29, s[4:5]
.LBB780_57:
	s_or_b64 exec, exec, s[0:1]
	v_or_b32_e32 v31, 0x3200, v0
	v_cmp_gt_u32_e32 vcc, s80, v31
                                        ; implicit-def: $vgpr30
	s_and_saveexec_b64 s[0:1], vcc
	s_cbranch_execz .LBB780_59
; %bb.58:
	v_lshlrev_b32_e32 v30, 1, v31
	v_readfirstlane_b32 s4, v18
	v_readfirstlane_b32 s5, v19
	s_nop 4
	global_load_ushort v30, v30, s[4:5]
.LBB780_59:
	s_or_b64 exec, exec, s[0:1]
	v_or_b32_e32 v32, 0x3400, v0
	v_cmp_gt_u32_e32 vcc, s80, v32
                                        ; implicit-def: $vgpr31
	s_and_saveexec_b64 s[0:1], vcc
	s_cbranch_execz .LBB780_61
; %bb.60:
	v_lshlrev_b32_e32 v31, 1, v32
	v_readfirstlane_b32 s4, v18
	v_readfirstlane_b32 s5, v19
	s_nop 4
	global_load_ushort v31, v31, s[4:5]
.LBB780_61:
	s_or_b64 exec, exec, s[0:1]
	v_or_b32_e32 v33, 0x3600, v0
	v_cmp_gt_u32_e32 vcc, s80, v33
                                        ; implicit-def: $vgpr32
	s_and_saveexec_b64 s[0:1], vcc
	s_cbranch_execz .LBB780_63
; %bb.62:
	v_lshlrev_b32_e32 v32, 1, v33
	v_readfirstlane_b32 s4, v18
	v_readfirstlane_b32 s5, v19
	s_nop 4
	global_load_ushort v32, v32, s[4:5]
.LBB780_63:
	s_or_b64 exec, exec, s[0:1]
	v_or_b32_e32 v34, 0x3800, v0
	v_cmp_gt_u32_e32 vcc, s80, v34
                                        ; implicit-def: $vgpr33
	s_and_saveexec_b64 s[0:1], vcc
	s_cbranch_execz .LBB780_65
; %bb.64:
	v_lshlrev_b32_e32 v33, 1, v34
	v_readfirstlane_b32 s4, v18
	v_readfirstlane_b32 s5, v19
	s_nop 4
	global_load_ushort v33, v33, s[4:5]
.LBB780_65:
	s_or_b64 exec, exec, s[0:1]
	v_or_b32_e32 v35, 0x3a00, v0
	v_cmp_gt_u32_e32 vcc, s80, v35
                                        ; implicit-def: $vgpr34
	s_and_saveexec_b64 s[0:1], vcc
	s_cbranch_execz .LBB780_67
; %bb.66:
	v_lshlrev_b32_e32 v34, 1, v35
	v_readfirstlane_b32 s4, v18
	v_readfirstlane_b32 s5, v19
	s_nop 4
	global_load_ushort v34, v34, s[4:5]
.LBB780_67:
	s_or_b64 exec, exec, s[0:1]
	v_lshlrev_b32_e32 v35, 1, v0
	s_waitcnt vmcnt(0)
	ds_write_b16 v35, v1
	ds_write_b16 v35, v2 offset:1024
	ds_write_b16 v35, v3 offset:2048
	;; [unrolled: 1-line block ×29, first 2 shown]
	s_waitcnt lgkmcnt(0)
	s_barrier
.LBB780_68:
	v_mul_u32_u24_e32 v27, 30, v0
	v_lshlrev_b32_e32 v50, 1, v27
	ds_read_b32 v84, v50 offset:56
	ds_read2_b32 v[2:3], v50 offset0:12 offset1:13
	ds_read2_b32 v[4:5], v50 offset0:10 offset1:11
	;; [unrolled: 1-line block ×3, first 2 shown]
	ds_read2_b32 v[16:17], v50 offset1:1
	ds_read2_b32 v[14:15], v50 offset0:2 offset1:3
	ds_read2_b32 v[12:13], v50 offset0:4 offset1:5
	;; [unrolled: 1-line block ×3, first 2 shown]
	s_cmp_lg_u32 s33, 0
	s_cselect_b64 s[76:77], -1, 0
	s_cmp_lg_u64 s[6:7], 0
	s_cselect_b64 s[0:1], -1, 0
	s_or_b64 s[0:1], s[0:1], s[76:77]
	v_mad_u32_u24 v20, v0, 30, 29
	v_mad_u32_u24 v21, v0, 30, 28
	s_waitcnt lgkmcnt(7)
	v_lshrrev_b32_e32 v1, 16, v84
	v_mad_u32_u24 v22, v0, 30, 27
	s_waitcnt lgkmcnt(6)
	v_lshrrev_b32_e32 v86, 16, v2
	v_lshrrev_b32_e32 v85, 16, v3
	v_mad_u32_u24 v23, v0, 30, 26
	v_mad_u32_u24 v24, v0, 30, 25
	;; [unrolled: 1-line block ×4, first 2 shown]
	s_waitcnt lgkmcnt(5)
	v_lshrrev_b32_e32 v88, 16, v4
	v_lshrrev_b32_e32 v87, 16, v5
	v_mad_u32_u24 v28, v0, 30, 22
	s_waitcnt lgkmcnt(3)
	v_lshrrev_b32_e32 v105, 16, v16
	v_lshrrev_b32_e32 v102, 16, v17
	v_or_b32_e32 v49, 1, v27
	v_mad_u32_u24 v48, v0, 30, 2
	v_mad_u32_u24 v46, v0, 30, 3
	v_mad_u32_u24 v44, v0, 30, 4
	s_waitcnt lgkmcnt(2)
	v_lshrrev_b32_e32 v100, 16, v14
	v_lshrrev_b32_e32 v98, 16, v15
	v_mad_u32_u24 v47, v0, 30, 5
	v_mad_u32_u24 v45, v0, 30, 6
	v_mad_u32_u24 v42, v0, 30, 7
	v_mad_u32_u24 v40, v0, 30, 8
	s_waitcnt lgkmcnt(1)
	v_lshrrev_b32_e32 v96, 16, v12
	v_lshrrev_b32_e32 v94, 16, v13
	v_mad_u32_u24 v43, v0, 30, 9
	v_mad_u32_u24 v41, v0, 30, 10
	v_mad_u32_u24 v38, v0, 30, 11
	v_mad_u32_u24 v36, v0, 30, 12
	s_waitcnt lgkmcnt(0)
	v_lshrrev_b32_e32 v92, 16, v10
	v_lshrrev_b32_e32 v91, 16, v11
	v_mad_u32_u24 v39, v0, 30, 13
	v_mad_u32_u24 v37, v0, 30, 14
	v_mad_u32_u24 v34, v0, 30, 15
	;; [unrolled: 1-line block ×3, first 2 shown]
	v_lshrrev_b32_e32 v90, 16, v6
	v_lshrrev_b32_e32 v89, 16, v7
	v_mad_u32_u24 v35, v0, 30, 17
	v_mad_u32_u24 v33, v0, 30, 18
	;; [unrolled: 1-line block ×5, first 2 shown]
	s_mov_b64 s[78:79], 0
	s_and_b64 vcc, exec, s[0:1]
	s_barrier
	s_cbranch_vccz .LBB780_73
; %bb.69:
	global_load_ushort v18, v[18:19], off offset:-2
	v_lshlrev_b32_e32 v19, 1, v0
	s_and_b64 vcc, exec, s[70:71]
	ds_write_b16 v19, v1
	s_cbranch_vccz .LBB780_75
; %bb.70:
	s_waitcnt vmcnt(0)
	v_mov_b32_e32 v51, v18
	s_waitcnt lgkmcnt(0)
	s_barrier
	s_and_saveexec_b64 s[0:1], s[2:3]
	s_cbranch_execz .LBB780_72
; %bb.71:
	v_add_u32_e32 v51, -2, v19
	ds_read_u16 v51, v51
.LBB780_72:
	s_or_b64 exec, exec, s[0:1]
	v_cmp_ne_u16_e32 vcc, v84, v1
	s_waitcnt lgkmcnt(0)
	v_cmp_ne_u16_e64 s[0:1], v51, v16
	v_cndmask_b32_e64 v93, 0, 1, vcc
	v_cmp_ne_u16_e32 vcc, v85, v84
	s_nop 1
	v_cndmask_b32_e64 v95, 0, 1, vcc
	v_cmp_ne_u16_e32 vcc, v3, v85
	s_nop 1
	;; [unrolled: 3-line block ×28, first 2 shown]
	v_cndmask_b32_e64 v127, 0, 1, vcc
	s_branch .LBB780_79
.LBB780_73:
                                        ; implicit-def: $sgpr0_sgpr1
                                        ; implicit-def: $vgpr127
                                        ; implicit-def: $vgpr126
                                        ; implicit-def: $vgpr125
                                        ; implicit-def: $vgpr124
                                        ; implicit-def: $vgpr123
                                        ; implicit-def: $vgpr122
                                        ; implicit-def: $vgpr121
                                        ; implicit-def: $vgpr120
                                        ; implicit-def: $vgpr119
                                        ; implicit-def: $vgpr118
                                        ; implicit-def: $vgpr117
                                        ; implicit-def: $vgpr116
                                        ; implicit-def: $vgpr115
                                        ; implicit-def: $vgpr114
                                        ; implicit-def: $vgpr113
                                        ; implicit-def: $vgpr112
                                        ; implicit-def: $vgpr111
                                        ; implicit-def: $vgpr110
                                        ; implicit-def: $vgpr109
                                        ; implicit-def: $vgpr108
                                        ; implicit-def: $vgpr107
                                        ; implicit-def: $vgpr106
                                        ; implicit-def: $vgpr104
                                        ; implicit-def: $vgpr103
                                        ; implicit-def: $vgpr101
                                        ; implicit-def: $vgpr99
                                        ; implicit-def: $vgpr97
                                        ; implicit-def: $vgpr95
                                        ; implicit-def: $vgpr93
	s_branch .LBB780_80
.LBB780_74:
                                        ; implicit-def: $sgpr6
	s_branch .LBB780_88
.LBB780_75:
                                        ; implicit-def: $sgpr0_sgpr1
                                        ; implicit-def: $vgpr127
                                        ; implicit-def: $vgpr126
                                        ; implicit-def: $vgpr125
                                        ; implicit-def: $vgpr124
                                        ; implicit-def: $vgpr123
                                        ; implicit-def: $vgpr122
                                        ; implicit-def: $vgpr121
                                        ; implicit-def: $vgpr120
                                        ; implicit-def: $vgpr119
                                        ; implicit-def: $vgpr118
                                        ; implicit-def: $vgpr117
                                        ; implicit-def: $vgpr116
                                        ; implicit-def: $vgpr115
                                        ; implicit-def: $vgpr114
                                        ; implicit-def: $vgpr113
                                        ; implicit-def: $vgpr112
                                        ; implicit-def: $vgpr111
                                        ; implicit-def: $vgpr110
                                        ; implicit-def: $vgpr109
                                        ; implicit-def: $vgpr108
                                        ; implicit-def: $vgpr107
                                        ; implicit-def: $vgpr106
                                        ; implicit-def: $vgpr104
                                        ; implicit-def: $vgpr103
                                        ; implicit-def: $vgpr101
                                        ; implicit-def: $vgpr99
                                        ; implicit-def: $vgpr97
                                        ; implicit-def: $vgpr95
                                        ; implicit-def: $vgpr93
	s_cbranch_execz .LBB780_79
; %bb.76:
	s_waitcnt lgkmcnt(0)
	s_barrier
	s_and_saveexec_b64 s[0:1], s[2:3]
	s_cbranch_execz .LBB780_78
; %bb.77:
	s_waitcnt vmcnt(0)
	v_add_u32_e32 v18, -2, v19
	ds_read_u16 v18, v18
.LBB780_78:
	s_or_b64 exec, exec, s[0:1]
	v_cmp_gt_u32_e32 vcc, s80, v20
	v_cmp_ne_u16_e64 s[0:1], v84, v1
	s_and_b64 s[0:1], vcc, s[0:1]
	v_cmp_gt_u32_e32 vcc, s80, v21
	v_cndmask_b32_e64 v93, 0, 1, s[0:1]
	v_cmp_ne_u16_e64 s[0:1], v85, v84
	s_and_b64 s[0:1], vcc, s[0:1]
	v_cmp_gt_u32_e32 vcc, s80, v22
	v_cndmask_b32_e64 v95, 0, 1, s[0:1]
	;; [unrolled: 4-line block ×29, first 2 shown]
	s_waitcnt vmcnt(0) lgkmcnt(0)
	v_cmp_ne_u16_e64 s[0:1], v18, v16
	s_and_b64 s[0:1], vcc, s[0:1]
.LBB780_79:
	s_mov_b64 s[78:79], -1
	s_cbranch_execnz .LBB780_74
.LBB780_80:
	s_movk_i32 s0, 0xffc6
	s_waitcnt vmcnt(0)
	v_mad_i32_i24 v18, v0, s0, v50
	s_and_b64 vcc, exec, s[70:71]
	v_cmp_ne_u16_e64 s[0:1], v84, v1
	v_cmp_ne_u16_e64 s[4:5], v85, v84
	;; [unrolled: 1-line block ×29, first 2 shown]
	ds_write_b16 v18, v1
	s_cbranch_vccz .LBB780_84
; %bb.81:
	v_cndmask_b32_e64 v93, 0, 1, s[0:1]
	v_cndmask_b32_e64 v95, 0, 1, s[4:5]
	;; [unrolled: 1-line block ×29, first 2 shown]
	s_waitcnt lgkmcnt(0)
	s_barrier
	s_waitcnt lgkmcnt(0)
                                        ; implicit-def: $sgpr0_sgpr1
	s_and_saveexec_b64 s[4:5], s[2:3]
	s_xor_b64 s[4:5], exec, s[4:5]
	s_cbranch_execz .LBB780_83
; %bb.82:
	v_add_u32_e32 v19, -2, v18
	ds_read_u16 v19, v19
	s_or_b64 s[78:79], s[78:79], exec
	s_waitcnt lgkmcnt(0)
	v_cmp_ne_u16_e32 vcc, v19, v16
	s_and_b64 s[0:1], vcc, exec
.LBB780_83:
	s_or_b64 exec, exec, s[4:5]
	s_mov_b32 s6, 1
	s_branch .LBB780_88
.LBB780_84:
                                        ; implicit-def: $sgpr0_sgpr1
                                        ; implicit-def: $vgpr127
                                        ; implicit-def: $vgpr126
                                        ; implicit-def: $vgpr125
                                        ; implicit-def: $vgpr124
                                        ; implicit-def: $vgpr123
                                        ; implicit-def: $vgpr122
                                        ; implicit-def: $vgpr121
                                        ; implicit-def: $vgpr120
                                        ; implicit-def: $vgpr119
                                        ; implicit-def: $vgpr118
                                        ; implicit-def: $vgpr117
                                        ; implicit-def: $vgpr116
                                        ; implicit-def: $vgpr115
                                        ; implicit-def: $vgpr114
                                        ; implicit-def: $vgpr113
                                        ; implicit-def: $vgpr112
                                        ; implicit-def: $vgpr111
                                        ; implicit-def: $vgpr110
                                        ; implicit-def: $vgpr109
                                        ; implicit-def: $vgpr108
                                        ; implicit-def: $vgpr107
                                        ; implicit-def: $vgpr106
                                        ; implicit-def: $vgpr104
                                        ; implicit-def: $vgpr103
                                        ; implicit-def: $vgpr101
                                        ; implicit-def: $vgpr99
                                        ; implicit-def: $vgpr97
                                        ; implicit-def: $vgpr95
                                        ; implicit-def: $vgpr93
                                        ; implicit-def: $sgpr6
	s_cbranch_execz .LBB780_88
; %bb.85:
	v_cmp_gt_u32_e32 vcc, s80, v20
	v_cmp_ne_u16_e64 s[0:1], v84, v1
	s_and_b64 s[0:1], vcc, s[0:1]
	v_cmp_gt_u32_e32 vcc, s80, v21
	v_cndmask_b32_e64 v93, 0, 1, s[0:1]
	v_cmp_ne_u16_e64 s[0:1], v85, v84
	s_and_b64 s[0:1], vcc, s[0:1]
	v_cmp_gt_u32_e32 vcc, s80, v22
	v_cndmask_b32_e64 v95, 0, 1, s[0:1]
	;; [unrolled: 4-line block ×28, first 2 shown]
	v_cmp_ne_u16_e64 s[0:1], v16, v105
	s_and_b64 s[0:1], vcc, s[0:1]
	s_waitcnt lgkmcnt(0)
	v_cndmask_b32_e64 v127, 0, 1, s[0:1]
	s_barrier
	s_waitcnt lgkmcnt(0)
                                        ; implicit-def: $sgpr0_sgpr1
	s_and_saveexec_b64 s[4:5], s[2:3]
	s_cbranch_execz .LBB780_87
; %bb.86:
	v_add_u32_e32 v18, -2, v18
	ds_read_u16 v18, v18
	v_cmp_gt_u32_e32 vcc, s80, v27
	s_or_b64 s[78:79], s[78:79], exec
	s_waitcnt lgkmcnt(0)
	v_cmp_ne_u16_e64 s[0:1], v18, v16
	s_and_b64 s[0:1], vcc, s[0:1]
	s_and_b64 s[0:1], s[0:1], exec
.LBB780_87:
	s_or_b64 exec, exec, s[4:5]
	s_mov_b32 s6, 1
.LBB780_88:
	v_mov_b32_e32 v128, s6
	s_and_saveexec_b64 s[2:3], s[78:79]
; %bb.89:
	v_cndmask_b32_e64 v128, 0, 1, s[0:1]
; %bb.90:
	s_or_b64 exec, exec, s[2:3]
	s_andn2_b64 vcc, exec, s[74:75]
	s_cbranch_vccnz .LBB780_92
; %bb.91:
	v_cmp_gt_u32_e32 vcc, s80, v27
	s_nop 1
	v_cndmask_b32_e32 v128, 0, v128, vcc
	v_cmp_gt_u32_e32 vcc, s80, v49
	s_nop 1
	v_cndmask_b32_e32 v127, 0, v127, vcc
	;; [unrolled: 3-line block ×30, first 2 shown]
.LBB780_92:
	v_and_b32_e32 v63, 0xff, v99
	v_and_b32_e32 v65, 0xff, v97
	s_waitcnt vmcnt(0)
	v_add_u32_sdwa v18, v95, v93 dst_sel:DWORD dst_unused:UNUSED_PAD src0_sel:BYTE_0 src1_sel:BYTE_0
	v_and_b32_e32 v59, 0xff, v103
	v_and_b32_e32 v61, 0xff, v101
	v_add3_u32 v18, v18, v65, v63
	v_and_b32_e32 v55, 0xff, v106
	v_and_b32_e32 v57, 0xff, v104
	v_add3_u32 v18, v18, v61, v59
	;; [unrolled: 3-line block ×13, first 2 shown]
	v_add3_u32 v50, v18, v29, v28
	v_mbcnt_lo_u32_b32 v18, -1, 0
	v_mbcnt_hi_u32_b32 v46, -1, v18
	v_and_b32_e32 v18, 15, v46
	v_cmp_eq_u32_e64 s[14:15], 0, v18
	v_cmp_lt_u32_e64 s[12:13], 1, v18
	v_cmp_lt_u32_e64 s[10:11], 3, v18
	;; [unrolled: 1-line block ×3, first 2 shown]
	v_and_b32_e32 v18, 16, v46
	v_cmp_eq_u32_e64 s[6:7], 0, v18
	v_or_b32_e32 v18, 63, v0
	v_cmp_lt_u32_e64 s[2:3], 31, v46
	v_lshrrev_b32_e32 v48, 6, v0
	v_cmp_eq_u32_e64 s[4:5], v18, v0
	s_and_b64 vcc, exec, s[76:77]
	s_waitcnt lgkmcnt(0)
	s_barrier
	s_cbranch_vccz .LBB780_119
; %bb.93:
	v_mov_b32_dpp v18, v50 row_shr:1 row_mask:0xf bank_mask:0xf
	v_cndmask_b32_e64 v18, v18, 0, s[14:15]
	v_add_u32_e32 v18, v18, v50
	s_nop 1
	v_mov_b32_dpp v19, v18 row_shr:2 row_mask:0xf bank_mask:0xf
	v_cndmask_b32_e64 v19, 0, v19, s[12:13]
	v_add_u32_e32 v18, v18, v19
	s_nop 1
	;; [unrolled: 4-line block ×4, first 2 shown]
	v_mov_b32_dpp v19, v18 row_bcast:15 row_mask:0xf bank_mask:0xf
	v_cndmask_b32_e64 v19, v19, 0, s[6:7]
	v_add_u32_e32 v18, v18, v19
	s_nop 1
	v_mov_b32_dpp v19, v18 row_bcast:31 row_mask:0xf bank_mask:0xf
	v_cndmask_b32_e64 v19, 0, v19, s[2:3]
	v_add_u32_e32 v18, v18, v19
	s_and_saveexec_b64 s[0:1], s[4:5]
	s_cbranch_execz .LBB780_95
; %bb.94:
	v_lshlrev_b32_e32 v19, 2, v48
	ds_write_b32 v19, v18
.LBB780_95:
	s_or_b64 exec, exec, s[0:1]
	v_cmp_gt_u32_e32 vcc, 8, v0
	s_waitcnt lgkmcnt(0)
	s_barrier
	s_and_saveexec_b64 s[0:1], vcc
	s_cbranch_execz .LBB780_97
; %bb.96:
	v_lshlrev_b32_e32 v19, 2, v0
	ds_read_b32 v20, v19
	v_and_b32_e32 v21, 7, v46
	v_cmp_ne_u32_e32 vcc, 0, v21
	s_waitcnt lgkmcnt(0)
	v_mov_b32_dpp v22, v20 row_shr:1 row_mask:0xf bank_mask:0xf
	v_cndmask_b32_e32 v22, 0, v22, vcc
	v_add_u32_e32 v20, v22, v20
	v_cmp_lt_u32_e32 vcc, 1, v21
	s_nop 0
	v_mov_b32_dpp v22, v20 row_shr:2 row_mask:0xf bank_mask:0xf
	v_cndmask_b32_e32 v22, 0, v22, vcc
	v_add_u32_e32 v20, v20, v22
	v_cmp_lt_u32_e32 vcc, 3, v21
	s_nop 0
	v_mov_b32_dpp v22, v20 row_shr:4 row_mask:0xf bank_mask:0xf
	v_cndmask_b32_e32 v21, 0, v22, vcc
	v_add_u32_e32 v20, v20, v21
	ds_write_b32 v19, v20
.LBB780_97:
	s_or_b64 exec, exec, s[0:1]
	v_cmp_gt_u32_e32 vcc, 64, v0
	v_cmp_lt_u32_e64 s[0:1], 63, v0
	s_waitcnt lgkmcnt(0)
	s_barrier
	s_waitcnt lgkmcnt(0)
                                        ; implicit-def: $vgpr52
	s_and_saveexec_b64 s[16:17], s[0:1]
	s_cbranch_execz .LBB780_99
; %bb.98:
	v_lshl_add_u32 v19, v48, 2, -4
	ds_read_b32 v52, v19
	s_waitcnt lgkmcnt(0)
	v_add_u32_e32 v18, v52, v18
.LBB780_99:
	s_or_b64 exec, exec, s[16:17]
	v_add_u32_e32 v19, -1, v46
	v_and_b32_e32 v20, 64, v46
	v_cmp_lt_i32_e64 s[0:1], v19, v20
	v_cmp_eq_u32_e64 s[16:17], 0, v46
	s_nop 0
	v_cndmask_b32_e64 v19, v19, v46, s[0:1]
	v_lshlrev_b32_e32 v19, 2, v19
	ds_bpermute_b32 v54, v19, v18
	s_and_saveexec_b64 s[0:1], vcc
	s_cbranch_execz .LBB780_118
; %bb.100:
	v_mov_b32_e32 v25, 0
	ds_read_b32 v18, v25 offset:28
	s_and_saveexec_b64 s[20:21], s[16:17]
	s_cbranch_execz .LBB780_102
; %bb.101:
	s_add_i32 s22, s33, 64
	s_mov_b32 s23, 0
	s_lshl_b64 s[22:23], s[22:23], 3
	s_add_u32 s22, s72, s22
	v_mov_b32_e32 v19, 1
	s_addc_u32 s23, s73, s23
	s_waitcnt lgkmcnt(0)
	global_store_dwordx2 v25, v[18:19], s[22:23] sc1
.LBB780_102:
	s_or_b64 exec, exec, s[20:21]
	v_xad_u32 v20, v46, -1, s33
	v_add_u32_e32 v24, 64, v20
	v_lshl_add_u64 v[26:27], v[24:25], 3, s[72:73]
	global_load_dwordx2 v[22:23], v[26:27], off sc1
	s_waitcnt vmcnt(0)
	v_cmp_eq_u16_sdwa s[22:23], v23, v25 src0_sel:BYTE_0 src1_sel:DWORD
	s_and_saveexec_b64 s[20:21], s[22:23]
	s_cbranch_execz .LBB780_106
; %bb.103:
	s_mov_b64 s[22:23], 0
	v_mov_b32_e32 v19, 0
.LBB780_104:                            ; =>This Inner Loop Header: Depth=1
	global_load_dwordx2 v[22:23], v[26:27], off sc1
	s_waitcnt vmcnt(0)
	v_cmp_ne_u16_sdwa s[24:25], v23, v19 src0_sel:BYTE_0 src1_sel:DWORD
	s_or_b64 s[22:23], s[24:25], s[22:23]
	s_andn2_b64 exec, exec, s[22:23]
	s_cbranch_execnz .LBB780_104
; %bb.105:
	s_or_b64 exec, exec, s[22:23]
.LBB780_106:
	s_or_b64 exec, exec, s[20:21]
	v_and_b32_e32 v58, 63, v46
	v_mov_b32_e32 v56, 2
	v_cmp_ne_u32_e32 vcc, 63, v58
	v_cmp_eq_u16_sdwa s[20:21], v23, v56 src0_sel:BYTE_0 src1_sel:DWORD
	v_lshlrev_b64 v[24:25], v46, -1
	v_addc_co_u32_e32 v26, vcc, 0, v46, vcc
	v_and_b32_e32 v19, s21, v25
	v_lshlrev_b32_e32 v60, 2, v26
	v_or_b32_e32 v19, 0x80000000, v19
	ds_bpermute_b32 v26, v60, v22
	v_and_b32_e32 v21, s20, v24
	v_ffbl_b32_e32 v19, v19
	v_add_u32_e32 v19, 32, v19
	v_ffbl_b32_e32 v21, v21
	v_min_u32_e32 v19, v21, v19
	v_cmp_lt_u32_e32 vcc, v58, v19
	v_add_u32_e32 v64, 2, v58
	v_add_u32_e32 v67, 4, v58
	s_waitcnt lgkmcnt(0)
	v_cndmask_b32_e32 v21, 0, v26, vcc
	v_cmp_gt_u32_e32 vcc, 62, v58
	v_add_u32_e32 v21, v21, v22
	v_add_u32_e32 v69, 8, v58
	v_cndmask_b32_e64 v22, 0, 1, vcc
	v_lshlrev_b32_e32 v22, 1, v22
	v_add_lshl_u32 v62, v22, v46, 2
	ds_bpermute_b32 v22, v62, v21
	v_cmp_le_u32_e32 vcc, v64, v19
	v_add_u32_e32 v71, 16, v58
	v_add_u32_e32 v73, 32, v58
	s_waitcnt lgkmcnt(0)
	v_cndmask_b32_e32 v22, 0, v22, vcc
	v_cmp_gt_u32_e32 vcc, 60, v58
	v_add_u32_e32 v21, v21, v22
	s_nop 0
	v_cndmask_b32_e64 v22, 0, 1, vcc
	v_lshlrev_b32_e32 v22, 2, v22
	v_add_lshl_u32 v66, v22, v46, 2
	ds_bpermute_b32 v22, v66, v21
	v_cmp_le_u32_e32 vcc, v67, v19
	s_waitcnt lgkmcnt(0)
	s_nop 0
	v_cndmask_b32_e32 v22, 0, v22, vcc
	v_cmp_gt_u32_e32 vcc, 56, v58
	v_add_u32_e32 v21, v21, v22
	s_nop 0
	v_cndmask_b32_e64 v22, 0, 1, vcc
	v_lshlrev_b32_e32 v22, 3, v22
	v_add_lshl_u32 v68, v22, v46, 2
	ds_bpermute_b32 v22, v68, v21
	v_cmp_le_u32_e32 vcc, v69, v19
	s_waitcnt lgkmcnt(0)
	s_nop 0
	;; [unrolled: 11-line block ×4, first 2 shown]
	v_cndmask_b32_e32 v19, 0, v22, vcc
	v_add_u32_e32 v22, v21, v19
	v_mov_b32_e32 v21, 0
	s_branch .LBB780_108
.LBB780_107:                            ;   in Loop: Header=BB780_108 Depth=1
	s_or_b64 exec, exec, s[20:21]
	v_cmp_eq_u16_sdwa s[20:21], v23, v56 src0_sel:BYTE_0 src1_sel:DWORD
	ds_bpermute_b32 v74, v60, v22
	v_subrev_u32_e32 v20, 64, v20
	v_and_b32_e32 v26, s21, v25
	v_or_b32_e32 v26, 0x80000000, v26
	v_and_b32_e32 v27, s20, v24
	v_ffbl_b32_e32 v26, v26
	v_add_u32_e32 v26, 32, v26
	v_ffbl_b32_e32 v27, v27
	v_min_u32_e32 v26, v27, v26
	v_cmp_lt_u32_e32 vcc, v58, v26
	s_waitcnt lgkmcnt(0)
	s_nop 0
	v_cndmask_b32_e32 v27, 0, v74, vcc
	v_add_u32_e32 v22, v27, v22
	ds_bpermute_b32 v27, v62, v22
	v_cmp_le_u32_e32 vcc, v64, v26
	s_waitcnt lgkmcnt(0)
	s_nop 0
	v_cndmask_b32_e32 v27, 0, v27, vcc
	v_add_u32_e32 v22, v22, v27
	ds_bpermute_b32 v27, v66, v22
	v_cmp_le_u32_e32 vcc, v67, v26
	;; [unrolled: 6-line block ×5, first 2 shown]
	s_waitcnt lgkmcnt(0)
	s_nop 0
	v_cndmask_b32_e32 v26, 0, v27, vcc
	v_add3_u32 v22, v26, v19, v22
.LBB780_108:                            ; =>This Loop Header: Depth=1
                                        ;     Child Loop BB780_111 Depth 2
	v_cmp_ne_u16_sdwa s[20:21], v23, v56 src0_sel:BYTE_0 src1_sel:DWORD
	s_nop 1
	v_cndmask_b32_e64 v19, 0, 1, s[20:21]
	;;#ASMSTART
	;;#ASMEND
	s_nop 0
	v_cmp_ne_u32_e32 vcc, 0, v19
	s_cmp_lg_u64 vcc, exec
	v_mov_b32_e32 v19, v22
	s_cbranch_scc1 .LBB780_113
; %bb.109:                              ;   in Loop: Header=BB780_108 Depth=1
	v_lshl_add_u64 v[26:27], v[20:21], 3, s[72:73]
	global_load_dwordx2 v[22:23], v[26:27], off sc1
	s_waitcnt vmcnt(0)
	v_cmp_eq_u16_sdwa s[22:23], v23, v21 src0_sel:BYTE_0 src1_sel:DWORD
	s_and_saveexec_b64 s[20:21], s[22:23]
	s_cbranch_execz .LBB780_107
; %bb.110:                              ;   in Loop: Header=BB780_108 Depth=1
	s_mov_b64 s[22:23], 0
.LBB780_111:                            ;   Parent Loop BB780_108 Depth=1
                                        ; =>  This Inner Loop Header: Depth=2
	global_load_dwordx2 v[22:23], v[26:27], off sc1
	s_waitcnt vmcnt(0)
	v_cmp_ne_u16_sdwa s[24:25], v23, v21 src0_sel:BYTE_0 src1_sel:DWORD
	s_or_b64 s[22:23], s[24:25], s[22:23]
	s_andn2_b64 exec, exec, s[22:23]
	s_cbranch_execnz .LBB780_111
; %bb.112:                              ;   in Loop: Header=BB780_108 Depth=1
	s_or_b64 exec, exec, s[22:23]
	s_branch .LBB780_107
.LBB780_113:                            ;   in Loop: Header=BB780_108 Depth=1
                                        ; implicit-def: $vgpr22
                                        ; implicit-def: $vgpr23
	s_cbranch_execz .LBB780_108
; %bb.114:
	s_and_saveexec_b64 s[20:21], s[16:17]
	s_cbranch_execz .LBB780_116
; %bb.115:
	s_add_i32 s22, s33, 64
	s_mov_b32 s23, 0
	s_lshl_b64 s[22:23], s[22:23], 3
	s_add_u32 s22, s72, s22
	v_add_u32_e32 v20, v19, v18
	v_mov_b32_e32 v21, 2
	s_addc_u32 s23, s73, s23
	v_mov_b32_e32 v22, 0
	global_store_dwordx2 v22, v[20:21], s[22:23] sc1
	ds_write_b64 v22, v[18:19] offset:30720
.LBB780_116:
	s_or_b64 exec, exec, s[20:21]
	s_and_b64 exec, exec, s[18:19]
	s_cbranch_execz .LBB780_118
; %bb.117:
	v_mov_b32_e32 v18, 0
	ds_write_b32 v18, v19 offset:28
.LBB780_118:
	s_or_b64 exec, exec, s[0:1]
	v_mov_b32_e32 v18, 0
	s_waitcnt lgkmcnt(0)
	s_barrier
	ds_read_b32 v20, v18 offset:28
	s_waitcnt lgkmcnt(0)
	s_barrier
	ds_read_b64 v[18:19], v18 offset:30720
	v_cndmask_b32_e64 v21, v54, v52, s[16:17]
	v_cndmask_b32_e64 v21, v21, 0, s[18:19]
	v_add_u32_e32 v76, v20, v21
	s_waitcnt lgkmcnt(0)
	v_mov_b32_e32 v20, v19
	s_branch .LBB780_129
.LBB780_119:
                                        ; implicit-def: $vgpr20
                                        ; implicit-def: $vgpr18
                                        ; implicit-def: $vgpr76
	s_cbranch_execz .LBB780_129
; %bb.120:
	s_nop 0
	v_mov_b32_dpp v18, v50 row_shr:1 row_mask:0xf bank_mask:0xf
	v_cndmask_b32_e64 v18, v18, 0, s[14:15]
	v_add_u32_e32 v18, v18, v50
	s_nop 1
	v_mov_b32_dpp v19, v18 row_shr:2 row_mask:0xf bank_mask:0xf
	v_cndmask_b32_e64 v19, 0, v19, s[12:13]
	v_add_u32_e32 v18, v18, v19
	;; [unrolled: 4-line block ×4, first 2 shown]
	s_nop 1
	v_mov_b32_dpp v19, v18 row_bcast:15 row_mask:0xf bank_mask:0xf
	v_cndmask_b32_e64 v19, v19, 0, s[6:7]
	v_add_u32_e32 v18, v18, v19
	s_nop 1
	v_mov_b32_dpp v19, v18 row_bcast:31 row_mask:0xf bank_mask:0xf
	v_cndmask_b32_e64 v19, 0, v19, s[2:3]
	v_add_u32_e32 v18, v18, v19
	s_and_saveexec_b64 s[0:1], s[4:5]
	s_cbranch_execz .LBB780_122
; %bb.121:
	v_lshlrev_b32_e32 v19, 2, v48
	ds_write_b32 v19, v18
.LBB780_122:
	s_or_b64 exec, exec, s[0:1]
	v_cmp_gt_u32_e32 vcc, 8, v0
	s_waitcnt lgkmcnt(0)
	s_barrier
	s_and_saveexec_b64 s[0:1], vcc
	s_cbranch_execz .LBB780_124
; %bb.123:
	v_lshlrev_b32_e32 v19, 2, v0
	ds_read_b32 v20, v19
	v_and_b32_e32 v21, 7, v46
	v_cmp_ne_u32_e32 vcc, 0, v21
	s_waitcnt lgkmcnt(0)
	v_mov_b32_dpp v22, v20 row_shr:1 row_mask:0xf bank_mask:0xf
	v_cndmask_b32_e32 v22, 0, v22, vcc
	v_add_u32_e32 v20, v22, v20
	v_cmp_lt_u32_e32 vcc, 1, v21
	s_nop 0
	v_mov_b32_dpp v22, v20 row_shr:2 row_mask:0xf bank_mask:0xf
	v_cndmask_b32_e32 v22, 0, v22, vcc
	v_add_u32_e32 v20, v20, v22
	v_cmp_lt_u32_e32 vcc, 3, v21
	s_nop 0
	v_mov_b32_dpp v22, v20 row_shr:4 row_mask:0xf bank_mask:0xf
	v_cndmask_b32_e32 v21, 0, v22, vcc
	v_add_u32_e32 v20, v20, v21
	ds_write_b32 v19, v20
.LBB780_124:
	s_or_b64 exec, exec, s[0:1]
	v_cmp_lt_u32_e32 vcc, 63, v0
	v_mov_b32_e32 v19, 0
	v_mov_b32_e32 v20, 0
	s_waitcnt lgkmcnt(0)
	s_barrier
	s_and_saveexec_b64 s[0:1], vcc
	s_cbranch_execz .LBB780_126
; %bb.125:
	v_lshl_add_u32 v20, v48, 2, -4
	ds_read_b32 v20, v20
.LBB780_126:
	s_or_b64 exec, exec, s[0:1]
	v_add_u32_e32 v21, -1, v46
	v_and_b32_e32 v22, 64, v46
	v_cmp_lt_i32_e32 vcc, v21, v22
	s_waitcnt lgkmcnt(0)
	v_add_u32_e32 v18, v20, v18
	v_cndmask_b32_e32 v21, v21, v46, vcc
	v_lshlrev_b32_e32 v21, 2, v21
	ds_bpermute_b32 v21, v21, v18
	ds_read_b32 v18, v19 offset:28
	s_and_saveexec_b64 s[0:1], s[18:19]
	s_cbranch_execz .LBB780_128
; %bb.127:
	v_mov_b32_e32 v22, 0
	v_mov_b32_e32 v19, 2
	s_waitcnt lgkmcnt(0)
	global_store_dwordx2 v22, v[18:19], s[72:73] offset:512 sc1
.LBB780_128:
	s_or_b64 exec, exec, s[0:1]
	v_cmp_eq_u32_e32 vcc, 0, v46
	s_waitcnt lgkmcnt(0)
	s_barrier
	v_cndmask_b32_e32 v19, v21, v20, vcc
	v_mov_b32_e32 v20, 0
	v_cndmask_b32_e64 v76, v19, 0, s[18:19]
.LBB780_129:
	v_add_u32_e32 v80, v76, v28
	v_add_u32_e32 v78, v80, v29
	;; [unrolled: 1-line block ×27, first 2 shown]
	s_movk_i32 s0, 0x201
	v_add_u32_e32 v24, v26, v65
	v_cmp_gt_u32_e32 vcc, s0, v18
	v_add_u32_sdwa v22, v24, v95 dst_sel:DWORD dst_unused:UNUSED_PAD src0_sel:DWORD src1_sel:BYTE_0
	s_mov_b64 s[0:1], -1
	s_cbranch_vccnz .LBB780_133
; %bb.130:
	s_and_b64 vcc, exec, s[0:1]
	s_cbranch_vccnz .LBB780_224
.LBB780_131:
	s_and_b64 s[0:1], s[18:19], s[66:67]
	s_and_saveexec_b64 s[2:3], s[0:1]
	s_cbranch_execnz .LBB780_298
.LBB780_132:
	s_endpgm
.LBB780_133:
	v_add_u32_e32 v19, v20, v18
	v_lshlrev_b64 v[82:83], 1, v[8:9]
	v_cmp_lt_u32_e32 vcc, v76, v19
	v_lshl_add_u64 v[82:83], s[68:69], 0, v[82:83]
	s_or_b64 s[2:3], s[70:71], vcc
	s_and_saveexec_b64 s[0:1], s[2:3]
	s_cbranch_execz .LBB780_136
; %bb.134:
	v_and_b32_e32 v21, 1, v128
	v_cmp_eq_u32_e32 vcc, 1, v21
	s_and_b64 exec, exec, vcc
	s_cbranch_execz .LBB780_136
; %bb.135:
	v_mov_b32_e32 v77, 0
	v_lshl_add_u64 v[130:131], v[76:77], 1, v[82:83]
	global_store_short v[130:131], v16, off
.LBB780_136:
	s_or_b64 exec, exec, s[0:1]
	v_cmp_lt_u32_e32 vcc, v80, v19
	s_or_b64 s[2:3], s[70:71], vcc
	s_and_saveexec_b64 s[0:1], s[2:3]
	s_cbranch_execz .LBB780_139
; %bb.137:
	v_and_b32_e32 v21, 1, v127
	v_cmp_eq_u32_e32 vcc, 1, v21
	s_and_b64 exec, exec, vcc
	s_cbranch_execz .LBB780_139
; %bb.138:
	v_mov_b32_e32 v81, 0
	v_lshl_add_u64 v[130:131], v[80:81], 1, v[82:83]
	global_store_short v[130:131], v105, off
.LBB780_139:
	s_or_b64 exec, exec, s[0:1]
	v_cmp_lt_u32_e32 vcc, v78, v19
	;; [unrolled: 15-line block ×29, first 2 shown]
	s_or_b64 s[2:3], s[70:71], vcc
	s_and_saveexec_b64 s[0:1], s[2:3]
	s_cbranch_execz .LBB780_223
; %bb.221:
	v_and_b32_e32 v19, 1, v93
	v_cmp_eq_u32_e32 vcc, 1, v19
	s_and_b64 exec, exec, vcc
	s_cbranch_execz .LBB780_223
; %bb.222:
	v_mov_b32_e32 v23, 0
	v_lshl_add_u64 v[82:83], v[22:23], 1, v[82:83]
	global_store_short v[82:83], v1, off
.LBB780_223:
	s_or_b64 exec, exec, s[0:1]
	s_branch .LBB780_131
.LBB780_224:
	v_and_b32_e32 v19, 1, v128
	v_cmp_eq_u32_e32 vcc, 1, v19
	s_and_saveexec_b64 s[0:1], vcc
	s_cbranch_execz .LBB780_226
; %bb.225:
	v_sub_u32_e32 v19, v76, v20
	v_lshlrev_b32_e32 v19, 1, v19
	ds_write_b16 v19, v16
.LBB780_226:
	s_or_b64 exec, exec, s[0:1]
	v_and_b32_e32 v16, 1, v127
	v_cmp_eq_u32_e32 vcc, 1, v16
	s_and_saveexec_b64 s[0:1], vcc
	s_cbranch_execz .LBB780_228
; %bb.227:
	v_sub_u32_e32 v16, v80, v20
	v_lshlrev_b32_e32 v16, 1, v16
	ds_write_b16 v16, v105
.LBB780_228:
	s_or_b64 exec, exec, s[0:1]
	;; [unrolled: 10-line block ×30, first 2 shown]
	v_cmp_lt_u32_e32 vcc, v0, v18
	s_waitcnt lgkmcnt(0)
	s_barrier
	s_and_saveexec_b64 s[0:1], vcc
	s_cbranch_execz .LBB780_297
; %bb.285:
	v_mov_b32_e32 v21, 0
	v_lshlrev_b64 v[2:3], 1, v[8:9]
	v_lshl_add_u64 v[2:3], s[68:69], 0, v[2:3]
	v_lshlrev_b64 v[4:5], 1, v[20:21]
	v_xad_u32 v1, v0, -1, v18
	s_movk_i32 s2, 0x5ff
	v_lshl_add_u64 v[10:11], v[2:3], 0, v[4:5]
	v_cmp_lt_u32_e32 vcc, s2, v1
	s_mov_b64 s[4:5], -1
	s_and_saveexec_b64 s[2:3], vcc
	s_cbranch_execz .LBB780_294
; %bb.286:
	v_lshrrev_b32_e32 v14, 9, v1
	v_add_u32_e32 v4, -3, v14
	v_or_b32_e32 v3, 0x600, v0
	v_or_b32_e32 v2, 0x400, v0
	v_lshrrev_b32_e32 v5, 2, v4
	v_or_b32_e32 v1, 0x200, v0
	v_add_u32_e32 v16, 1, v5
	v_cmp_lt_u32_e32 vcc, 11, v4
	v_mov_b64_e32 v[6:7], v[2:3]
	v_lshlrev_b32_e32 v15, 1, v0
	v_mov_b64_e32 v[4:5], v[0:1]
	s_and_saveexec_b64 s[4:5], vcc
	s_cbranch_execz .LBB780_290
; %bb.287:
	v_mov_b64_e32 v[6:7], v[2:3]
	v_and_b32_e32 v17, 0x7ffffffc, v16
	s_mov_b32 s8, 0
	s_mov_b64 s[6:7], 0
	v_mov_b32_e32 v13, 0
	v_mov_b32_e32 v19, v15
	v_mov_b64_e32 v[4:5], v[0:1]
.LBB780_288:                            ; =>This Inner Loop Header: Depth=1
	v_mov_b32_e32 v12, v4
	ds_read_u16 v1, v19
	ds_read_u16 v46, v19 offset:1024
	ds_read_u16 v47, v19 offset:2048
	;; [unrolled: 1-line block ×7, first 2 shown]
	v_lshl_add_u64 v[38:39], v[12:13], 1, v[10:11]
	v_mov_b32_e32 v12, v5
	v_lshl_add_u64 v[40:41], v[12:13], 1, v[10:11]
	v_mov_b32_e32 v12, v6
	ds_read_u16 v53, v19 offset:8192
	ds_read_u16 v54, v19 offset:9216
	;; [unrolled: 1-line block ×8, first 2 shown]
	v_lshl_add_u64 v[42:43], v[12:13], 1, v[10:11]
	v_mov_b32_e32 v12, v7
	v_add_u32_e32 v2, 0x800, v7
	v_mov_b32_e32 v3, v13
	v_lshl_add_u64 v[44:45], v[12:13], 1, v[10:11]
	v_add_u32_e32 v12, 0x800, v4
	v_add_u32_e32 v22, 0x800, v6
	v_add_u32_e32 v24, 0x800, v5
	v_mov_b32_e32 v25, v13
	v_mov_b32_e32 v23, v13
	v_add_u32_e32 v17, -4, v17
	v_lshl_add_u64 v[2:3], v[2:3], 1, v[10:11]
	s_waitcnt lgkmcnt(14)
	global_store_short v[38:39], v1, off
	global_store_short v[40:41], v46, off
	s_waitcnt lgkmcnt(13)
	global_store_short v[42:43], v47, off
	s_waitcnt lgkmcnt(12)
	global_store_short v[44:45], v48, off
	v_lshl_add_u64 v[38:39], v[12:13], 1, v[10:11]
	v_add_u32_e32 v12, 0x1000, v4
	v_add_u32_e32 v26, 0x1000, v7
	;; [unrolled: 1-line block ×4, first 2 shown]
	v_mov_b32_e32 v31, v13
	v_mov_b32_e32 v29, v13
	;; [unrolled: 1-line block ×3, first 2 shown]
	s_add_i32 s8, s8, 16
	v_lshl_add_u64 v[24:25], v[24:25], 1, v[10:11]
	v_lshl_add_u64 v[22:23], v[22:23], 1, v[10:11]
	v_cmp_eq_u32_e32 vcc, 0, v17
	s_waitcnt lgkmcnt(11)
	global_store_short v[38:39], v49, off
	s_waitcnt lgkmcnt(10)
	global_store_short v[24:25], v50, off
	;; [unrolled: 2-line block ×4, first 2 shown]
	v_lshl_add_u64 v[2:3], v[12:13], 1, v[10:11]
	v_add_u32_e32 v12, 0x1800, v4
	v_add_u32_e32 v32, 0x1800, v7
	;; [unrolled: 1-line block ×4, first 2 shown]
	v_mov_b32_e32 v37, v13
	v_mov_b32_e32 v35, v13
	;; [unrolled: 1-line block ×3, first 2 shown]
	v_add_u32_e32 v19, 0x4000, v19
	v_lshl_add_u64 v[30:31], v[30:31], 1, v[10:11]
	v_lshl_add_u64 v[28:29], v[28:29], 1, v[10:11]
	v_lshl_add_u64 v[26:27], v[26:27], 1, v[10:11]
	v_add_u32_e32 v5, 0x2000, v5
	v_mov_b32_e32 v21, s8
	v_add_u32_e32 v6, 0x2000, v6
	s_or_b64 s[6:7], vcc, s[6:7]
	v_add_u32_e32 v7, 0x2000, v7
	v_add_u32_e32 v4, 0x2000, v4
	s_waitcnt lgkmcnt(7)
	global_store_short v[2:3], v53, off
	s_waitcnt lgkmcnt(6)
	global_store_short v[30:31], v54, off
	;; [unrolled: 2-line block ×4, first 2 shown]
	v_lshl_add_u64 v[2:3], v[12:13], 1, v[10:11]
	v_lshl_add_u64 v[36:37], v[36:37], 1, v[10:11]
	;; [unrolled: 1-line block ×4, first 2 shown]
	s_waitcnt lgkmcnt(3)
	global_store_short v[2:3], v57, off
	s_waitcnt lgkmcnt(2)
	global_store_short v[36:37], v58, off
	;; [unrolled: 2-line block ×4, first 2 shown]
	s_andn2_b64 exec, exec, s[6:7]
	s_cbranch_execnz .LBB780_288
; %bb.289:
	s_or_b64 exec, exec, s[6:7]
.LBB780_290:
	s_or_b64 exec, exec, s[4:5]
	v_and_b32_e32 v1, 3, v16
	v_cmp_ne_u32_e32 vcc, 0, v1
	s_and_saveexec_b64 s[4:5], vcc
	s_cbranch_execz .LBB780_293
; %bb.291:
	v_lshl_or_b32 v12, v21, 10, v15
	s_mov_b64 s[6:7], 0
	v_mov_b32_e32 v3, 0
.LBB780_292:                            ; =>This Inner Loop Header: Depth=1
	ds_read_u16 v13, v12
	ds_read_u16 v15, v12 offset:1024
	ds_read_u16 v19, v12 offset:2048
	;; [unrolled: 1-line block ×3, first 2 shown]
	v_mov_b32_e32 v2, v4
	v_add_u32_e32 v1, -1, v1
	v_lshl_add_u64 v[16:17], v[2:3], 1, v[10:11]
	v_mov_b32_e32 v2, v5
	v_cmp_eq_u32_e32 vcc, 0, v1
	v_lshl_add_u64 v[22:23], v[2:3], 1, v[10:11]
	v_mov_b32_e32 v2, v6
	v_add_u32_e32 v4, 0x800, v4
	v_add_u32_e32 v12, 0x1000, v12
	;; [unrolled: 1-line block ×4, first 2 shown]
	s_or_b64 s[6:7], vcc, s[6:7]
	v_lshl_add_u64 v[24:25], v[2:3], 1, v[10:11]
	v_mov_b32_e32 v2, v7
	v_add_u32_e32 v7, 0x800, v7
	v_lshl_add_u64 v[26:27], v[2:3], 1, v[10:11]
	s_waitcnt lgkmcnt(3)
	global_store_short v[16:17], v13, off
	s_waitcnt lgkmcnt(2)
	global_store_short v[22:23], v15, off
	;; [unrolled: 2-line block ×4, first 2 shown]
	s_andn2_b64 exec, exec, s[6:7]
	s_cbranch_execnz .LBB780_292
.LBB780_293:
	s_or_b64 exec, exec, s[4:5]
	v_add_u32_e32 v1, 1, v14
	v_and_b32_e32 v2, 0xfffffc, v1
	v_cmp_ne_u32_e32 vcc, v1, v2
	v_lshl_or_b32 v0, v2, 9, v0
	s_orn2_b64 s[4:5], vcc, exec
.LBB780_294:
	s_or_b64 exec, exec, s[2:3]
	s_and_b64 exec, exec, s[4:5]
	s_cbranch_execz .LBB780_297
; %bb.295:
	v_lshlrev_b32_e32 v2, 1, v0
	s_mov_b64 s[2:3], 0
	v_mov_b32_e32 v1, 0
.LBB780_296:                            ; =>This Inner Loop Header: Depth=1
	ds_read_u16 v3, v2
	v_lshl_add_u64 v[4:5], v[0:1], 1, v[10:11]
	v_add_u32_e32 v0, 0x200, v0
	v_cmp_ge_u32_e32 vcc, v0, v18
	v_add_u32_e32 v2, 0x400, v2
	s_or_b64 s[2:3], vcc, s[2:3]
	s_waitcnt lgkmcnt(0)
	global_store_short v[4:5], v3, off
	s_andn2_b64 exec, exec, s[2:3]
	s_cbranch_execnz .LBB780_296
.LBB780_297:
	s_or_b64 exec, exec, s[0:1]
	s_and_b64 s[0:1], s[18:19], s[66:67]
	s_and_saveexec_b64 s[2:3], s[0:1]
	s_cbranch_execz .LBB780_132
.LBB780_298:
	v_mov_b32_e32 v19, 0
	v_lshl_add_u64 v[0:1], v[8:9], 0, v[18:19]
	v_mov_b32_e32 v21, v19
	v_lshl_add_u64 v[0:1], v[0:1], 0, v[20:21]
	global_store_dwordx2 v19, v[0:1], s[64:65]
	s_endpgm
	.section	.rodata,"a",@progbits
	.p2align	6, 0x0
	.amdhsa_kernel _ZN7rocprim17ROCPRIM_400000_NS6detail17trampoline_kernelINS0_14default_configENS1_25partition_config_selectorILNS1_17partition_subalgoE8EtNS0_10empty_typeEbEEZZNS1_14partition_implILS5_8ELb0ES3_jPKtPS6_PKS6_NS0_5tupleIJPtS6_EEENSE_IJSB_SB_EEENS0_18inequality_wrapperIN6hipcub16HIPCUB_304000_NS8EqualityEEEPlJS6_EEE10hipError_tPvRmT3_T4_T5_T6_T7_T9_mT8_P12ihipStream_tbDpT10_ENKUlT_T0_E_clISt17integral_constantIbLb0EES16_IbLb1EEEEDaS12_S13_EUlS12_E_NS1_11comp_targetILNS1_3genE5ELNS1_11target_archE942ELNS1_3gpuE9ELNS1_3repE0EEENS1_30default_config_static_selectorELNS0_4arch9wavefront6targetE1EEEvT1_
		.amdhsa_group_segment_fixed_size 30728
		.amdhsa_private_segment_fixed_size 0
		.amdhsa_kernarg_size 128
		.amdhsa_user_sgpr_count 2
		.amdhsa_user_sgpr_dispatch_ptr 0
		.amdhsa_user_sgpr_queue_ptr 0
		.amdhsa_user_sgpr_kernarg_segment_ptr 1
		.amdhsa_user_sgpr_dispatch_id 0
		.amdhsa_user_sgpr_kernarg_preload_length 0
		.amdhsa_user_sgpr_kernarg_preload_offset 0
		.amdhsa_user_sgpr_private_segment_size 0
		.amdhsa_uses_dynamic_stack 0
		.amdhsa_enable_private_segment 0
		.amdhsa_system_sgpr_workgroup_id_x 1
		.amdhsa_system_sgpr_workgroup_id_y 0
		.amdhsa_system_sgpr_workgroup_id_z 0
		.amdhsa_system_sgpr_workgroup_info 0
		.amdhsa_system_vgpr_workitem_id 0
		.amdhsa_next_free_vgpr 132
		.amdhsa_next_free_sgpr 81
		.amdhsa_accum_offset 132
		.amdhsa_reserve_vcc 1
		.amdhsa_float_round_mode_32 0
		.amdhsa_float_round_mode_16_64 0
		.amdhsa_float_denorm_mode_32 3
		.amdhsa_float_denorm_mode_16_64 3
		.amdhsa_dx10_clamp 1
		.amdhsa_ieee_mode 1
		.amdhsa_fp16_overflow 0
		.amdhsa_tg_split 0
		.amdhsa_exception_fp_ieee_invalid_op 0
		.amdhsa_exception_fp_denorm_src 0
		.amdhsa_exception_fp_ieee_div_zero 0
		.amdhsa_exception_fp_ieee_overflow 0
		.amdhsa_exception_fp_ieee_underflow 0
		.amdhsa_exception_fp_ieee_inexact 0
		.amdhsa_exception_int_div_zero 0
	.end_amdhsa_kernel
	.section	.text._ZN7rocprim17ROCPRIM_400000_NS6detail17trampoline_kernelINS0_14default_configENS1_25partition_config_selectorILNS1_17partition_subalgoE8EtNS0_10empty_typeEbEEZZNS1_14partition_implILS5_8ELb0ES3_jPKtPS6_PKS6_NS0_5tupleIJPtS6_EEENSE_IJSB_SB_EEENS0_18inequality_wrapperIN6hipcub16HIPCUB_304000_NS8EqualityEEEPlJS6_EEE10hipError_tPvRmT3_T4_T5_T6_T7_T9_mT8_P12ihipStream_tbDpT10_ENKUlT_T0_E_clISt17integral_constantIbLb0EES16_IbLb1EEEEDaS12_S13_EUlS12_E_NS1_11comp_targetILNS1_3genE5ELNS1_11target_archE942ELNS1_3gpuE9ELNS1_3repE0EEENS1_30default_config_static_selectorELNS0_4arch9wavefront6targetE1EEEvT1_,"axG",@progbits,_ZN7rocprim17ROCPRIM_400000_NS6detail17trampoline_kernelINS0_14default_configENS1_25partition_config_selectorILNS1_17partition_subalgoE8EtNS0_10empty_typeEbEEZZNS1_14partition_implILS5_8ELb0ES3_jPKtPS6_PKS6_NS0_5tupleIJPtS6_EEENSE_IJSB_SB_EEENS0_18inequality_wrapperIN6hipcub16HIPCUB_304000_NS8EqualityEEEPlJS6_EEE10hipError_tPvRmT3_T4_T5_T6_T7_T9_mT8_P12ihipStream_tbDpT10_ENKUlT_T0_E_clISt17integral_constantIbLb0EES16_IbLb1EEEEDaS12_S13_EUlS12_E_NS1_11comp_targetILNS1_3genE5ELNS1_11target_archE942ELNS1_3gpuE9ELNS1_3repE0EEENS1_30default_config_static_selectorELNS0_4arch9wavefront6targetE1EEEvT1_,comdat
.Lfunc_end780:
	.size	_ZN7rocprim17ROCPRIM_400000_NS6detail17trampoline_kernelINS0_14default_configENS1_25partition_config_selectorILNS1_17partition_subalgoE8EtNS0_10empty_typeEbEEZZNS1_14partition_implILS5_8ELb0ES3_jPKtPS6_PKS6_NS0_5tupleIJPtS6_EEENSE_IJSB_SB_EEENS0_18inequality_wrapperIN6hipcub16HIPCUB_304000_NS8EqualityEEEPlJS6_EEE10hipError_tPvRmT3_T4_T5_T6_T7_T9_mT8_P12ihipStream_tbDpT10_ENKUlT_T0_E_clISt17integral_constantIbLb0EES16_IbLb1EEEEDaS12_S13_EUlS12_E_NS1_11comp_targetILNS1_3genE5ELNS1_11target_archE942ELNS1_3gpuE9ELNS1_3repE0EEENS1_30default_config_static_selectorELNS0_4arch9wavefront6targetE1EEEvT1_, .Lfunc_end780-_ZN7rocprim17ROCPRIM_400000_NS6detail17trampoline_kernelINS0_14default_configENS1_25partition_config_selectorILNS1_17partition_subalgoE8EtNS0_10empty_typeEbEEZZNS1_14partition_implILS5_8ELb0ES3_jPKtPS6_PKS6_NS0_5tupleIJPtS6_EEENSE_IJSB_SB_EEENS0_18inequality_wrapperIN6hipcub16HIPCUB_304000_NS8EqualityEEEPlJS6_EEE10hipError_tPvRmT3_T4_T5_T6_T7_T9_mT8_P12ihipStream_tbDpT10_ENKUlT_T0_E_clISt17integral_constantIbLb0EES16_IbLb1EEEEDaS12_S13_EUlS12_E_NS1_11comp_targetILNS1_3genE5ELNS1_11target_archE942ELNS1_3gpuE9ELNS1_3repE0EEENS1_30default_config_static_selectorELNS0_4arch9wavefront6targetE1EEEvT1_
                                        ; -- End function
	.section	.AMDGPU.csdata,"",@progbits
; Kernel info:
; codeLenInByte = 12740
; NumSgprs: 87
; NumVgprs: 132
; NumAgprs: 0
; TotalNumVgprs: 132
; ScratchSize: 0
; MemoryBound: 0
; FloatMode: 240
; IeeeMode: 1
; LDSByteSize: 30728 bytes/workgroup (compile time only)
; SGPRBlocks: 10
; VGPRBlocks: 16
; NumSGPRsForWavesPerEU: 87
; NumVGPRsForWavesPerEU: 132
; AccumOffset: 132
; Occupancy: 3
; WaveLimiterHint : 1
; COMPUTE_PGM_RSRC2:SCRATCH_EN: 0
; COMPUTE_PGM_RSRC2:USER_SGPR: 2
; COMPUTE_PGM_RSRC2:TRAP_HANDLER: 0
; COMPUTE_PGM_RSRC2:TGID_X_EN: 1
; COMPUTE_PGM_RSRC2:TGID_Y_EN: 0
; COMPUTE_PGM_RSRC2:TGID_Z_EN: 0
; COMPUTE_PGM_RSRC2:TIDIG_COMP_CNT: 0
; COMPUTE_PGM_RSRC3_GFX90A:ACCUM_OFFSET: 32
; COMPUTE_PGM_RSRC3_GFX90A:TG_SPLIT: 0
	.section	.text._ZN7rocprim17ROCPRIM_400000_NS6detail17trampoline_kernelINS0_14default_configENS1_25partition_config_selectorILNS1_17partition_subalgoE8EtNS0_10empty_typeEbEEZZNS1_14partition_implILS5_8ELb0ES3_jPKtPS6_PKS6_NS0_5tupleIJPtS6_EEENSE_IJSB_SB_EEENS0_18inequality_wrapperIN6hipcub16HIPCUB_304000_NS8EqualityEEEPlJS6_EEE10hipError_tPvRmT3_T4_T5_T6_T7_T9_mT8_P12ihipStream_tbDpT10_ENKUlT_T0_E_clISt17integral_constantIbLb0EES16_IbLb1EEEEDaS12_S13_EUlS12_E_NS1_11comp_targetILNS1_3genE4ELNS1_11target_archE910ELNS1_3gpuE8ELNS1_3repE0EEENS1_30default_config_static_selectorELNS0_4arch9wavefront6targetE1EEEvT1_,"axG",@progbits,_ZN7rocprim17ROCPRIM_400000_NS6detail17trampoline_kernelINS0_14default_configENS1_25partition_config_selectorILNS1_17partition_subalgoE8EtNS0_10empty_typeEbEEZZNS1_14partition_implILS5_8ELb0ES3_jPKtPS6_PKS6_NS0_5tupleIJPtS6_EEENSE_IJSB_SB_EEENS0_18inequality_wrapperIN6hipcub16HIPCUB_304000_NS8EqualityEEEPlJS6_EEE10hipError_tPvRmT3_T4_T5_T6_T7_T9_mT8_P12ihipStream_tbDpT10_ENKUlT_T0_E_clISt17integral_constantIbLb0EES16_IbLb1EEEEDaS12_S13_EUlS12_E_NS1_11comp_targetILNS1_3genE4ELNS1_11target_archE910ELNS1_3gpuE8ELNS1_3repE0EEENS1_30default_config_static_selectorELNS0_4arch9wavefront6targetE1EEEvT1_,comdat
	.protected	_ZN7rocprim17ROCPRIM_400000_NS6detail17trampoline_kernelINS0_14default_configENS1_25partition_config_selectorILNS1_17partition_subalgoE8EtNS0_10empty_typeEbEEZZNS1_14partition_implILS5_8ELb0ES3_jPKtPS6_PKS6_NS0_5tupleIJPtS6_EEENSE_IJSB_SB_EEENS0_18inequality_wrapperIN6hipcub16HIPCUB_304000_NS8EqualityEEEPlJS6_EEE10hipError_tPvRmT3_T4_T5_T6_T7_T9_mT8_P12ihipStream_tbDpT10_ENKUlT_T0_E_clISt17integral_constantIbLb0EES16_IbLb1EEEEDaS12_S13_EUlS12_E_NS1_11comp_targetILNS1_3genE4ELNS1_11target_archE910ELNS1_3gpuE8ELNS1_3repE0EEENS1_30default_config_static_selectorELNS0_4arch9wavefront6targetE1EEEvT1_ ; -- Begin function _ZN7rocprim17ROCPRIM_400000_NS6detail17trampoline_kernelINS0_14default_configENS1_25partition_config_selectorILNS1_17partition_subalgoE8EtNS0_10empty_typeEbEEZZNS1_14partition_implILS5_8ELb0ES3_jPKtPS6_PKS6_NS0_5tupleIJPtS6_EEENSE_IJSB_SB_EEENS0_18inequality_wrapperIN6hipcub16HIPCUB_304000_NS8EqualityEEEPlJS6_EEE10hipError_tPvRmT3_T4_T5_T6_T7_T9_mT8_P12ihipStream_tbDpT10_ENKUlT_T0_E_clISt17integral_constantIbLb0EES16_IbLb1EEEEDaS12_S13_EUlS12_E_NS1_11comp_targetILNS1_3genE4ELNS1_11target_archE910ELNS1_3gpuE8ELNS1_3repE0EEENS1_30default_config_static_selectorELNS0_4arch9wavefront6targetE1EEEvT1_
	.globl	_ZN7rocprim17ROCPRIM_400000_NS6detail17trampoline_kernelINS0_14default_configENS1_25partition_config_selectorILNS1_17partition_subalgoE8EtNS0_10empty_typeEbEEZZNS1_14partition_implILS5_8ELb0ES3_jPKtPS6_PKS6_NS0_5tupleIJPtS6_EEENSE_IJSB_SB_EEENS0_18inequality_wrapperIN6hipcub16HIPCUB_304000_NS8EqualityEEEPlJS6_EEE10hipError_tPvRmT3_T4_T5_T6_T7_T9_mT8_P12ihipStream_tbDpT10_ENKUlT_T0_E_clISt17integral_constantIbLb0EES16_IbLb1EEEEDaS12_S13_EUlS12_E_NS1_11comp_targetILNS1_3genE4ELNS1_11target_archE910ELNS1_3gpuE8ELNS1_3repE0EEENS1_30default_config_static_selectorELNS0_4arch9wavefront6targetE1EEEvT1_
	.p2align	8
	.type	_ZN7rocprim17ROCPRIM_400000_NS6detail17trampoline_kernelINS0_14default_configENS1_25partition_config_selectorILNS1_17partition_subalgoE8EtNS0_10empty_typeEbEEZZNS1_14partition_implILS5_8ELb0ES3_jPKtPS6_PKS6_NS0_5tupleIJPtS6_EEENSE_IJSB_SB_EEENS0_18inequality_wrapperIN6hipcub16HIPCUB_304000_NS8EqualityEEEPlJS6_EEE10hipError_tPvRmT3_T4_T5_T6_T7_T9_mT8_P12ihipStream_tbDpT10_ENKUlT_T0_E_clISt17integral_constantIbLb0EES16_IbLb1EEEEDaS12_S13_EUlS12_E_NS1_11comp_targetILNS1_3genE4ELNS1_11target_archE910ELNS1_3gpuE8ELNS1_3repE0EEENS1_30default_config_static_selectorELNS0_4arch9wavefront6targetE1EEEvT1_,@function
_ZN7rocprim17ROCPRIM_400000_NS6detail17trampoline_kernelINS0_14default_configENS1_25partition_config_selectorILNS1_17partition_subalgoE8EtNS0_10empty_typeEbEEZZNS1_14partition_implILS5_8ELb0ES3_jPKtPS6_PKS6_NS0_5tupleIJPtS6_EEENSE_IJSB_SB_EEENS0_18inequality_wrapperIN6hipcub16HIPCUB_304000_NS8EqualityEEEPlJS6_EEE10hipError_tPvRmT3_T4_T5_T6_T7_T9_mT8_P12ihipStream_tbDpT10_ENKUlT_T0_E_clISt17integral_constantIbLb0EES16_IbLb1EEEEDaS12_S13_EUlS12_E_NS1_11comp_targetILNS1_3genE4ELNS1_11target_archE910ELNS1_3gpuE8ELNS1_3repE0EEENS1_30default_config_static_selectorELNS0_4arch9wavefront6targetE1EEEvT1_: ; @_ZN7rocprim17ROCPRIM_400000_NS6detail17trampoline_kernelINS0_14default_configENS1_25partition_config_selectorILNS1_17partition_subalgoE8EtNS0_10empty_typeEbEEZZNS1_14partition_implILS5_8ELb0ES3_jPKtPS6_PKS6_NS0_5tupleIJPtS6_EEENSE_IJSB_SB_EEENS0_18inequality_wrapperIN6hipcub16HIPCUB_304000_NS8EqualityEEEPlJS6_EEE10hipError_tPvRmT3_T4_T5_T6_T7_T9_mT8_P12ihipStream_tbDpT10_ENKUlT_T0_E_clISt17integral_constantIbLb0EES16_IbLb1EEEEDaS12_S13_EUlS12_E_NS1_11comp_targetILNS1_3genE4ELNS1_11target_archE910ELNS1_3gpuE8ELNS1_3repE0EEENS1_30default_config_static_selectorELNS0_4arch9wavefront6targetE1EEEvT1_
; %bb.0:
	.section	.rodata,"a",@progbits
	.p2align	6, 0x0
	.amdhsa_kernel _ZN7rocprim17ROCPRIM_400000_NS6detail17trampoline_kernelINS0_14default_configENS1_25partition_config_selectorILNS1_17partition_subalgoE8EtNS0_10empty_typeEbEEZZNS1_14partition_implILS5_8ELb0ES3_jPKtPS6_PKS6_NS0_5tupleIJPtS6_EEENSE_IJSB_SB_EEENS0_18inequality_wrapperIN6hipcub16HIPCUB_304000_NS8EqualityEEEPlJS6_EEE10hipError_tPvRmT3_T4_T5_T6_T7_T9_mT8_P12ihipStream_tbDpT10_ENKUlT_T0_E_clISt17integral_constantIbLb0EES16_IbLb1EEEEDaS12_S13_EUlS12_E_NS1_11comp_targetILNS1_3genE4ELNS1_11target_archE910ELNS1_3gpuE8ELNS1_3repE0EEENS1_30default_config_static_selectorELNS0_4arch9wavefront6targetE1EEEvT1_
		.amdhsa_group_segment_fixed_size 0
		.amdhsa_private_segment_fixed_size 0
		.amdhsa_kernarg_size 128
		.amdhsa_user_sgpr_count 2
		.amdhsa_user_sgpr_dispatch_ptr 0
		.amdhsa_user_sgpr_queue_ptr 0
		.amdhsa_user_sgpr_kernarg_segment_ptr 1
		.amdhsa_user_sgpr_dispatch_id 0
		.amdhsa_user_sgpr_kernarg_preload_length 0
		.amdhsa_user_sgpr_kernarg_preload_offset 0
		.amdhsa_user_sgpr_private_segment_size 0
		.amdhsa_uses_dynamic_stack 0
		.amdhsa_enable_private_segment 0
		.amdhsa_system_sgpr_workgroup_id_x 1
		.amdhsa_system_sgpr_workgroup_id_y 0
		.amdhsa_system_sgpr_workgroup_id_z 0
		.amdhsa_system_sgpr_workgroup_info 0
		.amdhsa_system_vgpr_workitem_id 0
		.amdhsa_next_free_vgpr 1
		.amdhsa_next_free_sgpr 0
		.amdhsa_accum_offset 4
		.amdhsa_reserve_vcc 0
		.amdhsa_float_round_mode_32 0
		.amdhsa_float_round_mode_16_64 0
		.amdhsa_float_denorm_mode_32 3
		.amdhsa_float_denorm_mode_16_64 3
		.amdhsa_dx10_clamp 1
		.amdhsa_ieee_mode 1
		.amdhsa_fp16_overflow 0
		.amdhsa_tg_split 0
		.amdhsa_exception_fp_ieee_invalid_op 0
		.amdhsa_exception_fp_denorm_src 0
		.amdhsa_exception_fp_ieee_div_zero 0
		.amdhsa_exception_fp_ieee_overflow 0
		.amdhsa_exception_fp_ieee_underflow 0
		.amdhsa_exception_fp_ieee_inexact 0
		.amdhsa_exception_int_div_zero 0
	.end_amdhsa_kernel
	.section	.text._ZN7rocprim17ROCPRIM_400000_NS6detail17trampoline_kernelINS0_14default_configENS1_25partition_config_selectorILNS1_17partition_subalgoE8EtNS0_10empty_typeEbEEZZNS1_14partition_implILS5_8ELb0ES3_jPKtPS6_PKS6_NS0_5tupleIJPtS6_EEENSE_IJSB_SB_EEENS0_18inequality_wrapperIN6hipcub16HIPCUB_304000_NS8EqualityEEEPlJS6_EEE10hipError_tPvRmT3_T4_T5_T6_T7_T9_mT8_P12ihipStream_tbDpT10_ENKUlT_T0_E_clISt17integral_constantIbLb0EES16_IbLb1EEEEDaS12_S13_EUlS12_E_NS1_11comp_targetILNS1_3genE4ELNS1_11target_archE910ELNS1_3gpuE8ELNS1_3repE0EEENS1_30default_config_static_selectorELNS0_4arch9wavefront6targetE1EEEvT1_,"axG",@progbits,_ZN7rocprim17ROCPRIM_400000_NS6detail17trampoline_kernelINS0_14default_configENS1_25partition_config_selectorILNS1_17partition_subalgoE8EtNS0_10empty_typeEbEEZZNS1_14partition_implILS5_8ELb0ES3_jPKtPS6_PKS6_NS0_5tupleIJPtS6_EEENSE_IJSB_SB_EEENS0_18inequality_wrapperIN6hipcub16HIPCUB_304000_NS8EqualityEEEPlJS6_EEE10hipError_tPvRmT3_T4_T5_T6_T7_T9_mT8_P12ihipStream_tbDpT10_ENKUlT_T0_E_clISt17integral_constantIbLb0EES16_IbLb1EEEEDaS12_S13_EUlS12_E_NS1_11comp_targetILNS1_3genE4ELNS1_11target_archE910ELNS1_3gpuE8ELNS1_3repE0EEENS1_30default_config_static_selectorELNS0_4arch9wavefront6targetE1EEEvT1_,comdat
.Lfunc_end781:
	.size	_ZN7rocprim17ROCPRIM_400000_NS6detail17trampoline_kernelINS0_14default_configENS1_25partition_config_selectorILNS1_17partition_subalgoE8EtNS0_10empty_typeEbEEZZNS1_14partition_implILS5_8ELb0ES3_jPKtPS6_PKS6_NS0_5tupleIJPtS6_EEENSE_IJSB_SB_EEENS0_18inequality_wrapperIN6hipcub16HIPCUB_304000_NS8EqualityEEEPlJS6_EEE10hipError_tPvRmT3_T4_T5_T6_T7_T9_mT8_P12ihipStream_tbDpT10_ENKUlT_T0_E_clISt17integral_constantIbLb0EES16_IbLb1EEEEDaS12_S13_EUlS12_E_NS1_11comp_targetILNS1_3genE4ELNS1_11target_archE910ELNS1_3gpuE8ELNS1_3repE0EEENS1_30default_config_static_selectorELNS0_4arch9wavefront6targetE1EEEvT1_, .Lfunc_end781-_ZN7rocprim17ROCPRIM_400000_NS6detail17trampoline_kernelINS0_14default_configENS1_25partition_config_selectorILNS1_17partition_subalgoE8EtNS0_10empty_typeEbEEZZNS1_14partition_implILS5_8ELb0ES3_jPKtPS6_PKS6_NS0_5tupleIJPtS6_EEENSE_IJSB_SB_EEENS0_18inequality_wrapperIN6hipcub16HIPCUB_304000_NS8EqualityEEEPlJS6_EEE10hipError_tPvRmT3_T4_T5_T6_T7_T9_mT8_P12ihipStream_tbDpT10_ENKUlT_T0_E_clISt17integral_constantIbLb0EES16_IbLb1EEEEDaS12_S13_EUlS12_E_NS1_11comp_targetILNS1_3genE4ELNS1_11target_archE910ELNS1_3gpuE8ELNS1_3repE0EEENS1_30default_config_static_selectorELNS0_4arch9wavefront6targetE1EEEvT1_
                                        ; -- End function
	.section	.AMDGPU.csdata,"",@progbits
; Kernel info:
; codeLenInByte = 0
; NumSgprs: 6
; NumVgprs: 0
; NumAgprs: 0
; TotalNumVgprs: 0
; ScratchSize: 0
; MemoryBound: 0
; FloatMode: 240
; IeeeMode: 1
; LDSByteSize: 0 bytes/workgroup (compile time only)
; SGPRBlocks: 0
; VGPRBlocks: 0
; NumSGPRsForWavesPerEU: 6
; NumVGPRsForWavesPerEU: 1
; AccumOffset: 4
; Occupancy: 8
; WaveLimiterHint : 0
; COMPUTE_PGM_RSRC2:SCRATCH_EN: 0
; COMPUTE_PGM_RSRC2:USER_SGPR: 2
; COMPUTE_PGM_RSRC2:TRAP_HANDLER: 0
; COMPUTE_PGM_RSRC2:TGID_X_EN: 1
; COMPUTE_PGM_RSRC2:TGID_Y_EN: 0
; COMPUTE_PGM_RSRC2:TGID_Z_EN: 0
; COMPUTE_PGM_RSRC2:TIDIG_COMP_CNT: 0
; COMPUTE_PGM_RSRC3_GFX90A:ACCUM_OFFSET: 0
; COMPUTE_PGM_RSRC3_GFX90A:TG_SPLIT: 0
	.section	.text._ZN7rocprim17ROCPRIM_400000_NS6detail17trampoline_kernelINS0_14default_configENS1_25partition_config_selectorILNS1_17partition_subalgoE8EtNS0_10empty_typeEbEEZZNS1_14partition_implILS5_8ELb0ES3_jPKtPS6_PKS6_NS0_5tupleIJPtS6_EEENSE_IJSB_SB_EEENS0_18inequality_wrapperIN6hipcub16HIPCUB_304000_NS8EqualityEEEPlJS6_EEE10hipError_tPvRmT3_T4_T5_T6_T7_T9_mT8_P12ihipStream_tbDpT10_ENKUlT_T0_E_clISt17integral_constantIbLb0EES16_IbLb1EEEEDaS12_S13_EUlS12_E_NS1_11comp_targetILNS1_3genE3ELNS1_11target_archE908ELNS1_3gpuE7ELNS1_3repE0EEENS1_30default_config_static_selectorELNS0_4arch9wavefront6targetE1EEEvT1_,"axG",@progbits,_ZN7rocprim17ROCPRIM_400000_NS6detail17trampoline_kernelINS0_14default_configENS1_25partition_config_selectorILNS1_17partition_subalgoE8EtNS0_10empty_typeEbEEZZNS1_14partition_implILS5_8ELb0ES3_jPKtPS6_PKS6_NS0_5tupleIJPtS6_EEENSE_IJSB_SB_EEENS0_18inequality_wrapperIN6hipcub16HIPCUB_304000_NS8EqualityEEEPlJS6_EEE10hipError_tPvRmT3_T4_T5_T6_T7_T9_mT8_P12ihipStream_tbDpT10_ENKUlT_T0_E_clISt17integral_constantIbLb0EES16_IbLb1EEEEDaS12_S13_EUlS12_E_NS1_11comp_targetILNS1_3genE3ELNS1_11target_archE908ELNS1_3gpuE7ELNS1_3repE0EEENS1_30default_config_static_selectorELNS0_4arch9wavefront6targetE1EEEvT1_,comdat
	.protected	_ZN7rocprim17ROCPRIM_400000_NS6detail17trampoline_kernelINS0_14default_configENS1_25partition_config_selectorILNS1_17partition_subalgoE8EtNS0_10empty_typeEbEEZZNS1_14partition_implILS5_8ELb0ES3_jPKtPS6_PKS6_NS0_5tupleIJPtS6_EEENSE_IJSB_SB_EEENS0_18inequality_wrapperIN6hipcub16HIPCUB_304000_NS8EqualityEEEPlJS6_EEE10hipError_tPvRmT3_T4_T5_T6_T7_T9_mT8_P12ihipStream_tbDpT10_ENKUlT_T0_E_clISt17integral_constantIbLb0EES16_IbLb1EEEEDaS12_S13_EUlS12_E_NS1_11comp_targetILNS1_3genE3ELNS1_11target_archE908ELNS1_3gpuE7ELNS1_3repE0EEENS1_30default_config_static_selectorELNS0_4arch9wavefront6targetE1EEEvT1_ ; -- Begin function _ZN7rocprim17ROCPRIM_400000_NS6detail17trampoline_kernelINS0_14default_configENS1_25partition_config_selectorILNS1_17partition_subalgoE8EtNS0_10empty_typeEbEEZZNS1_14partition_implILS5_8ELb0ES3_jPKtPS6_PKS6_NS0_5tupleIJPtS6_EEENSE_IJSB_SB_EEENS0_18inequality_wrapperIN6hipcub16HIPCUB_304000_NS8EqualityEEEPlJS6_EEE10hipError_tPvRmT3_T4_T5_T6_T7_T9_mT8_P12ihipStream_tbDpT10_ENKUlT_T0_E_clISt17integral_constantIbLb0EES16_IbLb1EEEEDaS12_S13_EUlS12_E_NS1_11comp_targetILNS1_3genE3ELNS1_11target_archE908ELNS1_3gpuE7ELNS1_3repE0EEENS1_30default_config_static_selectorELNS0_4arch9wavefront6targetE1EEEvT1_
	.globl	_ZN7rocprim17ROCPRIM_400000_NS6detail17trampoline_kernelINS0_14default_configENS1_25partition_config_selectorILNS1_17partition_subalgoE8EtNS0_10empty_typeEbEEZZNS1_14partition_implILS5_8ELb0ES3_jPKtPS6_PKS6_NS0_5tupleIJPtS6_EEENSE_IJSB_SB_EEENS0_18inequality_wrapperIN6hipcub16HIPCUB_304000_NS8EqualityEEEPlJS6_EEE10hipError_tPvRmT3_T4_T5_T6_T7_T9_mT8_P12ihipStream_tbDpT10_ENKUlT_T0_E_clISt17integral_constantIbLb0EES16_IbLb1EEEEDaS12_S13_EUlS12_E_NS1_11comp_targetILNS1_3genE3ELNS1_11target_archE908ELNS1_3gpuE7ELNS1_3repE0EEENS1_30default_config_static_selectorELNS0_4arch9wavefront6targetE1EEEvT1_
	.p2align	8
	.type	_ZN7rocprim17ROCPRIM_400000_NS6detail17trampoline_kernelINS0_14default_configENS1_25partition_config_selectorILNS1_17partition_subalgoE8EtNS0_10empty_typeEbEEZZNS1_14partition_implILS5_8ELb0ES3_jPKtPS6_PKS6_NS0_5tupleIJPtS6_EEENSE_IJSB_SB_EEENS0_18inequality_wrapperIN6hipcub16HIPCUB_304000_NS8EqualityEEEPlJS6_EEE10hipError_tPvRmT3_T4_T5_T6_T7_T9_mT8_P12ihipStream_tbDpT10_ENKUlT_T0_E_clISt17integral_constantIbLb0EES16_IbLb1EEEEDaS12_S13_EUlS12_E_NS1_11comp_targetILNS1_3genE3ELNS1_11target_archE908ELNS1_3gpuE7ELNS1_3repE0EEENS1_30default_config_static_selectorELNS0_4arch9wavefront6targetE1EEEvT1_,@function
_ZN7rocprim17ROCPRIM_400000_NS6detail17trampoline_kernelINS0_14default_configENS1_25partition_config_selectorILNS1_17partition_subalgoE8EtNS0_10empty_typeEbEEZZNS1_14partition_implILS5_8ELb0ES3_jPKtPS6_PKS6_NS0_5tupleIJPtS6_EEENSE_IJSB_SB_EEENS0_18inequality_wrapperIN6hipcub16HIPCUB_304000_NS8EqualityEEEPlJS6_EEE10hipError_tPvRmT3_T4_T5_T6_T7_T9_mT8_P12ihipStream_tbDpT10_ENKUlT_T0_E_clISt17integral_constantIbLb0EES16_IbLb1EEEEDaS12_S13_EUlS12_E_NS1_11comp_targetILNS1_3genE3ELNS1_11target_archE908ELNS1_3gpuE7ELNS1_3repE0EEENS1_30default_config_static_selectorELNS0_4arch9wavefront6targetE1EEEvT1_: ; @_ZN7rocprim17ROCPRIM_400000_NS6detail17trampoline_kernelINS0_14default_configENS1_25partition_config_selectorILNS1_17partition_subalgoE8EtNS0_10empty_typeEbEEZZNS1_14partition_implILS5_8ELb0ES3_jPKtPS6_PKS6_NS0_5tupleIJPtS6_EEENSE_IJSB_SB_EEENS0_18inequality_wrapperIN6hipcub16HIPCUB_304000_NS8EqualityEEEPlJS6_EEE10hipError_tPvRmT3_T4_T5_T6_T7_T9_mT8_P12ihipStream_tbDpT10_ENKUlT_T0_E_clISt17integral_constantIbLb0EES16_IbLb1EEEEDaS12_S13_EUlS12_E_NS1_11comp_targetILNS1_3genE3ELNS1_11target_archE908ELNS1_3gpuE7ELNS1_3repE0EEENS1_30default_config_static_selectorELNS0_4arch9wavefront6targetE1EEEvT1_
; %bb.0:
	.section	.rodata,"a",@progbits
	.p2align	6, 0x0
	.amdhsa_kernel _ZN7rocprim17ROCPRIM_400000_NS6detail17trampoline_kernelINS0_14default_configENS1_25partition_config_selectorILNS1_17partition_subalgoE8EtNS0_10empty_typeEbEEZZNS1_14partition_implILS5_8ELb0ES3_jPKtPS6_PKS6_NS0_5tupleIJPtS6_EEENSE_IJSB_SB_EEENS0_18inequality_wrapperIN6hipcub16HIPCUB_304000_NS8EqualityEEEPlJS6_EEE10hipError_tPvRmT3_T4_T5_T6_T7_T9_mT8_P12ihipStream_tbDpT10_ENKUlT_T0_E_clISt17integral_constantIbLb0EES16_IbLb1EEEEDaS12_S13_EUlS12_E_NS1_11comp_targetILNS1_3genE3ELNS1_11target_archE908ELNS1_3gpuE7ELNS1_3repE0EEENS1_30default_config_static_selectorELNS0_4arch9wavefront6targetE1EEEvT1_
		.amdhsa_group_segment_fixed_size 0
		.amdhsa_private_segment_fixed_size 0
		.amdhsa_kernarg_size 128
		.amdhsa_user_sgpr_count 2
		.amdhsa_user_sgpr_dispatch_ptr 0
		.amdhsa_user_sgpr_queue_ptr 0
		.amdhsa_user_sgpr_kernarg_segment_ptr 1
		.amdhsa_user_sgpr_dispatch_id 0
		.amdhsa_user_sgpr_kernarg_preload_length 0
		.amdhsa_user_sgpr_kernarg_preload_offset 0
		.amdhsa_user_sgpr_private_segment_size 0
		.amdhsa_uses_dynamic_stack 0
		.amdhsa_enable_private_segment 0
		.amdhsa_system_sgpr_workgroup_id_x 1
		.amdhsa_system_sgpr_workgroup_id_y 0
		.amdhsa_system_sgpr_workgroup_id_z 0
		.amdhsa_system_sgpr_workgroup_info 0
		.amdhsa_system_vgpr_workitem_id 0
		.amdhsa_next_free_vgpr 1
		.amdhsa_next_free_sgpr 0
		.amdhsa_accum_offset 4
		.amdhsa_reserve_vcc 0
		.amdhsa_float_round_mode_32 0
		.amdhsa_float_round_mode_16_64 0
		.amdhsa_float_denorm_mode_32 3
		.amdhsa_float_denorm_mode_16_64 3
		.amdhsa_dx10_clamp 1
		.amdhsa_ieee_mode 1
		.amdhsa_fp16_overflow 0
		.amdhsa_tg_split 0
		.amdhsa_exception_fp_ieee_invalid_op 0
		.amdhsa_exception_fp_denorm_src 0
		.amdhsa_exception_fp_ieee_div_zero 0
		.amdhsa_exception_fp_ieee_overflow 0
		.amdhsa_exception_fp_ieee_underflow 0
		.amdhsa_exception_fp_ieee_inexact 0
		.amdhsa_exception_int_div_zero 0
	.end_amdhsa_kernel
	.section	.text._ZN7rocprim17ROCPRIM_400000_NS6detail17trampoline_kernelINS0_14default_configENS1_25partition_config_selectorILNS1_17partition_subalgoE8EtNS0_10empty_typeEbEEZZNS1_14partition_implILS5_8ELb0ES3_jPKtPS6_PKS6_NS0_5tupleIJPtS6_EEENSE_IJSB_SB_EEENS0_18inequality_wrapperIN6hipcub16HIPCUB_304000_NS8EqualityEEEPlJS6_EEE10hipError_tPvRmT3_T4_T5_T6_T7_T9_mT8_P12ihipStream_tbDpT10_ENKUlT_T0_E_clISt17integral_constantIbLb0EES16_IbLb1EEEEDaS12_S13_EUlS12_E_NS1_11comp_targetILNS1_3genE3ELNS1_11target_archE908ELNS1_3gpuE7ELNS1_3repE0EEENS1_30default_config_static_selectorELNS0_4arch9wavefront6targetE1EEEvT1_,"axG",@progbits,_ZN7rocprim17ROCPRIM_400000_NS6detail17trampoline_kernelINS0_14default_configENS1_25partition_config_selectorILNS1_17partition_subalgoE8EtNS0_10empty_typeEbEEZZNS1_14partition_implILS5_8ELb0ES3_jPKtPS6_PKS6_NS0_5tupleIJPtS6_EEENSE_IJSB_SB_EEENS0_18inequality_wrapperIN6hipcub16HIPCUB_304000_NS8EqualityEEEPlJS6_EEE10hipError_tPvRmT3_T4_T5_T6_T7_T9_mT8_P12ihipStream_tbDpT10_ENKUlT_T0_E_clISt17integral_constantIbLb0EES16_IbLb1EEEEDaS12_S13_EUlS12_E_NS1_11comp_targetILNS1_3genE3ELNS1_11target_archE908ELNS1_3gpuE7ELNS1_3repE0EEENS1_30default_config_static_selectorELNS0_4arch9wavefront6targetE1EEEvT1_,comdat
.Lfunc_end782:
	.size	_ZN7rocprim17ROCPRIM_400000_NS6detail17trampoline_kernelINS0_14default_configENS1_25partition_config_selectorILNS1_17partition_subalgoE8EtNS0_10empty_typeEbEEZZNS1_14partition_implILS5_8ELb0ES3_jPKtPS6_PKS6_NS0_5tupleIJPtS6_EEENSE_IJSB_SB_EEENS0_18inequality_wrapperIN6hipcub16HIPCUB_304000_NS8EqualityEEEPlJS6_EEE10hipError_tPvRmT3_T4_T5_T6_T7_T9_mT8_P12ihipStream_tbDpT10_ENKUlT_T0_E_clISt17integral_constantIbLb0EES16_IbLb1EEEEDaS12_S13_EUlS12_E_NS1_11comp_targetILNS1_3genE3ELNS1_11target_archE908ELNS1_3gpuE7ELNS1_3repE0EEENS1_30default_config_static_selectorELNS0_4arch9wavefront6targetE1EEEvT1_, .Lfunc_end782-_ZN7rocprim17ROCPRIM_400000_NS6detail17trampoline_kernelINS0_14default_configENS1_25partition_config_selectorILNS1_17partition_subalgoE8EtNS0_10empty_typeEbEEZZNS1_14partition_implILS5_8ELb0ES3_jPKtPS6_PKS6_NS0_5tupleIJPtS6_EEENSE_IJSB_SB_EEENS0_18inequality_wrapperIN6hipcub16HIPCUB_304000_NS8EqualityEEEPlJS6_EEE10hipError_tPvRmT3_T4_T5_T6_T7_T9_mT8_P12ihipStream_tbDpT10_ENKUlT_T0_E_clISt17integral_constantIbLb0EES16_IbLb1EEEEDaS12_S13_EUlS12_E_NS1_11comp_targetILNS1_3genE3ELNS1_11target_archE908ELNS1_3gpuE7ELNS1_3repE0EEENS1_30default_config_static_selectorELNS0_4arch9wavefront6targetE1EEEvT1_
                                        ; -- End function
	.section	.AMDGPU.csdata,"",@progbits
; Kernel info:
; codeLenInByte = 0
; NumSgprs: 6
; NumVgprs: 0
; NumAgprs: 0
; TotalNumVgprs: 0
; ScratchSize: 0
; MemoryBound: 0
; FloatMode: 240
; IeeeMode: 1
; LDSByteSize: 0 bytes/workgroup (compile time only)
; SGPRBlocks: 0
; VGPRBlocks: 0
; NumSGPRsForWavesPerEU: 6
; NumVGPRsForWavesPerEU: 1
; AccumOffset: 4
; Occupancy: 8
; WaveLimiterHint : 0
; COMPUTE_PGM_RSRC2:SCRATCH_EN: 0
; COMPUTE_PGM_RSRC2:USER_SGPR: 2
; COMPUTE_PGM_RSRC2:TRAP_HANDLER: 0
; COMPUTE_PGM_RSRC2:TGID_X_EN: 1
; COMPUTE_PGM_RSRC2:TGID_Y_EN: 0
; COMPUTE_PGM_RSRC2:TGID_Z_EN: 0
; COMPUTE_PGM_RSRC2:TIDIG_COMP_CNT: 0
; COMPUTE_PGM_RSRC3_GFX90A:ACCUM_OFFSET: 0
; COMPUTE_PGM_RSRC3_GFX90A:TG_SPLIT: 0
	.section	.text._ZN7rocprim17ROCPRIM_400000_NS6detail17trampoline_kernelINS0_14default_configENS1_25partition_config_selectorILNS1_17partition_subalgoE8EtNS0_10empty_typeEbEEZZNS1_14partition_implILS5_8ELb0ES3_jPKtPS6_PKS6_NS0_5tupleIJPtS6_EEENSE_IJSB_SB_EEENS0_18inequality_wrapperIN6hipcub16HIPCUB_304000_NS8EqualityEEEPlJS6_EEE10hipError_tPvRmT3_T4_T5_T6_T7_T9_mT8_P12ihipStream_tbDpT10_ENKUlT_T0_E_clISt17integral_constantIbLb0EES16_IbLb1EEEEDaS12_S13_EUlS12_E_NS1_11comp_targetILNS1_3genE2ELNS1_11target_archE906ELNS1_3gpuE6ELNS1_3repE0EEENS1_30default_config_static_selectorELNS0_4arch9wavefront6targetE1EEEvT1_,"axG",@progbits,_ZN7rocprim17ROCPRIM_400000_NS6detail17trampoline_kernelINS0_14default_configENS1_25partition_config_selectorILNS1_17partition_subalgoE8EtNS0_10empty_typeEbEEZZNS1_14partition_implILS5_8ELb0ES3_jPKtPS6_PKS6_NS0_5tupleIJPtS6_EEENSE_IJSB_SB_EEENS0_18inequality_wrapperIN6hipcub16HIPCUB_304000_NS8EqualityEEEPlJS6_EEE10hipError_tPvRmT3_T4_T5_T6_T7_T9_mT8_P12ihipStream_tbDpT10_ENKUlT_T0_E_clISt17integral_constantIbLb0EES16_IbLb1EEEEDaS12_S13_EUlS12_E_NS1_11comp_targetILNS1_3genE2ELNS1_11target_archE906ELNS1_3gpuE6ELNS1_3repE0EEENS1_30default_config_static_selectorELNS0_4arch9wavefront6targetE1EEEvT1_,comdat
	.protected	_ZN7rocprim17ROCPRIM_400000_NS6detail17trampoline_kernelINS0_14default_configENS1_25partition_config_selectorILNS1_17partition_subalgoE8EtNS0_10empty_typeEbEEZZNS1_14partition_implILS5_8ELb0ES3_jPKtPS6_PKS6_NS0_5tupleIJPtS6_EEENSE_IJSB_SB_EEENS0_18inequality_wrapperIN6hipcub16HIPCUB_304000_NS8EqualityEEEPlJS6_EEE10hipError_tPvRmT3_T4_T5_T6_T7_T9_mT8_P12ihipStream_tbDpT10_ENKUlT_T0_E_clISt17integral_constantIbLb0EES16_IbLb1EEEEDaS12_S13_EUlS12_E_NS1_11comp_targetILNS1_3genE2ELNS1_11target_archE906ELNS1_3gpuE6ELNS1_3repE0EEENS1_30default_config_static_selectorELNS0_4arch9wavefront6targetE1EEEvT1_ ; -- Begin function _ZN7rocprim17ROCPRIM_400000_NS6detail17trampoline_kernelINS0_14default_configENS1_25partition_config_selectorILNS1_17partition_subalgoE8EtNS0_10empty_typeEbEEZZNS1_14partition_implILS5_8ELb0ES3_jPKtPS6_PKS6_NS0_5tupleIJPtS6_EEENSE_IJSB_SB_EEENS0_18inequality_wrapperIN6hipcub16HIPCUB_304000_NS8EqualityEEEPlJS6_EEE10hipError_tPvRmT3_T4_T5_T6_T7_T9_mT8_P12ihipStream_tbDpT10_ENKUlT_T0_E_clISt17integral_constantIbLb0EES16_IbLb1EEEEDaS12_S13_EUlS12_E_NS1_11comp_targetILNS1_3genE2ELNS1_11target_archE906ELNS1_3gpuE6ELNS1_3repE0EEENS1_30default_config_static_selectorELNS0_4arch9wavefront6targetE1EEEvT1_
	.globl	_ZN7rocprim17ROCPRIM_400000_NS6detail17trampoline_kernelINS0_14default_configENS1_25partition_config_selectorILNS1_17partition_subalgoE8EtNS0_10empty_typeEbEEZZNS1_14partition_implILS5_8ELb0ES3_jPKtPS6_PKS6_NS0_5tupleIJPtS6_EEENSE_IJSB_SB_EEENS0_18inequality_wrapperIN6hipcub16HIPCUB_304000_NS8EqualityEEEPlJS6_EEE10hipError_tPvRmT3_T4_T5_T6_T7_T9_mT8_P12ihipStream_tbDpT10_ENKUlT_T0_E_clISt17integral_constantIbLb0EES16_IbLb1EEEEDaS12_S13_EUlS12_E_NS1_11comp_targetILNS1_3genE2ELNS1_11target_archE906ELNS1_3gpuE6ELNS1_3repE0EEENS1_30default_config_static_selectorELNS0_4arch9wavefront6targetE1EEEvT1_
	.p2align	8
	.type	_ZN7rocprim17ROCPRIM_400000_NS6detail17trampoline_kernelINS0_14default_configENS1_25partition_config_selectorILNS1_17partition_subalgoE8EtNS0_10empty_typeEbEEZZNS1_14partition_implILS5_8ELb0ES3_jPKtPS6_PKS6_NS0_5tupleIJPtS6_EEENSE_IJSB_SB_EEENS0_18inequality_wrapperIN6hipcub16HIPCUB_304000_NS8EqualityEEEPlJS6_EEE10hipError_tPvRmT3_T4_T5_T6_T7_T9_mT8_P12ihipStream_tbDpT10_ENKUlT_T0_E_clISt17integral_constantIbLb0EES16_IbLb1EEEEDaS12_S13_EUlS12_E_NS1_11comp_targetILNS1_3genE2ELNS1_11target_archE906ELNS1_3gpuE6ELNS1_3repE0EEENS1_30default_config_static_selectorELNS0_4arch9wavefront6targetE1EEEvT1_,@function
_ZN7rocprim17ROCPRIM_400000_NS6detail17trampoline_kernelINS0_14default_configENS1_25partition_config_selectorILNS1_17partition_subalgoE8EtNS0_10empty_typeEbEEZZNS1_14partition_implILS5_8ELb0ES3_jPKtPS6_PKS6_NS0_5tupleIJPtS6_EEENSE_IJSB_SB_EEENS0_18inequality_wrapperIN6hipcub16HIPCUB_304000_NS8EqualityEEEPlJS6_EEE10hipError_tPvRmT3_T4_T5_T6_T7_T9_mT8_P12ihipStream_tbDpT10_ENKUlT_T0_E_clISt17integral_constantIbLb0EES16_IbLb1EEEEDaS12_S13_EUlS12_E_NS1_11comp_targetILNS1_3genE2ELNS1_11target_archE906ELNS1_3gpuE6ELNS1_3repE0EEENS1_30default_config_static_selectorELNS0_4arch9wavefront6targetE1EEEvT1_: ; @_ZN7rocprim17ROCPRIM_400000_NS6detail17trampoline_kernelINS0_14default_configENS1_25partition_config_selectorILNS1_17partition_subalgoE8EtNS0_10empty_typeEbEEZZNS1_14partition_implILS5_8ELb0ES3_jPKtPS6_PKS6_NS0_5tupleIJPtS6_EEENSE_IJSB_SB_EEENS0_18inequality_wrapperIN6hipcub16HIPCUB_304000_NS8EqualityEEEPlJS6_EEE10hipError_tPvRmT3_T4_T5_T6_T7_T9_mT8_P12ihipStream_tbDpT10_ENKUlT_T0_E_clISt17integral_constantIbLb0EES16_IbLb1EEEEDaS12_S13_EUlS12_E_NS1_11comp_targetILNS1_3genE2ELNS1_11target_archE906ELNS1_3gpuE6ELNS1_3repE0EEENS1_30default_config_static_selectorELNS0_4arch9wavefront6targetE1EEEvT1_
; %bb.0:
	.section	.rodata,"a",@progbits
	.p2align	6, 0x0
	.amdhsa_kernel _ZN7rocprim17ROCPRIM_400000_NS6detail17trampoline_kernelINS0_14default_configENS1_25partition_config_selectorILNS1_17partition_subalgoE8EtNS0_10empty_typeEbEEZZNS1_14partition_implILS5_8ELb0ES3_jPKtPS6_PKS6_NS0_5tupleIJPtS6_EEENSE_IJSB_SB_EEENS0_18inequality_wrapperIN6hipcub16HIPCUB_304000_NS8EqualityEEEPlJS6_EEE10hipError_tPvRmT3_T4_T5_T6_T7_T9_mT8_P12ihipStream_tbDpT10_ENKUlT_T0_E_clISt17integral_constantIbLb0EES16_IbLb1EEEEDaS12_S13_EUlS12_E_NS1_11comp_targetILNS1_3genE2ELNS1_11target_archE906ELNS1_3gpuE6ELNS1_3repE0EEENS1_30default_config_static_selectorELNS0_4arch9wavefront6targetE1EEEvT1_
		.amdhsa_group_segment_fixed_size 0
		.amdhsa_private_segment_fixed_size 0
		.amdhsa_kernarg_size 128
		.amdhsa_user_sgpr_count 2
		.amdhsa_user_sgpr_dispatch_ptr 0
		.amdhsa_user_sgpr_queue_ptr 0
		.amdhsa_user_sgpr_kernarg_segment_ptr 1
		.amdhsa_user_sgpr_dispatch_id 0
		.amdhsa_user_sgpr_kernarg_preload_length 0
		.amdhsa_user_sgpr_kernarg_preload_offset 0
		.amdhsa_user_sgpr_private_segment_size 0
		.amdhsa_uses_dynamic_stack 0
		.amdhsa_enable_private_segment 0
		.amdhsa_system_sgpr_workgroup_id_x 1
		.amdhsa_system_sgpr_workgroup_id_y 0
		.amdhsa_system_sgpr_workgroup_id_z 0
		.amdhsa_system_sgpr_workgroup_info 0
		.amdhsa_system_vgpr_workitem_id 0
		.amdhsa_next_free_vgpr 1
		.amdhsa_next_free_sgpr 0
		.amdhsa_accum_offset 4
		.amdhsa_reserve_vcc 0
		.amdhsa_float_round_mode_32 0
		.amdhsa_float_round_mode_16_64 0
		.amdhsa_float_denorm_mode_32 3
		.amdhsa_float_denorm_mode_16_64 3
		.amdhsa_dx10_clamp 1
		.amdhsa_ieee_mode 1
		.amdhsa_fp16_overflow 0
		.amdhsa_tg_split 0
		.amdhsa_exception_fp_ieee_invalid_op 0
		.amdhsa_exception_fp_denorm_src 0
		.amdhsa_exception_fp_ieee_div_zero 0
		.amdhsa_exception_fp_ieee_overflow 0
		.amdhsa_exception_fp_ieee_underflow 0
		.amdhsa_exception_fp_ieee_inexact 0
		.amdhsa_exception_int_div_zero 0
	.end_amdhsa_kernel
	.section	.text._ZN7rocprim17ROCPRIM_400000_NS6detail17trampoline_kernelINS0_14default_configENS1_25partition_config_selectorILNS1_17partition_subalgoE8EtNS0_10empty_typeEbEEZZNS1_14partition_implILS5_8ELb0ES3_jPKtPS6_PKS6_NS0_5tupleIJPtS6_EEENSE_IJSB_SB_EEENS0_18inequality_wrapperIN6hipcub16HIPCUB_304000_NS8EqualityEEEPlJS6_EEE10hipError_tPvRmT3_T4_T5_T6_T7_T9_mT8_P12ihipStream_tbDpT10_ENKUlT_T0_E_clISt17integral_constantIbLb0EES16_IbLb1EEEEDaS12_S13_EUlS12_E_NS1_11comp_targetILNS1_3genE2ELNS1_11target_archE906ELNS1_3gpuE6ELNS1_3repE0EEENS1_30default_config_static_selectorELNS0_4arch9wavefront6targetE1EEEvT1_,"axG",@progbits,_ZN7rocprim17ROCPRIM_400000_NS6detail17trampoline_kernelINS0_14default_configENS1_25partition_config_selectorILNS1_17partition_subalgoE8EtNS0_10empty_typeEbEEZZNS1_14partition_implILS5_8ELb0ES3_jPKtPS6_PKS6_NS0_5tupleIJPtS6_EEENSE_IJSB_SB_EEENS0_18inequality_wrapperIN6hipcub16HIPCUB_304000_NS8EqualityEEEPlJS6_EEE10hipError_tPvRmT3_T4_T5_T6_T7_T9_mT8_P12ihipStream_tbDpT10_ENKUlT_T0_E_clISt17integral_constantIbLb0EES16_IbLb1EEEEDaS12_S13_EUlS12_E_NS1_11comp_targetILNS1_3genE2ELNS1_11target_archE906ELNS1_3gpuE6ELNS1_3repE0EEENS1_30default_config_static_selectorELNS0_4arch9wavefront6targetE1EEEvT1_,comdat
.Lfunc_end783:
	.size	_ZN7rocprim17ROCPRIM_400000_NS6detail17trampoline_kernelINS0_14default_configENS1_25partition_config_selectorILNS1_17partition_subalgoE8EtNS0_10empty_typeEbEEZZNS1_14partition_implILS5_8ELb0ES3_jPKtPS6_PKS6_NS0_5tupleIJPtS6_EEENSE_IJSB_SB_EEENS0_18inequality_wrapperIN6hipcub16HIPCUB_304000_NS8EqualityEEEPlJS6_EEE10hipError_tPvRmT3_T4_T5_T6_T7_T9_mT8_P12ihipStream_tbDpT10_ENKUlT_T0_E_clISt17integral_constantIbLb0EES16_IbLb1EEEEDaS12_S13_EUlS12_E_NS1_11comp_targetILNS1_3genE2ELNS1_11target_archE906ELNS1_3gpuE6ELNS1_3repE0EEENS1_30default_config_static_selectorELNS0_4arch9wavefront6targetE1EEEvT1_, .Lfunc_end783-_ZN7rocprim17ROCPRIM_400000_NS6detail17trampoline_kernelINS0_14default_configENS1_25partition_config_selectorILNS1_17partition_subalgoE8EtNS0_10empty_typeEbEEZZNS1_14partition_implILS5_8ELb0ES3_jPKtPS6_PKS6_NS0_5tupleIJPtS6_EEENSE_IJSB_SB_EEENS0_18inequality_wrapperIN6hipcub16HIPCUB_304000_NS8EqualityEEEPlJS6_EEE10hipError_tPvRmT3_T4_T5_T6_T7_T9_mT8_P12ihipStream_tbDpT10_ENKUlT_T0_E_clISt17integral_constantIbLb0EES16_IbLb1EEEEDaS12_S13_EUlS12_E_NS1_11comp_targetILNS1_3genE2ELNS1_11target_archE906ELNS1_3gpuE6ELNS1_3repE0EEENS1_30default_config_static_selectorELNS0_4arch9wavefront6targetE1EEEvT1_
                                        ; -- End function
	.section	.AMDGPU.csdata,"",@progbits
; Kernel info:
; codeLenInByte = 0
; NumSgprs: 6
; NumVgprs: 0
; NumAgprs: 0
; TotalNumVgprs: 0
; ScratchSize: 0
; MemoryBound: 0
; FloatMode: 240
; IeeeMode: 1
; LDSByteSize: 0 bytes/workgroup (compile time only)
; SGPRBlocks: 0
; VGPRBlocks: 0
; NumSGPRsForWavesPerEU: 6
; NumVGPRsForWavesPerEU: 1
; AccumOffset: 4
; Occupancy: 8
; WaveLimiterHint : 0
; COMPUTE_PGM_RSRC2:SCRATCH_EN: 0
; COMPUTE_PGM_RSRC2:USER_SGPR: 2
; COMPUTE_PGM_RSRC2:TRAP_HANDLER: 0
; COMPUTE_PGM_RSRC2:TGID_X_EN: 1
; COMPUTE_PGM_RSRC2:TGID_Y_EN: 0
; COMPUTE_PGM_RSRC2:TGID_Z_EN: 0
; COMPUTE_PGM_RSRC2:TIDIG_COMP_CNT: 0
; COMPUTE_PGM_RSRC3_GFX90A:ACCUM_OFFSET: 0
; COMPUTE_PGM_RSRC3_GFX90A:TG_SPLIT: 0
	.section	.text._ZN7rocprim17ROCPRIM_400000_NS6detail17trampoline_kernelINS0_14default_configENS1_25partition_config_selectorILNS1_17partition_subalgoE8EtNS0_10empty_typeEbEEZZNS1_14partition_implILS5_8ELb0ES3_jPKtPS6_PKS6_NS0_5tupleIJPtS6_EEENSE_IJSB_SB_EEENS0_18inequality_wrapperIN6hipcub16HIPCUB_304000_NS8EqualityEEEPlJS6_EEE10hipError_tPvRmT3_T4_T5_T6_T7_T9_mT8_P12ihipStream_tbDpT10_ENKUlT_T0_E_clISt17integral_constantIbLb0EES16_IbLb1EEEEDaS12_S13_EUlS12_E_NS1_11comp_targetILNS1_3genE10ELNS1_11target_archE1200ELNS1_3gpuE4ELNS1_3repE0EEENS1_30default_config_static_selectorELNS0_4arch9wavefront6targetE1EEEvT1_,"axG",@progbits,_ZN7rocprim17ROCPRIM_400000_NS6detail17trampoline_kernelINS0_14default_configENS1_25partition_config_selectorILNS1_17partition_subalgoE8EtNS0_10empty_typeEbEEZZNS1_14partition_implILS5_8ELb0ES3_jPKtPS6_PKS6_NS0_5tupleIJPtS6_EEENSE_IJSB_SB_EEENS0_18inequality_wrapperIN6hipcub16HIPCUB_304000_NS8EqualityEEEPlJS6_EEE10hipError_tPvRmT3_T4_T5_T6_T7_T9_mT8_P12ihipStream_tbDpT10_ENKUlT_T0_E_clISt17integral_constantIbLb0EES16_IbLb1EEEEDaS12_S13_EUlS12_E_NS1_11comp_targetILNS1_3genE10ELNS1_11target_archE1200ELNS1_3gpuE4ELNS1_3repE0EEENS1_30default_config_static_selectorELNS0_4arch9wavefront6targetE1EEEvT1_,comdat
	.protected	_ZN7rocprim17ROCPRIM_400000_NS6detail17trampoline_kernelINS0_14default_configENS1_25partition_config_selectorILNS1_17partition_subalgoE8EtNS0_10empty_typeEbEEZZNS1_14partition_implILS5_8ELb0ES3_jPKtPS6_PKS6_NS0_5tupleIJPtS6_EEENSE_IJSB_SB_EEENS0_18inequality_wrapperIN6hipcub16HIPCUB_304000_NS8EqualityEEEPlJS6_EEE10hipError_tPvRmT3_T4_T5_T6_T7_T9_mT8_P12ihipStream_tbDpT10_ENKUlT_T0_E_clISt17integral_constantIbLb0EES16_IbLb1EEEEDaS12_S13_EUlS12_E_NS1_11comp_targetILNS1_3genE10ELNS1_11target_archE1200ELNS1_3gpuE4ELNS1_3repE0EEENS1_30default_config_static_selectorELNS0_4arch9wavefront6targetE1EEEvT1_ ; -- Begin function _ZN7rocprim17ROCPRIM_400000_NS6detail17trampoline_kernelINS0_14default_configENS1_25partition_config_selectorILNS1_17partition_subalgoE8EtNS0_10empty_typeEbEEZZNS1_14partition_implILS5_8ELb0ES3_jPKtPS6_PKS6_NS0_5tupleIJPtS6_EEENSE_IJSB_SB_EEENS0_18inequality_wrapperIN6hipcub16HIPCUB_304000_NS8EqualityEEEPlJS6_EEE10hipError_tPvRmT3_T4_T5_T6_T7_T9_mT8_P12ihipStream_tbDpT10_ENKUlT_T0_E_clISt17integral_constantIbLb0EES16_IbLb1EEEEDaS12_S13_EUlS12_E_NS1_11comp_targetILNS1_3genE10ELNS1_11target_archE1200ELNS1_3gpuE4ELNS1_3repE0EEENS1_30default_config_static_selectorELNS0_4arch9wavefront6targetE1EEEvT1_
	.globl	_ZN7rocprim17ROCPRIM_400000_NS6detail17trampoline_kernelINS0_14default_configENS1_25partition_config_selectorILNS1_17partition_subalgoE8EtNS0_10empty_typeEbEEZZNS1_14partition_implILS5_8ELb0ES3_jPKtPS6_PKS6_NS0_5tupleIJPtS6_EEENSE_IJSB_SB_EEENS0_18inequality_wrapperIN6hipcub16HIPCUB_304000_NS8EqualityEEEPlJS6_EEE10hipError_tPvRmT3_T4_T5_T6_T7_T9_mT8_P12ihipStream_tbDpT10_ENKUlT_T0_E_clISt17integral_constantIbLb0EES16_IbLb1EEEEDaS12_S13_EUlS12_E_NS1_11comp_targetILNS1_3genE10ELNS1_11target_archE1200ELNS1_3gpuE4ELNS1_3repE0EEENS1_30default_config_static_selectorELNS0_4arch9wavefront6targetE1EEEvT1_
	.p2align	8
	.type	_ZN7rocprim17ROCPRIM_400000_NS6detail17trampoline_kernelINS0_14default_configENS1_25partition_config_selectorILNS1_17partition_subalgoE8EtNS0_10empty_typeEbEEZZNS1_14partition_implILS5_8ELb0ES3_jPKtPS6_PKS6_NS0_5tupleIJPtS6_EEENSE_IJSB_SB_EEENS0_18inequality_wrapperIN6hipcub16HIPCUB_304000_NS8EqualityEEEPlJS6_EEE10hipError_tPvRmT3_T4_T5_T6_T7_T9_mT8_P12ihipStream_tbDpT10_ENKUlT_T0_E_clISt17integral_constantIbLb0EES16_IbLb1EEEEDaS12_S13_EUlS12_E_NS1_11comp_targetILNS1_3genE10ELNS1_11target_archE1200ELNS1_3gpuE4ELNS1_3repE0EEENS1_30default_config_static_selectorELNS0_4arch9wavefront6targetE1EEEvT1_,@function
_ZN7rocprim17ROCPRIM_400000_NS6detail17trampoline_kernelINS0_14default_configENS1_25partition_config_selectorILNS1_17partition_subalgoE8EtNS0_10empty_typeEbEEZZNS1_14partition_implILS5_8ELb0ES3_jPKtPS6_PKS6_NS0_5tupleIJPtS6_EEENSE_IJSB_SB_EEENS0_18inequality_wrapperIN6hipcub16HIPCUB_304000_NS8EqualityEEEPlJS6_EEE10hipError_tPvRmT3_T4_T5_T6_T7_T9_mT8_P12ihipStream_tbDpT10_ENKUlT_T0_E_clISt17integral_constantIbLb0EES16_IbLb1EEEEDaS12_S13_EUlS12_E_NS1_11comp_targetILNS1_3genE10ELNS1_11target_archE1200ELNS1_3gpuE4ELNS1_3repE0EEENS1_30default_config_static_selectorELNS0_4arch9wavefront6targetE1EEEvT1_: ; @_ZN7rocprim17ROCPRIM_400000_NS6detail17trampoline_kernelINS0_14default_configENS1_25partition_config_selectorILNS1_17partition_subalgoE8EtNS0_10empty_typeEbEEZZNS1_14partition_implILS5_8ELb0ES3_jPKtPS6_PKS6_NS0_5tupleIJPtS6_EEENSE_IJSB_SB_EEENS0_18inequality_wrapperIN6hipcub16HIPCUB_304000_NS8EqualityEEEPlJS6_EEE10hipError_tPvRmT3_T4_T5_T6_T7_T9_mT8_P12ihipStream_tbDpT10_ENKUlT_T0_E_clISt17integral_constantIbLb0EES16_IbLb1EEEEDaS12_S13_EUlS12_E_NS1_11comp_targetILNS1_3genE10ELNS1_11target_archE1200ELNS1_3gpuE4ELNS1_3repE0EEENS1_30default_config_static_selectorELNS0_4arch9wavefront6targetE1EEEvT1_
; %bb.0:
	.section	.rodata,"a",@progbits
	.p2align	6, 0x0
	.amdhsa_kernel _ZN7rocprim17ROCPRIM_400000_NS6detail17trampoline_kernelINS0_14default_configENS1_25partition_config_selectorILNS1_17partition_subalgoE8EtNS0_10empty_typeEbEEZZNS1_14partition_implILS5_8ELb0ES3_jPKtPS6_PKS6_NS0_5tupleIJPtS6_EEENSE_IJSB_SB_EEENS0_18inequality_wrapperIN6hipcub16HIPCUB_304000_NS8EqualityEEEPlJS6_EEE10hipError_tPvRmT3_T4_T5_T6_T7_T9_mT8_P12ihipStream_tbDpT10_ENKUlT_T0_E_clISt17integral_constantIbLb0EES16_IbLb1EEEEDaS12_S13_EUlS12_E_NS1_11comp_targetILNS1_3genE10ELNS1_11target_archE1200ELNS1_3gpuE4ELNS1_3repE0EEENS1_30default_config_static_selectorELNS0_4arch9wavefront6targetE1EEEvT1_
		.amdhsa_group_segment_fixed_size 0
		.amdhsa_private_segment_fixed_size 0
		.amdhsa_kernarg_size 128
		.amdhsa_user_sgpr_count 2
		.amdhsa_user_sgpr_dispatch_ptr 0
		.amdhsa_user_sgpr_queue_ptr 0
		.amdhsa_user_sgpr_kernarg_segment_ptr 1
		.amdhsa_user_sgpr_dispatch_id 0
		.amdhsa_user_sgpr_kernarg_preload_length 0
		.amdhsa_user_sgpr_kernarg_preload_offset 0
		.amdhsa_user_sgpr_private_segment_size 0
		.amdhsa_uses_dynamic_stack 0
		.amdhsa_enable_private_segment 0
		.amdhsa_system_sgpr_workgroup_id_x 1
		.amdhsa_system_sgpr_workgroup_id_y 0
		.amdhsa_system_sgpr_workgroup_id_z 0
		.amdhsa_system_sgpr_workgroup_info 0
		.amdhsa_system_vgpr_workitem_id 0
		.amdhsa_next_free_vgpr 1
		.amdhsa_next_free_sgpr 0
		.amdhsa_accum_offset 4
		.amdhsa_reserve_vcc 0
		.amdhsa_float_round_mode_32 0
		.amdhsa_float_round_mode_16_64 0
		.amdhsa_float_denorm_mode_32 3
		.amdhsa_float_denorm_mode_16_64 3
		.amdhsa_dx10_clamp 1
		.amdhsa_ieee_mode 1
		.amdhsa_fp16_overflow 0
		.amdhsa_tg_split 0
		.amdhsa_exception_fp_ieee_invalid_op 0
		.amdhsa_exception_fp_denorm_src 0
		.amdhsa_exception_fp_ieee_div_zero 0
		.amdhsa_exception_fp_ieee_overflow 0
		.amdhsa_exception_fp_ieee_underflow 0
		.amdhsa_exception_fp_ieee_inexact 0
		.amdhsa_exception_int_div_zero 0
	.end_amdhsa_kernel
	.section	.text._ZN7rocprim17ROCPRIM_400000_NS6detail17trampoline_kernelINS0_14default_configENS1_25partition_config_selectorILNS1_17partition_subalgoE8EtNS0_10empty_typeEbEEZZNS1_14partition_implILS5_8ELb0ES3_jPKtPS6_PKS6_NS0_5tupleIJPtS6_EEENSE_IJSB_SB_EEENS0_18inequality_wrapperIN6hipcub16HIPCUB_304000_NS8EqualityEEEPlJS6_EEE10hipError_tPvRmT3_T4_T5_T6_T7_T9_mT8_P12ihipStream_tbDpT10_ENKUlT_T0_E_clISt17integral_constantIbLb0EES16_IbLb1EEEEDaS12_S13_EUlS12_E_NS1_11comp_targetILNS1_3genE10ELNS1_11target_archE1200ELNS1_3gpuE4ELNS1_3repE0EEENS1_30default_config_static_selectorELNS0_4arch9wavefront6targetE1EEEvT1_,"axG",@progbits,_ZN7rocprim17ROCPRIM_400000_NS6detail17trampoline_kernelINS0_14default_configENS1_25partition_config_selectorILNS1_17partition_subalgoE8EtNS0_10empty_typeEbEEZZNS1_14partition_implILS5_8ELb0ES3_jPKtPS6_PKS6_NS0_5tupleIJPtS6_EEENSE_IJSB_SB_EEENS0_18inequality_wrapperIN6hipcub16HIPCUB_304000_NS8EqualityEEEPlJS6_EEE10hipError_tPvRmT3_T4_T5_T6_T7_T9_mT8_P12ihipStream_tbDpT10_ENKUlT_T0_E_clISt17integral_constantIbLb0EES16_IbLb1EEEEDaS12_S13_EUlS12_E_NS1_11comp_targetILNS1_3genE10ELNS1_11target_archE1200ELNS1_3gpuE4ELNS1_3repE0EEENS1_30default_config_static_selectorELNS0_4arch9wavefront6targetE1EEEvT1_,comdat
.Lfunc_end784:
	.size	_ZN7rocprim17ROCPRIM_400000_NS6detail17trampoline_kernelINS0_14default_configENS1_25partition_config_selectorILNS1_17partition_subalgoE8EtNS0_10empty_typeEbEEZZNS1_14partition_implILS5_8ELb0ES3_jPKtPS6_PKS6_NS0_5tupleIJPtS6_EEENSE_IJSB_SB_EEENS0_18inequality_wrapperIN6hipcub16HIPCUB_304000_NS8EqualityEEEPlJS6_EEE10hipError_tPvRmT3_T4_T5_T6_T7_T9_mT8_P12ihipStream_tbDpT10_ENKUlT_T0_E_clISt17integral_constantIbLb0EES16_IbLb1EEEEDaS12_S13_EUlS12_E_NS1_11comp_targetILNS1_3genE10ELNS1_11target_archE1200ELNS1_3gpuE4ELNS1_3repE0EEENS1_30default_config_static_selectorELNS0_4arch9wavefront6targetE1EEEvT1_, .Lfunc_end784-_ZN7rocprim17ROCPRIM_400000_NS6detail17trampoline_kernelINS0_14default_configENS1_25partition_config_selectorILNS1_17partition_subalgoE8EtNS0_10empty_typeEbEEZZNS1_14partition_implILS5_8ELb0ES3_jPKtPS6_PKS6_NS0_5tupleIJPtS6_EEENSE_IJSB_SB_EEENS0_18inequality_wrapperIN6hipcub16HIPCUB_304000_NS8EqualityEEEPlJS6_EEE10hipError_tPvRmT3_T4_T5_T6_T7_T9_mT8_P12ihipStream_tbDpT10_ENKUlT_T0_E_clISt17integral_constantIbLb0EES16_IbLb1EEEEDaS12_S13_EUlS12_E_NS1_11comp_targetILNS1_3genE10ELNS1_11target_archE1200ELNS1_3gpuE4ELNS1_3repE0EEENS1_30default_config_static_selectorELNS0_4arch9wavefront6targetE1EEEvT1_
                                        ; -- End function
	.section	.AMDGPU.csdata,"",@progbits
; Kernel info:
; codeLenInByte = 0
; NumSgprs: 6
; NumVgprs: 0
; NumAgprs: 0
; TotalNumVgprs: 0
; ScratchSize: 0
; MemoryBound: 0
; FloatMode: 240
; IeeeMode: 1
; LDSByteSize: 0 bytes/workgroup (compile time only)
; SGPRBlocks: 0
; VGPRBlocks: 0
; NumSGPRsForWavesPerEU: 6
; NumVGPRsForWavesPerEU: 1
; AccumOffset: 4
; Occupancy: 8
; WaveLimiterHint : 0
; COMPUTE_PGM_RSRC2:SCRATCH_EN: 0
; COMPUTE_PGM_RSRC2:USER_SGPR: 2
; COMPUTE_PGM_RSRC2:TRAP_HANDLER: 0
; COMPUTE_PGM_RSRC2:TGID_X_EN: 1
; COMPUTE_PGM_RSRC2:TGID_Y_EN: 0
; COMPUTE_PGM_RSRC2:TGID_Z_EN: 0
; COMPUTE_PGM_RSRC2:TIDIG_COMP_CNT: 0
; COMPUTE_PGM_RSRC3_GFX90A:ACCUM_OFFSET: 0
; COMPUTE_PGM_RSRC3_GFX90A:TG_SPLIT: 0
	.section	.text._ZN7rocprim17ROCPRIM_400000_NS6detail17trampoline_kernelINS0_14default_configENS1_25partition_config_selectorILNS1_17partition_subalgoE8EtNS0_10empty_typeEbEEZZNS1_14partition_implILS5_8ELb0ES3_jPKtPS6_PKS6_NS0_5tupleIJPtS6_EEENSE_IJSB_SB_EEENS0_18inequality_wrapperIN6hipcub16HIPCUB_304000_NS8EqualityEEEPlJS6_EEE10hipError_tPvRmT3_T4_T5_T6_T7_T9_mT8_P12ihipStream_tbDpT10_ENKUlT_T0_E_clISt17integral_constantIbLb0EES16_IbLb1EEEEDaS12_S13_EUlS12_E_NS1_11comp_targetILNS1_3genE9ELNS1_11target_archE1100ELNS1_3gpuE3ELNS1_3repE0EEENS1_30default_config_static_selectorELNS0_4arch9wavefront6targetE1EEEvT1_,"axG",@progbits,_ZN7rocprim17ROCPRIM_400000_NS6detail17trampoline_kernelINS0_14default_configENS1_25partition_config_selectorILNS1_17partition_subalgoE8EtNS0_10empty_typeEbEEZZNS1_14partition_implILS5_8ELb0ES3_jPKtPS6_PKS6_NS0_5tupleIJPtS6_EEENSE_IJSB_SB_EEENS0_18inequality_wrapperIN6hipcub16HIPCUB_304000_NS8EqualityEEEPlJS6_EEE10hipError_tPvRmT3_T4_T5_T6_T7_T9_mT8_P12ihipStream_tbDpT10_ENKUlT_T0_E_clISt17integral_constantIbLb0EES16_IbLb1EEEEDaS12_S13_EUlS12_E_NS1_11comp_targetILNS1_3genE9ELNS1_11target_archE1100ELNS1_3gpuE3ELNS1_3repE0EEENS1_30default_config_static_selectorELNS0_4arch9wavefront6targetE1EEEvT1_,comdat
	.protected	_ZN7rocprim17ROCPRIM_400000_NS6detail17trampoline_kernelINS0_14default_configENS1_25partition_config_selectorILNS1_17partition_subalgoE8EtNS0_10empty_typeEbEEZZNS1_14partition_implILS5_8ELb0ES3_jPKtPS6_PKS6_NS0_5tupleIJPtS6_EEENSE_IJSB_SB_EEENS0_18inequality_wrapperIN6hipcub16HIPCUB_304000_NS8EqualityEEEPlJS6_EEE10hipError_tPvRmT3_T4_T5_T6_T7_T9_mT8_P12ihipStream_tbDpT10_ENKUlT_T0_E_clISt17integral_constantIbLb0EES16_IbLb1EEEEDaS12_S13_EUlS12_E_NS1_11comp_targetILNS1_3genE9ELNS1_11target_archE1100ELNS1_3gpuE3ELNS1_3repE0EEENS1_30default_config_static_selectorELNS0_4arch9wavefront6targetE1EEEvT1_ ; -- Begin function _ZN7rocprim17ROCPRIM_400000_NS6detail17trampoline_kernelINS0_14default_configENS1_25partition_config_selectorILNS1_17partition_subalgoE8EtNS0_10empty_typeEbEEZZNS1_14partition_implILS5_8ELb0ES3_jPKtPS6_PKS6_NS0_5tupleIJPtS6_EEENSE_IJSB_SB_EEENS0_18inequality_wrapperIN6hipcub16HIPCUB_304000_NS8EqualityEEEPlJS6_EEE10hipError_tPvRmT3_T4_T5_T6_T7_T9_mT8_P12ihipStream_tbDpT10_ENKUlT_T0_E_clISt17integral_constantIbLb0EES16_IbLb1EEEEDaS12_S13_EUlS12_E_NS1_11comp_targetILNS1_3genE9ELNS1_11target_archE1100ELNS1_3gpuE3ELNS1_3repE0EEENS1_30default_config_static_selectorELNS0_4arch9wavefront6targetE1EEEvT1_
	.globl	_ZN7rocprim17ROCPRIM_400000_NS6detail17trampoline_kernelINS0_14default_configENS1_25partition_config_selectorILNS1_17partition_subalgoE8EtNS0_10empty_typeEbEEZZNS1_14partition_implILS5_8ELb0ES3_jPKtPS6_PKS6_NS0_5tupleIJPtS6_EEENSE_IJSB_SB_EEENS0_18inequality_wrapperIN6hipcub16HIPCUB_304000_NS8EqualityEEEPlJS6_EEE10hipError_tPvRmT3_T4_T5_T6_T7_T9_mT8_P12ihipStream_tbDpT10_ENKUlT_T0_E_clISt17integral_constantIbLb0EES16_IbLb1EEEEDaS12_S13_EUlS12_E_NS1_11comp_targetILNS1_3genE9ELNS1_11target_archE1100ELNS1_3gpuE3ELNS1_3repE0EEENS1_30default_config_static_selectorELNS0_4arch9wavefront6targetE1EEEvT1_
	.p2align	8
	.type	_ZN7rocprim17ROCPRIM_400000_NS6detail17trampoline_kernelINS0_14default_configENS1_25partition_config_selectorILNS1_17partition_subalgoE8EtNS0_10empty_typeEbEEZZNS1_14partition_implILS5_8ELb0ES3_jPKtPS6_PKS6_NS0_5tupleIJPtS6_EEENSE_IJSB_SB_EEENS0_18inequality_wrapperIN6hipcub16HIPCUB_304000_NS8EqualityEEEPlJS6_EEE10hipError_tPvRmT3_T4_T5_T6_T7_T9_mT8_P12ihipStream_tbDpT10_ENKUlT_T0_E_clISt17integral_constantIbLb0EES16_IbLb1EEEEDaS12_S13_EUlS12_E_NS1_11comp_targetILNS1_3genE9ELNS1_11target_archE1100ELNS1_3gpuE3ELNS1_3repE0EEENS1_30default_config_static_selectorELNS0_4arch9wavefront6targetE1EEEvT1_,@function
_ZN7rocprim17ROCPRIM_400000_NS6detail17trampoline_kernelINS0_14default_configENS1_25partition_config_selectorILNS1_17partition_subalgoE8EtNS0_10empty_typeEbEEZZNS1_14partition_implILS5_8ELb0ES3_jPKtPS6_PKS6_NS0_5tupleIJPtS6_EEENSE_IJSB_SB_EEENS0_18inequality_wrapperIN6hipcub16HIPCUB_304000_NS8EqualityEEEPlJS6_EEE10hipError_tPvRmT3_T4_T5_T6_T7_T9_mT8_P12ihipStream_tbDpT10_ENKUlT_T0_E_clISt17integral_constantIbLb0EES16_IbLb1EEEEDaS12_S13_EUlS12_E_NS1_11comp_targetILNS1_3genE9ELNS1_11target_archE1100ELNS1_3gpuE3ELNS1_3repE0EEENS1_30default_config_static_selectorELNS0_4arch9wavefront6targetE1EEEvT1_: ; @_ZN7rocprim17ROCPRIM_400000_NS6detail17trampoline_kernelINS0_14default_configENS1_25partition_config_selectorILNS1_17partition_subalgoE8EtNS0_10empty_typeEbEEZZNS1_14partition_implILS5_8ELb0ES3_jPKtPS6_PKS6_NS0_5tupleIJPtS6_EEENSE_IJSB_SB_EEENS0_18inequality_wrapperIN6hipcub16HIPCUB_304000_NS8EqualityEEEPlJS6_EEE10hipError_tPvRmT3_T4_T5_T6_T7_T9_mT8_P12ihipStream_tbDpT10_ENKUlT_T0_E_clISt17integral_constantIbLb0EES16_IbLb1EEEEDaS12_S13_EUlS12_E_NS1_11comp_targetILNS1_3genE9ELNS1_11target_archE1100ELNS1_3gpuE3ELNS1_3repE0EEENS1_30default_config_static_selectorELNS0_4arch9wavefront6targetE1EEEvT1_
; %bb.0:
	.section	.rodata,"a",@progbits
	.p2align	6, 0x0
	.amdhsa_kernel _ZN7rocprim17ROCPRIM_400000_NS6detail17trampoline_kernelINS0_14default_configENS1_25partition_config_selectorILNS1_17partition_subalgoE8EtNS0_10empty_typeEbEEZZNS1_14partition_implILS5_8ELb0ES3_jPKtPS6_PKS6_NS0_5tupleIJPtS6_EEENSE_IJSB_SB_EEENS0_18inequality_wrapperIN6hipcub16HIPCUB_304000_NS8EqualityEEEPlJS6_EEE10hipError_tPvRmT3_T4_T5_T6_T7_T9_mT8_P12ihipStream_tbDpT10_ENKUlT_T0_E_clISt17integral_constantIbLb0EES16_IbLb1EEEEDaS12_S13_EUlS12_E_NS1_11comp_targetILNS1_3genE9ELNS1_11target_archE1100ELNS1_3gpuE3ELNS1_3repE0EEENS1_30default_config_static_selectorELNS0_4arch9wavefront6targetE1EEEvT1_
		.amdhsa_group_segment_fixed_size 0
		.amdhsa_private_segment_fixed_size 0
		.amdhsa_kernarg_size 128
		.amdhsa_user_sgpr_count 2
		.amdhsa_user_sgpr_dispatch_ptr 0
		.amdhsa_user_sgpr_queue_ptr 0
		.amdhsa_user_sgpr_kernarg_segment_ptr 1
		.amdhsa_user_sgpr_dispatch_id 0
		.amdhsa_user_sgpr_kernarg_preload_length 0
		.amdhsa_user_sgpr_kernarg_preload_offset 0
		.amdhsa_user_sgpr_private_segment_size 0
		.amdhsa_uses_dynamic_stack 0
		.amdhsa_enable_private_segment 0
		.amdhsa_system_sgpr_workgroup_id_x 1
		.amdhsa_system_sgpr_workgroup_id_y 0
		.amdhsa_system_sgpr_workgroup_id_z 0
		.amdhsa_system_sgpr_workgroup_info 0
		.amdhsa_system_vgpr_workitem_id 0
		.amdhsa_next_free_vgpr 1
		.amdhsa_next_free_sgpr 0
		.amdhsa_accum_offset 4
		.amdhsa_reserve_vcc 0
		.amdhsa_float_round_mode_32 0
		.amdhsa_float_round_mode_16_64 0
		.amdhsa_float_denorm_mode_32 3
		.amdhsa_float_denorm_mode_16_64 3
		.amdhsa_dx10_clamp 1
		.amdhsa_ieee_mode 1
		.amdhsa_fp16_overflow 0
		.amdhsa_tg_split 0
		.amdhsa_exception_fp_ieee_invalid_op 0
		.amdhsa_exception_fp_denorm_src 0
		.amdhsa_exception_fp_ieee_div_zero 0
		.amdhsa_exception_fp_ieee_overflow 0
		.amdhsa_exception_fp_ieee_underflow 0
		.amdhsa_exception_fp_ieee_inexact 0
		.amdhsa_exception_int_div_zero 0
	.end_amdhsa_kernel
	.section	.text._ZN7rocprim17ROCPRIM_400000_NS6detail17trampoline_kernelINS0_14default_configENS1_25partition_config_selectorILNS1_17partition_subalgoE8EtNS0_10empty_typeEbEEZZNS1_14partition_implILS5_8ELb0ES3_jPKtPS6_PKS6_NS0_5tupleIJPtS6_EEENSE_IJSB_SB_EEENS0_18inequality_wrapperIN6hipcub16HIPCUB_304000_NS8EqualityEEEPlJS6_EEE10hipError_tPvRmT3_T4_T5_T6_T7_T9_mT8_P12ihipStream_tbDpT10_ENKUlT_T0_E_clISt17integral_constantIbLb0EES16_IbLb1EEEEDaS12_S13_EUlS12_E_NS1_11comp_targetILNS1_3genE9ELNS1_11target_archE1100ELNS1_3gpuE3ELNS1_3repE0EEENS1_30default_config_static_selectorELNS0_4arch9wavefront6targetE1EEEvT1_,"axG",@progbits,_ZN7rocprim17ROCPRIM_400000_NS6detail17trampoline_kernelINS0_14default_configENS1_25partition_config_selectorILNS1_17partition_subalgoE8EtNS0_10empty_typeEbEEZZNS1_14partition_implILS5_8ELb0ES3_jPKtPS6_PKS6_NS0_5tupleIJPtS6_EEENSE_IJSB_SB_EEENS0_18inequality_wrapperIN6hipcub16HIPCUB_304000_NS8EqualityEEEPlJS6_EEE10hipError_tPvRmT3_T4_T5_T6_T7_T9_mT8_P12ihipStream_tbDpT10_ENKUlT_T0_E_clISt17integral_constantIbLb0EES16_IbLb1EEEEDaS12_S13_EUlS12_E_NS1_11comp_targetILNS1_3genE9ELNS1_11target_archE1100ELNS1_3gpuE3ELNS1_3repE0EEENS1_30default_config_static_selectorELNS0_4arch9wavefront6targetE1EEEvT1_,comdat
.Lfunc_end785:
	.size	_ZN7rocprim17ROCPRIM_400000_NS6detail17trampoline_kernelINS0_14default_configENS1_25partition_config_selectorILNS1_17partition_subalgoE8EtNS0_10empty_typeEbEEZZNS1_14partition_implILS5_8ELb0ES3_jPKtPS6_PKS6_NS0_5tupleIJPtS6_EEENSE_IJSB_SB_EEENS0_18inequality_wrapperIN6hipcub16HIPCUB_304000_NS8EqualityEEEPlJS6_EEE10hipError_tPvRmT3_T4_T5_T6_T7_T9_mT8_P12ihipStream_tbDpT10_ENKUlT_T0_E_clISt17integral_constantIbLb0EES16_IbLb1EEEEDaS12_S13_EUlS12_E_NS1_11comp_targetILNS1_3genE9ELNS1_11target_archE1100ELNS1_3gpuE3ELNS1_3repE0EEENS1_30default_config_static_selectorELNS0_4arch9wavefront6targetE1EEEvT1_, .Lfunc_end785-_ZN7rocprim17ROCPRIM_400000_NS6detail17trampoline_kernelINS0_14default_configENS1_25partition_config_selectorILNS1_17partition_subalgoE8EtNS0_10empty_typeEbEEZZNS1_14partition_implILS5_8ELb0ES3_jPKtPS6_PKS6_NS0_5tupleIJPtS6_EEENSE_IJSB_SB_EEENS0_18inequality_wrapperIN6hipcub16HIPCUB_304000_NS8EqualityEEEPlJS6_EEE10hipError_tPvRmT3_T4_T5_T6_T7_T9_mT8_P12ihipStream_tbDpT10_ENKUlT_T0_E_clISt17integral_constantIbLb0EES16_IbLb1EEEEDaS12_S13_EUlS12_E_NS1_11comp_targetILNS1_3genE9ELNS1_11target_archE1100ELNS1_3gpuE3ELNS1_3repE0EEENS1_30default_config_static_selectorELNS0_4arch9wavefront6targetE1EEEvT1_
                                        ; -- End function
	.section	.AMDGPU.csdata,"",@progbits
; Kernel info:
; codeLenInByte = 0
; NumSgprs: 6
; NumVgprs: 0
; NumAgprs: 0
; TotalNumVgprs: 0
; ScratchSize: 0
; MemoryBound: 0
; FloatMode: 240
; IeeeMode: 1
; LDSByteSize: 0 bytes/workgroup (compile time only)
; SGPRBlocks: 0
; VGPRBlocks: 0
; NumSGPRsForWavesPerEU: 6
; NumVGPRsForWavesPerEU: 1
; AccumOffset: 4
; Occupancy: 8
; WaveLimiterHint : 0
; COMPUTE_PGM_RSRC2:SCRATCH_EN: 0
; COMPUTE_PGM_RSRC2:USER_SGPR: 2
; COMPUTE_PGM_RSRC2:TRAP_HANDLER: 0
; COMPUTE_PGM_RSRC2:TGID_X_EN: 1
; COMPUTE_PGM_RSRC2:TGID_Y_EN: 0
; COMPUTE_PGM_RSRC2:TGID_Z_EN: 0
; COMPUTE_PGM_RSRC2:TIDIG_COMP_CNT: 0
; COMPUTE_PGM_RSRC3_GFX90A:ACCUM_OFFSET: 0
; COMPUTE_PGM_RSRC3_GFX90A:TG_SPLIT: 0
	.section	.text._ZN7rocprim17ROCPRIM_400000_NS6detail17trampoline_kernelINS0_14default_configENS1_25partition_config_selectorILNS1_17partition_subalgoE8EtNS0_10empty_typeEbEEZZNS1_14partition_implILS5_8ELb0ES3_jPKtPS6_PKS6_NS0_5tupleIJPtS6_EEENSE_IJSB_SB_EEENS0_18inequality_wrapperIN6hipcub16HIPCUB_304000_NS8EqualityEEEPlJS6_EEE10hipError_tPvRmT3_T4_T5_T6_T7_T9_mT8_P12ihipStream_tbDpT10_ENKUlT_T0_E_clISt17integral_constantIbLb0EES16_IbLb1EEEEDaS12_S13_EUlS12_E_NS1_11comp_targetILNS1_3genE8ELNS1_11target_archE1030ELNS1_3gpuE2ELNS1_3repE0EEENS1_30default_config_static_selectorELNS0_4arch9wavefront6targetE1EEEvT1_,"axG",@progbits,_ZN7rocprim17ROCPRIM_400000_NS6detail17trampoline_kernelINS0_14default_configENS1_25partition_config_selectorILNS1_17partition_subalgoE8EtNS0_10empty_typeEbEEZZNS1_14partition_implILS5_8ELb0ES3_jPKtPS6_PKS6_NS0_5tupleIJPtS6_EEENSE_IJSB_SB_EEENS0_18inequality_wrapperIN6hipcub16HIPCUB_304000_NS8EqualityEEEPlJS6_EEE10hipError_tPvRmT3_T4_T5_T6_T7_T9_mT8_P12ihipStream_tbDpT10_ENKUlT_T0_E_clISt17integral_constantIbLb0EES16_IbLb1EEEEDaS12_S13_EUlS12_E_NS1_11comp_targetILNS1_3genE8ELNS1_11target_archE1030ELNS1_3gpuE2ELNS1_3repE0EEENS1_30default_config_static_selectorELNS0_4arch9wavefront6targetE1EEEvT1_,comdat
	.protected	_ZN7rocprim17ROCPRIM_400000_NS6detail17trampoline_kernelINS0_14default_configENS1_25partition_config_selectorILNS1_17partition_subalgoE8EtNS0_10empty_typeEbEEZZNS1_14partition_implILS5_8ELb0ES3_jPKtPS6_PKS6_NS0_5tupleIJPtS6_EEENSE_IJSB_SB_EEENS0_18inequality_wrapperIN6hipcub16HIPCUB_304000_NS8EqualityEEEPlJS6_EEE10hipError_tPvRmT3_T4_T5_T6_T7_T9_mT8_P12ihipStream_tbDpT10_ENKUlT_T0_E_clISt17integral_constantIbLb0EES16_IbLb1EEEEDaS12_S13_EUlS12_E_NS1_11comp_targetILNS1_3genE8ELNS1_11target_archE1030ELNS1_3gpuE2ELNS1_3repE0EEENS1_30default_config_static_selectorELNS0_4arch9wavefront6targetE1EEEvT1_ ; -- Begin function _ZN7rocprim17ROCPRIM_400000_NS6detail17trampoline_kernelINS0_14default_configENS1_25partition_config_selectorILNS1_17partition_subalgoE8EtNS0_10empty_typeEbEEZZNS1_14partition_implILS5_8ELb0ES3_jPKtPS6_PKS6_NS0_5tupleIJPtS6_EEENSE_IJSB_SB_EEENS0_18inequality_wrapperIN6hipcub16HIPCUB_304000_NS8EqualityEEEPlJS6_EEE10hipError_tPvRmT3_T4_T5_T6_T7_T9_mT8_P12ihipStream_tbDpT10_ENKUlT_T0_E_clISt17integral_constantIbLb0EES16_IbLb1EEEEDaS12_S13_EUlS12_E_NS1_11comp_targetILNS1_3genE8ELNS1_11target_archE1030ELNS1_3gpuE2ELNS1_3repE0EEENS1_30default_config_static_selectorELNS0_4arch9wavefront6targetE1EEEvT1_
	.globl	_ZN7rocprim17ROCPRIM_400000_NS6detail17trampoline_kernelINS0_14default_configENS1_25partition_config_selectorILNS1_17partition_subalgoE8EtNS0_10empty_typeEbEEZZNS1_14partition_implILS5_8ELb0ES3_jPKtPS6_PKS6_NS0_5tupleIJPtS6_EEENSE_IJSB_SB_EEENS0_18inequality_wrapperIN6hipcub16HIPCUB_304000_NS8EqualityEEEPlJS6_EEE10hipError_tPvRmT3_T4_T5_T6_T7_T9_mT8_P12ihipStream_tbDpT10_ENKUlT_T0_E_clISt17integral_constantIbLb0EES16_IbLb1EEEEDaS12_S13_EUlS12_E_NS1_11comp_targetILNS1_3genE8ELNS1_11target_archE1030ELNS1_3gpuE2ELNS1_3repE0EEENS1_30default_config_static_selectorELNS0_4arch9wavefront6targetE1EEEvT1_
	.p2align	8
	.type	_ZN7rocprim17ROCPRIM_400000_NS6detail17trampoline_kernelINS0_14default_configENS1_25partition_config_selectorILNS1_17partition_subalgoE8EtNS0_10empty_typeEbEEZZNS1_14partition_implILS5_8ELb0ES3_jPKtPS6_PKS6_NS0_5tupleIJPtS6_EEENSE_IJSB_SB_EEENS0_18inequality_wrapperIN6hipcub16HIPCUB_304000_NS8EqualityEEEPlJS6_EEE10hipError_tPvRmT3_T4_T5_T6_T7_T9_mT8_P12ihipStream_tbDpT10_ENKUlT_T0_E_clISt17integral_constantIbLb0EES16_IbLb1EEEEDaS12_S13_EUlS12_E_NS1_11comp_targetILNS1_3genE8ELNS1_11target_archE1030ELNS1_3gpuE2ELNS1_3repE0EEENS1_30default_config_static_selectorELNS0_4arch9wavefront6targetE1EEEvT1_,@function
_ZN7rocprim17ROCPRIM_400000_NS6detail17trampoline_kernelINS0_14default_configENS1_25partition_config_selectorILNS1_17partition_subalgoE8EtNS0_10empty_typeEbEEZZNS1_14partition_implILS5_8ELb0ES3_jPKtPS6_PKS6_NS0_5tupleIJPtS6_EEENSE_IJSB_SB_EEENS0_18inequality_wrapperIN6hipcub16HIPCUB_304000_NS8EqualityEEEPlJS6_EEE10hipError_tPvRmT3_T4_T5_T6_T7_T9_mT8_P12ihipStream_tbDpT10_ENKUlT_T0_E_clISt17integral_constantIbLb0EES16_IbLb1EEEEDaS12_S13_EUlS12_E_NS1_11comp_targetILNS1_3genE8ELNS1_11target_archE1030ELNS1_3gpuE2ELNS1_3repE0EEENS1_30default_config_static_selectorELNS0_4arch9wavefront6targetE1EEEvT1_: ; @_ZN7rocprim17ROCPRIM_400000_NS6detail17trampoline_kernelINS0_14default_configENS1_25partition_config_selectorILNS1_17partition_subalgoE8EtNS0_10empty_typeEbEEZZNS1_14partition_implILS5_8ELb0ES3_jPKtPS6_PKS6_NS0_5tupleIJPtS6_EEENSE_IJSB_SB_EEENS0_18inequality_wrapperIN6hipcub16HIPCUB_304000_NS8EqualityEEEPlJS6_EEE10hipError_tPvRmT3_T4_T5_T6_T7_T9_mT8_P12ihipStream_tbDpT10_ENKUlT_T0_E_clISt17integral_constantIbLb0EES16_IbLb1EEEEDaS12_S13_EUlS12_E_NS1_11comp_targetILNS1_3genE8ELNS1_11target_archE1030ELNS1_3gpuE2ELNS1_3repE0EEENS1_30default_config_static_selectorELNS0_4arch9wavefront6targetE1EEEvT1_
; %bb.0:
	.section	.rodata,"a",@progbits
	.p2align	6, 0x0
	.amdhsa_kernel _ZN7rocprim17ROCPRIM_400000_NS6detail17trampoline_kernelINS0_14default_configENS1_25partition_config_selectorILNS1_17partition_subalgoE8EtNS0_10empty_typeEbEEZZNS1_14partition_implILS5_8ELb0ES3_jPKtPS6_PKS6_NS0_5tupleIJPtS6_EEENSE_IJSB_SB_EEENS0_18inequality_wrapperIN6hipcub16HIPCUB_304000_NS8EqualityEEEPlJS6_EEE10hipError_tPvRmT3_T4_T5_T6_T7_T9_mT8_P12ihipStream_tbDpT10_ENKUlT_T0_E_clISt17integral_constantIbLb0EES16_IbLb1EEEEDaS12_S13_EUlS12_E_NS1_11comp_targetILNS1_3genE8ELNS1_11target_archE1030ELNS1_3gpuE2ELNS1_3repE0EEENS1_30default_config_static_selectorELNS0_4arch9wavefront6targetE1EEEvT1_
		.amdhsa_group_segment_fixed_size 0
		.amdhsa_private_segment_fixed_size 0
		.amdhsa_kernarg_size 128
		.amdhsa_user_sgpr_count 2
		.amdhsa_user_sgpr_dispatch_ptr 0
		.amdhsa_user_sgpr_queue_ptr 0
		.amdhsa_user_sgpr_kernarg_segment_ptr 1
		.amdhsa_user_sgpr_dispatch_id 0
		.amdhsa_user_sgpr_kernarg_preload_length 0
		.amdhsa_user_sgpr_kernarg_preload_offset 0
		.amdhsa_user_sgpr_private_segment_size 0
		.amdhsa_uses_dynamic_stack 0
		.amdhsa_enable_private_segment 0
		.amdhsa_system_sgpr_workgroup_id_x 1
		.amdhsa_system_sgpr_workgroup_id_y 0
		.amdhsa_system_sgpr_workgroup_id_z 0
		.amdhsa_system_sgpr_workgroup_info 0
		.amdhsa_system_vgpr_workitem_id 0
		.amdhsa_next_free_vgpr 1
		.amdhsa_next_free_sgpr 0
		.amdhsa_accum_offset 4
		.amdhsa_reserve_vcc 0
		.amdhsa_float_round_mode_32 0
		.amdhsa_float_round_mode_16_64 0
		.amdhsa_float_denorm_mode_32 3
		.amdhsa_float_denorm_mode_16_64 3
		.amdhsa_dx10_clamp 1
		.amdhsa_ieee_mode 1
		.amdhsa_fp16_overflow 0
		.amdhsa_tg_split 0
		.amdhsa_exception_fp_ieee_invalid_op 0
		.amdhsa_exception_fp_denorm_src 0
		.amdhsa_exception_fp_ieee_div_zero 0
		.amdhsa_exception_fp_ieee_overflow 0
		.amdhsa_exception_fp_ieee_underflow 0
		.amdhsa_exception_fp_ieee_inexact 0
		.amdhsa_exception_int_div_zero 0
	.end_amdhsa_kernel
	.section	.text._ZN7rocprim17ROCPRIM_400000_NS6detail17trampoline_kernelINS0_14default_configENS1_25partition_config_selectorILNS1_17partition_subalgoE8EtNS0_10empty_typeEbEEZZNS1_14partition_implILS5_8ELb0ES3_jPKtPS6_PKS6_NS0_5tupleIJPtS6_EEENSE_IJSB_SB_EEENS0_18inequality_wrapperIN6hipcub16HIPCUB_304000_NS8EqualityEEEPlJS6_EEE10hipError_tPvRmT3_T4_T5_T6_T7_T9_mT8_P12ihipStream_tbDpT10_ENKUlT_T0_E_clISt17integral_constantIbLb0EES16_IbLb1EEEEDaS12_S13_EUlS12_E_NS1_11comp_targetILNS1_3genE8ELNS1_11target_archE1030ELNS1_3gpuE2ELNS1_3repE0EEENS1_30default_config_static_selectorELNS0_4arch9wavefront6targetE1EEEvT1_,"axG",@progbits,_ZN7rocprim17ROCPRIM_400000_NS6detail17trampoline_kernelINS0_14default_configENS1_25partition_config_selectorILNS1_17partition_subalgoE8EtNS0_10empty_typeEbEEZZNS1_14partition_implILS5_8ELb0ES3_jPKtPS6_PKS6_NS0_5tupleIJPtS6_EEENSE_IJSB_SB_EEENS0_18inequality_wrapperIN6hipcub16HIPCUB_304000_NS8EqualityEEEPlJS6_EEE10hipError_tPvRmT3_T4_T5_T6_T7_T9_mT8_P12ihipStream_tbDpT10_ENKUlT_T0_E_clISt17integral_constantIbLb0EES16_IbLb1EEEEDaS12_S13_EUlS12_E_NS1_11comp_targetILNS1_3genE8ELNS1_11target_archE1030ELNS1_3gpuE2ELNS1_3repE0EEENS1_30default_config_static_selectorELNS0_4arch9wavefront6targetE1EEEvT1_,comdat
.Lfunc_end786:
	.size	_ZN7rocprim17ROCPRIM_400000_NS6detail17trampoline_kernelINS0_14default_configENS1_25partition_config_selectorILNS1_17partition_subalgoE8EtNS0_10empty_typeEbEEZZNS1_14partition_implILS5_8ELb0ES3_jPKtPS6_PKS6_NS0_5tupleIJPtS6_EEENSE_IJSB_SB_EEENS0_18inequality_wrapperIN6hipcub16HIPCUB_304000_NS8EqualityEEEPlJS6_EEE10hipError_tPvRmT3_T4_T5_T6_T7_T9_mT8_P12ihipStream_tbDpT10_ENKUlT_T0_E_clISt17integral_constantIbLb0EES16_IbLb1EEEEDaS12_S13_EUlS12_E_NS1_11comp_targetILNS1_3genE8ELNS1_11target_archE1030ELNS1_3gpuE2ELNS1_3repE0EEENS1_30default_config_static_selectorELNS0_4arch9wavefront6targetE1EEEvT1_, .Lfunc_end786-_ZN7rocprim17ROCPRIM_400000_NS6detail17trampoline_kernelINS0_14default_configENS1_25partition_config_selectorILNS1_17partition_subalgoE8EtNS0_10empty_typeEbEEZZNS1_14partition_implILS5_8ELb0ES3_jPKtPS6_PKS6_NS0_5tupleIJPtS6_EEENSE_IJSB_SB_EEENS0_18inequality_wrapperIN6hipcub16HIPCUB_304000_NS8EqualityEEEPlJS6_EEE10hipError_tPvRmT3_T4_T5_T6_T7_T9_mT8_P12ihipStream_tbDpT10_ENKUlT_T0_E_clISt17integral_constantIbLb0EES16_IbLb1EEEEDaS12_S13_EUlS12_E_NS1_11comp_targetILNS1_3genE8ELNS1_11target_archE1030ELNS1_3gpuE2ELNS1_3repE0EEENS1_30default_config_static_selectorELNS0_4arch9wavefront6targetE1EEEvT1_
                                        ; -- End function
	.section	.AMDGPU.csdata,"",@progbits
; Kernel info:
; codeLenInByte = 0
; NumSgprs: 6
; NumVgprs: 0
; NumAgprs: 0
; TotalNumVgprs: 0
; ScratchSize: 0
; MemoryBound: 0
; FloatMode: 240
; IeeeMode: 1
; LDSByteSize: 0 bytes/workgroup (compile time only)
; SGPRBlocks: 0
; VGPRBlocks: 0
; NumSGPRsForWavesPerEU: 6
; NumVGPRsForWavesPerEU: 1
; AccumOffset: 4
; Occupancy: 8
; WaveLimiterHint : 0
; COMPUTE_PGM_RSRC2:SCRATCH_EN: 0
; COMPUTE_PGM_RSRC2:USER_SGPR: 2
; COMPUTE_PGM_RSRC2:TRAP_HANDLER: 0
; COMPUTE_PGM_RSRC2:TGID_X_EN: 1
; COMPUTE_PGM_RSRC2:TGID_Y_EN: 0
; COMPUTE_PGM_RSRC2:TGID_Z_EN: 0
; COMPUTE_PGM_RSRC2:TIDIG_COMP_CNT: 0
; COMPUTE_PGM_RSRC3_GFX90A:ACCUM_OFFSET: 0
; COMPUTE_PGM_RSRC3_GFX90A:TG_SPLIT: 0
	.section	.text._ZN7rocprim17ROCPRIM_400000_NS6detail17trampoline_kernelINS0_14default_configENS1_33run_length_encode_config_selectorItjNS0_4plusIjEEEEZZNS1_33reduce_by_key_impl_wrapped_configILNS1_25lookback_scan_determinismE0ES3_S7_PKtNS0_17constant_iteratorIjlEEPtPlSF_S6_NS0_8equal_toItEEEE10hipError_tPvRmT2_T3_mT4_T5_T6_T7_T8_P12ihipStream_tbENKUlT_T0_E_clISt17integral_constantIbLb0EESZ_EEDaSU_SV_EUlSU_E_NS1_11comp_targetILNS1_3genE0ELNS1_11target_archE4294967295ELNS1_3gpuE0ELNS1_3repE0EEENS1_30default_config_static_selectorELNS0_4arch9wavefront6targetE1EEEvT1_,"axG",@progbits,_ZN7rocprim17ROCPRIM_400000_NS6detail17trampoline_kernelINS0_14default_configENS1_33run_length_encode_config_selectorItjNS0_4plusIjEEEEZZNS1_33reduce_by_key_impl_wrapped_configILNS1_25lookback_scan_determinismE0ES3_S7_PKtNS0_17constant_iteratorIjlEEPtPlSF_S6_NS0_8equal_toItEEEE10hipError_tPvRmT2_T3_mT4_T5_T6_T7_T8_P12ihipStream_tbENKUlT_T0_E_clISt17integral_constantIbLb0EESZ_EEDaSU_SV_EUlSU_E_NS1_11comp_targetILNS1_3genE0ELNS1_11target_archE4294967295ELNS1_3gpuE0ELNS1_3repE0EEENS1_30default_config_static_selectorELNS0_4arch9wavefront6targetE1EEEvT1_,comdat
	.protected	_ZN7rocprim17ROCPRIM_400000_NS6detail17trampoline_kernelINS0_14default_configENS1_33run_length_encode_config_selectorItjNS0_4plusIjEEEEZZNS1_33reduce_by_key_impl_wrapped_configILNS1_25lookback_scan_determinismE0ES3_S7_PKtNS0_17constant_iteratorIjlEEPtPlSF_S6_NS0_8equal_toItEEEE10hipError_tPvRmT2_T3_mT4_T5_T6_T7_T8_P12ihipStream_tbENKUlT_T0_E_clISt17integral_constantIbLb0EESZ_EEDaSU_SV_EUlSU_E_NS1_11comp_targetILNS1_3genE0ELNS1_11target_archE4294967295ELNS1_3gpuE0ELNS1_3repE0EEENS1_30default_config_static_selectorELNS0_4arch9wavefront6targetE1EEEvT1_ ; -- Begin function _ZN7rocprim17ROCPRIM_400000_NS6detail17trampoline_kernelINS0_14default_configENS1_33run_length_encode_config_selectorItjNS0_4plusIjEEEEZZNS1_33reduce_by_key_impl_wrapped_configILNS1_25lookback_scan_determinismE0ES3_S7_PKtNS0_17constant_iteratorIjlEEPtPlSF_S6_NS0_8equal_toItEEEE10hipError_tPvRmT2_T3_mT4_T5_T6_T7_T8_P12ihipStream_tbENKUlT_T0_E_clISt17integral_constantIbLb0EESZ_EEDaSU_SV_EUlSU_E_NS1_11comp_targetILNS1_3genE0ELNS1_11target_archE4294967295ELNS1_3gpuE0ELNS1_3repE0EEENS1_30default_config_static_selectorELNS0_4arch9wavefront6targetE1EEEvT1_
	.globl	_ZN7rocprim17ROCPRIM_400000_NS6detail17trampoline_kernelINS0_14default_configENS1_33run_length_encode_config_selectorItjNS0_4plusIjEEEEZZNS1_33reduce_by_key_impl_wrapped_configILNS1_25lookback_scan_determinismE0ES3_S7_PKtNS0_17constant_iteratorIjlEEPtPlSF_S6_NS0_8equal_toItEEEE10hipError_tPvRmT2_T3_mT4_T5_T6_T7_T8_P12ihipStream_tbENKUlT_T0_E_clISt17integral_constantIbLb0EESZ_EEDaSU_SV_EUlSU_E_NS1_11comp_targetILNS1_3genE0ELNS1_11target_archE4294967295ELNS1_3gpuE0ELNS1_3repE0EEENS1_30default_config_static_selectorELNS0_4arch9wavefront6targetE1EEEvT1_
	.p2align	8
	.type	_ZN7rocprim17ROCPRIM_400000_NS6detail17trampoline_kernelINS0_14default_configENS1_33run_length_encode_config_selectorItjNS0_4plusIjEEEEZZNS1_33reduce_by_key_impl_wrapped_configILNS1_25lookback_scan_determinismE0ES3_S7_PKtNS0_17constant_iteratorIjlEEPtPlSF_S6_NS0_8equal_toItEEEE10hipError_tPvRmT2_T3_mT4_T5_T6_T7_T8_P12ihipStream_tbENKUlT_T0_E_clISt17integral_constantIbLb0EESZ_EEDaSU_SV_EUlSU_E_NS1_11comp_targetILNS1_3genE0ELNS1_11target_archE4294967295ELNS1_3gpuE0ELNS1_3repE0EEENS1_30default_config_static_selectorELNS0_4arch9wavefront6targetE1EEEvT1_,@function
_ZN7rocprim17ROCPRIM_400000_NS6detail17trampoline_kernelINS0_14default_configENS1_33run_length_encode_config_selectorItjNS0_4plusIjEEEEZZNS1_33reduce_by_key_impl_wrapped_configILNS1_25lookback_scan_determinismE0ES3_S7_PKtNS0_17constant_iteratorIjlEEPtPlSF_S6_NS0_8equal_toItEEEE10hipError_tPvRmT2_T3_mT4_T5_T6_T7_T8_P12ihipStream_tbENKUlT_T0_E_clISt17integral_constantIbLb0EESZ_EEDaSU_SV_EUlSU_E_NS1_11comp_targetILNS1_3genE0ELNS1_11target_archE4294967295ELNS1_3gpuE0ELNS1_3repE0EEENS1_30default_config_static_selectorELNS0_4arch9wavefront6targetE1EEEvT1_: ; @_ZN7rocprim17ROCPRIM_400000_NS6detail17trampoline_kernelINS0_14default_configENS1_33run_length_encode_config_selectorItjNS0_4plusIjEEEEZZNS1_33reduce_by_key_impl_wrapped_configILNS1_25lookback_scan_determinismE0ES3_S7_PKtNS0_17constant_iteratorIjlEEPtPlSF_S6_NS0_8equal_toItEEEE10hipError_tPvRmT2_T3_mT4_T5_T6_T7_T8_P12ihipStream_tbENKUlT_T0_E_clISt17integral_constantIbLb0EESZ_EEDaSU_SV_EUlSU_E_NS1_11comp_targetILNS1_3genE0ELNS1_11target_archE4294967295ELNS1_3gpuE0ELNS1_3repE0EEENS1_30default_config_static_selectorELNS0_4arch9wavefront6targetE1EEEvT1_
; %bb.0:
	.section	.rodata,"a",@progbits
	.p2align	6, 0x0
	.amdhsa_kernel _ZN7rocprim17ROCPRIM_400000_NS6detail17trampoline_kernelINS0_14default_configENS1_33run_length_encode_config_selectorItjNS0_4plusIjEEEEZZNS1_33reduce_by_key_impl_wrapped_configILNS1_25lookback_scan_determinismE0ES3_S7_PKtNS0_17constant_iteratorIjlEEPtPlSF_S6_NS0_8equal_toItEEEE10hipError_tPvRmT2_T3_mT4_T5_T6_T7_T8_P12ihipStream_tbENKUlT_T0_E_clISt17integral_constantIbLb0EESZ_EEDaSU_SV_EUlSU_E_NS1_11comp_targetILNS1_3genE0ELNS1_11target_archE4294967295ELNS1_3gpuE0ELNS1_3repE0EEENS1_30default_config_static_selectorELNS0_4arch9wavefront6targetE1EEEvT1_
		.amdhsa_group_segment_fixed_size 0
		.amdhsa_private_segment_fixed_size 0
		.amdhsa_kernarg_size 128
		.amdhsa_user_sgpr_count 2
		.amdhsa_user_sgpr_dispatch_ptr 0
		.amdhsa_user_sgpr_queue_ptr 0
		.amdhsa_user_sgpr_kernarg_segment_ptr 1
		.amdhsa_user_sgpr_dispatch_id 0
		.amdhsa_user_sgpr_kernarg_preload_length 0
		.amdhsa_user_sgpr_kernarg_preload_offset 0
		.amdhsa_user_sgpr_private_segment_size 0
		.amdhsa_uses_dynamic_stack 0
		.amdhsa_enable_private_segment 0
		.amdhsa_system_sgpr_workgroup_id_x 1
		.amdhsa_system_sgpr_workgroup_id_y 0
		.amdhsa_system_sgpr_workgroup_id_z 0
		.amdhsa_system_sgpr_workgroup_info 0
		.amdhsa_system_vgpr_workitem_id 0
		.amdhsa_next_free_vgpr 1
		.amdhsa_next_free_sgpr 0
		.amdhsa_accum_offset 4
		.amdhsa_reserve_vcc 0
		.amdhsa_float_round_mode_32 0
		.amdhsa_float_round_mode_16_64 0
		.amdhsa_float_denorm_mode_32 3
		.amdhsa_float_denorm_mode_16_64 3
		.amdhsa_dx10_clamp 1
		.amdhsa_ieee_mode 1
		.amdhsa_fp16_overflow 0
		.amdhsa_tg_split 0
		.amdhsa_exception_fp_ieee_invalid_op 0
		.amdhsa_exception_fp_denorm_src 0
		.amdhsa_exception_fp_ieee_div_zero 0
		.amdhsa_exception_fp_ieee_overflow 0
		.amdhsa_exception_fp_ieee_underflow 0
		.amdhsa_exception_fp_ieee_inexact 0
		.amdhsa_exception_int_div_zero 0
	.end_amdhsa_kernel
	.section	.text._ZN7rocprim17ROCPRIM_400000_NS6detail17trampoline_kernelINS0_14default_configENS1_33run_length_encode_config_selectorItjNS0_4plusIjEEEEZZNS1_33reduce_by_key_impl_wrapped_configILNS1_25lookback_scan_determinismE0ES3_S7_PKtNS0_17constant_iteratorIjlEEPtPlSF_S6_NS0_8equal_toItEEEE10hipError_tPvRmT2_T3_mT4_T5_T6_T7_T8_P12ihipStream_tbENKUlT_T0_E_clISt17integral_constantIbLb0EESZ_EEDaSU_SV_EUlSU_E_NS1_11comp_targetILNS1_3genE0ELNS1_11target_archE4294967295ELNS1_3gpuE0ELNS1_3repE0EEENS1_30default_config_static_selectorELNS0_4arch9wavefront6targetE1EEEvT1_,"axG",@progbits,_ZN7rocprim17ROCPRIM_400000_NS6detail17trampoline_kernelINS0_14default_configENS1_33run_length_encode_config_selectorItjNS0_4plusIjEEEEZZNS1_33reduce_by_key_impl_wrapped_configILNS1_25lookback_scan_determinismE0ES3_S7_PKtNS0_17constant_iteratorIjlEEPtPlSF_S6_NS0_8equal_toItEEEE10hipError_tPvRmT2_T3_mT4_T5_T6_T7_T8_P12ihipStream_tbENKUlT_T0_E_clISt17integral_constantIbLb0EESZ_EEDaSU_SV_EUlSU_E_NS1_11comp_targetILNS1_3genE0ELNS1_11target_archE4294967295ELNS1_3gpuE0ELNS1_3repE0EEENS1_30default_config_static_selectorELNS0_4arch9wavefront6targetE1EEEvT1_,comdat
.Lfunc_end787:
	.size	_ZN7rocprim17ROCPRIM_400000_NS6detail17trampoline_kernelINS0_14default_configENS1_33run_length_encode_config_selectorItjNS0_4plusIjEEEEZZNS1_33reduce_by_key_impl_wrapped_configILNS1_25lookback_scan_determinismE0ES3_S7_PKtNS0_17constant_iteratorIjlEEPtPlSF_S6_NS0_8equal_toItEEEE10hipError_tPvRmT2_T3_mT4_T5_T6_T7_T8_P12ihipStream_tbENKUlT_T0_E_clISt17integral_constantIbLb0EESZ_EEDaSU_SV_EUlSU_E_NS1_11comp_targetILNS1_3genE0ELNS1_11target_archE4294967295ELNS1_3gpuE0ELNS1_3repE0EEENS1_30default_config_static_selectorELNS0_4arch9wavefront6targetE1EEEvT1_, .Lfunc_end787-_ZN7rocprim17ROCPRIM_400000_NS6detail17trampoline_kernelINS0_14default_configENS1_33run_length_encode_config_selectorItjNS0_4plusIjEEEEZZNS1_33reduce_by_key_impl_wrapped_configILNS1_25lookback_scan_determinismE0ES3_S7_PKtNS0_17constant_iteratorIjlEEPtPlSF_S6_NS0_8equal_toItEEEE10hipError_tPvRmT2_T3_mT4_T5_T6_T7_T8_P12ihipStream_tbENKUlT_T0_E_clISt17integral_constantIbLb0EESZ_EEDaSU_SV_EUlSU_E_NS1_11comp_targetILNS1_3genE0ELNS1_11target_archE4294967295ELNS1_3gpuE0ELNS1_3repE0EEENS1_30default_config_static_selectorELNS0_4arch9wavefront6targetE1EEEvT1_
                                        ; -- End function
	.section	.AMDGPU.csdata,"",@progbits
; Kernel info:
; codeLenInByte = 0
; NumSgprs: 6
; NumVgprs: 0
; NumAgprs: 0
; TotalNumVgprs: 0
; ScratchSize: 0
; MemoryBound: 0
; FloatMode: 240
; IeeeMode: 1
; LDSByteSize: 0 bytes/workgroup (compile time only)
; SGPRBlocks: 0
; VGPRBlocks: 0
; NumSGPRsForWavesPerEU: 6
; NumVGPRsForWavesPerEU: 1
; AccumOffset: 4
; Occupancy: 8
; WaveLimiterHint : 0
; COMPUTE_PGM_RSRC2:SCRATCH_EN: 0
; COMPUTE_PGM_RSRC2:USER_SGPR: 2
; COMPUTE_PGM_RSRC2:TRAP_HANDLER: 0
; COMPUTE_PGM_RSRC2:TGID_X_EN: 1
; COMPUTE_PGM_RSRC2:TGID_Y_EN: 0
; COMPUTE_PGM_RSRC2:TGID_Z_EN: 0
; COMPUTE_PGM_RSRC2:TIDIG_COMP_CNT: 0
; COMPUTE_PGM_RSRC3_GFX90A:ACCUM_OFFSET: 0
; COMPUTE_PGM_RSRC3_GFX90A:TG_SPLIT: 0
	.section	.text._ZN7rocprim17ROCPRIM_400000_NS6detail17trampoline_kernelINS0_14default_configENS1_33run_length_encode_config_selectorItjNS0_4plusIjEEEEZZNS1_33reduce_by_key_impl_wrapped_configILNS1_25lookback_scan_determinismE0ES3_S7_PKtNS0_17constant_iteratorIjlEEPtPlSF_S6_NS0_8equal_toItEEEE10hipError_tPvRmT2_T3_mT4_T5_T6_T7_T8_P12ihipStream_tbENKUlT_T0_E_clISt17integral_constantIbLb0EESZ_EEDaSU_SV_EUlSU_E_NS1_11comp_targetILNS1_3genE5ELNS1_11target_archE942ELNS1_3gpuE9ELNS1_3repE0EEENS1_30default_config_static_selectorELNS0_4arch9wavefront6targetE1EEEvT1_,"axG",@progbits,_ZN7rocprim17ROCPRIM_400000_NS6detail17trampoline_kernelINS0_14default_configENS1_33run_length_encode_config_selectorItjNS0_4plusIjEEEEZZNS1_33reduce_by_key_impl_wrapped_configILNS1_25lookback_scan_determinismE0ES3_S7_PKtNS0_17constant_iteratorIjlEEPtPlSF_S6_NS0_8equal_toItEEEE10hipError_tPvRmT2_T3_mT4_T5_T6_T7_T8_P12ihipStream_tbENKUlT_T0_E_clISt17integral_constantIbLb0EESZ_EEDaSU_SV_EUlSU_E_NS1_11comp_targetILNS1_3genE5ELNS1_11target_archE942ELNS1_3gpuE9ELNS1_3repE0EEENS1_30default_config_static_selectorELNS0_4arch9wavefront6targetE1EEEvT1_,comdat
	.protected	_ZN7rocprim17ROCPRIM_400000_NS6detail17trampoline_kernelINS0_14default_configENS1_33run_length_encode_config_selectorItjNS0_4plusIjEEEEZZNS1_33reduce_by_key_impl_wrapped_configILNS1_25lookback_scan_determinismE0ES3_S7_PKtNS0_17constant_iteratorIjlEEPtPlSF_S6_NS0_8equal_toItEEEE10hipError_tPvRmT2_T3_mT4_T5_T6_T7_T8_P12ihipStream_tbENKUlT_T0_E_clISt17integral_constantIbLb0EESZ_EEDaSU_SV_EUlSU_E_NS1_11comp_targetILNS1_3genE5ELNS1_11target_archE942ELNS1_3gpuE9ELNS1_3repE0EEENS1_30default_config_static_selectorELNS0_4arch9wavefront6targetE1EEEvT1_ ; -- Begin function _ZN7rocprim17ROCPRIM_400000_NS6detail17trampoline_kernelINS0_14default_configENS1_33run_length_encode_config_selectorItjNS0_4plusIjEEEEZZNS1_33reduce_by_key_impl_wrapped_configILNS1_25lookback_scan_determinismE0ES3_S7_PKtNS0_17constant_iteratorIjlEEPtPlSF_S6_NS0_8equal_toItEEEE10hipError_tPvRmT2_T3_mT4_T5_T6_T7_T8_P12ihipStream_tbENKUlT_T0_E_clISt17integral_constantIbLb0EESZ_EEDaSU_SV_EUlSU_E_NS1_11comp_targetILNS1_3genE5ELNS1_11target_archE942ELNS1_3gpuE9ELNS1_3repE0EEENS1_30default_config_static_selectorELNS0_4arch9wavefront6targetE1EEEvT1_
	.globl	_ZN7rocprim17ROCPRIM_400000_NS6detail17trampoline_kernelINS0_14default_configENS1_33run_length_encode_config_selectorItjNS0_4plusIjEEEEZZNS1_33reduce_by_key_impl_wrapped_configILNS1_25lookback_scan_determinismE0ES3_S7_PKtNS0_17constant_iteratorIjlEEPtPlSF_S6_NS0_8equal_toItEEEE10hipError_tPvRmT2_T3_mT4_T5_T6_T7_T8_P12ihipStream_tbENKUlT_T0_E_clISt17integral_constantIbLb0EESZ_EEDaSU_SV_EUlSU_E_NS1_11comp_targetILNS1_3genE5ELNS1_11target_archE942ELNS1_3gpuE9ELNS1_3repE0EEENS1_30default_config_static_selectorELNS0_4arch9wavefront6targetE1EEEvT1_
	.p2align	8
	.type	_ZN7rocprim17ROCPRIM_400000_NS6detail17trampoline_kernelINS0_14default_configENS1_33run_length_encode_config_selectorItjNS0_4plusIjEEEEZZNS1_33reduce_by_key_impl_wrapped_configILNS1_25lookback_scan_determinismE0ES3_S7_PKtNS0_17constant_iteratorIjlEEPtPlSF_S6_NS0_8equal_toItEEEE10hipError_tPvRmT2_T3_mT4_T5_T6_T7_T8_P12ihipStream_tbENKUlT_T0_E_clISt17integral_constantIbLb0EESZ_EEDaSU_SV_EUlSU_E_NS1_11comp_targetILNS1_3genE5ELNS1_11target_archE942ELNS1_3gpuE9ELNS1_3repE0EEENS1_30default_config_static_selectorELNS0_4arch9wavefront6targetE1EEEvT1_,@function
_ZN7rocprim17ROCPRIM_400000_NS6detail17trampoline_kernelINS0_14default_configENS1_33run_length_encode_config_selectorItjNS0_4plusIjEEEEZZNS1_33reduce_by_key_impl_wrapped_configILNS1_25lookback_scan_determinismE0ES3_S7_PKtNS0_17constant_iteratorIjlEEPtPlSF_S6_NS0_8equal_toItEEEE10hipError_tPvRmT2_T3_mT4_T5_T6_T7_T8_P12ihipStream_tbENKUlT_T0_E_clISt17integral_constantIbLb0EESZ_EEDaSU_SV_EUlSU_E_NS1_11comp_targetILNS1_3genE5ELNS1_11target_archE942ELNS1_3gpuE9ELNS1_3repE0EEENS1_30default_config_static_selectorELNS0_4arch9wavefront6targetE1EEEvT1_: ; @_ZN7rocprim17ROCPRIM_400000_NS6detail17trampoline_kernelINS0_14default_configENS1_33run_length_encode_config_selectorItjNS0_4plusIjEEEEZZNS1_33reduce_by_key_impl_wrapped_configILNS1_25lookback_scan_determinismE0ES3_S7_PKtNS0_17constant_iteratorIjlEEPtPlSF_S6_NS0_8equal_toItEEEE10hipError_tPvRmT2_T3_mT4_T5_T6_T7_T8_P12ihipStream_tbENKUlT_T0_E_clISt17integral_constantIbLb0EESZ_EEDaSU_SV_EUlSU_E_NS1_11comp_targetILNS1_3genE5ELNS1_11target_archE942ELNS1_3gpuE9ELNS1_3repE0EEENS1_30default_config_static_selectorELNS0_4arch9wavefront6targetE1EEEvT1_
; %bb.0:
	s_load_dwordx8 s[36:43], s[0:1], 0x40
	s_load_dwordx4 s[4:7], s[0:1], 0x0
	s_load_dword s3, s[0:1], 0x10
	s_load_dwordx4 s[28:31], s[0:1], 0x60
	s_mov_b64 s[12:13], -1
	s_waitcnt lgkmcnt(0)
	s_mul_i32 s8, s40, s39
	s_mul_hi_u32 s9, s40, s38
	s_add_i32 s8, s9, s8
	s_mul_i32 s9, s41, s38
	s_add_i32 s9, s8, s9
	s_lshl_b64 s[6:7], s[6:7], 1
	s_add_u32 s6, s4, s6
	s_addc_u32 s7, s5, s7
	s_mul_i32 s4, s2, 0x1c00
	s_mov_b32 s5, 0
	s_lshl_b64 s[4:5], s[4:5], 1
	s_add_u32 s6, s6, s4
	s_mul_i32 s8, s40, s38
	s_addc_u32 s7, s7, s5
	s_add_u32 s8, s8, s2
	s_addc_u32 s9, s9, 0
	s_add_u32 s10, s42, -1
	s_addc_u32 s11, s43, -1
	s_cmp_eq_u64 s[8:9], s[10:11]
	s_cselect_b64 s[34:35], -1, 0
	s_cmp_lg_u64 s[8:9], s[10:11]
	s_cselect_b64 s[4:5], -1, 0
	s_mul_i32 s33, s10, 0xffffe400
	s_and_b64 vcc, exec, s[34:35]
	s_cbranch_vccnz .LBB788_2
; %bb.1:
	v_lshlrev_b32_e32 v2, 1, v0
	v_mov_b32_e32 v3, 0
	v_lshl_add_u64 v[4:5], s[6:7], 0, v[2:3]
	v_add_co_u32_e32 v6, vcc, 0x1000, v4
	global_load_ushort v1, v2, s[6:7]
	global_load_ushort v3, v2, s[6:7] offset:1024
	global_load_ushort v10, v2, s[6:7] offset:2048
	;; [unrolled: 1-line block ×3, first 2 shown]
	v_addc_co_u32_e32 v7, vcc, 0, v5, vcc
	v_add_co_u32_e32 v8, vcc, 0x2000, v4
	s_nop 1
	v_addc_co_u32_e32 v9, vcc, 0, v5, vcc
	v_add_co_u32_e32 v4, vcc, 0x3000, v4
	global_load_ushort v12, v[6:7], off
	global_load_ushort v13, v[6:7], off offset:1024
	global_load_ushort v14, v[6:7], off offset:2048
	;; [unrolled: 1-line block ×3, first 2 shown]
	global_load_ushort v16, v[8:9], off
	global_load_ushort v17, v[8:9], off offset:1024
	global_load_ushort v18, v[8:9], off offset:2048
	;; [unrolled: 1-line block ×3, first 2 shown]
	v_addc_co_u32_e32 v5, vcc, 0, v5, vcc
	global_load_ushort v6, v[4:5], off
	global_load_ushort v7, v[4:5], off offset:1024
	v_mad_u32_u24 v4, v0, 26, v2
	s_mov_b64 s[10:11], -1
	s_waitcnt vmcnt(13)
	ds_write_b16 v2, v1
	s_waitcnt vmcnt(12)
	ds_write_b16 v2, v3 offset:1024
	s_waitcnt vmcnt(11)
	ds_write_b16 v2, v10 offset:2048
	s_waitcnt vmcnt(10)
	ds_write_b16 v2, v11 offset:3072
	s_waitcnt vmcnt(9)
	ds_write_b16 v2, v12 offset:4096
	s_waitcnt vmcnt(8)
	ds_write_b16 v2, v13 offset:5120
	s_waitcnt vmcnt(7)
	ds_write_b16 v2, v14 offset:6144
	s_waitcnt vmcnt(6)
	ds_write_b16 v2, v15 offset:7168
	s_waitcnt vmcnt(5)
	ds_write_b16 v2, v16 offset:8192
	s_waitcnt vmcnt(4)
	ds_write_b16 v2, v17 offset:9216
	s_waitcnt vmcnt(3)
	ds_write_b16 v2, v18 offset:10240
	s_waitcnt vmcnt(2)
	ds_write_b16 v2, v19 offset:11264
	s_waitcnt vmcnt(1)
	ds_write_b16 v2, v6 offset:12288
	s_waitcnt vmcnt(0)
	ds_write_b16 v2, v7 offset:13312
	s_waitcnt lgkmcnt(0)
	s_barrier
	ds_read2_b32 v[12:13], v4 offset1:1
	ds_read2_b32 v[10:11], v4 offset0:2 offset1:3
	ds_read2_b32 v[8:9], v4 offset0:4 offset1:5
	ds_read_b32 v1, v4 offset:24
	s_add_i32 s33, s33, s28
	s_cbranch_execz .LBB788_3
	s_branch .LBB788_32
.LBB788_2:
	s_mov_b64 s[10:11], 0
                                        ; implicit-def: $vgpr12
                                        ; implicit-def: $vgpr10
                                        ; implicit-def: $vgpr8
                                        ; implicit-def: $vgpr1
	s_add_i32 s33, s33, s28
	s_andn2_b64 vcc, exec, s[12:13]
	s_cbranch_vccnz .LBB788_32
.LBB788_3:
	v_cmp_gt_u32_e32 vcc, s33, v0
                                        ; implicit-def: $vgpr1
	s_and_saveexec_b64 s[10:11], vcc
	s_cbranch_execz .LBB788_5
; %bb.4:
	s_waitcnt lgkmcnt(0)
	v_lshlrev_b32_e32 v1, 1, v0
	global_load_ushort v1, v1, s[6:7]
.LBB788_5:
	s_or_b64 exec, exec, s[10:11]
	v_or_b32_e32 v2, 0x200, v0
	v_cmp_gt_u32_e32 vcc, s33, v2
                                        ; implicit-def: $vgpr2
	s_and_saveexec_b64 s[10:11], vcc
	s_cbranch_execz .LBB788_7
; %bb.6:
	v_lshlrev_b32_e32 v2, 1, v0
	global_load_ushort v2, v2, s[6:7] offset:1024
.LBB788_7:
	s_or_b64 exec, exec, s[10:11]
	v_or_b32_e32 v3, 0x400, v0
	v_cmp_gt_u32_e32 vcc, s33, v3
                                        ; implicit-def: $vgpr3
	s_and_saveexec_b64 s[10:11], vcc
	s_cbranch_execz .LBB788_9
; %bb.8:
	v_lshlrev_b32_e32 v3, 1, v0
	global_load_ushort v3, v3, s[6:7] offset:2048
.LBB788_9:
	s_or_b64 exec, exec, s[10:11]
	v_or_b32_e32 v4, 0x600, v0
	v_cmp_gt_u32_e32 vcc, s33, v4
                                        ; implicit-def: $vgpr4
	s_and_saveexec_b64 s[10:11], vcc
	s_cbranch_execz .LBB788_11
; %bb.10:
	v_lshlrev_b32_e32 v4, 1, v0
	global_load_ushort v4, v4, s[6:7] offset:3072
.LBB788_11:
	s_or_b64 exec, exec, s[10:11]
	v_or_b32_e32 v6, 0x800, v0
	v_cmp_gt_u32_e32 vcc, s33, v6
                                        ; implicit-def: $vgpr5
	s_and_saveexec_b64 s[10:11], vcc
	s_cbranch_execz .LBB788_13
; %bb.12:
	v_lshlrev_b32_e32 v5, 1, v6
	global_load_ushort v5, v5, s[6:7]
.LBB788_13:
	s_or_b64 exec, exec, s[10:11]
	v_or_b32_e32 v7, 0xa00, v0
	v_cmp_gt_u32_e32 vcc, s33, v7
                                        ; implicit-def: $vgpr6
	s_and_saveexec_b64 s[10:11], vcc
	s_cbranch_execz .LBB788_15
; %bb.14:
	v_lshlrev_b32_e32 v6, 1, v7
	global_load_ushort v6, v6, s[6:7]
.LBB788_15:
	s_or_b64 exec, exec, s[10:11]
	s_waitcnt lgkmcnt(1)
	v_or_b32_e32 v8, 0xc00, v0
	v_cmp_gt_u32_e32 vcc, s33, v8
                                        ; implicit-def: $vgpr7
	s_and_saveexec_b64 s[10:11], vcc
	s_cbranch_execz .LBB788_17
; %bb.16:
	v_lshlrev_b32_e32 v7, 1, v8
	global_load_ushort v7, v7, s[6:7]
.LBB788_17:
	s_or_b64 exec, exec, s[10:11]
	v_or_b32_e32 v9, 0xe00, v0
	v_cmp_gt_u32_e32 vcc, s33, v9
                                        ; implicit-def: $vgpr8
	s_and_saveexec_b64 s[10:11], vcc
	s_cbranch_execz .LBB788_19
; %bb.18:
	v_lshlrev_b32_e32 v8, 1, v9
	global_load_ushort v8, v8, s[6:7]
.LBB788_19:
	s_or_b64 exec, exec, s[10:11]
	v_or_b32_e32 v10, 0x1000, v0
	v_cmp_gt_u32_e32 vcc, s33, v10
                                        ; implicit-def: $vgpr9
	s_and_saveexec_b64 s[10:11], vcc
	s_cbranch_execz .LBB788_21
; %bb.20:
	v_lshlrev_b32_e32 v9, 1, v10
	global_load_ushort v9, v9, s[6:7]
.LBB788_21:
	s_or_b64 exec, exec, s[10:11]
	v_or_b32_e32 v11, 0x1200, v0
	v_cmp_gt_u32_e32 vcc, s33, v11
                                        ; implicit-def: $vgpr10
	s_and_saveexec_b64 s[10:11], vcc
	s_cbranch_execz .LBB788_23
; %bb.22:
	v_lshlrev_b32_e32 v10, 1, v11
	global_load_ushort v10, v10, s[6:7]
.LBB788_23:
	s_or_b64 exec, exec, s[10:11]
	v_or_b32_e32 v12, 0x1400, v0
	v_cmp_gt_u32_e32 vcc, s33, v12
                                        ; implicit-def: $vgpr11
	s_and_saveexec_b64 s[10:11], vcc
	s_cbranch_execz .LBB788_25
; %bb.24:
	v_lshlrev_b32_e32 v11, 1, v12
	global_load_ushort v11, v11, s[6:7]
.LBB788_25:
	s_or_b64 exec, exec, s[10:11]
	v_or_b32_e32 v13, 0x1600, v0
	v_cmp_gt_u32_e32 vcc, s33, v13
                                        ; implicit-def: $vgpr12
	s_and_saveexec_b64 s[10:11], vcc
	s_cbranch_execz .LBB788_27
; %bb.26:
	v_lshlrev_b32_e32 v12, 1, v13
	global_load_ushort v12, v12, s[6:7]
.LBB788_27:
	s_or_b64 exec, exec, s[10:11]
	v_or_b32_e32 v14, 0x1800, v0
	v_cmp_gt_u32_e32 vcc, s33, v14
                                        ; implicit-def: $vgpr13
	s_and_saveexec_b64 s[10:11], vcc
	s_cbranch_execz .LBB788_29
; %bb.28:
	v_lshlrev_b32_e32 v13, 1, v14
	global_load_ushort v13, v13, s[6:7]
.LBB788_29:
	s_or_b64 exec, exec, s[10:11]
	v_or_b32_e32 v15, 0x1a00, v0
	v_cmp_gt_u32_e32 vcc, s33, v15
                                        ; implicit-def: $vgpr14
	s_and_saveexec_b64 s[10:11], vcc
	s_cbranch_execz .LBB788_31
; %bb.30:
	v_lshlrev_b32_e32 v14, 1, v15
	global_load_ushort v14, v14, s[6:7]
.LBB788_31:
	s_or_b64 exec, exec, s[10:11]
	v_lshlrev_b32_e32 v15, 1, v0
	s_waitcnt vmcnt(0) lgkmcnt(0)
	ds_write_b16 v15, v1
	ds_write_b16 v15, v2 offset:1024
	ds_write_b16 v15, v3 offset:2048
	;; [unrolled: 1-line block ×13, first 2 shown]
	v_mad_u32_u24 v1, v0, 26, v15
	s_waitcnt lgkmcnt(0)
	s_barrier
	ds_read2_b32 v[12:13], v1 offset1:1
	ds_read2_b32 v[10:11], v1 offset0:2 offset1:3
	ds_read2_b32 v[8:9], v1 offset0:4 offset1:5
	ds_read_b32 v1, v1 offset:24
	v_mad_u32_u24 v2, v0, 14, 13
	v_cmp_gt_u32_e64 s[10:11], s33, v2
.LBB788_32:
	v_mov_b32_e32 v44, s3
                                        ; implicit-def: $vgpr45
	s_and_saveexec_b64 s[12:13], s[10:11]
; %bb.33:
	v_mov_b32_e32 v45, s3
; %bb.34:
	s_or_b64 exec, exec, s[12:13]
	s_load_dwordx2 s[48:49], s[0:1], 0x70
	s_cmp_eq_u64 s[8:9], 0
	s_cselect_b64 s[44:45], -1, 0
	s_cmp_lg_u64 s[8:9], 0
	s_mov_b64 s[10:11], 0
	s_cselect_b64 s[12:13], -1, 0
	s_and_b64 vcc, exec, s[4:5]
	s_waitcnt lgkmcnt(0)
	s_barrier
	s_cbranch_vccz .LBB788_40
; %bb.35:
	s_and_b64 vcc, exec, s[12:13]
	s_cbranch_vccz .LBB788_41
; %bb.36:
	v_mov_b32_e32 v2, 0
	global_load_ushort v2, v2, s[6:7] offset:-2
	v_lshrrev_b32_e32 v4, 16, v1
	v_lshlrev_b32_e32 v3, 1, v0
	v_cmp_ne_u16_e32 vcc, v1, v4
	v_cmp_ne_u16_sdwa s[10:11], v9, v1 src0_sel:WORD_1 src1_sel:DWORD
	v_cmp_ne_u16_sdwa s[14:15], v9, v9 src0_sel:DWORD src1_sel:WORD_1
	v_cmp_ne_u16_sdwa s[16:17], v8, v9 src0_sel:WORD_1 src1_sel:DWORD
	v_cmp_ne_u16_sdwa s[18:19], v8, v8 src0_sel:DWORD src1_sel:WORD_1
	;; [unrolled: 2-line block ×6, first 2 shown]
	v_cmp_ne_u32_e64 s[4:5], 0, v0
	ds_write_b16 v3, v4
	s_waitcnt lgkmcnt(0)
	s_barrier
	s_and_saveexec_b64 s[52:53], s[4:5]
	s_cbranch_execz .LBB788_38
; %bb.37:
	s_waitcnt vmcnt(0)
	v_add_u32_e32 v2, -2, v3
	ds_read_u16 v2, v2
.LBB788_38:
	s_or_b64 exec, exec, s[52:53]
	v_cndmask_b32_e64 v48, 0, 1, vcc
	v_cndmask_b32_e64 v49, 0, 1, s[10:11]
	v_cndmask_b32_e64 v50, 0, 1, s[14:15]
	;; [unrolled: 1-line block ×12, first 2 shown]
	s_waitcnt vmcnt(0) lgkmcnt(0)
	v_cmp_ne_u16_e64 s[4:5], v2, v12
	s_mov_b64 s[10:11], -1
.LBB788_39:
                                        ; implicit-def: $sgpr3
	s_branch .LBB788_53
.LBB788_40:
                                        ; implicit-def: $sgpr4_sgpr5
                                        ; implicit-def: $vgpr48
                                        ; implicit-def: $vgpr49
                                        ; implicit-def: $vgpr50
                                        ; implicit-def: $vgpr51
                                        ; implicit-def: $vgpr52
                                        ; implicit-def: $vgpr53
                                        ; implicit-def: $vgpr54
                                        ; implicit-def: $vgpr55
                                        ; implicit-def: $vgpr56
                                        ; implicit-def: $vgpr57
                                        ; implicit-def: $vgpr58
                                        ; implicit-def: $vgpr59
                                        ; implicit-def: $vgpr60
                                        ; implicit-def: $sgpr3
	s_cbranch_execnz .LBB788_45
	s_branch .LBB788_53
.LBB788_41:
                                        ; implicit-def: $sgpr4_sgpr5
                                        ; implicit-def: $vgpr48
                                        ; implicit-def: $vgpr49
                                        ; implicit-def: $vgpr50
                                        ; implicit-def: $vgpr51
                                        ; implicit-def: $vgpr52
                                        ; implicit-def: $vgpr53
                                        ; implicit-def: $vgpr54
                                        ; implicit-def: $vgpr55
                                        ; implicit-def: $vgpr56
                                        ; implicit-def: $vgpr57
                                        ; implicit-def: $vgpr58
                                        ; implicit-def: $vgpr59
                                        ; implicit-def: $vgpr60
	s_cbranch_execz .LBB788_39
; %bb.42:
	v_cmp_ne_u16_sdwa s[4:5], v9, v1 src0_sel:WORD_1 src1_sel:DWORD
	v_lshrrev_b32_e32 v3, 16, v1
	v_cmp_ne_u16_e32 vcc, v1, v3
	v_cndmask_b32_e64 v49, 0, 1, s[4:5]
	v_cmp_ne_u16_sdwa s[4:5], v9, v9 src0_sel:DWORD src1_sel:WORD_1
	s_mov_b32 s3, 1
	v_lshlrev_b32_e32 v2, 1, v0
	v_cndmask_b32_e64 v50, 0, 1, s[4:5]
	v_cmp_ne_u16_sdwa s[4:5], v8, v9 src0_sel:WORD_1 src1_sel:DWORD
	v_cndmask_b32_e64 v48, 0, 1, vcc
	v_cmp_ne_u32_e32 vcc, 0, v0
	v_cndmask_b32_e64 v51, 0, 1, s[4:5]
	v_cmp_ne_u16_sdwa s[4:5], v8, v8 src0_sel:DWORD src1_sel:WORD_1
	ds_write_b16 v2, v3
	s_waitcnt lgkmcnt(0)
	v_cndmask_b32_e64 v52, 0, 1, s[4:5]
	v_cmp_ne_u16_sdwa s[4:5], v11, v8 src0_sel:WORD_1 src1_sel:DWORD
	s_barrier
	s_nop 0
	v_cndmask_b32_e64 v53, 0, 1, s[4:5]
	v_cmp_ne_u16_sdwa s[4:5], v11, v11 src0_sel:DWORD src1_sel:WORD_1
	s_nop 1
	v_cndmask_b32_e64 v54, 0, 1, s[4:5]
	v_cmp_ne_u16_sdwa s[4:5], v10, v11 src0_sel:WORD_1 src1_sel:DWORD
	s_nop 1
	v_cndmask_b32_e64 v55, 0, 1, s[4:5]
	v_cmp_ne_u16_sdwa s[4:5], v10, v10 src0_sel:DWORD src1_sel:WORD_1
	s_nop 1
	v_cndmask_b32_e64 v56, 0, 1, s[4:5]
	v_cmp_ne_u16_sdwa s[4:5], v13, v10 src0_sel:WORD_1 src1_sel:DWORD
	;; [unrolled: 6-line block ×3, first 2 shown]
	s_nop 1
	v_cndmask_b32_e64 v59, 0, 1, s[4:5]
	v_cmp_ne_u16_sdwa s[4:5], v12, v12 src0_sel:DWORD src1_sel:WORD_1
	s_nop 1
	v_cndmask_b32_e64 v60, 0, 1, s[4:5]
                                        ; implicit-def: $sgpr4_sgpr5
	s_and_saveexec_b64 s[14:15], vcc
	s_xor_b64 s[14:15], exec, s[14:15]
	s_cbranch_execz .LBB788_44
; %bb.43:
	v_add_u32_e32 v2, -2, v2
	ds_read_u16 v2, v2
	s_or_b64 s[10:11], s[10:11], exec
	s_waitcnt lgkmcnt(0)
	v_cmp_ne_u16_e32 vcc, v2, v12
	s_and_b64 s[4:5], vcc, exec
.LBB788_44:
	s_or_b64 exec, exec, s[14:15]
	s_branch .LBB788_53
.LBB788_45:
	s_mul_hi_u32 s4, s8, 0xffffe400
	s_mul_i32 s3, s9, 0xffffe400
	s_sub_i32 s4, s4, s8
	s_add_i32 s4, s4, s3
	s_mul_i32 s3, s8, 0xffffe400
	s_add_u32 s8, s3, s28
	s_addc_u32 s9, s4, s29
	s_and_b64 vcc, exec, s[12:13]
	v_lshrrev_b32_e32 v34, 16, v1
	v_mul_u32_u24_e32 v2, 14, v0
	v_mad_u32_u24 v4, v0, 14, 13
	v_mad_u32_u24 v32, v0, 14, 12
	v_cmp_ne_u16_sdwa s[46:47], v9, v1 src0_sel:WORD_1 src1_sel:DWORD
	v_mad_u32_u24 v30, v0, 14, 11
	v_cmp_ne_u16_sdwa s[14:15], v9, v9 src0_sel:DWORD src1_sel:WORD_1
	v_mad_u32_u24 v28, v0, 14, 10
	v_cmp_ne_u16_sdwa s[16:17], v8, v9 src0_sel:WORD_1 src1_sel:DWORD
	v_mad_u32_u24 v26, v0, 14, 9
	v_cmp_ne_u16_sdwa s[22:23], v8, v8 src0_sel:DWORD src1_sel:WORD_1
	;; [unrolled: 4-line block ×5, first 2 shown]
	v_mad_u32_u24 v6, v0, 14, 2
	v_cmp_ne_u16_sdwa s[18:19], v12, v13 src0_sel:WORD_1 src1_sel:DWORD
	v_cmp_ne_u16_sdwa s[12:13], v12, v12 src0_sel:DWORD src1_sel:WORD_1
	v_cmp_ne_u32_e64 s[4:5], 0, v0
	s_cbranch_vccz .LBB788_50
; %bb.46:
	v_mov_b32_e32 v5, 0
	global_load_ushort v35, v5, s[6:7] offset:-2
	v_cmp_gt_u64_e32 vcc, s[8:9], v[4:5]
	v_cmp_ne_u16_e64 s[6:7], v1, v34
	v_mov_b32_e32 v33, v5
	s_and_b64 s[6:7], vcc, s[6:7]
	v_cmp_gt_u64_e32 vcc, s[8:9], v[32:33]
	v_mov_b32_e32 v31, v5
	s_and_b64 s[10:11], vcc, s[46:47]
	v_cmp_gt_u64_e32 vcc, s[8:9], v[30:31]
	;; [unrolled: 3-line block ×11, first 2 shown]
	v_or_b32_e32 v36, 1, v2
	v_mov_b32_e32 v37, v5
	s_and_b64 s[18:19], vcc, s[18:19]
	v_cmp_gt_u64_e32 vcc, s[8:9], v[36:37]
	v_lshlrev_b32_e32 v3, 1, v0
	s_and_b64 s[12:13], vcc, s[12:13]
	ds_write_b16 v3, v34
	s_waitcnt lgkmcnt(0)
	s_barrier
	s_and_saveexec_b64 s[46:47], s[4:5]
	s_cbranch_execz .LBB788_48
; %bb.47:
	v_add_u32_e32 v3, -2, v3
	s_waitcnt vmcnt(0)
	ds_read_u16 v35, v3
.LBB788_48:
	s_or_b64 exec, exec, s[46:47]
	v_mov_b32_e32 v3, v5
	v_cmp_gt_u64_e32 vcc, s[8:9], v[2:3]
	s_waitcnt vmcnt(0) lgkmcnt(0)
	v_cmp_ne_u16_e64 s[4:5], v35, v12
	v_cndmask_b32_e64 v48, 0, 1, s[6:7]
	v_cndmask_b32_e64 v49, 0, 1, s[10:11]
	;; [unrolled: 1-line block ×13, first 2 shown]
	s_and_b64 s[4:5], vcc, s[4:5]
	s_mov_b64 s[10:11], -1
.LBB788_49:
                                        ; implicit-def: $sgpr3
	v_mov_b32_e32 v61, s3
	s_and_saveexec_b64 s[6:7], s[10:11]
	s_cbranch_execnz .LBB788_54
	s_branch .LBB788_55
.LBB788_50:
                                        ; implicit-def: $sgpr4_sgpr5
                                        ; implicit-def: $vgpr48
                                        ; implicit-def: $vgpr49
                                        ; implicit-def: $vgpr50
                                        ; implicit-def: $vgpr51
                                        ; implicit-def: $vgpr52
                                        ; implicit-def: $vgpr53
                                        ; implicit-def: $vgpr54
                                        ; implicit-def: $vgpr55
                                        ; implicit-def: $vgpr56
                                        ; implicit-def: $vgpr57
                                        ; implicit-def: $vgpr58
                                        ; implicit-def: $vgpr59
                                        ; implicit-def: $vgpr60
	s_cbranch_execz .LBB788_49
; %bb.51:
	v_mov_b32_e32 v5, 0
	v_cmp_gt_u64_e32 vcc, s[8:9], v[4:5]
	v_cmp_ne_u16_e64 s[4:5], v1, v34
	s_and_b64 s[4:5], vcc, s[4:5]
	v_mov_b32_e32 v33, v5
	v_cndmask_b32_e64 v48, 0, 1, s[4:5]
	v_cmp_gt_u64_e32 vcc, s[8:9], v[32:33]
	v_cmp_ne_u16_sdwa s[4:5], v9, v1 src0_sel:WORD_1 src1_sel:DWORD
	s_and_b64 s[4:5], vcc, s[4:5]
	v_mov_b32_e32 v31, v5
	v_cndmask_b32_e64 v49, 0, 1, s[4:5]
	v_cmp_gt_u64_e32 vcc, s[8:9], v[30:31]
	v_cmp_ne_u16_sdwa s[4:5], v9, v9 src0_sel:DWORD src1_sel:WORD_1
	s_and_b64 s[4:5], vcc, s[4:5]
	v_mov_b32_e32 v29, v5
	v_cndmask_b32_e64 v50, 0, 1, s[4:5]
	v_cmp_gt_u64_e32 vcc, s[8:9], v[28:29]
	v_cmp_ne_u16_sdwa s[4:5], v8, v9 src0_sel:WORD_1 src1_sel:DWORD
	s_and_b64 s[4:5], vcc, s[4:5]
	v_mov_b32_e32 v27, v5
	v_cndmask_b32_e64 v51, 0, 1, s[4:5]
	v_cmp_gt_u64_e32 vcc, s[8:9], v[26:27]
	v_cmp_ne_u16_sdwa s[4:5], v8, v8 src0_sel:DWORD src1_sel:WORD_1
	;; [unrolled: 10-line block ×5, first 2 shown]
	s_and_b64 s[4:5], vcc, s[4:5]
	v_mov_b32_e32 v7, v5
	v_cndmask_b32_e64 v58, 0, 1, s[4:5]
	v_cmp_gt_u64_e32 vcc, s[8:9], v[6:7]
	v_cmp_ne_u16_sdwa s[4:5], v12, v13 src0_sel:WORD_1 src1_sel:DWORD
	s_and_b64 s[4:5], vcc, s[4:5]
	v_or_b32_e32 v4, 1, v2
	v_cndmask_b32_e64 v59, 0, 1, s[4:5]
	v_cmp_gt_u64_e32 vcc, s[8:9], v[4:5]
	v_cmp_ne_u16_sdwa s[4:5], v12, v12 src0_sel:DWORD src1_sel:WORD_1
	s_and_b64 s[4:5], vcc, s[4:5]
	s_mov_b32 s3, 1
	v_lshlrev_b32_e32 v3, 1, v0
	v_cndmask_b32_e64 v60, 0, 1, s[4:5]
	v_cmp_ne_u32_e32 vcc, 0, v0
	ds_write_b16 v3, v34
	s_waitcnt lgkmcnt(0)
	s_barrier
	s_waitcnt lgkmcnt(0)
                                        ; implicit-def: $sgpr4_sgpr5
	s_and_saveexec_b64 s[6:7], vcc
	s_cbranch_execz .LBB788_144
; %bb.52:
	v_add_u32_e32 v3, -2, v3
	ds_read_u16 v4, v3
	v_mov_b32_e32 v3, v5
	v_cmp_gt_u64_e32 vcc, s[8:9], v[2:3]
	s_or_b64 s[10:11], s[10:11], exec
	s_waitcnt lgkmcnt(0)
	v_cmp_ne_u16_e64 s[4:5], v4, v12
	s_and_b64 s[4:5], vcc, s[4:5]
	s_and_b64 s[4:5], s[4:5], exec
	s_or_b64 exec, exec, s[6:7]
.LBB788_53:
	v_mov_b32_e32 v61, s3
	s_and_saveexec_b64 s[6:7], s[10:11]
.LBB788_54:
	v_cndmask_b32_e64 v61, 0, 1, s[4:5]
.LBB788_55:
	s_or_b64 exec, exec, s[6:7]
	s_load_dwordx4 s[40:43], s[0:1], 0x20
	s_load_dwordx2 s[46:47], s[0:1], 0x30
	s_cmp_eq_u64 s[38:39], 0
	v_add_u32_e32 v2, v60, v61
	s_cselect_b64 s[38:39], -1, 0
	s_cmp_lg_u32 s2, 0
	v_cmp_eq_u32_e64 s[22:23], 0, v60
	v_cmp_eq_u32_e64 s[20:21], 0, v59
	v_add3_u32 v63, v2, v59, v58
	v_cmp_eq_u32_e64 s[18:19], 0, v58
	v_cmp_eq_u32_e64 s[16:17], 0, v57
	;; [unrolled: 1-line block ×10, first 2 shown]
	v_cmp_eq_u32_e32 vcc, 0, v48
	v_mbcnt_lo_u32_b32 v62, -1, 0
	v_lshrrev_b32_e32 v46, 6, v0
	v_or_b32_e32 v47, 63, v0
	s_cbranch_scc0 .LBB788_82
; %bb.56:
	v_cndmask_b32_e64 v2, 0, v44, s[22:23]
	v_add_u32_e32 v2, v2, v44
	v_cndmask_b32_e64 v2, 0, v2, s[20:21]
	v_add_u32_e32 v2, v2, v44
	;; [unrolled: 2-line block ×10, first 2 shown]
	v_cndmask_b32_e64 v2, 0, v2, s[26:27]
	v_add3_u32 v3, v63, v57, v56
	v_add_u32_e32 v2, v2, v44
	v_add3_u32 v3, v3, v55, v54
	v_cndmask_b32_e64 v2, 0, v2, s[0:1]
	v_add3_u32 v3, v3, v53, v52
	v_add_u32_e32 v2, v2, v44
	v_add3_u32 v3, v3, v51, v50
	v_cndmask_b32_e32 v2, 0, v2, vcc
	v_add3_u32 v3, v3, v49, v48
	v_add_u32_e32 v2, v2, v45
	v_mbcnt_hi_u32_b32 v17, -1, v62
	v_and_b32_e32 v4, 15, v17
	v_mov_b32_dpp v6, v2 row_shr:1 row_mask:0xf bank_mask:0xf
	v_cmp_eq_u32_e32 vcc, 0, v3
	v_mov_b32_dpp v5, v3 row_shr:1 row_mask:0xf bank_mask:0xf
	v_cmp_lt_u32_e64 s[24:25], 1, v4
	v_cndmask_b32_e32 v6, 0, v6, vcc
	v_cmp_eq_u32_e32 vcc, 0, v4
	s_nop 1
	v_cndmask_b32_e64 v5, v5, 0, vcc
	v_add_u32_e32 v3, v5, v3
	v_cndmask_b32_e64 v5, v6, 0, vcc
	v_add_u32_e32 v2, v5, v2
	v_cmp_eq_u32_e32 vcc, 0, v3
	v_mov_b32_dpp v5, v3 row_shr:2 row_mask:0xf bank_mask:0xf
	v_mov_b32_dpp v6, v2 row_shr:2 row_mask:0xf bank_mask:0xf
	v_cndmask_b32_e64 v5, 0, v5, s[24:25]
	s_and_b64 vcc, s[24:25], vcc
	v_cndmask_b32_e32 v6, 0, v6, vcc
	v_add_u32_e32 v3, v3, v5
	v_add_u32_e32 v2, v6, v2
	v_cmp_eq_u32_e32 vcc, 0, v3
	v_mov_b32_dpp v5, v3 row_shr:4 row_mask:0xf bank_mask:0xf
	v_cmp_lt_u32_e64 s[24:25], 3, v4
	v_mov_b32_dpp v6, v2 row_shr:4 row_mask:0xf bank_mask:0xf
	s_and_b64 vcc, s[24:25], vcc
	v_cndmask_b32_e64 v5, 0, v5, s[24:25]
	v_cndmask_b32_e32 v6, 0, v6, vcc
	v_add_u32_e32 v3, v5, v3
	v_add_u32_e32 v2, v2, v6
	v_cmp_eq_u32_e32 vcc, 0, v3
	v_cmp_lt_u32_e64 s[24:25], 7, v4
	v_mov_b32_dpp v5, v3 row_shr:8 row_mask:0xf bank_mask:0xf
	v_mov_b32_dpp v6, v2 row_shr:8 row_mask:0xf bank_mask:0xf
	s_and_b64 vcc, s[24:25], vcc
	v_cndmask_b32_e64 v4, 0, v5, s[24:25]
	v_cndmask_b32_e32 v5, 0, v6, vcc
	v_add_u32_e32 v2, v5, v2
	v_add_u32_e32 v3, v4, v3
	v_bfe_i32 v6, v17, 4, 1
	v_mov_b32_dpp v5, v2 row_bcast:15 row_mask:0xf bank_mask:0xf
	v_mov_b32_dpp v4, v3 row_bcast:15 row_mask:0xf bank_mask:0xf
	v_cmp_eq_u32_e32 vcc, 0, v3
	v_and_b32_e32 v4, v6, v4
	v_add_u32_e32 v3, v4, v3
	v_cndmask_b32_e32 v5, 0, v5, vcc
	v_and_b32_e32 v4, v6, v5
	v_add_u32_e32 v4, v4, v2
	v_mov_b32_dpp v2, v3 row_bcast:31 row_mask:0xf bank_mask:0xf
	v_cmp_eq_u32_e32 vcc, 0, v3
	v_cmp_lt_u32_e64 s[24:25], 31, v17
	v_mov_b32_dpp v5, v4 row_bcast:31 row_mask:0xf bank_mask:0xf
	s_and_b64 vcc, s[24:25], vcc
	v_cndmask_b32_e64 v2, 0, v2, s[24:25]
	v_add_u32_e32 v2, v2, v3
	v_cndmask_b32_e32 v3, 0, v5, vcc
	v_add_u32_e32 v3, v3, v4
	v_cmp_eq_u32_e32 vcc, v47, v0
	v_lshlrev_b32_e32 v4, 3, v46
	s_and_saveexec_b64 s[24:25], vcc
	s_cbranch_execz .LBB788_58
; %bb.57:
	ds_write_b64 v4, v[2:3] offset:2064
.LBB788_58:
	s_or_b64 exec, exec, s[24:25]
	v_cmp_gt_u32_e32 vcc, 8, v0
	s_waitcnt lgkmcnt(0)
	s_barrier
	s_and_saveexec_b64 s[28:29], vcc
	s_cbranch_execz .LBB788_60
; %bb.59:
	v_lshlrev_b32_e32 v5, 3, v0
	ds_read_b64 v[6:7], v5 offset:2064
	v_and_b32_e32 v14, 7, v17
	v_cmp_lt_u32_e64 s[24:25], 1, v14
	s_waitcnt lgkmcnt(0)
	v_mov_b32_dpp v16, v7 row_shr:1 row_mask:0xf bank_mask:0xf
	v_cmp_eq_u32_e32 vcc, 0, v6
	v_mov_b32_dpp v15, v6 row_shr:1 row_mask:0xf bank_mask:0xf
	s_nop 0
	v_cndmask_b32_e32 v16, 0, v16, vcc
	v_cmp_eq_u32_e32 vcc, 0, v14
	s_nop 1
	v_cndmask_b32_e64 v15, v15, 0, vcc
	v_add_u32_e32 v6, v15, v6
	v_cndmask_b32_e64 v15, v16, 0, vcc
	v_add_u32_e32 v7, v15, v7
	v_cmp_eq_u32_e32 vcc, 0, v6
	v_mov_b32_dpp v15, v6 row_shr:2 row_mask:0xf bank_mask:0xf
	v_mov_b32_dpp v16, v7 row_shr:2 row_mask:0xf bank_mask:0xf
	v_cndmask_b32_e64 v15, 0, v15, s[24:25]
	s_and_b64 vcc, s[24:25], vcc
	v_cndmask_b32_e32 v16, 0, v16, vcc
	v_add_u32_e32 v6, v15, v6
	v_add_u32_e32 v7, v16, v7
	v_cmp_eq_u32_e32 vcc, 0, v6
	v_mov_b32_dpp v15, v6 row_shr:4 row_mask:0xf bank_mask:0xf
	v_cmp_lt_u32_e64 s[24:25], 3, v14
	v_mov_b32_dpp v16, v7 row_shr:4 row_mask:0xf bank_mask:0xf
	s_and_b64 vcc, s[24:25], vcc
	v_cndmask_b32_e64 v14, 0, v15, s[24:25]
	v_add_u32_e32 v6, v14, v6
	v_cndmask_b32_e32 v14, 0, v16, vcc
	v_add_u32_e32 v7, v14, v7
	ds_write_b64 v5, v[6:7] offset:2064
.LBB788_60:
	s_or_b64 exec, exec, s[28:29]
	v_cmp_gt_u32_e32 vcc, 64, v0
	v_cmp_lt_u32_e64 s[24:25], 63, v0
	v_mov_b32_e32 v14, 0
	v_mov_b32_e32 v15, 0
	s_waitcnt lgkmcnt(0)
	s_barrier
	s_and_saveexec_b64 s[28:29], s[24:25]
	s_cbranch_execz .LBB788_62
; %bb.61:
	ds_read_b64 v[14:15], v4 offset:2056
	v_cmp_eq_u32_e64 s[24:25], 0, v2
	s_waitcnt lgkmcnt(0)
	v_add_u32_e32 v4, v14, v2
	v_cndmask_b32_e64 v2, 0, v15, s[24:25]
	v_add_u32_e32 v3, v2, v3
	v_mov_b32_e32 v2, v4
.LBB788_62:
	s_or_b64 exec, exec, s[28:29]
	v_add_u32_e32 v4, -1, v17
	v_and_b32_e32 v5, 64, v17
	v_cmp_lt_i32_e64 s[24:25], v4, v5
	s_nop 1
	v_cndmask_b32_e64 v4, v4, v17, s[24:25]
	v_lshlrev_b32_e32 v4, 2, v4
	ds_bpermute_b32 v22, v4, v2
	ds_bpermute_b32 v23, v4, v3
	v_cmp_eq_u32_e64 s[24:25], 0, v17
	s_and_saveexec_b64 s[50:51], vcc
	s_cbranch_execz .LBB788_81
; %bb.63:
	v_mov_b32_e32 v7, 0
	ds_read_b64 v[2:3], v7 offset:2120
	s_waitcnt lgkmcnt(0)
	v_readfirstlane_b32 s3, v2
	v_readfirstlane_b32 s54, v3
	s_and_saveexec_b64 s[28:29], s[24:25]
	s_cbranch_execz .LBB788_65
; %bb.64:
	s_add_i32 s52, s2, 64
	s_mov_b32 s53, 0
	s_lshl_b64 s[56:57], s[52:53], 4
	s_add_u32 s56, s36, s56
	s_addc_u32 s57, s37, s57
	s_and_b32 s59, s54, 0xff000000
	s_mov_b32 s58, s53
	s_and_b32 s61, s54, 0xff0000
	s_mov_b32 s60, s53
	s_or_b64 s[58:59], s[60:61], s[58:59]
	s_and_b32 s61, s54, 0xff00
	s_or_b64 s[58:59], s[58:59], s[60:61]
	s_and_b32 s61, s54, 0xff
	s_or_b64 s[52:53], s[58:59], s[60:61]
	v_mov_b32_e32 v4, s3
	v_mov_b32_e32 v5, s53
	;; [unrolled: 1-line block ×3, first 2 shown]
	v_mov_b64_e32 v[2:3], s[56:57]
	;;#ASMSTART
	global_store_dwordx4 v[2:3], v[4:7] off sc1	
s_waitcnt vmcnt(0)
	;;#ASMEND
.LBB788_65:
	s_or_b64 exec, exec, s[28:29]
	v_xad_u32 v16, v17, -1, s2
	v_add_u32_e32 v6, 64, v16
	v_lshl_add_u64 v[18:19], v[6:7], 4, s[36:37]
	;;#ASMSTART
	global_load_dwordx4 v[2:5], v[18:19] off sc1	
s_waitcnt vmcnt(0)
	;;#ASMEND
	s_nop 0
	v_and_b32_e32 v5, 0xff, v3
	v_and_b32_e32 v6, 0xff00, v3
	v_or3_b32 v2, v2, 0, 0
	v_and_b32_e32 v20, 0xff000000, v3
	v_or3_b32 v5, 0, v5, v6
	;; [unrolled: 2-line block ×3, first 2 shown]
	v_or3_b32 v2, v2, 0, 0
	v_cmp_eq_u16_sdwa s[52:53], v4, v7 src0_sel:BYTE_0 src1_sel:DWORD
	s_and_saveexec_b64 s[28:29], s[52:53]
	s_cbranch_execz .LBB788_69
; %bb.66:
	s_mov_b64 s[52:53], 0
	v_mov_b32_e32 v6, 0
.LBB788_67:                             ; =>This Inner Loop Header: Depth=1
	;;#ASMSTART
	global_load_dwordx4 v[2:5], v[18:19] off sc1	
s_waitcnt vmcnt(0)
	;;#ASMEND
	s_nop 0
	v_cmp_ne_u16_sdwa s[56:57], v4, v6 src0_sel:BYTE_0 src1_sel:DWORD
	s_or_b64 s[52:53], s[56:57], s[52:53]
	s_andn2_b64 exec, exec, s[52:53]
	s_cbranch_execnz .LBB788_67
; %bb.68:
	s_or_b64 exec, exec, s[52:53]
.LBB788_69:
	s_or_b64 exec, exec, s[28:29]
	v_mov_b32_e32 v24, 2
	v_cmp_eq_u16_sdwa s[28:29], v4, v24 src0_sel:BYTE_0 src1_sel:DWORD
	v_lshlrev_b64 v[18:19], v17, -1
	v_and_b32_e32 v25, 63, v17
	v_and_b32_e32 v5, s29, v19
	v_or_b32_e32 v5, 0x80000000, v5
	v_cmp_ne_u32_e32 vcc, 63, v25
	v_and_b32_e32 v6, s28, v18
	v_ffbl_b32_e32 v5, v5
	v_addc_co_u32_e32 v7, vcc, 0, v17, vcc
	v_add_u32_e32 v5, 32, v5
	v_ffbl_b32_e32 v6, v6
	v_lshlrev_b32_e32 v26, 2, v7
	v_min_u32_e32 v5, v6, v5
	ds_bpermute_b32 v6, v26, v3
	v_cmp_eq_u32_e32 vcc, 0, v2
	v_cmp_lt_u32_e64 s[28:29], v25, v5
	ds_bpermute_b32 v7, v26, v2
	s_and_b64 vcc, s[28:29], vcc
	s_waitcnt lgkmcnt(1)
	v_cndmask_b32_e32 v6, 0, v6, vcc
	v_cmp_gt_u32_e32 vcc, 62, v25
	v_add_u32_e32 v3, v6, v3
	s_waitcnt lgkmcnt(0)
	v_cndmask_b32_e64 v7, 0, v7, s[28:29]
	v_cndmask_b32_e64 v6, 0, 1, vcc
	v_lshlrev_b32_e32 v6, 1, v6
	v_add_lshl_u32 v27, v6, v17, 2
	ds_bpermute_b32 v6, v27, v3
	v_add_u32_e32 v2, v7, v2
	ds_bpermute_b32 v7, v27, v2
	v_add_u32_e32 v28, 2, v25
	v_cmp_eq_u32_e32 vcc, 0, v2
	v_add_u32_e32 v30, 4, v25
	v_add_u32_e32 v32, 8, v25
	s_waitcnt lgkmcnt(1)
	v_cndmask_b32_e32 v6, 0, v6, vcc
	v_cmp_gt_u32_e32 vcc, v28, v5
	v_add_u32_e32 v34, 16, v25
	v_add_u32_e32 v36, 32, v25
	v_cndmask_b32_e64 v6, v6, 0, vcc
	v_add_u32_e32 v3, v6, v3
	s_waitcnt lgkmcnt(0)
	v_cndmask_b32_e64 v6, v7, 0, vcc
	v_cmp_gt_u32_e32 vcc, 60, v25
	v_add_u32_e32 v2, v2, v6
	s_nop 0
	v_cndmask_b32_e64 v7, 0, 1, vcc
	v_lshlrev_b32_e32 v7, 2, v7
	v_add_lshl_u32 v29, v7, v17, 2
	ds_bpermute_b32 v7, v29, v3
	ds_bpermute_b32 v6, v29, v2
	v_cmp_eq_u32_e32 vcc, 0, v2
	s_waitcnt lgkmcnt(1)
	s_nop 0
	v_cndmask_b32_e32 v7, 0, v7, vcc
	v_cmp_gt_u32_e32 vcc, v30, v5
	s_nop 1
	v_cndmask_b32_e64 v7, v7, 0, vcc
	s_waitcnt lgkmcnt(0)
	v_cndmask_b32_e64 v6, v6, 0, vcc
	v_cmp_gt_u32_e32 vcc, 56, v25
	v_add_u32_e32 v3, v3, v7
	v_add_u32_e32 v2, v2, v6
	v_cndmask_b32_e64 v7, 0, 1, vcc
	v_lshlrev_b32_e32 v7, 3, v7
	v_add_lshl_u32 v31, v7, v17, 2
	ds_bpermute_b32 v7, v31, v3
	ds_bpermute_b32 v6, v31, v2
	v_cmp_eq_u32_e32 vcc, 0, v2
	s_waitcnt lgkmcnt(1)
	s_nop 0
	v_cndmask_b32_e32 v7, 0, v7, vcc
	v_cmp_gt_u32_e32 vcc, v32, v5
	s_nop 1
	v_cndmask_b32_e64 v7, v7, 0, vcc
	s_waitcnt lgkmcnt(0)
	v_cndmask_b32_e64 v6, v6, 0, vcc
	v_cmp_gt_u32_e32 vcc, 48, v25
	v_add_u32_e32 v3, v3, v7
	v_add_u32_e32 v2, v2, v6
	;; [unrolled: 17-line block ×3, first 2 shown]
	v_cndmask_b32_e64 v7, 0, 1, vcc
	v_lshlrev_b32_e32 v7, 5, v7
	v_add_lshl_u32 v35, v7, v17, 2
	ds_bpermute_b32 v7, v35, v3
	ds_bpermute_b32 v6, v35, v2
	v_cmp_eq_u32_e32 vcc, 0, v2
	v_mov_b32_e32 v17, 0
	s_waitcnt lgkmcnt(1)
	v_cndmask_b32_e32 v7, 0, v7, vcc
	v_cmp_gt_u32_e32 vcc, v36, v5
	s_nop 1
	v_cndmask_b32_e64 v5, v7, 0, vcc
	v_add_u32_e32 v3, v5, v3
	s_waitcnt lgkmcnt(0)
	v_cndmask_b32_e64 v5, v6, 0, vcc
	v_add_u32_e32 v2, v5, v2
	s_branch .LBB788_71
.LBB788_70:                             ;   in Loop: Header=BB788_71 Depth=1
	s_or_b64 exec, exec, s[28:29]
	v_cmp_eq_u16_sdwa s[28:29], v4, v24 src0_sel:BYTE_0 src1_sel:DWORD
	v_cmp_eq_u32_e32 vcc, 0, v2
	ds_bpermute_b32 v21, v26, v2
	v_and_b32_e32 v5, s29, v19
	v_or_b32_e32 v5, 0x80000000, v5
	v_and_b32_e32 v20, s28, v18
	v_ffbl_b32_e32 v5, v5
	v_add_u32_e32 v5, 32, v5
	v_ffbl_b32_e32 v20, v20
	v_min_u32_e32 v5, v20, v5
	ds_bpermute_b32 v20, v26, v3
	v_cmp_lt_u32_e64 s[28:29], v25, v5
	s_and_b64 vcc, s[28:29], vcc
	v_subrev_u32_e32 v16, 64, v16
	s_waitcnt lgkmcnt(1)
	v_cndmask_b32_e64 v21, 0, v21, s[28:29]
	s_waitcnt lgkmcnt(0)
	v_cndmask_b32_e32 v20, 0, v20, vcc
	v_add_u32_e32 v3, v20, v3
	ds_bpermute_b32 v20, v27, v3
	v_add_u32_e32 v2, v21, v2
	v_cmp_eq_u32_e32 vcc, 0, v2
	ds_bpermute_b32 v21, v27, v2
	s_waitcnt lgkmcnt(1)
	v_cndmask_b32_e32 v20, 0, v20, vcc
	v_cmp_gt_u32_e32 vcc, v28, v5
	s_nop 1
	v_cndmask_b32_e64 v20, v20, 0, vcc
	v_add_u32_e32 v3, v20, v3
	ds_bpermute_b32 v20, v29, v3
	s_waitcnt lgkmcnt(1)
	v_cndmask_b32_e64 v21, v21, 0, vcc
	v_add_u32_e32 v2, v2, v21
	v_cmp_eq_u32_e32 vcc, 0, v2
	ds_bpermute_b32 v21, v29, v2
	s_waitcnt lgkmcnt(1)
	v_cndmask_b32_e32 v20, 0, v20, vcc
	v_cmp_gt_u32_e32 vcc, v30, v5
	s_nop 1
	v_cndmask_b32_e64 v20, v20, 0, vcc
	v_add_u32_e32 v3, v3, v20
	ds_bpermute_b32 v20, v31, v3
	s_waitcnt lgkmcnt(1)
	v_cndmask_b32_e64 v21, v21, 0, vcc
	v_add_u32_e32 v2, v2, v21
	ds_bpermute_b32 v21, v31, v2
	v_cmp_eq_u32_e32 vcc, 0, v2
	s_waitcnt lgkmcnt(1)
	s_nop 0
	v_cndmask_b32_e32 v20, 0, v20, vcc
	v_cmp_gt_u32_e32 vcc, v32, v5
	s_nop 1
	v_cndmask_b32_e64 v20, v20, 0, vcc
	v_add_u32_e32 v3, v3, v20
	ds_bpermute_b32 v20, v33, v3
	s_waitcnt lgkmcnt(1)
	v_cndmask_b32_e64 v21, v21, 0, vcc
	v_add_u32_e32 v2, v2, v21
	ds_bpermute_b32 v21, v33, v2
	v_cmp_eq_u32_e32 vcc, 0, v2
	s_waitcnt lgkmcnt(1)
	s_nop 0
	v_cndmask_b32_e32 v20, 0, v20, vcc
	v_cmp_gt_u32_e32 vcc, v34, v5
	s_nop 1
	v_cndmask_b32_e64 v20, v20, 0, vcc
	v_add_u32_e32 v3, v3, v20
	ds_bpermute_b32 v20, v35, v3
	s_waitcnt lgkmcnt(1)
	v_cndmask_b32_e64 v21, v21, 0, vcc
	v_add_u32_e32 v2, v2, v21
	ds_bpermute_b32 v21, v35, v2
	v_cmp_eq_u32_e32 vcc, 0, v2
	s_waitcnt lgkmcnt(1)
	s_nop 0
	v_cndmask_b32_e32 v20, 0, v20, vcc
	v_cmp_gt_u32_e32 vcc, v36, v5
	s_nop 1
	v_cndmask_b32_e64 v5, v20, 0, vcc
	v_add_u32_e32 v3, v5, v3
	s_waitcnt lgkmcnt(0)
	v_cndmask_b32_e64 v5, v21, 0, vcc
	v_cmp_eq_u32_e32 vcc, 0, v6
	v_add3_u32 v2, v2, v6, v5
	s_nop 0
	v_cndmask_b32_e32 v3, 0, v3, vcc
	v_add_u32_e32 v3, v3, v7
.LBB788_71:                             ; =>This Loop Header: Depth=1
                                        ;     Child Loop BB788_74 Depth 2
	v_cmp_ne_u16_sdwa s[28:29], v4, v24 src0_sel:BYTE_0 src1_sel:DWORD
	v_mov_b32_e32 v7, v3
	v_mov_b32_e32 v6, v2
	v_cndmask_b32_e64 v3, 0, 1, s[28:29]
	;;#ASMSTART
	;;#ASMEND
	s_nop 0
	v_cmp_ne_u32_e32 vcc, 0, v3
	s_cmp_lg_u64 vcc, exec
	s_cbranch_scc1 .LBB788_76
; %bb.72:                               ;   in Loop: Header=BB788_71 Depth=1
	v_lshl_add_u64 v[20:21], v[16:17], 4, s[36:37]
	;;#ASMSTART
	global_load_dwordx4 v[2:5], v[20:21] off sc1	
s_waitcnt vmcnt(0)
	;;#ASMEND
	s_nop 0
	v_and_b32_e32 v5, 0xff, v3
	v_and_b32_e32 v37, 0xff00, v3
	v_or3_b32 v2, v2, 0, 0
	v_and_b32_e32 v38, 0xff000000, v3
	v_or3_b32 v5, 0, v5, v37
	v_and_b32_e32 v3, 0xff0000, v3
	v_or3_b32 v3, v5, v3, v38
	v_or3_b32 v2, v2, 0, 0
	v_cmp_eq_u16_sdwa s[52:53], v4, v17 src0_sel:BYTE_0 src1_sel:DWORD
	s_and_saveexec_b64 s[28:29], s[52:53]
	s_cbranch_execz .LBB788_70
; %bb.73:                               ;   in Loop: Header=BB788_71 Depth=1
	s_mov_b64 s[52:53], 0
.LBB788_74:                             ;   Parent Loop BB788_71 Depth=1
                                        ; =>  This Inner Loop Header: Depth=2
	;;#ASMSTART
	global_load_dwordx4 v[2:5], v[20:21] off sc1	
s_waitcnt vmcnt(0)
	;;#ASMEND
	s_nop 0
	v_cmp_ne_u16_sdwa s[56:57], v4, v17 src0_sel:BYTE_0 src1_sel:DWORD
	s_or_b64 s[52:53], s[56:57], s[52:53]
	s_andn2_b64 exec, exec, s[52:53]
	s_cbranch_execnz .LBB788_74
; %bb.75:                               ;   in Loop: Header=BB788_71 Depth=1
	s_or_b64 exec, exec, s[52:53]
	s_branch .LBB788_70
.LBB788_76:                             ;   in Loop: Header=BB788_71 Depth=1
                                        ; implicit-def: $vgpr3
                                        ; implicit-def: $vgpr2
                                        ; implicit-def: $vgpr4
	s_cbranch_execz .LBB788_71
; %bb.77:
	s_and_saveexec_b64 s[28:29], s[24:25]
	s_cbranch_execz .LBB788_79
; %bb.78:
	s_cmp_eq_u32 s3, 0
	s_cselect_b64 vcc, -1, 0
	s_mov_b32 s53, 0
	v_cndmask_b32_e32 v2, 0, v7, vcc
	s_add_i32 s52, s2, 64
	v_add_u32_e32 v2, s54, v2
	s_lshl_b64 s[52:53], s[52:53], 4
	s_add_u32 s52, s36, s52
	v_and_b32_e32 v3, 0xff000000, v2
	v_and_b32_e32 v4, 0xff0000, v2
	s_addc_u32 s53, s37, s53
	v_or_b32_e32 v3, v4, v3
	v_and_b32_e32 v4, 0xff00, v2
	v_and_b32_e32 v2, 0xff, v2
	v_add_u32_e32 v16, s3, v6
	v_mov_b32_e32 v19, 0
	v_or3_b32 v17, v3, v4, v2
	v_mov_b32_e32 v18, 2
	v_mov_b64_e32 v[2:3], s[52:53]
	;;#ASMSTART
	global_store_dwordx4 v[2:3], v[16:19] off sc1	
s_waitcnt vmcnt(0)
	;;#ASMEND
	v_mov_b32_e32 v4, s3
	v_mov_b32_e32 v5, s54
	ds_write_b128 v19, v[4:7] offset:2048
.LBB788_79:
	s_or_b64 exec, exec, s[28:29]
	v_cmp_eq_u32_e32 vcc, 0, v0
	s_and_b64 exec, exec, vcc
	s_cbranch_execz .LBB788_81
; %bb.80:
	v_mov_b32_e32 v2, 0
	ds_write_b64 v2, v[6:7] offset:2120
.LBB788_81:
	s_or_b64 exec, exec, s[50:51]
	v_mov_b32_e32 v4, 0
	s_waitcnt lgkmcnt(0)
	s_barrier
	ds_read_b64 v[2:3], v4 offset:2120
	v_cndmask_b32_e64 v6, v22, v14, s[24:25]
	v_cmp_eq_u32_e32 vcc, 0, v6
	v_cndmask_b32_e64 v5, v23, v15, s[24:25]
	s_waitcnt lgkmcnt(0)
	v_cndmask_b32_e32 v7, 0, v3, vcc
	v_add_u32_e32 v5, v7, v5
	v_cmp_eq_u32_e32 vcc, 0, v0
	s_barrier
	s_nop 0
	v_cndmask_b32_e32 v43, v5, v3, vcc
	v_cndmask_b32_e64 v3, v6, 0, vcc
	v_cmp_eq_u32_e32 vcc, 0, v61
	v_add_u32_e32 v42, v2, v3
	v_add_u32_e32 v40, v42, v61
	v_cndmask_b32_e32 v2, 0, v43, vcc
	v_add_u32_e32 v41, v2, v44
	v_cndmask_b32_e64 v2, 0, v41, s[22:23]
	v_add_u32_e32 v39, v2, v44
	v_cndmask_b32_e64 v2, 0, v39, s[20:21]
	;; [unrolled: 2-line block ×7, first 2 shown]
	v_add_u32_e32 v38, v40, v60
	v_add_u32_e32 v27, v2, v44
	;; [unrolled: 1-line block ×3, first 2 shown]
	v_cndmask_b32_e64 v2, 0, v27, s[8:9]
	v_add_u32_e32 v34, v36, v58
	v_add_u32_e32 v25, v2, v44
	;; [unrolled: 1-line block ×3, first 2 shown]
	v_cndmask_b32_e64 v2, 0, v25, s[6:7]
	v_add_u32_e32 v30, v32, v56
	v_add_u32_e32 v23, v2, v44
	ds_read_b128 v[4:7], v4 offset:2048
	v_add_u32_e32 v28, v30, v55
	v_cndmask_b32_e64 v2, 0, v23, s[4:5]
	v_add_u32_e32 v26, v28, v54
	v_add_u32_e32 v21, v2, v44
	;; [unrolled: 1-line block ×3, first 2 shown]
	v_cndmask_b32_e64 v2, 0, v21, s[26:27]
	v_add_u32_e32 v22, v24, v52
	v_add_u32_e32 v17, v2, v44
	;; [unrolled: 1-line block ×3, first 2 shown]
	v_cndmask_b32_e64 v2, 0, v17, s[0:1]
	s_waitcnt lgkmcnt(0)
	v_cmp_eq_u32_e32 vcc, 0, v4
	v_add_u32_e32 v16, v20, v50
	v_add_u32_e32 v19, v2, v44
	v_cndmask_b32_e32 v2, 0, v7, vcc
	v_add_u32_e32 v18, v16, v49
	v_add_u32_e32 v14, v2, v5
	s_branch .LBB788_94
.LBB788_82:
                                        ; implicit-def: $vgpr4
                                        ; implicit-def: $vgpr14
                                        ; implicit-def: $vgpr18_vgpr19
                                        ; implicit-def: $vgpr16_vgpr17
                                        ; implicit-def: $vgpr20_vgpr21
                                        ; implicit-def: $vgpr22_vgpr23
                                        ; implicit-def: $vgpr42_vgpr43
                                        ; implicit-def: $vgpr40_vgpr41
                                        ; implicit-def: $vgpr38_vgpr39
                                        ; implicit-def: $vgpr36_vgpr37
                                        ; implicit-def: $vgpr34_vgpr35
                                        ; implicit-def: $vgpr32_vgpr33
                                        ; implicit-def: $vgpr30_vgpr31
                                        ; implicit-def: $vgpr28_vgpr29
                                        ; implicit-def: $vgpr26_vgpr27
                                        ; implicit-def: $vgpr24_vgpr25
	s_cbranch_execz .LBB788_94
; %bb.83:
	s_and_b64 s[0:1], s[38:39], exec
	s_cselect_b32 s1, 0, s49
	s_cselect_b32 s0, 0, s48
	s_cmp_eq_u64 s[0:1], 0
	v_mov_b32_e32 v6, v44
	s_cbranch_scc1 .LBB788_85
; %bb.84:
	v_mov_b32_e32 v2, 0
	global_load_dword v6, v2, s[0:1]
.LBB788_85:
	v_cmp_eq_u32_e64 s[0:1], 0, v60
	v_cmp_eq_u32_e64 s[2:3], 0, v59
	v_cmp_eq_u32_e64 s[4:5], 0, v58
	v_cndmask_b32_e64 v2, 0, v44, s[0:1]
	v_add_u32_e32 v2, v2, v44
	v_cndmask_b32_e64 v2, 0, v2, s[2:3]
	v_add_u32_e32 v2, v2, v44
	v_cndmask_b32_e64 v2, 0, v2, s[4:5]
	v_add_u32_e32 v2, v2, v44
	v_cmp_eq_u32_e64 s[6:7], 0, v57
	v_cmp_eq_u32_e64 s[8:9], 0, v56
	v_cmp_eq_u32_e64 s[10:11], 0, v55
	v_cndmask_b32_e64 v2, 0, v2, s[6:7]
	v_add_u32_e32 v2, v2, v44
	v_cndmask_b32_e64 v2, 0, v2, s[8:9]
	v_add_u32_e32 v2, v2, v44
	v_cndmask_b32_e64 v2, 0, v2, s[10:11]
	v_add_u32_e32 v2, v2, v44
	;; [unrolled: 9-line block ×3, first 2 shown]
	v_cmp_eq_u32_e64 s[18:19], 0, v51
	v_cmp_eq_u32_e64 s[20:21], 0, v50
	v_add3_u32 v3, v63, v57, v56
	v_cndmask_b32_e64 v2, 0, v2, s[18:19]
	v_add_u32_e32 v2, v2, v44
	v_cndmask_b32_e64 v2, 0, v2, s[20:21]
	v_add_u32_e32 v2, v2, v44
	v_cmp_eq_u32_e32 vcc, 0, v49
	v_add3_u32 v3, v3, v55, v54
	v_add3_u32 v3, v3, v53, v52
	v_cndmask_b32_e32 v2, 0, v2, vcc
	v_add_u32_e32 v2, v2, v44
	v_cmp_eq_u32_e64 s[22:23], 0, v48
	v_add3_u32 v3, v3, v51, v50
	v_add3_u32 v3, v3, v49, v48
	v_cndmask_b32_e64 v2, 0, v2, s[22:23]
	v_add_u32_e32 v2, v2, v45
	v_mbcnt_hi_u32_b32 v7, -1, v62
	v_and_b32_e32 v4, 15, v7
	v_mov_b32_dpp v14, v2 row_shr:1 row_mask:0xf bank_mask:0xf
	v_cmp_eq_u32_e64 s[22:23], 0, v3
	v_mov_b32_dpp v5, v3 row_shr:1 row_mask:0xf bank_mask:0xf
	v_cmp_lt_u32_e64 s[24:25], 1, v4
	v_cndmask_b32_e64 v14, 0, v14, s[22:23]
	v_cmp_eq_u32_e64 s[22:23], 0, v4
	s_nop 1
	v_cndmask_b32_e64 v5, v5, 0, s[22:23]
	v_add_u32_e32 v3, v5, v3
	v_cndmask_b32_e64 v5, v14, 0, s[22:23]
	v_add_u32_e32 v2, v5, v2
	v_cmp_eq_u32_e64 s[22:23], 0, v3
	v_mov_b32_dpp v5, v3 row_shr:2 row_mask:0xf bank_mask:0xf
	v_mov_b32_dpp v14, v2 row_shr:2 row_mask:0xf bank_mask:0xf
	v_cndmask_b32_e64 v5, 0, v5, s[24:25]
	s_and_b64 s[22:23], s[24:25], s[22:23]
	v_cndmask_b32_e64 v14, 0, v14, s[22:23]
	v_add_u32_e32 v3, v3, v5
	v_add_u32_e32 v2, v14, v2
	v_cmp_eq_u32_e64 s[22:23], 0, v3
	v_mov_b32_dpp v5, v3 row_shr:4 row_mask:0xf bank_mask:0xf
	v_cmp_lt_u32_e64 s[24:25], 3, v4
	v_mov_b32_dpp v14, v2 row_shr:4 row_mask:0xf bank_mask:0xf
	s_and_b64 s[22:23], s[24:25], s[22:23]
	v_cndmask_b32_e64 v5, 0, v5, s[24:25]
	v_cndmask_b32_e64 v14, 0, v14, s[22:23]
	v_add_u32_e32 v3, v5, v3
	v_add_u32_e32 v2, v2, v14
	v_cmp_eq_u32_e64 s[22:23], 0, v3
	v_cmp_lt_u32_e64 s[24:25], 7, v4
	v_mov_b32_dpp v5, v3 row_shr:8 row_mask:0xf bank_mask:0xf
	v_mov_b32_dpp v14, v2 row_shr:8 row_mask:0xf bank_mask:0xf
	s_and_b64 s[22:23], s[24:25], s[22:23]
	v_cndmask_b32_e64 v4, 0, v5, s[24:25]
	v_cndmask_b32_e64 v5, 0, v14, s[22:23]
	v_add_u32_e32 v2, v5, v2
	v_add_u32_e32 v3, v4, v3
	v_bfe_i32 v14, v7, 4, 1
	v_mov_b32_dpp v5, v2 row_bcast:15 row_mask:0xf bank_mask:0xf
	v_mov_b32_dpp v4, v3 row_bcast:15 row_mask:0xf bank_mask:0xf
	v_cmp_eq_u32_e64 s[22:23], 0, v3
	v_and_b32_e32 v4, v14, v4
	v_add_u32_e32 v3, v4, v3
	v_cndmask_b32_e64 v5, 0, v5, s[22:23]
	v_and_b32_e32 v4, v14, v5
	v_add_u32_e32 v4, v4, v2
	v_mov_b32_dpp v2, v3 row_bcast:31 row_mask:0xf bank_mask:0xf
	v_cmp_eq_u32_e64 s[22:23], 0, v3
	v_cmp_lt_u32_e64 s[24:25], 31, v7
	v_mov_b32_dpp v5, v4 row_bcast:31 row_mask:0xf bank_mask:0xf
	s_and_b64 s[22:23], s[24:25], s[22:23]
	v_cndmask_b32_e64 v2, 0, v2, s[24:25]
	v_add_u32_e32 v2, v2, v3
	v_cndmask_b32_e64 v3, 0, v5, s[22:23]
	v_add_u32_e32 v3, v3, v4
	v_cmp_eq_u32_e64 s[22:23], v47, v0
	v_lshlrev_b32_e32 v5, 3, v46
	s_and_saveexec_b64 s[24:25], s[22:23]
	s_cbranch_execz .LBB788_87
; %bb.86:
	ds_write_b64 v5, v[2:3] offset:2064
.LBB788_87:
	s_or_b64 exec, exec, s[24:25]
	v_cmp_gt_u32_e64 s[22:23], 8, v0
	s_waitcnt lgkmcnt(0)
	s_barrier
	s_and_saveexec_b64 s[26:27], s[22:23]
	s_cbranch_execz .LBB788_89
; %bb.88:
	v_lshlrev_b32_e32 v4, 3, v0
	ds_read_b64 v[14:15], v4 offset:2064
	v_and_b32_e32 v16, 7, v7
	v_cmp_lt_u32_e64 s[24:25], 1, v16
	s_waitcnt lgkmcnt(0)
	v_mov_b32_dpp v18, v15 row_shr:1 row_mask:0xf bank_mask:0xf
	v_cmp_eq_u32_e64 s[22:23], 0, v14
	v_mov_b32_dpp v17, v14 row_shr:1 row_mask:0xf bank_mask:0xf
	s_nop 0
	v_cndmask_b32_e64 v18, 0, v18, s[22:23]
	v_cmp_eq_u32_e64 s[22:23], 0, v16
	s_nop 1
	v_cndmask_b32_e64 v17, v17, 0, s[22:23]
	v_add_u32_e32 v14, v17, v14
	v_cndmask_b32_e64 v17, v18, 0, s[22:23]
	v_add_u32_e32 v15, v17, v15
	v_cmp_eq_u32_e64 s[22:23], 0, v14
	v_mov_b32_dpp v17, v14 row_shr:2 row_mask:0xf bank_mask:0xf
	v_mov_b32_dpp v18, v15 row_shr:2 row_mask:0xf bank_mask:0xf
	v_cndmask_b32_e64 v17, 0, v17, s[24:25]
	s_and_b64 s[22:23], s[24:25], s[22:23]
	v_cndmask_b32_e64 v18, 0, v18, s[22:23]
	v_add_u32_e32 v14, v17, v14
	v_add_u32_e32 v15, v18, v15
	v_cmp_eq_u32_e64 s[22:23], 0, v14
	v_mov_b32_dpp v17, v14 row_shr:4 row_mask:0xf bank_mask:0xf
	v_cmp_lt_u32_e64 s[24:25], 3, v16
	v_mov_b32_dpp v18, v15 row_shr:4 row_mask:0xf bank_mask:0xf
	s_and_b64 s[22:23], s[24:25], s[22:23]
	v_cndmask_b32_e64 v16, 0, v17, s[24:25]
	v_add_u32_e32 v14, v16, v14
	v_cndmask_b32_e64 v16, 0, v18, s[22:23]
	v_add_u32_e32 v15, v16, v15
	ds_write_b64 v4, v[14:15] offset:2064
.LBB788_89:
	s_or_b64 exec, exec, s[26:27]
	v_cmp_lt_u32_e64 s[22:23], 63, v0
	v_mov_b32_e32 v14, 0
	v_mov_b32_e32 v4, 0
	s_waitcnt vmcnt(0)
	v_mov_b32_e32 v15, v6
	s_waitcnt lgkmcnt(0)
	s_barrier
	s_and_saveexec_b64 s[24:25], s[22:23]
	s_cbranch_execz .LBB788_91
; %bb.90:
	ds_read_b64 v[4:5], v5 offset:2056
	s_waitcnt lgkmcnt(0)
	v_cmp_eq_u32_e64 s[22:23], 0, v4
	s_nop 1
	v_cndmask_b32_e64 v15, 0, v6, s[22:23]
	v_add_u32_e32 v15, v15, v5
.LBB788_91:
	s_or_b64 exec, exec, s[24:25]
	v_cmp_eq_u32_e64 s[22:23], 0, v2
	v_add_u32_e32 v5, v4, v2
	v_and_b32_e32 v16, 64, v7
	v_cndmask_b32_e64 v2, 0, v15, s[22:23]
	v_add_u32_e32 v2, v2, v3
	v_add_u32_e32 v3, -1, v7
	v_cmp_lt_i32_e64 s[22:23], v3, v16
	v_cmp_eq_u32_e64 s[24:25], 0, v61
	s_nop 0
	v_cndmask_b32_e64 v3, v3, v7, s[22:23]
	v_lshlrev_b32_e32 v3, 2, v3
	ds_bpermute_b32 v5, v3, v5
	ds_bpermute_b32 v2, v3, v2
	v_cmp_eq_u32_e64 s[22:23], 0, v7
	s_waitcnt lgkmcnt(1)
	s_nop 0
	v_cndmask_b32_e64 v3, v5, v4, s[22:23]
	s_waitcnt lgkmcnt(0)
	v_cndmask_b32_e64 v2, v2, v15, s[22:23]
	v_cmp_eq_u32_e64 s[22:23], 0, v0
	ds_read_b64 v[4:5], v14 offset:2120
	s_nop 0
	v_cndmask_b32_e64 v43, v2, v6, s[22:23]
	v_cndmask_b32_e64 v2, 0, v43, s[24:25]
	v_add_u32_e32 v41, v2, v44
	v_cndmask_b32_e64 v2, 0, v41, s[0:1]
	v_add_u32_e32 v39, v2, v44
	;; [unrolled: 2-line block ×6, first 2 shown]
	v_cndmask_b32_e64 v2, 0, v31, s[10:11]
	v_cndmask_b32_e64 v42, v3, 0, s[22:23]
	v_add_u32_e32 v29, v2, v44
	v_add_u32_e32 v40, v42, v61
	v_cndmask_b32_e64 v2, 0, v29, s[12:13]
	v_add_u32_e32 v38, v40, v60
	v_add_u32_e32 v27, v2, v44
	v_add_u32_e32 v36, v38, v59
	v_cndmask_b32_e64 v2, 0, v27, s[14:15]
	v_add_u32_e32 v34, v36, v58
	;; [unrolled: 4-line block ×5, first 2 shown]
	v_add_u32_e32 v17, v2, v44
	v_add_u32_e32 v20, v22, v51
	v_cndmask_b32_e32 v2, 0, v17, vcc
	s_waitcnt lgkmcnt(0)
	v_cmp_eq_u32_e32 vcc, 0, v4
	v_add_u32_e32 v16, v20, v50
	v_add_u32_e32 v19, v2, v44
	v_cndmask_b32_e32 v2, 0, v6, vcc
	v_add_u32_e32 v18, v16, v49
	v_add_u32_e32 v14, v2, v5
	s_and_saveexec_b64 s[0:1], s[22:23]
	s_cbranch_execz .LBB788_93
; %bb.92:
	s_add_u32 s2, s36, 0x400
	v_and_b32_e32 v2, 0xff000000, v14
	v_and_b32_e32 v3, 0xff0000, v14
	s_addc_u32 s3, s37, 0
	v_or_b32_e32 v2, v3, v2
	v_and_b32_e32 v3, 0xff00, v14
	v_and_b32_e32 v5, 0xff, v14
	v_mov_b32_e32 v7, 0
	v_or3_b32 v5, v2, v3, v5
	v_mov_b32_e32 v6, 2
	v_mov_b64_e32 v[2:3], s[2:3]
	;;#ASMSTART
	global_store_dwordx4 v[2:3], v[4:7] off sc1	
s_waitcnt vmcnt(0)
	;;#ASMEND
.LBB788_93:
	s_or_b64 exec, exec, s[0:1]
	v_mov_b32_e32 v6, 0
.LBB788_94:
	s_and_b64 s[0:1], s[38:39], exec
	s_cselect_b32 s1, 0, s31
	s_cselect_b32 s0, 0, s30
	s_cmp_eq_u64 s[0:1], 0
	v_mov_b64_e32 v[44:45], 0
	s_waitcnt lgkmcnt(0)
	s_barrier
	s_cbranch_scc1 .LBB788_96
; %bb.95:
	v_mov_b32_e32 v2, 0
	global_load_dwordx2 v[44:45], v2, s[0:1]
.LBB788_96:
	s_waitcnt vmcnt(0)
	v_lshlrev_b64 v[2:3], 1, v[44:45]
	v_mov_b32_e32 v7, 0
	v_lshl_add_u64 v[2:3], s[40:41], 0, v[2:3]
	v_lshlrev_b64 v[46:47], 1, v[6:7]
	v_cmp_eq_u32_e32 vcc, 0, v61
	v_lshl_add_u64 v[46:47], v[2:3], 0, v[46:47]
	s_movk_i32 s28, 0x200
	v_cndmask_b32_e64 v2, 1, 2, vcc
	v_cmp_eq_u32_e32 vcc, 0, v60
	v_cmp_ne_u32_e64 s[26:27], 0, v61
	v_cmp_ne_u32_e64 s[24:25], 0, v60
	v_cndmask_b32_e64 v3, 1, 2, vcc
	v_cmp_eq_u32_e32 vcc, 0, v59
	v_and_b32_e32 v2, v3, v2
	v_cmp_ne_u32_e64 s[22:23], 0, v59
	v_cndmask_b32_e64 v3, 1, 2, vcc
	v_cmp_eq_u32_e32 vcc, 0, v58
	v_and_b32_e32 v2, v2, v3
	;; [unrolled: 4-line block ×12, first 2 shown]
	v_cmp_ne_u32_e64 s[0:1], 0, v48
	v_cndmask_b32_e64 v3, 1, 2, vcc
	v_and_b32_e32 v2, v2, v3
	v_cmp_gt_u32_e32 vcc, s28, v4
	s_mov_b64 s[30:31], -1
	v_cmp_gt_i16_e64 s[28:29], 2, v2
	s_cbranch_vccz .LBB788_103
; %bb.97:
	s_and_saveexec_b64 s[30:31], s[28:29]
	s_cbranch_execz .LBB788_102
; %bb.98:
	v_cmp_ne_u16_e32 vcc, 1, v2
	s_mov_b64 s[36:37], 0
	s_and_saveexec_b64 s[28:29], vcc
	s_xor_b64 s[28:29], exec, s[28:29]
	s_cbranch_execnz .LBB788_145
; %bb.99:
	s_andn2_saveexec_b64 s[28:29], s[28:29]
	s_cbranch_execnz .LBB788_160
.LBB788_100:
	s_or_b64 exec, exec, s[28:29]
	s_and_b64 exec, exec, s[36:37]
	s_cbranch_execz .LBB788_102
.LBB788_101:
	v_sub_u32_e32 v62, v18, v6
	v_mov_b32_e32 v63, 0
	v_lshl_add_u64 v[62:63], v[62:63], 1, v[46:47]
	global_store_short_d16_hi v[62:63], v1, off
.LBB788_102:
	s_or_b64 exec, exec, s[30:31]
	s_mov_b64 s[30:31], 0
.LBB788_103:
	s_and_b64 vcc, exec, s[30:31]
	s_cbranch_vccz .LBB788_123
; %bb.104:
	v_cmp_gt_i16_e32 vcc, 2, v2
	s_and_saveexec_b64 s[28:29], vcc
	s_cbranch_execz .LBB788_109
; %bb.105:
	v_cmp_ne_u16_e32 vcc, 1, v2
	s_mov_b64 s[36:37], 0
	s_and_saveexec_b64 s[30:31], vcc
	s_xor_b64 s[30:31], exec, s[30:31]
	s_cbranch_execnz .LBB788_161
; %bb.106:
	s_andn2_saveexec_b64 s[0:1], s[30:31]
	s_cbranch_execnz .LBB788_176
.LBB788_107:
	s_or_b64 exec, exec, s[0:1]
	s_and_b64 exec, exec, s[36:37]
	s_cbranch_execz .LBB788_109
.LBB788_108:
	v_sub_u32_e32 v2, v18, v6
	v_lshlrev_b32_e32 v2, 1, v2
	ds_write_b16_d16_hi v2, v1
.LBB788_109:
	s_or_b64 exec, exec, s[28:29]
	v_cmp_lt_u32_e32 vcc, v0, v4
	s_waitcnt lgkmcnt(0)
	s_barrier
	s_and_saveexec_b64 s[0:1], vcc
	s_cbranch_execz .LBB788_122
; %bb.110:
	v_xad_u32 v1, v0, -1, v4
	s_movk_i32 s2, 0x5ff
	v_cmp_lt_u32_e32 vcc, s2, v1
	s_mov_b64 s[4:5], -1
	v_mov_b32_e32 v2, v0
	s_and_saveexec_b64 s[2:3], vcc
	s_cbranch_execz .LBB788_119
; %bb.111:
	v_lshrrev_b32_e32 v5, 9, v1
	v_add_u32_e32 v8, -3, v5
	v_or_b32_e32 v3, 0x600, v0
	v_or_b32_e32 v2, 0x400, v0
	v_lshrrev_b32_e32 v9, 2, v8
	v_or_b32_e32 v1, 0x200, v0
	v_add_u32_e32 v15, 1, v9
	v_cmp_lt_u32_e32 vcc, 11, v8
	v_mov_b64_e32 v[10:11], v[2:3]
	v_mov_b32_e32 v64, 0
	v_mov_b64_e32 v[8:9], v[0:1]
	s_and_saveexec_b64 s[4:5], vcc
	s_cbranch_execz .LBB788_115
; %bb.112:
	v_mov_b64_e32 v[10:11], v[2:3]
	v_and_b32_e32 v62, 0x7ffffffc, v15
	v_lshlrev_b32_e32 v63, 1, v0
	s_mov_b32 s8, 0
	s_mov_b64 s[6:7], 0
	v_mov_b32_e32 v13, 0
	v_mov_b64_e32 v[8:9], v[0:1]
.LBB788_113:                            ; =>This Inner Loop Header: Depth=1
	v_mov_b32_e32 v12, v8
	ds_read_u16 v1, v63
	ds_read_u16 v90, v63 offset:1024
	ds_read_u16 v91, v63 offset:2048
	;; [unrolled: 1-line block ×7, first 2 shown]
	v_lshl_add_u64 v[80:81], v[12:13], 1, v[46:47]
	v_mov_b32_e32 v12, v9
	v_lshl_add_u64 v[84:85], v[12:13], 1, v[46:47]
	v_mov_b32_e32 v12, v10
	ds_read_u16 v97, v63 offset:8192
	ds_read_u16 v98, v63 offset:9216
	;; [unrolled: 1-line block ×8, first 2 shown]
	v_lshl_add_u64 v[86:87], v[12:13], 1, v[46:47]
	v_mov_b32_e32 v12, v11
	v_add_u32_e32 v2, 0x800, v11
	v_mov_b32_e32 v3, v13
	v_lshl_add_u64 v[88:89], v[12:13], 1, v[46:47]
	v_add_u32_e32 v12, 0x800, v8
	v_add_u32_e32 v64, 0x800, v10
	;; [unrolled: 1-line block ×3, first 2 shown]
	v_mov_b32_e32 v67, v13
	v_mov_b32_e32 v65, v13
	v_add_u32_e32 v62, -4, v62
	v_lshl_add_u64 v[2:3], v[2:3], 1, v[46:47]
	s_waitcnt lgkmcnt(14)
	global_store_short v[80:81], v1, off
	global_store_short v[84:85], v90, off
	s_waitcnt lgkmcnt(13)
	global_store_short v[86:87], v91, off
	s_waitcnt lgkmcnt(12)
	global_store_short v[88:89], v92, off
	v_lshl_add_u64 v[80:81], v[12:13], 1, v[46:47]
	v_add_u32_e32 v12, 0x1000, v8
	v_add_u32_e32 v68, 0x1000, v11
	;; [unrolled: 1-line block ×4, first 2 shown]
	v_mov_b32_e32 v73, v13
	v_mov_b32_e32 v71, v13
	;; [unrolled: 1-line block ×3, first 2 shown]
	s_add_i32 s8, s8, 16
	v_lshl_add_u64 v[66:67], v[66:67], 1, v[46:47]
	v_lshl_add_u64 v[82:83], v[64:65], 1, v[46:47]
	v_cmp_eq_u32_e32 vcc, 0, v62
	s_waitcnt lgkmcnt(11)
	global_store_short v[80:81], v93, off
	s_waitcnt lgkmcnt(10)
	global_store_short v[66:67], v94, off
	;; [unrolled: 2-line block ×4, first 2 shown]
	v_lshl_add_u64 v[2:3], v[12:13], 1, v[46:47]
	v_add_u32_e32 v12, 0x1800, v8
	v_add_u32_e32 v74, 0x1800, v11
	;; [unrolled: 1-line block ×4, first 2 shown]
	v_mov_b32_e32 v79, v13
	v_mov_b32_e32 v77, v13
	;; [unrolled: 1-line block ×3, first 2 shown]
	v_add_u32_e32 v63, 0x4000, v63
	v_lshl_add_u64 v[72:73], v[72:73], 1, v[46:47]
	v_lshl_add_u64 v[70:71], v[70:71], 1, v[46:47]
	;; [unrolled: 1-line block ×3, first 2 shown]
	v_add_u32_e32 v9, 0x2000, v9
	v_mov_b32_e32 v64, s8
	v_add_u32_e32 v10, 0x2000, v10
	s_or_b64 s[6:7], vcc, s[6:7]
	v_add_u32_e32 v11, 0x2000, v11
	v_add_u32_e32 v8, 0x2000, v8
	s_waitcnt lgkmcnt(7)
	global_store_short v[2:3], v97, off
	s_waitcnt lgkmcnt(6)
	global_store_short v[72:73], v98, off
	;; [unrolled: 2-line block ×4, first 2 shown]
	v_lshl_add_u64 v[2:3], v[12:13], 1, v[46:47]
	v_lshl_add_u64 v[78:79], v[78:79], 1, v[46:47]
	;; [unrolled: 1-line block ×4, first 2 shown]
	s_waitcnt lgkmcnt(3)
	global_store_short v[2:3], v101, off
	s_waitcnt lgkmcnt(2)
	global_store_short v[78:79], v102, off
	;; [unrolled: 2-line block ×4, first 2 shown]
	s_andn2_b64 exec, exec, s[6:7]
	s_cbranch_execnz .LBB788_113
; %bb.114:
	s_or_b64 exec, exec, s[6:7]
.LBB788_115:
	s_or_b64 exec, exec, s[4:5]
	v_and_b32_e32 v1, 3, v15
	v_cmp_ne_u32_e32 vcc, 0, v1
	s_and_saveexec_b64 s[4:5], vcc
	s_cbranch_execz .LBB788_118
; %bb.116:
	v_lshlrev_b32_e32 v2, 1, v0
	v_lshl_or_b32 v12, v64, 10, v2
	s_mov_b64 s[6:7], 0
	v_mov_b32_e32 v3, 0
.LBB788_117:                            ; =>This Inner Loop Header: Depth=1
	ds_read_u16 v13, v12
	ds_read_u16 v15, v12 offset:1024
	ds_read_u16 v70, v12 offset:2048
	;; [unrolled: 1-line block ×3, first 2 shown]
	v_mov_b32_e32 v2, v8
	v_add_u32_e32 v1, -1, v1
	v_lshl_add_u64 v[62:63], v[2:3], 1, v[46:47]
	v_mov_b32_e32 v2, v9
	v_cmp_eq_u32_e32 vcc, 0, v1
	v_lshl_add_u64 v[64:65], v[2:3], 1, v[46:47]
	v_mov_b32_e32 v2, v10
	v_add_u32_e32 v8, 0x800, v8
	v_add_u32_e32 v12, 0x1000, v12
	;; [unrolled: 1-line block ×4, first 2 shown]
	s_or_b64 s[6:7], vcc, s[6:7]
	v_lshl_add_u64 v[66:67], v[2:3], 1, v[46:47]
	v_mov_b32_e32 v2, v11
	v_add_u32_e32 v11, 0x800, v11
	v_lshl_add_u64 v[68:69], v[2:3], 1, v[46:47]
	s_waitcnt lgkmcnt(3)
	global_store_short v[62:63], v13, off
	s_waitcnt lgkmcnt(2)
	global_store_short v[64:65], v15, off
	;; [unrolled: 2-line block ×4, first 2 shown]
	s_andn2_b64 exec, exec, s[6:7]
	s_cbranch_execnz .LBB788_117
.LBB788_118:
	s_or_b64 exec, exec, s[4:5]
	v_add_u32_e32 v1, 1, v5
	v_and_b32_e32 v3, 0xfffffc, v1
	v_cmp_ne_u32_e32 vcc, v1, v3
	v_lshl_or_b32 v2, v3, 9, v0
	s_orn2_b64 s[4:5], vcc, exec
.LBB788_119:
	s_or_b64 exec, exec, s[2:3]
	s_and_b64 exec, exec, s[4:5]
	s_cbranch_execz .LBB788_122
; %bb.120:
	v_lshlrev_b32_e32 v1, 1, v2
	s_mov_b64 s[2:3], 0
	v_mov_b32_e32 v3, 0
.LBB788_121:                            ; =>This Inner Loop Header: Depth=1
	ds_read_u16 v5, v1
	v_lshl_add_u64 v[8:9], v[2:3], 1, v[46:47]
	v_add_u32_e32 v2, 0x200, v2
	v_cmp_ge_u32_e32 vcc, v2, v4
	v_add_u32_e32 v1, 0x400, v1
	s_or_b64 s[2:3], vcc, s[2:3]
	s_waitcnt lgkmcnt(0)
	global_store_short v[8:9], v5, off
	s_andn2_b64 exec, exec, s[2:3]
	s_cbranch_execnz .LBB788_121
.LBB788_122:
	s_or_b64 exec, exec, s[0:1]
.LBB788_123:
	s_cmpk_lg_i32 s33, 0x1c00
	s_cselect_b64 s[0:1], -1, 0
	v_cndmask_b32_e64 v46, 0, 1, s[44:45]
	s_and_b64 s[0:1], s[34:35], s[0:1]
	v_cmp_eq_u32_e32 vcc, 0, v0
	v_sub_u32_e32 v1, v4, v46
	v_cndmask_b32_e64 v2, 0, 1, s[0:1]
	s_and_b64 s[0:1], vcc, s[44:45]
	v_add_u32_e32 v1, v1, v2
	v_cndmask_b32_e64 v2, v61, 0, s[0:1]
	s_lshr_b32 s0, s33, 1
	s_mul_hi_u32 s0, s0, 0x92492493
	s_lshr_b32 s0, s0, 2
	v_mad_i32_i24 v3, v0, -14, s33
	v_cmp_eq_u32_e32 vcc, s0, v0
	v_cmp_ne_u32_e64 s[0:1], 0, v3
	s_and_b64 vcc, s[34:35], vcc
	s_mov_b32 s2, 0
	v_cndmask_b32_e64 v5, 1, v2, s[0:1]
	v_cmp_ne_u32_e64 s[0:1], 1, v3
	s_movk_i32 s28, 0x200
	s_mov_b64 s[30:31], -1
	v_cndmask_b32_e64 v8, 1, v60, s[0:1]
	v_cmp_ne_u32_e64 s[0:1], 2, v3
	s_barrier
	s_nop 0
	v_cndmask_b32_e64 v9, 1, v59, s[0:1]
	v_cmp_ne_u32_e64 s[0:1], 3, v3
	s_nop 1
	v_cndmask_b32_e64 v10, 1, v58, s[0:1]
	v_cmp_ne_u32_e64 s[0:1], 4, v3
	;; [unrolled: 3-line block ×6, first 2 shown]
	v_cndmask_b32_e32 v15, v54, v15, vcc
	v_cndmask_b32_e32 v54, v55, v13, vcc
	v_cndmask_b32_e64 v47, 1, v53, s[0:1]
	v_cmp_ne_u32_e64 s[0:1], 9, v3
	v_cndmask_b32_e32 v55, v56, v12, vcc
	v_cndmask_b32_e32 v56, v57, v11, vcc
	v_cndmask_b32_e64 v61, 1, v52, s[0:1]
	v_cmp_ne_u32_e64 s[0:1], 10, v3
	;; [unrolled: 4-line block ×5, first 2 shown]
	v_cndmask_b32_e32 v49, v49, v64, vcc
	v_cndmask_b32_e32 v52, v52, v61, vcc
	v_cndmask_b32_e64 v3, 1, v48, s[0:1]
	v_cndmask_b32_e32 v48, v48, v3, vcc
	v_cndmask_b32_e32 v53, v53, v47, vcc
	v_mov_b32_e32 v47, s2
	v_cmp_eq_u32_e32 vcc, 0, v60
	v_lshl_add_u64 v[12:13], v[46:47], 0, -1
	v_add_u32_e32 v5, v6, v46
	v_cndmask_b32_e64 v46, 1, 2, vcc
	v_cmp_eq_u32_e32 vcc, 0, v59
	v_cmp_ne_u32_e64 s[12:13], 0, v15
	v_lshlrev_b64 v[8:9], 3, v[44:45]
	v_cndmask_b32_e64 v47, 1, 2, vcc
	v_cmp_eq_u32_e32 vcc, 0, v58
	v_and_b32_e32 v46, v47, v46
	v_lshl_add_u64 v[2:3], s[42:43], 0, v[8:9]
	v_cndmask_b32_e64 v47, 1, 2, vcc
	v_cmp_eq_u32_e32 vcc, 0, v57
	v_and_b32_e32 v46, v46, v47
	v_lshlrev_b64 v[10:11], 3, v[6:7]
	v_cndmask_b32_e64 v47, 1, 2, vcc
	v_cmp_eq_u32_e32 vcc, 0, v56
	v_and_b32_e32 v46, v46, v47
	v_lshl_add_u64 v[2:3], v[2:3], 0, v[10:11]
	v_cndmask_b32_e64 v47, 1, 2, vcc
	v_cmp_eq_u32_e32 vcc, 0, v55
	v_and_b32_e32 v46, v46, v47
	v_cmp_ne_u32_e64 s[26:27], 0, v60
	v_cndmask_b32_e64 v47, 1, 2, vcc
	v_cmp_eq_u32_e32 vcc, 0, v54
	v_and_b32_e32 v46, v46, v47
	v_cmp_ne_u32_e64 s[24:25], 0, v59
	;; [unrolled: 4-line block ×9, first 2 shown]
	v_cndmask_b32_e64 v46, 1, 2, vcc
	v_and_b32_e32 v15, v15, v46
	v_cmp_gt_u32_e32 vcc, s28, v1
	v_cmp_ne_u32_e64 s[6:7], 0, v51
	v_cmp_ne_u32_e64 s[4:5], 0, v50
	v_cmp_ne_u32_e64 s[2:3], 0, v49
	v_cmp_ne_u32_e64 s[0:1], 0, v48
	v_cmp_gt_i16_e64 s[28:29], 2, v15
	s_cbranch_vccz .LBB788_130
; %bb.124:
	s_and_saveexec_b64 s[30:31], s[28:29]
	s_cbranch_execz .LBB788_129
; %bb.125:
	v_lshlrev_b64 v[46:47], 3, v[12:13]
	v_lshl_add_u64 v[46:47], v[2:3], 0, v[46:47]
	v_cmp_ne_u16_e32 vcc, 1, v15
	s_mov_b64 s[36:37], 0
	s_and_saveexec_b64 s[28:29], vcc
	s_xor_b64 s[28:29], exec, s[28:29]
	s_cbranch_execnz .LBB788_177
; %bb.126:
	s_andn2_saveexec_b64 s[28:29], s[28:29]
	s_cbranch_execnz .LBB788_192
.LBB788_127:
	s_or_b64 exec, exec, s[28:29]
	s_and_b64 exec, exec, s[36:37]
	s_cbranch_execz .LBB788_129
.LBB788_128:
	v_mov_b32_e32 v49, 0
	v_sub_u32_e32 v50, v18, v5
	v_mov_b32_e32 v51, v49
	v_mov_b32_e32 v48, v19
	v_lshl_add_u64 v[46:47], v[50:51], 3, v[46:47]
	global_store_dwordx2 v[46:47], v[48:49], off
.LBB788_129:
	s_or_b64 exec, exec, s[30:31]
	s_mov_b64 s[30:31], 0
.LBB788_130:
	s_and_b64 vcc, exec, s[30:31]
	s_cbranch_vccz .LBB788_140
; %bb.131:
	v_cmp_gt_i16_e32 vcc, 2, v15
	s_and_saveexec_b64 s[28:29], vcc
	s_cbranch_execz .LBB788_136
; %bb.132:
	v_cmp_ne_u16_e32 vcc, 1, v15
	s_mov_b64 s[36:37], 0
	s_and_saveexec_b64 s[30:31], vcc
	s_xor_b64 s[30:31], exec, s[30:31]
	s_cbranch_execnz .LBB788_193
; %bb.133:
	s_andn2_saveexec_b64 s[0:1], s[30:31]
	s_cbranch_execnz .LBB788_208
.LBB788_134:
	s_or_b64 exec, exec, s[0:1]
	s_and_b64 exec, exec, s[36:37]
	s_cbranch_execz .LBB788_136
.LBB788_135:
	v_sub_u32_e32 v5, v18, v5
	v_lshlrev_b32_e32 v5, 2, v5
	ds_write_b32 v5, v19
.LBB788_136:
	s_or_b64 exec, exec, s[28:29]
	v_cmp_lt_u32_e32 vcc, v0, v1
	s_waitcnt lgkmcnt(0)
	s_barrier
	s_and_saveexec_b64 s[0:1], vcc
	s_cbranch_execz .LBB788_139
; %bb.137:
	v_lshlrev_b64 v[12:13], 3, v[12:13]
	v_lshl_add_u64 v[8:9], v[8:9], 0, v[12:13]
	v_lshl_add_u64 v[10:11], v[8:9], 0, v[10:11]
	v_lshlrev_b32_e32 v8, 3, v0
	v_mov_b32_e32 v9, 0
	v_lshl_add_u64 v[10:11], s[42:43], 0, v[10:11]
	v_lshlrev_b32_e32 v5, 2, v0
	v_lshl_add_u64 v[10:11], v[10:11], 0, v[8:9]
	s_mov_b64 s[2:3], 0
	s_mov_b64 s[4:5], 0x1000
	v_mov_b32_e32 v12, v0
.LBB788_138:                            ; =>This Inner Loop Header: Depth=1
	ds_read_b32 v8, v5
	v_add_u32_e32 v12, 0x200, v12
	v_cmp_ge_u32_e32 vcc, v12, v1
	v_add_u32_e32 v5, 0x800, v5
	s_or_b64 s[2:3], vcc, s[2:3]
	s_waitcnt lgkmcnt(0)
	global_store_dwordx2 v[10:11], v[8:9], off
	v_lshl_add_u64 v[10:11], v[10:11], 0, s[4:5]
	s_andn2_b64 exec, exec, s[2:3]
	s_cbranch_execnz .LBB788_138
.LBB788_139:
	s_or_b64 exec, exec, s[0:1]
.LBB788_140:
	s_movk_i32 s0, 0x1ff
	v_cmp_eq_u32_e32 vcc, s0, v0
	s_and_b64 s[0:1], vcc, s[34:35]
	s_and_saveexec_b64 s[2:3], s[0:1]
	s_cbranch_execz .LBB788_143
; %bb.141:
	v_mov_b32_e32 v5, 0
	v_lshl_add_u64 v[0:1], v[4:5], 0, v[6:7]
	v_lshl_add_u64 v[0:1], v[0:1], 0, v[44:45]
	s_cmpk_lg_i32 s33, 0x1c00
	global_store_dwordx2 v5, v[0:1], s[46:47]
	s_cbranch_scc1 .LBB788_143
; %bb.142:
	v_lshlrev_b64 v[0:1], 3, v[4:5]
	v_mov_b32_e32 v15, v5
	v_lshl_add_u64 v[0:1], v[2:3], 0, v[0:1]
	global_store_dwordx2 v[0:1], v[14:15], off offset:-8
.LBB788_143:
	s_endpgm
.LBB788_144:
	s_or_b64 exec, exec, s[6:7]
	v_mov_b32_e32 v61, s3
	s_and_saveexec_b64 s[6:7], s[10:11]
	s_cbranch_execnz .LBB788_54
	s_branch .LBB788_55
.LBB788_145:
	s_and_saveexec_b64 s[36:37], s[26:27]
	s_cbranch_execnz .LBB788_209
; %bb.146:
	s_or_b64 exec, exec, s[36:37]
	s_and_saveexec_b64 s[36:37], s[24:25]
	s_cbranch_execnz .LBB788_210
.LBB788_147:
	s_or_b64 exec, exec, s[36:37]
	s_and_saveexec_b64 s[36:37], s[22:23]
	s_cbranch_execnz .LBB788_211
.LBB788_148:
	s_or_b64 exec, exec, s[36:37]
	s_and_saveexec_b64 s[36:37], s[20:21]
	s_cbranch_execnz .LBB788_212
.LBB788_149:
	s_or_b64 exec, exec, s[36:37]
	s_and_saveexec_b64 s[36:37], s[18:19]
	s_cbranch_execnz .LBB788_213
.LBB788_150:
	s_or_b64 exec, exec, s[36:37]
	s_and_saveexec_b64 s[36:37], s[16:17]
	s_cbranch_execnz .LBB788_214
.LBB788_151:
	s_or_b64 exec, exec, s[36:37]
	s_and_saveexec_b64 s[36:37], s[14:15]
	s_cbranch_execnz .LBB788_215
.LBB788_152:
	s_or_b64 exec, exec, s[36:37]
	s_and_saveexec_b64 s[36:37], s[12:13]
	s_cbranch_execnz .LBB788_216
.LBB788_153:
	s_or_b64 exec, exec, s[36:37]
	s_and_saveexec_b64 s[36:37], s[10:11]
	s_cbranch_execnz .LBB788_217
.LBB788_154:
	s_or_b64 exec, exec, s[36:37]
	s_and_saveexec_b64 s[36:37], s[8:9]
	s_cbranch_execnz .LBB788_218
.LBB788_155:
	s_or_b64 exec, exec, s[36:37]
	s_and_saveexec_b64 s[36:37], s[6:7]
	s_cbranch_execnz .LBB788_219
.LBB788_156:
	s_or_b64 exec, exec, s[36:37]
	s_and_saveexec_b64 s[36:37], s[4:5]
	s_cbranch_execnz .LBB788_220
.LBB788_157:
	s_or_b64 exec, exec, s[36:37]
	s_and_saveexec_b64 s[36:37], s[2:3]
	s_cbranch_execz .LBB788_159
.LBB788_158:
	v_sub_u32_e32 v62, v16, v6
	v_mov_b32_e32 v63, 0
	v_lshl_add_u64 v[62:63], v[62:63], 1, v[46:47]
	global_store_short v[62:63], v1, off
.LBB788_159:
	s_or_b64 exec, exec, s[36:37]
	s_and_b64 s[36:37], s[0:1], exec
	s_andn2_saveexec_b64 s[28:29], s[28:29]
	s_cbranch_execz .LBB788_100
.LBB788_160:
	v_sub_u32_e32 v62, v42, v6
	v_mov_b32_e32 v63, 0
	v_lshl_add_u64 v[64:65], v[62:63], 1, v[46:47]
	v_sub_u32_e32 v62, v40, v6
	global_store_short v[64:65], v12, off
	v_lshl_add_u64 v[64:65], v[62:63], 1, v[46:47]
	v_sub_u32_e32 v62, v38, v6
	global_store_short_d16_hi v[64:65], v12, off
	v_lshl_add_u64 v[64:65], v[62:63], 1, v[46:47]
	v_sub_u32_e32 v62, v36, v6
	global_store_short v[64:65], v13, off
	v_lshl_add_u64 v[64:65], v[62:63], 1, v[46:47]
	v_sub_u32_e32 v62, v34, v6
	global_store_short_d16_hi v[64:65], v13, off
	;; [unrolled: 6-line block ×5, first 2 shown]
	v_lshl_add_u64 v[64:65], v[62:63], 1, v[46:47]
	v_sub_u32_e32 v62, v20, v6
	global_store_short v[64:65], v9, off
	v_lshl_add_u64 v[64:65], v[62:63], 1, v[46:47]
	v_sub_u32_e32 v62, v16, v6
	v_lshl_add_u64 v[62:63], v[62:63], 1, v[46:47]
	s_or_b64 s[36:37], s[36:37], exec
	global_store_short_d16_hi v[64:65], v9, off
	global_store_short v[62:63], v1, off
	s_or_b64 exec, exec, s[28:29]
	s_and_b64 exec, exec, s[36:37]
	s_cbranch_execnz .LBB788_101
	s_branch .LBB788_102
.LBB788_161:
	s_and_saveexec_b64 s[36:37], s[26:27]
	s_cbranch_execnz .LBB788_221
; %bb.162:
	s_or_b64 exec, exec, s[36:37]
	s_and_saveexec_b64 s[26:27], s[24:25]
	s_cbranch_execnz .LBB788_222
.LBB788_163:
	s_or_b64 exec, exec, s[26:27]
	s_and_saveexec_b64 s[24:25], s[22:23]
	s_cbranch_execnz .LBB788_223
.LBB788_164:
	s_or_b64 exec, exec, s[24:25]
	s_and_saveexec_b64 s[22:23], s[20:21]
	s_cbranch_execnz .LBB788_224
.LBB788_165:
	s_or_b64 exec, exec, s[22:23]
	s_and_saveexec_b64 s[20:21], s[18:19]
	s_cbranch_execnz .LBB788_225
.LBB788_166:
	s_or_b64 exec, exec, s[20:21]
	s_and_saveexec_b64 s[18:19], s[16:17]
	s_cbranch_execnz .LBB788_226
.LBB788_167:
	s_or_b64 exec, exec, s[18:19]
	s_and_saveexec_b64 s[16:17], s[14:15]
	s_cbranch_execnz .LBB788_227
.LBB788_168:
	s_or_b64 exec, exec, s[16:17]
	s_and_saveexec_b64 s[14:15], s[12:13]
	s_cbranch_execnz .LBB788_228
.LBB788_169:
	s_or_b64 exec, exec, s[14:15]
	s_and_saveexec_b64 s[12:13], s[10:11]
	s_cbranch_execnz .LBB788_229
.LBB788_170:
	s_or_b64 exec, exec, s[12:13]
	s_and_saveexec_b64 s[10:11], s[8:9]
	s_cbranch_execnz .LBB788_230
.LBB788_171:
	s_or_b64 exec, exec, s[10:11]
	s_and_saveexec_b64 s[8:9], s[6:7]
	s_cbranch_execnz .LBB788_231
.LBB788_172:
	s_or_b64 exec, exec, s[8:9]
	s_and_saveexec_b64 s[6:7], s[4:5]
	s_cbranch_execnz .LBB788_232
.LBB788_173:
	s_or_b64 exec, exec, s[6:7]
	s_and_saveexec_b64 s[4:5], s[2:3]
	s_cbranch_execz .LBB788_175
.LBB788_174:
	v_sub_u32_e32 v2, v16, v6
	v_lshlrev_b32_e32 v2, 1, v2
	ds_write_b16 v2, v1
.LBB788_175:
	s_or_b64 exec, exec, s[4:5]
	s_and_b64 s[36:37], s[0:1], exec
                                        ; implicit-def: $vgpr12
                                        ; implicit-def: $vgpr10
                                        ; implicit-def: $vgpr8
	s_andn2_saveexec_b64 s[0:1], s[30:31]
	s_cbranch_execz .LBB788_107
.LBB788_176:
	v_sub_u32_e32 v2, v42, v6
	v_lshlrev_b32_e32 v2, 1, v2
	ds_write_b16 v2, v12
	v_sub_u32_e32 v2, v40, v6
	v_lshlrev_b32_e32 v2, 1, v2
	ds_write_b16_d16_hi v2, v12
	v_sub_u32_e32 v2, v38, v6
	v_lshlrev_b32_e32 v2, 1, v2
	ds_write_b16 v2, v13
	v_sub_u32_e32 v2, v36, v6
	v_lshlrev_b32_e32 v2, 1, v2
	ds_write_b16_d16_hi v2, v13
	;; [unrolled: 6-line block ×6, first 2 shown]
	v_sub_u32_e32 v2, v16, v6
	v_lshlrev_b32_e32 v2, 1, v2
	s_or_b64 s[36:37], s[36:37], exec
	ds_write_b16 v2, v1
	s_or_b64 exec, exec, s[0:1]
	s_and_b64 exec, exec, s[36:37]
	s_cbranch_execnz .LBB788_108
	s_branch .LBB788_109
.LBB788_177:
	s_and_saveexec_b64 s[36:37], s[26:27]
	s_cbranch_execnz .LBB788_233
; %bb.178:
	s_or_b64 exec, exec, s[36:37]
	s_and_saveexec_b64 s[36:37], s[24:25]
	s_cbranch_execnz .LBB788_234
.LBB788_179:
	s_or_b64 exec, exec, s[36:37]
	s_and_saveexec_b64 s[36:37], s[22:23]
	s_cbranch_execnz .LBB788_235
.LBB788_180:
	s_or_b64 exec, exec, s[36:37]
	s_and_saveexec_b64 s[36:37], s[20:21]
	s_cbranch_execnz .LBB788_236
.LBB788_181:
	s_or_b64 exec, exec, s[36:37]
	s_and_saveexec_b64 s[36:37], s[18:19]
	s_cbranch_execnz .LBB788_237
.LBB788_182:
	s_or_b64 exec, exec, s[36:37]
	s_and_saveexec_b64 s[36:37], s[16:17]
	s_cbranch_execnz .LBB788_238
.LBB788_183:
	s_or_b64 exec, exec, s[36:37]
	s_and_saveexec_b64 s[36:37], s[14:15]
	s_cbranch_execnz .LBB788_239
.LBB788_184:
	s_or_b64 exec, exec, s[36:37]
	s_and_saveexec_b64 s[36:37], s[12:13]
	s_cbranch_execnz .LBB788_240
.LBB788_185:
	s_or_b64 exec, exec, s[36:37]
	s_and_saveexec_b64 s[36:37], s[10:11]
	s_cbranch_execnz .LBB788_241
.LBB788_186:
	s_or_b64 exec, exec, s[36:37]
	s_and_saveexec_b64 s[36:37], s[8:9]
	s_cbranch_execnz .LBB788_242
.LBB788_187:
	s_or_b64 exec, exec, s[36:37]
	s_and_saveexec_b64 s[36:37], s[6:7]
	s_cbranch_execnz .LBB788_243
.LBB788_188:
	s_or_b64 exec, exec, s[36:37]
	s_and_saveexec_b64 s[36:37], s[4:5]
	s_cbranch_execnz .LBB788_244
.LBB788_189:
	s_or_b64 exec, exec, s[36:37]
	s_and_saveexec_b64 s[36:37], s[2:3]
	s_cbranch_execz .LBB788_191
.LBB788_190:
	v_sub_u32_e32 v48, v16, v5
	v_mov_b32_e32 v49, 0
	v_lshl_add_u64 v[50:51], v[48:49], 3, v[46:47]
	v_mov_b32_e32 v48, v17
	global_store_dwordx2 v[50:51], v[48:49], off
.LBB788_191:
	s_or_b64 exec, exec, s[36:37]
	s_and_b64 s[36:37], s[0:1], exec
	s_andn2_saveexec_b64 s[28:29], s[28:29]
	s_cbranch_execz .LBB788_127
.LBB788_192:
	v_mov_b32_e32 v49, 0
	v_sub_u32_e32 v50, v42, v5
	v_mov_b32_e32 v51, v49
	v_mov_b32_e32 v48, v43
	v_lshl_add_u64 v[50:51], v[50:51], 3, v[46:47]
	global_store_dwordx2 v[50:51], v[48:49], off
	v_sub_u32_e32 v50, v40, v5
	v_mov_b32_e32 v51, v49
	v_mov_b32_e32 v48, v41
	v_lshl_add_u64 v[50:51], v[50:51], 3, v[46:47]
	global_store_dwordx2 v[50:51], v[48:49], off
	;; [unrolled: 5-line block ×12, first 2 shown]
	v_sub_u32_e32 v50, v16, v5
	v_mov_b32_e32 v51, v49
	v_mov_b32_e32 v48, v17
	v_lshl_add_u64 v[50:51], v[50:51], 3, v[46:47]
	s_or_b64 s[36:37], s[36:37], exec
	global_store_dwordx2 v[50:51], v[48:49], off
	s_or_b64 exec, exec, s[28:29]
	s_and_b64 exec, exec, s[36:37]
	s_cbranch_execnz .LBB788_128
	s_branch .LBB788_129
.LBB788_193:
	s_and_saveexec_b64 s[36:37], s[26:27]
	s_cbranch_execnz .LBB788_245
; %bb.194:
	s_or_b64 exec, exec, s[36:37]
	s_and_saveexec_b64 s[26:27], s[24:25]
	s_cbranch_execnz .LBB788_246
.LBB788_195:
	s_or_b64 exec, exec, s[26:27]
	s_and_saveexec_b64 s[24:25], s[22:23]
	s_cbranch_execnz .LBB788_247
.LBB788_196:
	s_or_b64 exec, exec, s[24:25]
	s_and_saveexec_b64 s[22:23], s[20:21]
	s_cbranch_execnz .LBB788_248
.LBB788_197:
	s_or_b64 exec, exec, s[22:23]
	s_and_saveexec_b64 s[20:21], s[18:19]
	s_cbranch_execnz .LBB788_249
.LBB788_198:
	s_or_b64 exec, exec, s[20:21]
	s_and_saveexec_b64 s[18:19], s[16:17]
	s_cbranch_execnz .LBB788_250
.LBB788_199:
	s_or_b64 exec, exec, s[18:19]
	s_and_saveexec_b64 s[16:17], s[14:15]
	s_cbranch_execnz .LBB788_251
.LBB788_200:
	s_or_b64 exec, exec, s[16:17]
	s_and_saveexec_b64 s[14:15], s[12:13]
	s_cbranch_execnz .LBB788_252
.LBB788_201:
	s_or_b64 exec, exec, s[14:15]
	s_and_saveexec_b64 s[12:13], s[10:11]
	s_cbranch_execnz .LBB788_253
.LBB788_202:
	s_or_b64 exec, exec, s[12:13]
	s_and_saveexec_b64 s[10:11], s[8:9]
	s_cbranch_execnz .LBB788_254
.LBB788_203:
	s_or_b64 exec, exec, s[10:11]
	s_and_saveexec_b64 s[8:9], s[6:7]
	s_cbranch_execnz .LBB788_255
.LBB788_204:
	s_or_b64 exec, exec, s[8:9]
	s_and_saveexec_b64 s[6:7], s[4:5]
	s_cbranch_execnz .LBB788_256
.LBB788_205:
	s_or_b64 exec, exec, s[6:7]
	s_and_saveexec_b64 s[4:5], s[2:3]
	s_cbranch_execz .LBB788_207
.LBB788_206:
	v_sub_u32_e32 v15, v16, v5
	v_lshlrev_b32_e32 v15, 2, v15
	ds_write_b32 v15, v17
.LBB788_207:
	s_or_b64 exec, exec, s[4:5]
	s_and_b64 s[36:37], s[0:1], exec
                                        ; implicit-def: $vgpr16_vgpr17
                                        ; implicit-def: $vgpr20_vgpr21
                                        ; implicit-def: $vgpr22_vgpr23
                                        ; implicit-def: $vgpr42_vgpr43
                                        ; implicit-def: $vgpr40_vgpr41
                                        ; implicit-def: $vgpr38_vgpr39
                                        ; implicit-def: $vgpr36_vgpr37
                                        ; implicit-def: $vgpr34_vgpr35
                                        ; implicit-def: $vgpr32_vgpr33
                                        ; implicit-def: $vgpr30_vgpr31
                                        ; implicit-def: $vgpr28_vgpr29
                                        ; implicit-def: $vgpr26_vgpr27
                                        ; implicit-def: $vgpr24_vgpr25
	s_andn2_saveexec_b64 s[0:1], s[30:31]
	s_cbranch_execz .LBB788_134
.LBB788_208:
	v_sub_u32_e32 v15, v42, v5
	v_lshlrev_b32_e32 v15, 2, v15
	ds_write_b32 v15, v43
	v_sub_u32_e32 v15, v40, v5
	v_lshlrev_b32_e32 v15, 2, v15
	ds_write_b32 v15, v41
	v_sub_u32_e32 v15, v38, v5
	v_lshlrev_b32_e32 v15, 2, v15
	ds_write_b32 v15, v39
	v_sub_u32_e32 v15, v36, v5
	v_lshlrev_b32_e32 v15, 2, v15
	ds_write_b32 v15, v37
	v_sub_u32_e32 v15, v34, v5
	v_lshlrev_b32_e32 v15, 2, v15
	ds_write_b32 v15, v35
	v_sub_u32_e32 v15, v32, v5
	v_lshlrev_b32_e32 v15, 2, v15
	ds_write_b32 v15, v33
	v_sub_u32_e32 v15, v30, v5
	v_lshlrev_b32_e32 v15, 2, v15
	ds_write_b32 v15, v31
	v_sub_u32_e32 v15, v28, v5
	v_lshlrev_b32_e32 v15, 2, v15
	ds_write_b32 v15, v29
	v_sub_u32_e32 v15, v26, v5
	v_lshlrev_b32_e32 v15, 2, v15
	ds_write_b32 v15, v27
	v_sub_u32_e32 v15, v24, v5
	v_lshlrev_b32_e32 v15, 2, v15
	ds_write_b32 v15, v25
	v_sub_u32_e32 v15, v22, v5
	v_lshlrev_b32_e32 v15, 2, v15
	ds_write_b32 v15, v23
	v_sub_u32_e32 v15, v20, v5
	v_lshlrev_b32_e32 v15, 2, v15
	ds_write_b32 v15, v21
	v_sub_u32_e32 v15, v16, v5
	v_lshlrev_b32_e32 v15, 2, v15
	s_or_b64 s[36:37], s[36:37], exec
	ds_write_b32 v15, v17
	s_or_b64 exec, exec, s[0:1]
	s_and_b64 exec, exec, s[36:37]
	s_cbranch_execnz .LBB788_135
	s_branch .LBB788_136
.LBB788_209:
	v_sub_u32_e32 v62, v42, v6
	v_mov_b32_e32 v63, 0
	v_lshl_add_u64 v[62:63], v[62:63], 1, v[46:47]
	global_store_short v[62:63], v12, off
	s_or_b64 exec, exec, s[36:37]
	s_and_saveexec_b64 s[36:37], s[24:25]
	s_cbranch_execz .LBB788_147
.LBB788_210:
	v_sub_u32_e32 v62, v40, v6
	v_mov_b32_e32 v63, 0
	v_lshl_add_u64 v[62:63], v[62:63], 1, v[46:47]
	global_store_short_d16_hi v[62:63], v12, off
	s_or_b64 exec, exec, s[36:37]
	s_and_saveexec_b64 s[36:37], s[22:23]
	s_cbranch_execz .LBB788_148
.LBB788_211:
	v_sub_u32_e32 v62, v38, v6
	v_mov_b32_e32 v63, 0
	v_lshl_add_u64 v[62:63], v[62:63], 1, v[46:47]
	global_store_short v[62:63], v13, off
	s_or_b64 exec, exec, s[36:37]
	s_and_saveexec_b64 s[36:37], s[20:21]
	s_cbranch_execz .LBB788_149
.LBB788_212:
	v_sub_u32_e32 v62, v36, v6
	v_mov_b32_e32 v63, 0
	v_lshl_add_u64 v[62:63], v[62:63], 1, v[46:47]
	global_store_short_d16_hi v[62:63], v13, off
	s_or_b64 exec, exec, s[36:37]
	s_and_saveexec_b64 s[36:37], s[18:19]
	s_cbranch_execz .LBB788_150
.LBB788_213:
	v_sub_u32_e32 v62, v34, v6
	v_mov_b32_e32 v63, 0
	v_lshl_add_u64 v[62:63], v[62:63], 1, v[46:47]
	global_store_short v[62:63], v10, off
	s_or_b64 exec, exec, s[36:37]
	s_and_saveexec_b64 s[36:37], s[16:17]
	s_cbranch_execz .LBB788_151
.LBB788_214:
	v_sub_u32_e32 v62, v32, v6
	v_mov_b32_e32 v63, 0
	v_lshl_add_u64 v[62:63], v[62:63], 1, v[46:47]
	global_store_short_d16_hi v[62:63], v10, off
	s_or_b64 exec, exec, s[36:37]
	s_and_saveexec_b64 s[36:37], s[14:15]
	s_cbranch_execz .LBB788_152
.LBB788_215:
	v_sub_u32_e32 v62, v30, v6
	v_mov_b32_e32 v63, 0
	v_lshl_add_u64 v[62:63], v[62:63], 1, v[46:47]
	global_store_short v[62:63], v11, off
	s_or_b64 exec, exec, s[36:37]
	s_and_saveexec_b64 s[36:37], s[12:13]
	s_cbranch_execz .LBB788_153
.LBB788_216:
	v_sub_u32_e32 v62, v28, v6
	v_mov_b32_e32 v63, 0
	v_lshl_add_u64 v[62:63], v[62:63], 1, v[46:47]
	global_store_short_d16_hi v[62:63], v11, off
	s_or_b64 exec, exec, s[36:37]
	s_and_saveexec_b64 s[36:37], s[10:11]
	s_cbranch_execz .LBB788_154
.LBB788_217:
	v_sub_u32_e32 v62, v26, v6
	v_mov_b32_e32 v63, 0
	v_lshl_add_u64 v[62:63], v[62:63], 1, v[46:47]
	global_store_short v[62:63], v8, off
	s_or_b64 exec, exec, s[36:37]
	s_and_saveexec_b64 s[36:37], s[8:9]
	s_cbranch_execz .LBB788_155
.LBB788_218:
	v_sub_u32_e32 v62, v24, v6
	v_mov_b32_e32 v63, 0
	v_lshl_add_u64 v[62:63], v[62:63], 1, v[46:47]
	global_store_short_d16_hi v[62:63], v8, off
	s_or_b64 exec, exec, s[36:37]
	s_and_saveexec_b64 s[36:37], s[6:7]
	s_cbranch_execz .LBB788_156
.LBB788_219:
	v_sub_u32_e32 v62, v22, v6
	v_mov_b32_e32 v63, 0
	v_lshl_add_u64 v[62:63], v[62:63], 1, v[46:47]
	global_store_short v[62:63], v9, off
	s_or_b64 exec, exec, s[36:37]
	s_and_saveexec_b64 s[36:37], s[4:5]
	s_cbranch_execz .LBB788_157
.LBB788_220:
	v_sub_u32_e32 v62, v20, v6
	v_mov_b32_e32 v63, 0
	v_lshl_add_u64 v[62:63], v[62:63], 1, v[46:47]
	global_store_short_d16_hi v[62:63], v9, off
	s_or_b64 exec, exec, s[36:37]
	s_and_saveexec_b64 s[36:37], s[2:3]
	s_cbranch_execnz .LBB788_158
	s_branch .LBB788_159
.LBB788_221:
	v_sub_u32_e32 v2, v42, v6
	v_lshlrev_b32_e32 v2, 1, v2
	ds_write_b16 v2, v12
	s_or_b64 exec, exec, s[36:37]
	s_and_saveexec_b64 s[26:27], s[24:25]
	s_cbranch_execz .LBB788_163
.LBB788_222:
	v_sub_u32_e32 v2, v40, v6
	v_lshlrev_b32_e32 v2, 1, v2
	ds_write_b16_d16_hi v2, v12
	s_or_b64 exec, exec, s[26:27]
	s_and_saveexec_b64 s[24:25], s[22:23]
	s_cbranch_execz .LBB788_164
.LBB788_223:
	v_sub_u32_e32 v2, v38, v6
	v_lshlrev_b32_e32 v2, 1, v2
	ds_write_b16 v2, v13
	s_or_b64 exec, exec, s[24:25]
	s_and_saveexec_b64 s[22:23], s[20:21]
	s_cbranch_execz .LBB788_165
.LBB788_224:
	v_sub_u32_e32 v2, v36, v6
	v_lshlrev_b32_e32 v2, 1, v2
	ds_write_b16_d16_hi v2, v13
	s_or_b64 exec, exec, s[22:23]
	s_and_saveexec_b64 s[20:21], s[18:19]
	s_cbranch_execz .LBB788_166
.LBB788_225:
	v_sub_u32_e32 v2, v34, v6
	v_lshlrev_b32_e32 v2, 1, v2
	ds_write_b16 v2, v10
	s_or_b64 exec, exec, s[20:21]
	s_and_saveexec_b64 s[18:19], s[16:17]
	s_cbranch_execz .LBB788_167
.LBB788_226:
	v_sub_u32_e32 v2, v32, v6
	v_lshlrev_b32_e32 v2, 1, v2
	ds_write_b16_d16_hi v2, v10
	s_or_b64 exec, exec, s[18:19]
	s_and_saveexec_b64 s[16:17], s[14:15]
	s_cbranch_execz .LBB788_168
.LBB788_227:
	v_sub_u32_e32 v2, v30, v6
	v_lshlrev_b32_e32 v2, 1, v2
	ds_write_b16 v2, v11
	s_or_b64 exec, exec, s[16:17]
	s_and_saveexec_b64 s[14:15], s[12:13]
	s_cbranch_execz .LBB788_169
.LBB788_228:
	v_sub_u32_e32 v2, v28, v6
	v_lshlrev_b32_e32 v2, 1, v2
	ds_write_b16_d16_hi v2, v11
	s_or_b64 exec, exec, s[14:15]
	s_and_saveexec_b64 s[12:13], s[10:11]
	s_cbranch_execz .LBB788_170
.LBB788_229:
	v_sub_u32_e32 v2, v26, v6
	v_lshlrev_b32_e32 v2, 1, v2
	ds_write_b16 v2, v8
	s_or_b64 exec, exec, s[12:13]
	s_and_saveexec_b64 s[10:11], s[8:9]
	s_cbranch_execz .LBB788_171
.LBB788_230:
	v_sub_u32_e32 v2, v24, v6
	v_lshlrev_b32_e32 v2, 1, v2
	ds_write_b16_d16_hi v2, v8
	s_or_b64 exec, exec, s[10:11]
	s_and_saveexec_b64 s[8:9], s[6:7]
	s_cbranch_execz .LBB788_172
.LBB788_231:
	v_sub_u32_e32 v2, v22, v6
	v_lshlrev_b32_e32 v2, 1, v2
	ds_write_b16 v2, v9
	s_or_b64 exec, exec, s[8:9]
	s_and_saveexec_b64 s[6:7], s[4:5]
	s_cbranch_execz .LBB788_173
.LBB788_232:
	v_sub_u32_e32 v2, v20, v6
	v_lshlrev_b32_e32 v2, 1, v2
	ds_write_b16_d16_hi v2, v9
	s_or_b64 exec, exec, s[6:7]
	s_and_saveexec_b64 s[4:5], s[2:3]
	s_cbranch_execnz .LBB788_174
	s_branch .LBB788_175
.LBB788_233:
	v_sub_u32_e32 v48, v42, v5
	v_mov_b32_e32 v49, 0
	v_lshl_add_u64 v[50:51], v[48:49], 3, v[46:47]
	v_mov_b32_e32 v48, v43
	global_store_dwordx2 v[50:51], v[48:49], off
	s_or_b64 exec, exec, s[36:37]
	s_and_saveexec_b64 s[36:37], s[24:25]
	s_cbranch_execz .LBB788_179
.LBB788_234:
	v_sub_u32_e32 v48, v40, v5
	v_mov_b32_e32 v49, 0
	v_lshl_add_u64 v[50:51], v[48:49], 3, v[46:47]
	v_mov_b32_e32 v48, v41
	global_store_dwordx2 v[50:51], v[48:49], off
	s_or_b64 exec, exec, s[36:37]
	s_and_saveexec_b64 s[36:37], s[22:23]
	s_cbranch_execz .LBB788_180
.LBB788_235:
	v_sub_u32_e32 v48, v38, v5
	v_mov_b32_e32 v49, 0
	v_lshl_add_u64 v[50:51], v[48:49], 3, v[46:47]
	v_mov_b32_e32 v48, v39
	global_store_dwordx2 v[50:51], v[48:49], off
	s_or_b64 exec, exec, s[36:37]
	s_and_saveexec_b64 s[36:37], s[20:21]
	s_cbranch_execz .LBB788_181
.LBB788_236:
	v_sub_u32_e32 v48, v36, v5
	v_mov_b32_e32 v49, 0
	v_lshl_add_u64 v[50:51], v[48:49], 3, v[46:47]
	v_mov_b32_e32 v48, v37
	global_store_dwordx2 v[50:51], v[48:49], off
	s_or_b64 exec, exec, s[36:37]
	s_and_saveexec_b64 s[36:37], s[18:19]
	s_cbranch_execz .LBB788_182
.LBB788_237:
	v_sub_u32_e32 v48, v34, v5
	v_mov_b32_e32 v49, 0
	v_lshl_add_u64 v[50:51], v[48:49], 3, v[46:47]
	v_mov_b32_e32 v48, v35
	global_store_dwordx2 v[50:51], v[48:49], off
	s_or_b64 exec, exec, s[36:37]
	s_and_saveexec_b64 s[36:37], s[16:17]
	s_cbranch_execz .LBB788_183
.LBB788_238:
	v_sub_u32_e32 v48, v32, v5
	v_mov_b32_e32 v49, 0
	v_lshl_add_u64 v[50:51], v[48:49], 3, v[46:47]
	v_mov_b32_e32 v48, v33
	global_store_dwordx2 v[50:51], v[48:49], off
	s_or_b64 exec, exec, s[36:37]
	s_and_saveexec_b64 s[36:37], s[14:15]
	s_cbranch_execz .LBB788_184
.LBB788_239:
	v_sub_u32_e32 v48, v30, v5
	v_mov_b32_e32 v49, 0
	v_lshl_add_u64 v[50:51], v[48:49], 3, v[46:47]
	v_mov_b32_e32 v48, v31
	global_store_dwordx2 v[50:51], v[48:49], off
	s_or_b64 exec, exec, s[36:37]
	s_and_saveexec_b64 s[36:37], s[12:13]
	s_cbranch_execz .LBB788_185
.LBB788_240:
	v_sub_u32_e32 v48, v28, v5
	v_mov_b32_e32 v49, 0
	v_lshl_add_u64 v[50:51], v[48:49], 3, v[46:47]
	v_mov_b32_e32 v48, v29
	global_store_dwordx2 v[50:51], v[48:49], off
	s_or_b64 exec, exec, s[36:37]
	s_and_saveexec_b64 s[36:37], s[10:11]
	s_cbranch_execz .LBB788_186
.LBB788_241:
	v_sub_u32_e32 v48, v26, v5
	v_mov_b32_e32 v49, 0
	v_lshl_add_u64 v[50:51], v[48:49], 3, v[46:47]
	v_mov_b32_e32 v48, v27
	global_store_dwordx2 v[50:51], v[48:49], off
	s_or_b64 exec, exec, s[36:37]
	s_and_saveexec_b64 s[36:37], s[8:9]
	s_cbranch_execz .LBB788_187
.LBB788_242:
	v_sub_u32_e32 v48, v24, v5
	v_mov_b32_e32 v49, 0
	v_lshl_add_u64 v[50:51], v[48:49], 3, v[46:47]
	v_mov_b32_e32 v48, v25
	global_store_dwordx2 v[50:51], v[48:49], off
	s_or_b64 exec, exec, s[36:37]
	s_and_saveexec_b64 s[36:37], s[6:7]
	s_cbranch_execz .LBB788_188
.LBB788_243:
	v_sub_u32_e32 v48, v22, v5
	v_mov_b32_e32 v49, 0
	v_lshl_add_u64 v[50:51], v[48:49], 3, v[46:47]
	v_mov_b32_e32 v48, v23
	global_store_dwordx2 v[50:51], v[48:49], off
	s_or_b64 exec, exec, s[36:37]
	s_and_saveexec_b64 s[36:37], s[4:5]
	s_cbranch_execz .LBB788_189
.LBB788_244:
	v_sub_u32_e32 v48, v20, v5
	v_mov_b32_e32 v49, 0
	v_lshl_add_u64 v[50:51], v[48:49], 3, v[46:47]
	v_mov_b32_e32 v48, v21
	global_store_dwordx2 v[50:51], v[48:49], off
	s_or_b64 exec, exec, s[36:37]
	s_and_saveexec_b64 s[36:37], s[2:3]
	s_cbranch_execnz .LBB788_190
	s_branch .LBB788_191
.LBB788_245:
	v_sub_u32_e32 v15, v42, v5
	v_lshlrev_b32_e32 v15, 2, v15
	ds_write_b32 v15, v43
	s_or_b64 exec, exec, s[36:37]
	s_and_saveexec_b64 s[26:27], s[24:25]
	s_cbranch_execz .LBB788_195
.LBB788_246:
	v_sub_u32_e32 v15, v40, v5
	v_lshlrev_b32_e32 v15, 2, v15
	ds_write_b32 v15, v41
	s_or_b64 exec, exec, s[26:27]
	s_and_saveexec_b64 s[24:25], s[22:23]
	s_cbranch_execz .LBB788_196
.LBB788_247:
	v_sub_u32_e32 v15, v38, v5
	v_lshlrev_b32_e32 v15, 2, v15
	ds_write_b32 v15, v39
	s_or_b64 exec, exec, s[24:25]
	s_and_saveexec_b64 s[22:23], s[20:21]
	s_cbranch_execz .LBB788_197
.LBB788_248:
	v_sub_u32_e32 v15, v36, v5
	v_lshlrev_b32_e32 v15, 2, v15
	ds_write_b32 v15, v37
	s_or_b64 exec, exec, s[22:23]
	s_and_saveexec_b64 s[20:21], s[18:19]
	s_cbranch_execz .LBB788_198
.LBB788_249:
	v_sub_u32_e32 v15, v34, v5
	v_lshlrev_b32_e32 v15, 2, v15
	ds_write_b32 v15, v35
	s_or_b64 exec, exec, s[20:21]
	s_and_saveexec_b64 s[18:19], s[16:17]
	s_cbranch_execz .LBB788_199
.LBB788_250:
	v_sub_u32_e32 v15, v32, v5
	v_lshlrev_b32_e32 v15, 2, v15
	ds_write_b32 v15, v33
	s_or_b64 exec, exec, s[18:19]
	s_and_saveexec_b64 s[16:17], s[14:15]
	s_cbranch_execz .LBB788_200
.LBB788_251:
	v_sub_u32_e32 v15, v30, v5
	v_lshlrev_b32_e32 v15, 2, v15
	ds_write_b32 v15, v31
	s_or_b64 exec, exec, s[16:17]
	s_and_saveexec_b64 s[14:15], s[12:13]
	s_cbranch_execz .LBB788_201
.LBB788_252:
	v_sub_u32_e32 v15, v28, v5
	v_lshlrev_b32_e32 v15, 2, v15
	ds_write_b32 v15, v29
	s_or_b64 exec, exec, s[14:15]
	s_and_saveexec_b64 s[12:13], s[10:11]
	s_cbranch_execz .LBB788_202
.LBB788_253:
	v_sub_u32_e32 v15, v26, v5
	v_lshlrev_b32_e32 v15, 2, v15
	ds_write_b32 v15, v27
	s_or_b64 exec, exec, s[12:13]
	s_and_saveexec_b64 s[10:11], s[8:9]
	s_cbranch_execz .LBB788_203
.LBB788_254:
	v_sub_u32_e32 v15, v24, v5
	v_lshlrev_b32_e32 v15, 2, v15
	ds_write_b32 v15, v25
	s_or_b64 exec, exec, s[10:11]
	s_and_saveexec_b64 s[8:9], s[6:7]
	s_cbranch_execz .LBB788_204
.LBB788_255:
	v_sub_u32_e32 v15, v22, v5
	v_lshlrev_b32_e32 v15, 2, v15
	ds_write_b32 v15, v23
	s_or_b64 exec, exec, s[8:9]
	s_and_saveexec_b64 s[6:7], s[4:5]
	s_cbranch_execz .LBB788_205
.LBB788_256:
	v_sub_u32_e32 v15, v20, v5
	v_lshlrev_b32_e32 v15, 2, v15
	ds_write_b32 v15, v21
	s_or_b64 exec, exec, s[6:7]
	s_and_saveexec_b64 s[4:5], s[2:3]
	s_cbranch_execnz .LBB788_206
	s_branch .LBB788_207
	.section	.rodata,"a",@progbits
	.p2align	6, 0x0
	.amdhsa_kernel _ZN7rocprim17ROCPRIM_400000_NS6detail17trampoline_kernelINS0_14default_configENS1_33run_length_encode_config_selectorItjNS0_4plusIjEEEEZZNS1_33reduce_by_key_impl_wrapped_configILNS1_25lookback_scan_determinismE0ES3_S7_PKtNS0_17constant_iteratorIjlEEPtPlSF_S6_NS0_8equal_toItEEEE10hipError_tPvRmT2_T3_mT4_T5_T6_T7_T8_P12ihipStream_tbENKUlT_T0_E_clISt17integral_constantIbLb0EESZ_EEDaSU_SV_EUlSU_E_NS1_11comp_targetILNS1_3genE5ELNS1_11target_archE942ELNS1_3gpuE9ELNS1_3repE0EEENS1_30default_config_static_selectorELNS0_4arch9wavefront6targetE1EEEvT1_
		.amdhsa_group_segment_fixed_size 28672
		.amdhsa_private_segment_fixed_size 0
		.amdhsa_kernarg_size 128
		.amdhsa_user_sgpr_count 2
		.amdhsa_user_sgpr_dispatch_ptr 0
		.amdhsa_user_sgpr_queue_ptr 0
		.amdhsa_user_sgpr_kernarg_segment_ptr 1
		.amdhsa_user_sgpr_dispatch_id 0
		.amdhsa_user_sgpr_kernarg_preload_length 0
		.amdhsa_user_sgpr_kernarg_preload_offset 0
		.amdhsa_user_sgpr_private_segment_size 0
		.amdhsa_uses_dynamic_stack 0
		.amdhsa_enable_private_segment 0
		.amdhsa_system_sgpr_workgroup_id_x 1
		.amdhsa_system_sgpr_workgroup_id_y 0
		.amdhsa_system_sgpr_workgroup_id_z 0
		.amdhsa_system_sgpr_workgroup_info 0
		.amdhsa_system_vgpr_workitem_id 0
		.amdhsa_next_free_vgpr 105
		.amdhsa_next_free_sgpr 62
		.amdhsa_accum_offset 108
		.amdhsa_reserve_vcc 1
		.amdhsa_float_round_mode_32 0
		.amdhsa_float_round_mode_16_64 0
		.amdhsa_float_denorm_mode_32 3
		.amdhsa_float_denorm_mode_16_64 3
		.amdhsa_dx10_clamp 1
		.amdhsa_ieee_mode 1
		.amdhsa_fp16_overflow 0
		.amdhsa_tg_split 0
		.amdhsa_exception_fp_ieee_invalid_op 0
		.amdhsa_exception_fp_denorm_src 0
		.amdhsa_exception_fp_ieee_div_zero 0
		.amdhsa_exception_fp_ieee_overflow 0
		.amdhsa_exception_fp_ieee_underflow 0
		.amdhsa_exception_fp_ieee_inexact 0
		.amdhsa_exception_int_div_zero 0
	.end_amdhsa_kernel
	.section	.text._ZN7rocprim17ROCPRIM_400000_NS6detail17trampoline_kernelINS0_14default_configENS1_33run_length_encode_config_selectorItjNS0_4plusIjEEEEZZNS1_33reduce_by_key_impl_wrapped_configILNS1_25lookback_scan_determinismE0ES3_S7_PKtNS0_17constant_iteratorIjlEEPtPlSF_S6_NS0_8equal_toItEEEE10hipError_tPvRmT2_T3_mT4_T5_T6_T7_T8_P12ihipStream_tbENKUlT_T0_E_clISt17integral_constantIbLb0EESZ_EEDaSU_SV_EUlSU_E_NS1_11comp_targetILNS1_3genE5ELNS1_11target_archE942ELNS1_3gpuE9ELNS1_3repE0EEENS1_30default_config_static_selectorELNS0_4arch9wavefront6targetE1EEEvT1_,"axG",@progbits,_ZN7rocprim17ROCPRIM_400000_NS6detail17trampoline_kernelINS0_14default_configENS1_33run_length_encode_config_selectorItjNS0_4plusIjEEEEZZNS1_33reduce_by_key_impl_wrapped_configILNS1_25lookback_scan_determinismE0ES3_S7_PKtNS0_17constant_iteratorIjlEEPtPlSF_S6_NS0_8equal_toItEEEE10hipError_tPvRmT2_T3_mT4_T5_T6_T7_T8_P12ihipStream_tbENKUlT_T0_E_clISt17integral_constantIbLb0EESZ_EEDaSU_SV_EUlSU_E_NS1_11comp_targetILNS1_3genE5ELNS1_11target_archE942ELNS1_3gpuE9ELNS1_3repE0EEENS1_30default_config_static_selectorELNS0_4arch9wavefront6targetE1EEEvT1_,comdat
.Lfunc_end788:
	.size	_ZN7rocprim17ROCPRIM_400000_NS6detail17trampoline_kernelINS0_14default_configENS1_33run_length_encode_config_selectorItjNS0_4plusIjEEEEZZNS1_33reduce_by_key_impl_wrapped_configILNS1_25lookback_scan_determinismE0ES3_S7_PKtNS0_17constant_iteratorIjlEEPtPlSF_S6_NS0_8equal_toItEEEE10hipError_tPvRmT2_T3_mT4_T5_T6_T7_T8_P12ihipStream_tbENKUlT_T0_E_clISt17integral_constantIbLb0EESZ_EEDaSU_SV_EUlSU_E_NS1_11comp_targetILNS1_3genE5ELNS1_11target_archE942ELNS1_3gpuE9ELNS1_3repE0EEENS1_30default_config_static_selectorELNS0_4arch9wavefront6targetE1EEEvT1_, .Lfunc_end788-_ZN7rocprim17ROCPRIM_400000_NS6detail17trampoline_kernelINS0_14default_configENS1_33run_length_encode_config_selectorItjNS0_4plusIjEEEEZZNS1_33reduce_by_key_impl_wrapped_configILNS1_25lookback_scan_determinismE0ES3_S7_PKtNS0_17constant_iteratorIjlEEPtPlSF_S6_NS0_8equal_toItEEEE10hipError_tPvRmT2_T3_mT4_T5_T6_T7_T8_P12ihipStream_tbENKUlT_T0_E_clISt17integral_constantIbLb0EESZ_EEDaSU_SV_EUlSU_E_NS1_11comp_targetILNS1_3genE5ELNS1_11target_archE942ELNS1_3gpuE9ELNS1_3repE0EEENS1_30default_config_static_selectorELNS0_4arch9wavefront6targetE1EEEvT1_
                                        ; -- End function
	.section	.AMDGPU.csdata,"",@progbits
; Kernel info:
; codeLenInByte = 14212
; NumSgprs: 68
; NumVgprs: 105
; NumAgprs: 0
; TotalNumVgprs: 105
; ScratchSize: 0
; MemoryBound: 0
; FloatMode: 240
; IeeeMode: 1
; LDSByteSize: 28672 bytes/workgroup (compile time only)
; SGPRBlocks: 8
; VGPRBlocks: 13
; NumSGPRsForWavesPerEU: 68
; NumVGPRsForWavesPerEU: 105
; AccumOffset: 108
; Occupancy: 4
; WaveLimiterHint : 1
; COMPUTE_PGM_RSRC2:SCRATCH_EN: 0
; COMPUTE_PGM_RSRC2:USER_SGPR: 2
; COMPUTE_PGM_RSRC2:TRAP_HANDLER: 0
; COMPUTE_PGM_RSRC2:TGID_X_EN: 1
; COMPUTE_PGM_RSRC2:TGID_Y_EN: 0
; COMPUTE_PGM_RSRC2:TGID_Z_EN: 0
; COMPUTE_PGM_RSRC2:TIDIG_COMP_CNT: 0
; COMPUTE_PGM_RSRC3_GFX90A:ACCUM_OFFSET: 26
; COMPUTE_PGM_RSRC3_GFX90A:TG_SPLIT: 0
	.section	.text._ZN7rocprim17ROCPRIM_400000_NS6detail17trampoline_kernelINS0_14default_configENS1_33run_length_encode_config_selectorItjNS0_4plusIjEEEEZZNS1_33reduce_by_key_impl_wrapped_configILNS1_25lookback_scan_determinismE0ES3_S7_PKtNS0_17constant_iteratorIjlEEPtPlSF_S6_NS0_8equal_toItEEEE10hipError_tPvRmT2_T3_mT4_T5_T6_T7_T8_P12ihipStream_tbENKUlT_T0_E_clISt17integral_constantIbLb0EESZ_EEDaSU_SV_EUlSU_E_NS1_11comp_targetILNS1_3genE4ELNS1_11target_archE910ELNS1_3gpuE8ELNS1_3repE0EEENS1_30default_config_static_selectorELNS0_4arch9wavefront6targetE1EEEvT1_,"axG",@progbits,_ZN7rocprim17ROCPRIM_400000_NS6detail17trampoline_kernelINS0_14default_configENS1_33run_length_encode_config_selectorItjNS0_4plusIjEEEEZZNS1_33reduce_by_key_impl_wrapped_configILNS1_25lookback_scan_determinismE0ES3_S7_PKtNS0_17constant_iteratorIjlEEPtPlSF_S6_NS0_8equal_toItEEEE10hipError_tPvRmT2_T3_mT4_T5_T6_T7_T8_P12ihipStream_tbENKUlT_T0_E_clISt17integral_constantIbLb0EESZ_EEDaSU_SV_EUlSU_E_NS1_11comp_targetILNS1_3genE4ELNS1_11target_archE910ELNS1_3gpuE8ELNS1_3repE0EEENS1_30default_config_static_selectorELNS0_4arch9wavefront6targetE1EEEvT1_,comdat
	.protected	_ZN7rocprim17ROCPRIM_400000_NS6detail17trampoline_kernelINS0_14default_configENS1_33run_length_encode_config_selectorItjNS0_4plusIjEEEEZZNS1_33reduce_by_key_impl_wrapped_configILNS1_25lookback_scan_determinismE0ES3_S7_PKtNS0_17constant_iteratorIjlEEPtPlSF_S6_NS0_8equal_toItEEEE10hipError_tPvRmT2_T3_mT4_T5_T6_T7_T8_P12ihipStream_tbENKUlT_T0_E_clISt17integral_constantIbLb0EESZ_EEDaSU_SV_EUlSU_E_NS1_11comp_targetILNS1_3genE4ELNS1_11target_archE910ELNS1_3gpuE8ELNS1_3repE0EEENS1_30default_config_static_selectorELNS0_4arch9wavefront6targetE1EEEvT1_ ; -- Begin function _ZN7rocprim17ROCPRIM_400000_NS6detail17trampoline_kernelINS0_14default_configENS1_33run_length_encode_config_selectorItjNS0_4plusIjEEEEZZNS1_33reduce_by_key_impl_wrapped_configILNS1_25lookback_scan_determinismE0ES3_S7_PKtNS0_17constant_iteratorIjlEEPtPlSF_S6_NS0_8equal_toItEEEE10hipError_tPvRmT2_T3_mT4_T5_T6_T7_T8_P12ihipStream_tbENKUlT_T0_E_clISt17integral_constantIbLb0EESZ_EEDaSU_SV_EUlSU_E_NS1_11comp_targetILNS1_3genE4ELNS1_11target_archE910ELNS1_3gpuE8ELNS1_3repE0EEENS1_30default_config_static_selectorELNS0_4arch9wavefront6targetE1EEEvT1_
	.globl	_ZN7rocprim17ROCPRIM_400000_NS6detail17trampoline_kernelINS0_14default_configENS1_33run_length_encode_config_selectorItjNS0_4plusIjEEEEZZNS1_33reduce_by_key_impl_wrapped_configILNS1_25lookback_scan_determinismE0ES3_S7_PKtNS0_17constant_iteratorIjlEEPtPlSF_S6_NS0_8equal_toItEEEE10hipError_tPvRmT2_T3_mT4_T5_T6_T7_T8_P12ihipStream_tbENKUlT_T0_E_clISt17integral_constantIbLb0EESZ_EEDaSU_SV_EUlSU_E_NS1_11comp_targetILNS1_3genE4ELNS1_11target_archE910ELNS1_3gpuE8ELNS1_3repE0EEENS1_30default_config_static_selectorELNS0_4arch9wavefront6targetE1EEEvT1_
	.p2align	8
	.type	_ZN7rocprim17ROCPRIM_400000_NS6detail17trampoline_kernelINS0_14default_configENS1_33run_length_encode_config_selectorItjNS0_4plusIjEEEEZZNS1_33reduce_by_key_impl_wrapped_configILNS1_25lookback_scan_determinismE0ES3_S7_PKtNS0_17constant_iteratorIjlEEPtPlSF_S6_NS0_8equal_toItEEEE10hipError_tPvRmT2_T3_mT4_T5_T6_T7_T8_P12ihipStream_tbENKUlT_T0_E_clISt17integral_constantIbLb0EESZ_EEDaSU_SV_EUlSU_E_NS1_11comp_targetILNS1_3genE4ELNS1_11target_archE910ELNS1_3gpuE8ELNS1_3repE0EEENS1_30default_config_static_selectorELNS0_4arch9wavefront6targetE1EEEvT1_,@function
_ZN7rocprim17ROCPRIM_400000_NS6detail17trampoline_kernelINS0_14default_configENS1_33run_length_encode_config_selectorItjNS0_4plusIjEEEEZZNS1_33reduce_by_key_impl_wrapped_configILNS1_25lookback_scan_determinismE0ES3_S7_PKtNS0_17constant_iteratorIjlEEPtPlSF_S6_NS0_8equal_toItEEEE10hipError_tPvRmT2_T3_mT4_T5_T6_T7_T8_P12ihipStream_tbENKUlT_T0_E_clISt17integral_constantIbLb0EESZ_EEDaSU_SV_EUlSU_E_NS1_11comp_targetILNS1_3genE4ELNS1_11target_archE910ELNS1_3gpuE8ELNS1_3repE0EEENS1_30default_config_static_selectorELNS0_4arch9wavefront6targetE1EEEvT1_: ; @_ZN7rocprim17ROCPRIM_400000_NS6detail17trampoline_kernelINS0_14default_configENS1_33run_length_encode_config_selectorItjNS0_4plusIjEEEEZZNS1_33reduce_by_key_impl_wrapped_configILNS1_25lookback_scan_determinismE0ES3_S7_PKtNS0_17constant_iteratorIjlEEPtPlSF_S6_NS0_8equal_toItEEEE10hipError_tPvRmT2_T3_mT4_T5_T6_T7_T8_P12ihipStream_tbENKUlT_T0_E_clISt17integral_constantIbLb0EESZ_EEDaSU_SV_EUlSU_E_NS1_11comp_targetILNS1_3genE4ELNS1_11target_archE910ELNS1_3gpuE8ELNS1_3repE0EEENS1_30default_config_static_selectorELNS0_4arch9wavefront6targetE1EEEvT1_
; %bb.0:
	.section	.rodata,"a",@progbits
	.p2align	6, 0x0
	.amdhsa_kernel _ZN7rocprim17ROCPRIM_400000_NS6detail17trampoline_kernelINS0_14default_configENS1_33run_length_encode_config_selectorItjNS0_4plusIjEEEEZZNS1_33reduce_by_key_impl_wrapped_configILNS1_25lookback_scan_determinismE0ES3_S7_PKtNS0_17constant_iteratorIjlEEPtPlSF_S6_NS0_8equal_toItEEEE10hipError_tPvRmT2_T3_mT4_T5_T6_T7_T8_P12ihipStream_tbENKUlT_T0_E_clISt17integral_constantIbLb0EESZ_EEDaSU_SV_EUlSU_E_NS1_11comp_targetILNS1_3genE4ELNS1_11target_archE910ELNS1_3gpuE8ELNS1_3repE0EEENS1_30default_config_static_selectorELNS0_4arch9wavefront6targetE1EEEvT1_
		.amdhsa_group_segment_fixed_size 0
		.amdhsa_private_segment_fixed_size 0
		.amdhsa_kernarg_size 128
		.amdhsa_user_sgpr_count 2
		.amdhsa_user_sgpr_dispatch_ptr 0
		.amdhsa_user_sgpr_queue_ptr 0
		.amdhsa_user_sgpr_kernarg_segment_ptr 1
		.amdhsa_user_sgpr_dispatch_id 0
		.amdhsa_user_sgpr_kernarg_preload_length 0
		.amdhsa_user_sgpr_kernarg_preload_offset 0
		.amdhsa_user_sgpr_private_segment_size 0
		.amdhsa_uses_dynamic_stack 0
		.amdhsa_enable_private_segment 0
		.amdhsa_system_sgpr_workgroup_id_x 1
		.amdhsa_system_sgpr_workgroup_id_y 0
		.amdhsa_system_sgpr_workgroup_id_z 0
		.amdhsa_system_sgpr_workgroup_info 0
		.amdhsa_system_vgpr_workitem_id 0
		.amdhsa_next_free_vgpr 1
		.amdhsa_next_free_sgpr 0
		.amdhsa_accum_offset 4
		.amdhsa_reserve_vcc 0
		.amdhsa_float_round_mode_32 0
		.amdhsa_float_round_mode_16_64 0
		.amdhsa_float_denorm_mode_32 3
		.amdhsa_float_denorm_mode_16_64 3
		.amdhsa_dx10_clamp 1
		.amdhsa_ieee_mode 1
		.amdhsa_fp16_overflow 0
		.amdhsa_tg_split 0
		.amdhsa_exception_fp_ieee_invalid_op 0
		.amdhsa_exception_fp_denorm_src 0
		.amdhsa_exception_fp_ieee_div_zero 0
		.amdhsa_exception_fp_ieee_overflow 0
		.amdhsa_exception_fp_ieee_underflow 0
		.amdhsa_exception_fp_ieee_inexact 0
		.amdhsa_exception_int_div_zero 0
	.end_amdhsa_kernel
	.section	.text._ZN7rocprim17ROCPRIM_400000_NS6detail17trampoline_kernelINS0_14default_configENS1_33run_length_encode_config_selectorItjNS0_4plusIjEEEEZZNS1_33reduce_by_key_impl_wrapped_configILNS1_25lookback_scan_determinismE0ES3_S7_PKtNS0_17constant_iteratorIjlEEPtPlSF_S6_NS0_8equal_toItEEEE10hipError_tPvRmT2_T3_mT4_T5_T6_T7_T8_P12ihipStream_tbENKUlT_T0_E_clISt17integral_constantIbLb0EESZ_EEDaSU_SV_EUlSU_E_NS1_11comp_targetILNS1_3genE4ELNS1_11target_archE910ELNS1_3gpuE8ELNS1_3repE0EEENS1_30default_config_static_selectorELNS0_4arch9wavefront6targetE1EEEvT1_,"axG",@progbits,_ZN7rocprim17ROCPRIM_400000_NS6detail17trampoline_kernelINS0_14default_configENS1_33run_length_encode_config_selectorItjNS0_4plusIjEEEEZZNS1_33reduce_by_key_impl_wrapped_configILNS1_25lookback_scan_determinismE0ES3_S7_PKtNS0_17constant_iteratorIjlEEPtPlSF_S6_NS0_8equal_toItEEEE10hipError_tPvRmT2_T3_mT4_T5_T6_T7_T8_P12ihipStream_tbENKUlT_T0_E_clISt17integral_constantIbLb0EESZ_EEDaSU_SV_EUlSU_E_NS1_11comp_targetILNS1_3genE4ELNS1_11target_archE910ELNS1_3gpuE8ELNS1_3repE0EEENS1_30default_config_static_selectorELNS0_4arch9wavefront6targetE1EEEvT1_,comdat
.Lfunc_end789:
	.size	_ZN7rocprim17ROCPRIM_400000_NS6detail17trampoline_kernelINS0_14default_configENS1_33run_length_encode_config_selectorItjNS0_4plusIjEEEEZZNS1_33reduce_by_key_impl_wrapped_configILNS1_25lookback_scan_determinismE0ES3_S7_PKtNS0_17constant_iteratorIjlEEPtPlSF_S6_NS0_8equal_toItEEEE10hipError_tPvRmT2_T3_mT4_T5_T6_T7_T8_P12ihipStream_tbENKUlT_T0_E_clISt17integral_constantIbLb0EESZ_EEDaSU_SV_EUlSU_E_NS1_11comp_targetILNS1_3genE4ELNS1_11target_archE910ELNS1_3gpuE8ELNS1_3repE0EEENS1_30default_config_static_selectorELNS0_4arch9wavefront6targetE1EEEvT1_, .Lfunc_end789-_ZN7rocprim17ROCPRIM_400000_NS6detail17trampoline_kernelINS0_14default_configENS1_33run_length_encode_config_selectorItjNS0_4plusIjEEEEZZNS1_33reduce_by_key_impl_wrapped_configILNS1_25lookback_scan_determinismE0ES3_S7_PKtNS0_17constant_iteratorIjlEEPtPlSF_S6_NS0_8equal_toItEEEE10hipError_tPvRmT2_T3_mT4_T5_T6_T7_T8_P12ihipStream_tbENKUlT_T0_E_clISt17integral_constantIbLb0EESZ_EEDaSU_SV_EUlSU_E_NS1_11comp_targetILNS1_3genE4ELNS1_11target_archE910ELNS1_3gpuE8ELNS1_3repE0EEENS1_30default_config_static_selectorELNS0_4arch9wavefront6targetE1EEEvT1_
                                        ; -- End function
	.section	.AMDGPU.csdata,"",@progbits
; Kernel info:
; codeLenInByte = 0
; NumSgprs: 6
; NumVgprs: 0
; NumAgprs: 0
; TotalNumVgprs: 0
; ScratchSize: 0
; MemoryBound: 0
; FloatMode: 240
; IeeeMode: 1
; LDSByteSize: 0 bytes/workgroup (compile time only)
; SGPRBlocks: 0
; VGPRBlocks: 0
; NumSGPRsForWavesPerEU: 6
; NumVGPRsForWavesPerEU: 1
; AccumOffset: 4
; Occupancy: 8
; WaveLimiterHint : 0
; COMPUTE_PGM_RSRC2:SCRATCH_EN: 0
; COMPUTE_PGM_RSRC2:USER_SGPR: 2
; COMPUTE_PGM_RSRC2:TRAP_HANDLER: 0
; COMPUTE_PGM_RSRC2:TGID_X_EN: 1
; COMPUTE_PGM_RSRC2:TGID_Y_EN: 0
; COMPUTE_PGM_RSRC2:TGID_Z_EN: 0
; COMPUTE_PGM_RSRC2:TIDIG_COMP_CNT: 0
; COMPUTE_PGM_RSRC3_GFX90A:ACCUM_OFFSET: 0
; COMPUTE_PGM_RSRC3_GFX90A:TG_SPLIT: 0
	.section	.text._ZN7rocprim17ROCPRIM_400000_NS6detail17trampoline_kernelINS0_14default_configENS1_33run_length_encode_config_selectorItjNS0_4plusIjEEEEZZNS1_33reduce_by_key_impl_wrapped_configILNS1_25lookback_scan_determinismE0ES3_S7_PKtNS0_17constant_iteratorIjlEEPtPlSF_S6_NS0_8equal_toItEEEE10hipError_tPvRmT2_T3_mT4_T5_T6_T7_T8_P12ihipStream_tbENKUlT_T0_E_clISt17integral_constantIbLb0EESZ_EEDaSU_SV_EUlSU_E_NS1_11comp_targetILNS1_3genE3ELNS1_11target_archE908ELNS1_3gpuE7ELNS1_3repE0EEENS1_30default_config_static_selectorELNS0_4arch9wavefront6targetE1EEEvT1_,"axG",@progbits,_ZN7rocprim17ROCPRIM_400000_NS6detail17trampoline_kernelINS0_14default_configENS1_33run_length_encode_config_selectorItjNS0_4plusIjEEEEZZNS1_33reduce_by_key_impl_wrapped_configILNS1_25lookback_scan_determinismE0ES3_S7_PKtNS0_17constant_iteratorIjlEEPtPlSF_S6_NS0_8equal_toItEEEE10hipError_tPvRmT2_T3_mT4_T5_T6_T7_T8_P12ihipStream_tbENKUlT_T0_E_clISt17integral_constantIbLb0EESZ_EEDaSU_SV_EUlSU_E_NS1_11comp_targetILNS1_3genE3ELNS1_11target_archE908ELNS1_3gpuE7ELNS1_3repE0EEENS1_30default_config_static_selectorELNS0_4arch9wavefront6targetE1EEEvT1_,comdat
	.protected	_ZN7rocprim17ROCPRIM_400000_NS6detail17trampoline_kernelINS0_14default_configENS1_33run_length_encode_config_selectorItjNS0_4plusIjEEEEZZNS1_33reduce_by_key_impl_wrapped_configILNS1_25lookback_scan_determinismE0ES3_S7_PKtNS0_17constant_iteratorIjlEEPtPlSF_S6_NS0_8equal_toItEEEE10hipError_tPvRmT2_T3_mT4_T5_T6_T7_T8_P12ihipStream_tbENKUlT_T0_E_clISt17integral_constantIbLb0EESZ_EEDaSU_SV_EUlSU_E_NS1_11comp_targetILNS1_3genE3ELNS1_11target_archE908ELNS1_3gpuE7ELNS1_3repE0EEENS1_30default_config_static_selectorELNS0_4arch9wavefront6targetE1EEEvT1_ ; -- Begin function _ZN7rocprim17ROCPRIM_400000_NS6detail17trampoline_kernelINS0_14default_configENS1_33run_length_encode_config_selectorItjNS0_4plusIjEEEEZZNS1_33reduce_by_key_impl_wrapped_configILNS1_25lookback_scan_determinismE0ES3_S7_PKtNS0_17constant_iteratorIjlEEPtPlSF_S6_NS0_8equal_toItEEEE10hipError_tPvRmT2_T3_mT4_T5_T6_T7_T8_P12ihipStream_tbENKUlT_T0_E_clISt17integral_constantIbLb0EESZ_EEDaSU_SV_EUlSU_E_NS1_11comp_targetILNS1_3genE3ELNS1_11target_archE908ELNS1_3gpuE7ELNS1_3repE0EEENS1_30default_config_static_selectorELNS0_4arch9wavefront6targetE1EEEvT1_
	.globl	_ZN7rocprim17ROCPRIM_400000_NS6detail17trampoline_kernelINS0_14default_configENS1_33run_length_encode_config_selectorItjNS0_4plusIjEEEEZZNS1_33reduce_by_key_impl_wrapped_configILNS1_25lookback_scan_determinismE0ES3_S7_PKtNS0_17constant_iteratorIjlEEPtPlSF_S6_NS0_8equal_toItEEEE10hipError_tPvRmT2_T3_mT4_T5_T6_T7_T8_P12ihipStream_tbENKUlT_T0_E_clISt17integral_constantIbLb0EESZ_EEDaSU_SV_EUlSU_E_NS1_11comp_targetILNS1_3genE3ELNS1_11target_archE908ELNS1_3gpuE7ELNS1_3repE0EEENS1_30default_config_static_selectorELNS0_4arch9wavefront6targetE1EEEvT1_
	.p2align	8
	.type	_ZN7rocprim17ROCPRIM_400000_NS6detail17trampoline_kernelINS0_14default_configENS1_33run_length_encode_config_selectorItjNS0_4plusIjEEEEZZNS1_33reduce_by_key_impl_wrapped_configILNS1_25lookback_scan_determinismE0ES3_S7_PKtNS0_17constant_iteratorIjlEEPtPlSF_S6_NS0_8equal_toItEEEE10hipError_tPvRmT2_T3_mT4_T5_T6_T7_T8_P12ihipStream_tbENKUlT_T0_E_clISt17integral_constantIbLb0EESZ_EEDaSU_SV_EUlSU_E_NS1_11comp_targetILNS1_3genE3ELNS1_11target_archE908ELNS1_3gpuE7ELNS1_3repE0EEENS1_30default_config_static_selectorELNS0_4arch9wavefront6targetE1EEEvT1_,@function
_ZN7rocprim17ROCPRIM_400000_NS6detail17trampoline_kernelINS0_14default_configENS1_33run_length_encode_config_selectorItjNS0_4plusIjEEEEZZNS1_33reduce_by_key_impl_wrapped_configILNS1_25lookback_scan_determinismE0ES3_S7_PKtNS0_17constant_iteratorIjlEEPtPlSF_S6_NS0_8equal_toItEEEE10hipError_tPvRmT2_T3_mT4_T5_T6_T7_T8_P12ihipStream_tbENKUlT_T0_E_clISt17integral_constantIbLb0EESZ_EEDaSU_SV_EUlSU_E_NS1_11comp_targetILNS1_3genE3ELNS1_11target_archE908ELNS1_3gpuE7ELNS1_3repE0EEENS1_30default_config_static_selectorELNS0_4arch9wavefront6targetE1EEEvT1_: ; @_ZN7rocprim17ROCPRIM_400000_NS6detail17trampoline_kernelINS0_14default_configENS1_33run_length_encode_config_selectorItjNS0_4plusIjEEEEZZNS1_33reduce_by_key_impl_wrapped_configILNS1_25lookback_scan_determinismE0ES3_S7_PKtNS0_17constant_iteratorIjlEEPtPlSF_S6_NS0_8equal_toItEEEE10hipError_tPvRmT2_T3_mT4_T5_T6_T7_T8_P12ihipStream_tbENKUlT_T0_E_clISt17integral_constantIbLb0EESZ_EEDaSU_SV_EUlSU_E_NS1_11comp_targetILNS1_3genE3ELNS1_11target_archE908ELNS1_3gpuE7ELNS1_3repE0EEENS1_30default_config_static_selectorELNS0_4arch9wavefront6targetE1EEEvT1_
; %bb.0:
	.section	.rodata,"a",@progbits
	.p2align	6, 0x0
	.amdhsa_kernel _ZN7rocprim17ROCPRIM_400000_NS6detail17trampoline_kernelINS0_14default_configENS1_33run_length_encode_config_selectorItjNS0_4plusIjEEEEZZNS1_33reduce_by_key_impl_wrapped_configILNS1_25lookback_scan_determinismE0ES3_S7_PKtNS0_17constant_iteratorIjlEEPtPlSF_S6_NS0_8equal_toItEEEE10hipError_tPvRmT2_T3_mT4_T5_T6_T7_T8_P12ihipStream_tbENKUlT_T0_E_clISt17integral_constantIbLb0EESZ_EEDaSU_SV_EUlSU_E_NS1_11comp_targetILNS1_3genE3ELNS1_11target_archE908ELNS1_3gpuE7ELNS1_3repE0EEENS1_30default_config_static_selectorELNS0_4arch9wavefront6targetE1EEEvT1_
		.amdhsa_group_segment_fixed_size 0
		.amdhsa_private_segment_fixed_size 0
		.amdhsa_kernarg_size 128
		.amdhsa_user_sgpr_count 2
		.amdhsa_user_sgpr_dispatch_ptr 0
		.amdhsa_user_sgpr_queue_ptr 0
		.amdhsa_user_sgpr_kernarg_segment_ptr 1
		.amdhsa_user_sgpr_dispatch_id 0
		.amdhsa_user_sgpr_kernarg_preload_length 0
		.amdhsa_user_sgpr_kernarg_preload_offset 0
		.amdhsa_user_sgpr_private_segment_size 0
		.amdhsa_uses_dynamic_stack 0
		.amdhsa_enable_private_segment 0
		.amdhsa_system_sgpr_workgroup_id_x 1
		.amdhsa_system_sgpr_workgroup_id_y 0
		.amdhsa_system_sgpr_workgroup_id_z 0
		.amdhsa_system_sgpr_workgroup_info 0
		.amdhsa_system_vgpr_workitem_id 0
		.amdhsa_next_free_vgpr 1
		.amdhsa_next_free_sgpr 0
		.amdhsa_accum_offset 4
		.amdhsa_reserve_vcc 0
		.amdhsa_float_round_mode_32 0
		.amdhsa_float_round_mode_16_64 0
		.amdhsa_float_denorm_mode_32 3
		.amdhsa_float_denorm_mode_16_64 3
		.amdhsa_dx10_clamp 1
		.amdhsa_ieee_mode 1
		.amdhsa_fp16_overflow 0
		.amdhsa_tg_split 0
		.amdhsa_exception_fp_ieee_invalid_op 0
		.amdhsa_exception_fp_denorm_src 0
		.amdhsa_exception_fp_ieee_div_zero 0
		.amdhsa_exception_fp_ieee_overflow 0
		.amdhsa_exception_fp_ieee_underflow 0
		.amdhsa_exception_fp_ieee_inexact 0
		.amdhsa_exception_int_div_zero 0
	.end_amdhsa_kernel
	.section	.text._ZN7rocprim17ROCPRIM_400000_NS6detail17trampoline_kernelINS0_14default_configENS1_33run_length_encode_config_selectorItjNS0_4plusIjEEEEZZNS1_33reduce_by_key_impl_wrapped_configILNS1_25lookback_scan_determinismE0ES3_S7_PKtNS0_17constant_iteratorIjlEEPtPlSF_S6_NS0_8equal_toItEEEE10hipError_tPvRmT2_T3_mT4_T5_T6_T7_T8_P12ihipStream_tbENKUlT_T0_E_clISt17integral_constantIbLb0EESZ_EEDaSU_SV_EUlSU_E_NS1_11comp_targetILNS1_3genE3ELNS1_11target_archE908ELNS1_3gpuE7ELNS1_3repE0EEENS1_30default_config_static_selectorELNS0_4arch9wavefront6targetE1EEEvT1_,"axG",@progbits,_ZN7rocprim17ROCPRIM_400000_NS6detail17trampoline_kernelINS0_14default_configENS1_33run_length_encode_config_selectorItjNS0_4plusIjEEEEZZNS1_33reduce_by_key_impl_wrapped_configILNS1_25lookback_scan_determinismE0ES3_S7_PKtNS0_17constant_iteratorIjlEEPtPlSF_S6_NS0_8equal_toItEEEE10hipError_tPvRmT2_T3_mT4_T5_T6_T7_T8_P12ihipStream_tbENKUlT_T0_E_clISt17integral_constantIbLb0EESZ_EEDaSU_SV_EUlSU_E_NS1_11comp_targetILNS1_3genE3ELNS1_11target_archE908ELNS1_3gpuE7ELNS1_3repE0EEENS1_30default_config_static_selectorELNS0_4arch9wavefront6targetE1EEEvT1_,comdat
.Lfunc_end790:
	.size	_ZN7rocprim17ROCPRIM_400000_NS6detail17trampoline_kernelINS0_14default_configENS1_33run_length_encode_config_selectorItjNS0_4plusIjEEEEZZNS1_33reduce_by_key_impl_wrapped_configILNS1_25lookback_scan_determinismE0ES3_S7_PKtNS0_17constant_iteratorIjlEEPtPlSF_S6_NS0_8equal_toItEEEE10hipError_tPvRmT2_T3_mT4_T5_T6_T7_T8_P12ihipStream_tbENKUlT_T0_E_clISt17integral_constantIbLb0EESZ_EEDaSU_SV_EUlSU_E_NS1_11comp_targetILNS1_3genE3ELNS1_11target_archE908ELNS1_3gpuE7ELNS1_3repE0EEENS1_30default_config_static_selectorELNS0_4arch9wavefront6targetE1EEEvT1_, .Lfunc_end790-_ZN7rocprim17ROCPRIM_400000_NS6detail17trampoline_kernelINS0_14default_configENS1_33run_length_encode_config_selectorItjNS0_4plusIjEEEEZZNS1_33reduce_by_key_impl_wrapped_configILNS1_25lookback_scan_determinismE0ES3_S7_PKtNS0_17constant_iteratorIjlEEPtPlSF_S6_NS0_8equal_toItEEEE10hipError_tPvRmT2_T3_mT4_T5_T6_T7_T8_P12ihipStream_tbENKUlT_T0_E_clISt17integral_constantIbLb0EESZ_EEDaSU_SV_EUlSU_E_NS1_11comp_targetILNS1_3genE3ELNS1_11target_archE908ELNS1_3gpuE7ELNS1_3repE0EEENS1_30default_config_static_selectorELNS0_4arch9wavefront6targetE1EEEvT1_
                                        ; -- End function
	.section	.AMDGPU.csdata,"",@progbits
; Kernel info:
; codeLenInByte = 0
; NumSgprs: 6
; NumVgprs: 0
; NumAgprs: 0
; TotalNumVgprs: 0
; ScratchSize: 0
; MemoryBound: 0
; FloatMode: 240
; IeeeMode: 1
; LDSByteSize: 0 bytes/workgroup (compile time only)
; SGPRBlocks: 0
; VGPRBlocks: 0
; NumSGPRsForWavesPerEU: 6
; NumVGPRsForWavesPerEU: 1
; AccumOffset: 4
; Occupancy: 8
; WaveLimiterHint : 0
; COMPUTE_PGM_RSRC2:SCRATCH_EN: 0
; COMPUTE_PGM_RSRC2:USER_SGPR: 2
; COMPUTE_PGM_RSRC2:TRAP_HANDLER: 0
; COMPUTE_PGM_RSRC2:TGID_X_EN: 1
; COMPUTE_PGM_RSRC2:TGID_Y_EN: 0
; COMPUTE_PGM_RSRC2:TGID_Z_EN: 0
; COMPUTE_PGM_RSRC2:TIDIG_COMP_CNT: 0
; COMPUTE_PGM_RSRC3_GFX90A:ACCUM_OFFSET: 0
; COMPUTE_PGM_RSRC3_GFX90A:TG_SPLIT: 0
	.section	.text._ZN7rocprim17ROCPRIM_400000_NS6detail17trampoline_kernelINS0_14default_configENS1_33run_length_encode_config_selectorItjNS0_4plusIjEEEEZZNS1_33reduce_by_key_impl_wrapped_configILNS1_25lookback_scan_determinismE0ES3_S7_PKtNS0_17constant_iteratorIjlEEPtPlSF_S6_NS0_8equal_toItEEEE10hipError_tPvRmT2_T3_mT4_T5_T6_T7_T8_P12ihipStream_tbENKUlT_T0_E_clISt17integral_constantIbLb0EESZ_EEDaSU_SV_EUlSU_E_NS1_11comp_targetILNS1_3genE2ELNS1_11target_archE906ELNS1_3gpuE6ELNS1_3repE0EEENS1_30default_config_static_selectorELNS0_4arch9wavefront6targetE1EEEvT1_,"axG",@progbits,_ZN7rocprim17ROCPRIM_400000_NS6detail17trampoline_kernelINS0_14default_configENS1_33run_length_encode_config_selectorItjNS0_4plusIjEEEEZZNS1_33reduce_by_key_impl_wrapped_configILNS1_25lookback_scan_determinismE0ES3_S7_PKtNS0_17constant_iteratorIjlEEPtPlSF_S6_NS0_8equal_toItEEEE10hipError_tPvRmT2_T3_mT4_T5_T6_T7_T8_P12ihipStream_tbENKUlT_T0_E_clISt17integral_constantIbLb0EESZ_EEDaSU_SV_EUlSU_E_NS1_11comp_targetILNS1_3genE2ELNS1_11target_archE906ELNS1_3gpuE6ELNS1_3repE0EEENS1_30default_config_static_selectorELNS0_4arch9wavefront6targetE1EEEvT1_,comdat
	.protected	_ZN7rocprim17ROCPRIM_400000_NS6detail17trampoline_kernelINS0_14default_configENS1_33run_length_encode_config_selectorItjNS0_4plusIjEEEEZZNS1_33reduce_by_key_impl_wrapped_configILNS1_25lookback_scan_determinismE0ES3_S7_PKtNS0_17constant_iteratorIjlEEPtPlSF_S6_NS0_8equal_toItEEEE10hipError_tPvRmT2_T3_mT4_T5_T6_T7_T8_P12ihipStream_tbENKUlT_T0_E_clISt17integral_constantIbLb0EESZ_EEDaSU_SV_EUlSU_E_NS1_11comp_targetILNS1_3genE2ELNS1_11target_archE906ELNS1_3gpuE6ELNS1_3repE0EEENS1_30default_config_static_selectorELNS0_4arch9wavefront6targetE1EEEvT1_ ; -- Begin function _ZN7rocprim17ROCPRIM_400000_NS6detail17trampoline_kernelINS0_14default_configENS1_33run_length_encode_config_selectorItjNS0_4plusIjEEEEZZNS1_33reduce_by_key_impl_wrapped_configILNS1_25lookback_scan_determinismE0ES3_S7_PKtNS0_17constant_iteratorIjlEEPtPlSF_S6_NS0_8equal_toItEEEE10hipError_tPvRmT2_T3_mT4_T5_T6_T7_T8_P12ihipStream_tbENKUlT_T0_E_clISt17integral_constantIbLb0EESZ_EEDaSU_SV_EUlSU_E_NS1_11comp_targetILNS1_3genE2ELNS1_11target_archE906ELNS1_3gpuE6ELNS1_3repE0EEENS1_30default_config_static_selectorELNS0_4arch9wavefront6targetE1EEEvT1_
	.globl	_ZN7rocprim17ROCPRIM_400000_NS6detail17trampoline_kernelINS0_14default_configENS1_33run_length_encode_config_selectorItjNS0_4plusIjEEEEZZNS1_33reduce_by_key_impl_wrapped_configILNS1_25lookback_scan_determinismE0ES3_S7_PKtNS0_17constant_iteratorIjlEEPtPlSF_S6_NS0_8equal_toItEEEE10hipError_tPvRmT2_T3_mT4_T5_T6_T7_T8_P12ihipStream_tbENKUlT_T0_E_clISt17integral_constantIbLb0EESZ_EEDaSU_SV_EUlSU_E_NS1_11comp_targetILNS1_3genE2ELNS1_11target_archE906ELNS1_3gpuE6ELNS1_3repE0EEENS1_30default_config_static_selectorELNS0_4arch9wavefront6targetE1EEEvT1_
	.p2align	8
	.type	_ZN7rocprim17ROCPRIM_400000_NS6detail17trampoline_kernelINS0_14default_configENS1_33run_length_encode_config_selectorItjNS0_4plusIjEEEEZZNS1_33reduce_by_key_impl_wrapped_configILNS1_25lookback_scan_determinismE0ES3_S7_PKtNS0_17constant_iteratorIjlEEPtPlSF_S6_NS0_8equal_toItEEEE10hipError_tPvRmT2_T3_mT4_T5_T6_T7_T8_P12ihipStream_tbENKUlT_T0_E_clISt17integral_constantIbLb0EESZ_EEDaSU_SV_EUlSU_E_NS1_11comp_targetILNS1_3genE2ELNS1_11target_archE906ELNS1_3gpuE6ELNS1_3repE0EEENS1_30default_config_static_selectorELNS0_4arch9wavefront6targetE1EEEvT1_,@function
_ZN7rocprim17ROCPRIM_400000_NS6detail17trampoline_kernelINS0_14default_configENS1_33run_length_encode_config_selectorItjNS0_4plusIjEEEEZZNS1_33reduce_by_key_impl_wrapped_configILNS1_25lookback_scan_determinismE0ES3_S7_PKtNS0_17constant_iteratorIjlEEPtPlSF_S6_NS0_8equal_toItEEEE10hipError_tPvRmT2_T3_mT4_T5_T6_T7_T8_P12ihipStream_tbENKUlT_T0_E_clISt17integral_constantIbLb0EESZ_EEDaSU_SV_EUlSU_E_NS1_11comp_targetILNS1_3genE2ELNS1_11target_archE906ELNS1_3gpuE6ELNS1_3repE0EEENS1_30default_config_static_selectorELNS0_4arch9wavefront6targetE1EEEvT1_: ; @_ZN7rocprim17ROCPRIM_400000_NS6detail17trampoline_kernelINS0_14default_configENS1_33run_length_encode_config_selectorItjNS0_4plusIjEEEEZZNS1_33reduce_by_key_impl_wrapped_configILNS1_25lookback_scan_determinismE0ES3_S7_PKtNS0_17constant_iteratorIjlEEPtPlSF_S6_NS0_8equal_toItEEEE10hipError_tPvRmT2_T3_mT4_T5_T6_T7_T8_P12ihipStream_tbENKUlT_T0_E_clISt17integral_constantIbLb0EESZ_EEDaSU_SV_EUlSU_E_NS1_11comp_targetILNS1_3genE2ELNS1_11target_archE906ELNS1_3gpuE6ELNS1_3repE0EEENS1_30default_config_static_selectorELNS0_4arch9wavefront6targetE1EEEvT1_
; %bb.0:
	.section	.rodata,"a",@progbits
	.p2align	6, 0x0
	.amdhsa_kernel _ZN7rocprim17ROCPRIM_400000_NS6detail17trampoline_kernelINS0_14default_configENS1_33run_length_encode_config_selectorItjNS0_4plusIjEEEEZZNS1_33reduce_by_key_impl_wrapped_configILNS1_25lookback_scan_determinismE0ES3_S7_PKtNS0_17constant_iteratorIjlEEPtPlSF_S6_NS0_8equal_toItEEEE10hipError_tPvRmT2_T3_mT4_T5_T6_T7_T8_P12ihipStream_tbENKUlT_T0_E_clISt17integral_constantIbLb0EESZ_EEDaSU_SV_EUlSU_E_NS1_11comp_targetILNS1_3genE2ELNS1_11target_archE906ELNS1_3gpuE6ELNS1_3repE0EEENS1_30default_config_static_selectorELNS0_4arch9wavefront6targetE1EEEvT1_
		.amdhsa_group_segment_fixed_size 0
		.amdhsa_private_segment_fixed_size 0
		.amdhsa_kernarg_size 128
		.amdhsa_user_sgpr_count 2
		.amdhsa_user_sgpr_dispatch_ptr 0
		.amdhsa_user_sgpr_queue_ptr 0
		.amdhsa_user_sgpr_kernarg_segment_ptr 1
		.amdhsa_user_sgpr_dispatch_id 0
		.amdhsa_user_sgpr_kernarg_preload_length 0
		.amdhsa_user_sgpr_kernarg_preload_offset 0
		.amdhsa_user_sgpr_private_segment_size 0
		.amdhsa_uses_dynamic_stack 0
		.amdhsa_enable_private_segment 0
		.amdhsa_system_sgpr_workgroup_id_x 1
		.amdhsa_system_sgpr_workgroup_id_y 0
		.amdhsa_system_sgpr_workgroup_id_z 0
		.amdhsa_system_sgpr_workgroup_info 0
		.amdhsa_system_vgpr_workitem_id 0
		.amdhsa_next_free_vgpr 1
		.amdhsa_next_free_sgpr 0
		.amdhsa_accum_offset 4
		.amdhsa_reserve_vcc 0
		.amdhsa_float_round_mode_32 0
		.amdhsa_float_round_mode_16_64 0
		.amdhsa_float_denorm_mode_32 3
		.amdhsa_float_denorm_mode_16_64 3
		.amdhsa_dx10_clamp 1
		.amdhsa_ieee_mode 1
		.amdhsa_fp16_overflow 0
		.amdhsa_tg_split 0
		.amdhsa_exception_fp_ieee_invalid_op 0
		.amdhsa_exception_fp_denorm_src 0
		.amdhsa_exception_fp_ieee_div_zero 0
		.amdhsa_exception_fp_ieee_overflow 0
		.amdhsa_exception_fp_ieee_underflow 0
		.amdhsa_exception_fp_ieee_inexact 0
		.amdhsa_exception_int_div_zero 0
	.end_amdhsa_kernel
	.section	.text._ZN7rocprim17ROCPRIM_400000_NS6detail17trampoline_kernelINS0_14default_configENS1_33run_length_encode_config_selectorItjNS0_4plusIjEEEEZZNS1_33reduce_by_key_impl_wrapped_configILNS1_25lookback_scan_determinismE0ES3_S7_PKtNS0_17constant_iteratorIjlEEPtPlSF_S6_NS0_8equal_toItEEEE10hipError_tPvRmT2_T3_mT4_T5_T6_T7_T8_P12ihipStream_tbENKUlT_T0_E_clISt17integral_constantIbLb0EESZ_EEDaSU_SV_EUlSU_E_NS1_11comp_targetILNS1_3genE2ELNS1_11target_archE906ELNS1_3gpuE6ELNS1_3repE0EEENS1_30default_config_static_selectorELNS0_4arch9wavefront6targetE1EEEvT1_,"axG",@progbits,_ZN7rocprim17ROCPRIM_400000_NS6detail17trampoline_kernelINS0_14default_configENS1_33run_length_encode_config_selectorItjNS0_4plusIjEEEEZZNS1_33reduce_by_key_impl_wrapped_configILNS1_25lookback_scan_determinismE0ES3_S7_PKtNS0_17constant_iteratorIjlEEPtPlSF_S6_NS0_8equal_toItEEEE10hipError_tPvRmT2_T3_mT4_T5_T6_T7_T8_P12ihipStream_tbENKUlT_T0_E_clISt17integral_constantIbLb0EESZ_EEDaSU_SV_EUlSU_E_NS1_11comp_targetILNS1_3genE2ELNS1_11target_archE906ELNS1_3gpuE6ELNS1_3repE0EEENS1_30default_config_static_selectorELNS0_4arch9wavefront6targetE1EEEvT1_,comdat
.Lfunc_end791:
	.size	_ZN7rocprim17ROCPRIM_400000_NS6detail17trampoline_kernelINS0_14default_configENS1_33run_length_encode_config_selectorItjNS0_4plusIjEEEEZZNS1_33reduce_by_key_impl_wrapped_configILNS1_25lookback_scan_determinismE0ES3_S7_PKtNS0_17constant_iteratorIjlEEPtPlSF_S6_NS0_8equal_toItEEEE10hipError_tPvRmT2_T3_mT4_T5_T6_T7_T8_P12ihipStream_tbENKUlT_T0_E_clISt17integral_constantIbLb0EESZ_EEDaSU_SV_EUlSU_E_NS1_11comp_targetILNS1_3genE2ELNS1_11target_archE906ELNS1_3gpuE6ELNS1_3repE0EEENS1_30default_config_static_selectorELNS0_4arch9wavefront6targetE1EEEvT1_, .Lfunc_end791-_ZN7rocprim17ROCPRIM_400000_NS6detail17trampoline_kernelINS0_14default_configENS1_33run_length_encode_config_selectorItjNS0_4plusIjEEEEZZNS1_33reduce_by_key_impl_wrapped_configILNS1_25lookback_scan_determinismE0ES3_S7_PKtNS0_17constant_iteratorIjlEEPtPlSF_S6_NS0_8equal_toItEEEE10hipError_tPvRmT2_T3_mT4_T5_T6_T7_T8_P12ihipStream_tbENKUlT_T0_E_clISt17integral_constantIbLb0EESZ_EEDaSU_SV_EUlSU_E_NS1_11comp_targetILNS1_3genE2ELNS1_11target_archE906ELNS1_3gpuE6ELNS1_3repE0EEENS1_30default_config_static_selectorELNS0_4arch9wavefront6targetE1EEEvT1_
                                        ; -- End function
	.section	.AMDGPU.csdata,"",@progbits
; Kernel info:
; codeLenInByte = 0
; NumSgprs: 6
; NumVgprs: 0
; NumAgprs: 0
; TotalNumVgprs: 0
; ScratchSize: 0
; MemoryBound: 0
; FloatMode: 240
; IeeeMode: 1
; LDSByteSize: 0 bytes/workgroup (compile time only)
; SGPRBlocks: 0
; VGPRBlocks: 0
; NumSGPRsForWavesPerEU: 6
; NumVGPRsForWavesPerEU: 1
; AccumOffset: 4
; Occupancy: 8
; WaveLimiterHint : 0
; COMPUTE_PGM_RSRC2:SCRATCH_EN: 0
; COMPUTE_PGM_RSRC2:USER_SGPR: 2
; COMPUTE_PGM_RSRC2:TRAP_HANDLER: 0
; COMPUTE_PGM_RSRC2:TGID_X_EN: 1
; COMPUTE_PGM_RSRC2:TGID_Y_EN: 0
; COMPUTE_PGM_RSRC2:TGID_Z_EN: 0
; COMPUTE_PGM_RSRC2:TIDIG_COMP_CNT: 0
; COMPUTE_PGM_RSRC3_GFX90A:ACCUM_OFFSET: 0
; COMPUTE_PGM_RSRC3_GFX90A:TG_SPLIT: 0
	.section	.text._ZN7rocprim17ROCPRIM_400000_NS6detail17trampoline_kernelINS0_14default_configENS1_33run_length_encode_config_selectorItjNS0_4plusIjEEEEZZNS1_33reduce_by_key_impl_wrapped_configILNS1_25lookback_scan_determinismE0ES3_S7_PKtNS0_17constant_iteratorIjlEEPtPlSF_S6_NS0_8equal_toItEEEE10hipError_tPvRmT2_T3_mT4_T5_T6_T7_T8_P12ihipStream_tbENKUlT_T0_E_clISt17integral_constantIbLb0EESZ_EEDaSU_SV_EUlSU_E_NS1_11comp_targetILNS1_3genE10ELNS1_11target_archE1201ELNS1_3gpuE5ELNS1_3repE0EEENS1_30default_config_static_selectorELNS0_4arch9wavefront6targetE1EEEvT1_,"axG",@progbits,_ZN7rocprim17ROCPRIM_400000_NS6detail17trampoline_kernelINS0_14default_configENS1_33run_length_encode_config_selectorItjNS0_4plusIjEEEEZZNS1_33reduce_by_key_impl_wrapped_configILNS1_25lookback_scan_determinismE0ES3_S7_PKtNS0_17constant_iteratorIjlEEPtPlSF_S6_NS0_8equal_toItEEEE10hipError_tPvRmT2_T3_mT4_T5_T6_T7_T8_P12ihipStream_tbENKUlT_T0_E_clISt17integral_constantIbLb0EESZ_EEDaSU_SV_EUlSU_E_NS1_11comp_targetILNS1_3genE10ELNS1_11target_archE1201ELNS1_3gpuE5ELNS1_3repE0EEENS1_30default_config_static_selectorELNS0_4arch9wavefront6targetE1EEEvT1_,comdat
	.protected	_ZN7rocprim17ROCPRIM_400000_NS6detail17trampoline_kernelINS0_14default_configENS1_33run_length_encode_config_selectorItjNS0_4plusIjEEEEZZNS1_33reduce_by_key_impl_wrapped_configILNS1_25lookback_scan_determinismE0ES3_S7_PKtNS0_17constant_iteratorIjlEEPtPlSF_S6_NS0_8equal_toItEEEE10hipError_tPvRmT2_T3_mT4_T5_T6_T7_T8_P12ihipStream_tbENKUlT_T0_E_clISt17integral_constantIbLb0EESZ_EEDaSU_SV_EUlSU_E_NS1_11comp_targetILNS1_3genE10ELNS1_11target_archE1201ELNS1_3gpuE5ELNS1_3repE0EEENS1_30default_config_static_selectorELNS0_4arch9wavefront6targetE1EEEvT1_ ; -- Begin function _ZN7rocprim17ROCPRIM_400000_NS6detail17trampoline_kernelINS0_14default_configENS1_33run_length_encode_config_selectorItjNS0_4plusIjEEEEZZNS1_33reduce_by_key_impl_wrapped_configILNS1_25lookback_scan_determinismE0ES3_S7_PKtNS0_17constant_iteratorIjlEEPtPlSF_S6_NS0_8equal_toItEEEE10hipError_tPvRmT2_T3_mT4_T5_T6_T7_T8_P12ihipStream_tbENKUlT_T0_E_clISt17integral_constantIbLb0EESZ_EEDaSU_SV_EUlSU_E_NS1_11comp_targetILNS1_3genE10ELNS1_11target_archE1201ELNS1_3gpuE5ELNS1_3repE0EEENS1_30default_config_static_selectorELNS0_4arch9wavefront6targetE1EEEvT1_
	.globl	_ZN7rocprim17ROCPRIM_400000_NS6detail17trampoline_kernelINS0_14default_configENS1_33run_length_encode_config_selectorItjNS0_4plusIjEEEEZZNS1_33reduce_by_key_impl_wrapped_configILNS1_25lookback_scan_determinismE0ES3_S7_PKtNS0_17constant_iteratorIjlEEPtPlSF_S6_NS0_8equal_toItEEEE10hipError_tPvRmT2_T3_mT4_T5_T6_T7_T8_P12ihipStream_tbENKUlT_T0_E_clISt17integral_constantIbLb0EESZ_EEDaSU_SV_EUlSU_E_NS1_11comp_targetILNS1_3genE10ELNS1_11target_archE1201ELNS1_3gpuE5ELNS1_3repE0EEENS1_30default_config_static_selectorELNS0_4arch9wavefront6targetE1EEEvT1_
	.p2align	8
	.type	_ZN7rocprim17ROCPRIM_400000_NS6detail17trampoline_kernelINS0_14default_configENS1_33run_length_encode_config_selectorItjNS0_4plusIjEEEEZZNS1_33reduce_by_key_impl_wrapped_configILNS1_25lookback_scan_determinismE0ES3_S7_PKtNS0_17constant_iteratorIjlEEPtPlSF_S6_NS0_8equal_toItEEEE10hipError_tPvRmT2_T3_mT4_T5_T6_T7_T8_P12ihipStream_tbENKUlT_T0_E_clISt17integral_constantIbLb0EESZ_EEDaSU_SV_EUlSU_E_NS1_11comp_targetILNS1_3genE10ELNS1_11target_archE1201ELNS1_3gpuE5ELNS1_3repE0EEENS1_30default_config_static_selectorELNS0_4arch9wavefront6targetE1EEEvT1_,@function
_ZN7rocprim17ROCPRIM_400000_NS6detail17trampoline_kernelINS0_14default_configENS1_33run_length_encode_config_selectorItjNS0_4plusIjEEEEZZNS1_33reduce_by_key_impl_wrapped_configILNS1_25lookback_scan_determinismE0ES3_S7_PKtNS0_17constant_iteratorIjlEEPtPlSF_S6_NS0_8equal_toItEEEE10hipError_tPvRmT2_T3_mT4_T5_T6_T7_T8_P12ihipStream_tbENKUlT_T0_E_clISt17integral_constantIbLb0EESZ_EEDaSU_SV_EUlSU_E_NS1_11comp_targetILNS1_3genE10ELNS1_11target_archE1201ELNS1_3gpuE5ELNS1_3repE0EEENS1_30default_config_static_selectorELNS0_4arch9wavefront6targetE1EEEvT1_: ; @_ZN7rocprim17ROCPRIM_400000_NS6detail17trampoline_kernelINS0_14default_configENS1_33run_length_encode_config_selectorItjNS0_4plusIjEEEEZZNS1_33reduce_by_key_impl_wrapped_configILNS1_25lookback_scan_determinismE0ES3_S7_PKtNS0_17constant_iteratorIjlEEPtPlSF_S6_NS0_8equal_toItEEEE10hipError_tPvRmT2_T3_mT4_T5_T6_T7_T8_P12ihipStream_tbENKUlT_T0_E_clISt17integral_constantIbLb0EESZ_EEDaSU_SV_EUlSU_E_NS1_11comp_targetILNS1_3genE10ELNS1_11target_archE1201ELNS1_3gpuE5ELNS1_3repE0EEENS1_30default_config_static_selectorELNS0_4arch9wavefront6targetE1EEEvT1_
; %bb.0:
	.section	.rodata,"a",@progbits
	.p2align	6, 0x0
	.amdhsa_kernel _ZN7rocprim17ROCPRIM_400000_NS6detail17trampoline_kernelINS0_14default_configENS1_33run_length_encode_config_selectorItjNS0_4plusIjEEEEZZNS1_33reduce_by_key_impl_wrapped_configILNS1_25lookback_scan_determinismE0ES3_S7_PKtNS0_17constant_iteratorIjlEEPtPlSF_S6_NS0_8equal_toItEEEE10hipError_tPvRmT2_T3_mT4_T5_T6_T7_T8_P12ihipStream_tbENKUlT_T0_E_clISt17integral_constantIbLb0EESZ_EEDaSU_SV_EUlSU_E_NS1_11comp_targetILNS1_3genE10ELNS1_11target_archE1201ELNS1_3gpuE5ELNS1_3repE0EEENS1_30default_config_static_selectorELNS0_4arch9wavefront6targetE1EEEvT1_
		.amdhsa_group_segment_fixed_size 0
		.amdhsa_private_segment_fixed_size 0
		.amdhsa_kernarg_size 128
		.amdhsa_user_sgpr_count 2
		.amdhsa_user_sgpr_dispatch_ptr 0
		.amdhsa_user_sgpr_queue_ptr 0
		.amdhsa_user_sgpr_kernarg_segment_ptr 1
		.amdhsa_user_sgpr_dispatch_id 0
		.amdhsa_user_sgpr_kernarg_preload_length 0
		.amdhsa_user_sgpr_kernarg_preload_offset 0
		.amdhsa_user_sgpr_private_segment_size 0
		.amdhsa_uses_dynamic_stack 0
		.amdhsa_enable_private_segment 0
		.amdhsa_system_sgpr_workgroup_id_x 1
		.amdhsa_system_sgpr_workgroup_id_y 0
		.amdhsa_system_sgpr_workgroup_id_z 0
		.amdhsa_system_sgpr_workgroup_info 0
		.amdhsa_system_vgpr_workitem_id 0
		.amdhsa_next_free_vgpr 1
		.amdhsa_next_free_sgpr 0
		.amdhsa_accum_offset 4
		.amdhsa_reserve_vcc 0
		.amdhsa_float_round_mode_32 0
		.amdhsa_float_round_mode_16_64 0
		.amdhsa_float_denorm_mode_32 3
		.amdhsa_float_denorm_mode_16_64 3
		.amdhsa_dx10_clamp 1
		.amdhsa_ieee_mode 1
		.amdhsa_fp16_overflow 0
		.amdhsa_tg_split 0
		.amdhsa_exception_fp_ieee_invalid_op 0
		.amdhsa_exception_fp_denorm_src 0
		.amdhsa_exception_fp_ieee_div_zero 0
		.amdhsa_exception_fp_ieee_overflow 0
		.amdhsa_exception_fp_ieee_underflow 0
		.amdhsa_exception_fp_ieee_inexact 0
		.amdhsa_exception_int_div_zero 0
	.end_amdhsa_kernel
	.section	.text._ZN7rocprim17ROCPRIM_400000_NS6detail17trampoline_kernelINS0_14default_configENS1_33run_length_encode_config_selectorItjNS0_4plusIjEEEEZZNS1_33reduce_by_key_impl_wrapped_configILNS1_25lookback_scan_determinismE0ES3_S7_PKtNS0_17constant_iteratorIjlEEPtPlSF_S6_NS0_8equal_toItEEEE10hipError_tPvRmT2_T3_mT4_T5_T6_T7_T8_P12ihipStream_tbENKUlT_T0_E_clISt17integral_constantIbLb0EESZ_EEDaSU_SV_EUlSU_E_NS1_11comp_targetILNS1_3genE10ELNS1_11target_archE1201ELNS1_3gpuE5ELNS1_3repE0EEENS1_30default_config_static_selectorELNS0_4arch9wavefront6targetE1EEEvT1_,"axG",@progbits,_ZN7rocprim17ROCPRIM_400000_NS6detail17trampoline_kernelINS0_14default_configENS1_33run_length_encode_config_selectorItjNS0_4plusIjEEEEZZNS1_33reduce_by_key_impl_wrapped_configILNS1_25lookback_scan_determinismE0ES3_S7_PKtNS0_17constant_iteratorIjlEEPtPlSF_S6_NS0_8equal_toItEEEE10hipError_tPvRmT2_T3_mT4_T5_T6_T7_T8_P12ihipStream_tbENKUlT_T0_E_clISt17integral_constantIbLb0EESZ_EEDaSU_SV_EUlSU_E_NS1_11comp_targetILNS1_3genE10ELNS1_11target_archE1201ELNS1_3gpuE5ELNS1_3repE0EEENS1_30default_config_static_selectorELNS0_4arch9wavefront6targetE1EEEvT1_,comdat
.Lfunc_end792:
	.size	_ZN7rocprim17ROCPRIM_400000_NS6detail17trampoline_kernelINS0_14default_configENS1_33run_length_encode_config_selectorItjNS0_4plusIjEEEEZZNS1_33reduce_by_key_impl_wrapped_configILNS1_25lookback_scan_determinismE0ES3_S7_PKtNS0_17constant_iteratorIjlEEPtPlSF_S6_NS0_8equal_toItEEEE10hipError_tPvRmT2_T3_mT4_T5_T6_T7_T8_P12ihipStream_tbENKUlT_T0_E_clISt17integral_constantIbLb0EESZ_EEDaSU_SV_EUlSU_E_NS1_11comp_targetILNS1_3genE10ELNS1_11target_archE1201ELNS1_3gpuE5ELNS1_3repE0EEENS1_30default_config_static_selectorELNS0_4arch9wavefront6targetE1EEEvT1_, .Lfunc_end792-_ZN7rocprim17ROCPRIM_400000_NS6detail17trampoline_kernelINS0_14default_configENS1_33run_length_encode_config_selectorItjNS0_4plusIjEEEEZZNS1_33reduce_by_key_impl_wrapped_configILNS1_25lookback_scan_determinismE0ES3_S7_PKtNS0_17constant_iteratorIjlEEPtPlSF_S6_NS0_8equal_toItEEEE10hipError_tPvRmT2_T3_mT4_T5_T6_T7_T8_P12ihipStream_tbENKUlT_T0_E_clISt17integral_constantIbLb0EESZ_EEDaSU_SV_EUlSU_E_NS1_11comp_targetILNS1_3genE10ELNS1_11target_archE1201ELNS1_3gpuE5ELNS1_3repE0EEENS1_30default_config_static_selectorELNS0_4arch9wavefront6targetE1EEEvT1_
                                        ; -- End function
	.section	.AMDGPU.csdata,"",@progbits
; Kernel info:
; codeLenInByte = 0
; NumSgprs: 6
; NumVgprs: 0
; NumAgprs: 0
; TotalNumVgprs: 0
; ScratchSize: 0
; MemoryBound: 0
; FloatMode: 240
; IeeeMode: 1
; LDSByteSize: 0 bytes/workgroup (compile time only)
; SGPRBlocks: 0
; VGPRBlocks: 0
; NumSGPRsForWavesPerEU: 6
; NumVGPRsForWavesPerEU: 1
; AccumOffset: 4
; Occupancy: 8
; WaveLimiterHint : 0
; COMPUTE_PGM_RSRC2:SCRATCH_EN: 0
; COMPUTE_PGM_RSRC2:USER_SGPR: 2
; COMPUTE_PGM_RSRC2:TRAP_HANDLER: 0
; COMPUTE_PGM_RSRC2:TGID_X_EN: 1
; COMPUTE_PGM_RSRC2:TGID_Y_EN: 0
; COMPUTE_PGM_RSRC2:TGID_Z_EN: 0
; COMPUTE_PGM_RSRC2:TIDIG_COMP_CNT: 0
; COMPUTE_PGM_RSRC3_GFX90A:ACCUM_OFFSET: 0
; COMPUTE_PGM_RSRC3_GFX90A:TG_SPLIT: 0
	.section	.text._ZN7rocprim17ROCPRIM_400000_NS6detail17trampoline_kernelINS0_14default_configENS1_33run_length_encode_config_selectorItjNS0_4plusIjEEEEZZNS1_33reduce_by_key_impl_wrapped_configILNS1_25lookback_scan_determinismE0ES3_S7_PKtNS0_17constant_iteratorIjlEEPtPlSF_S6_NS0_8equal_toItEEEE10hipError_tPvRmT2_T3_mT4_T5_T6_T7_T8_P12ihipStream_tbENKUlT_T0_E_clISt17integral_constantIbLb0EESZ_EEDaSU_SV_EUlSU_E_NS1_11comp_targetILNS1_3genE10ELNS1_11target_archE1200ELNS1_3gpuE4ELNS1_3repE0EEENS1_30default_config_static_selectorELNS0_4arch9wavefront6targetE1EEEvT1_,"axG",@progbits,_ZN7rocprim17ROCPRIM_400000_NS6detail17trampoline_kernelINS0_14default_configENS1_33run_length_encode_config_selectorItjNS0_4plusIjEEEEZZNS1_33reduce_by_key_impl_wrapped_configILNS1_25lookback_scan_determinismE0ES3_S7_PKtNS0_17constant_iteratorIjlEEPtPlSF_S6_NS0_8equal_toItEEEE10hipError_tPvRmT2_T3_mT4_T5_T6_T7_T8_P12ihipStream_tbENKUlT_T0_E_clISt17integral_constantIbLb0EESZ_EEDaSU_SV_EUlSU_E_NS1_11comp_targetILNS1_3genE10ELNS1_11target_archE1200ELNS1_3gpuE4ELNS1_3repE0EEENS1_30default_config_static_selectorELNS0_4arch9wavefront6targetE1EEEvT1_,comdat
	.protected	_ZN7rocprim17ROCPRIM_400000_NS6detail17trampoline_kernelINS0_14default_configENS1_33run_length_encode_config_selectorItjNS0_4plusIjEEEEZZNS1_33reduce_by_key_impl_wrapped_configILNS1_25lookback_scan_determinismE0ES3_S7_PKtNS0_17constant_iteratorIjlEEPtPlSF_S6_NS0_8equal_toItEEEE10hipError_tPvRmT2_T3_mT4_T5_T6_T7_T8_P12ihipStream_tbENKUlT_T0_E_clISt17integral_constantIbLb0EESZ_EEDaSU_SV_EUlSU_E_NS1_11comp_targetILNS1_3genE10ELNS1_11target_archE1200ELNS1_3gpuE4ELNS1_3repE0EEENS1_30default_config_static_selectorELNS0_4arch9wavefront6targetE1EEEvT1_ ; -- Begin function _ZN7rocprim17ROCPRIM_400000_NS6detail17trampoline_kernelINS0_14default_configENS1_33run_length_encode_config_selectorItjNS0_4plusIjEEEEZZNS1_33reduce_by_key_impl_wrapped_configILNS1_25lookback_scan_determinismE0ES3_S7_PKtNS0_17constant_iteratorIjlEEPtPlSF_S6_NS0_8equal_toItEEEE10hipError_tPvRmT2_T3_mT4_T5_T6_T7_T8_P12ihipStream_tbENKUlT_T0_E_clISt17integral_constantIbLb0EESZ_EEDaSU_SV_EUlSU_E_NS1_11comp_targetILNS1_3genE10ELNS1_11target_archE1200ELNS1_3gpuE4ELNS1_3repE0EEENS1_30default_config_static_selectorELNS0_4arch9wavefront6targetE1EEEvT1_
	.globl	_ZN7rocprim17ROCPRIM_400000_NS6detail17trampoline_kernelINS0_14default_configENS1_33run_length_encode_config_selectorItjNS0_4plusIjEEEEZZNS1_33reduce_by_key_impl_wrapped_configILNS1_25lookback_scan_determinismE0ES3_S7_PKtNS0_17constant_iteratorIjlEEPtPlSF_S6_NS0_8equal_toItEEEE10hipError_tPvRmT2_T3_mT4_T5_T6_T7_T8_P12ihipStream_tbENKUlT_T0_E_clISt17integral_constantIbLb0EESZ_EEDaSU_SV_EUlSU_E_NS1_11comp_targetILNS1_3genE10ELNS1_11target_archE1200ELNS1_3gpuE4ELNS1_3repE0EEENS1_30default_config_static_selectorELNS0_4arch9wavefront6targetE1EEEvT1_
	.p2align	8
	.type	_ZN7rocprim17ROCPRIM_400000_NS6detail17trampoline_kernelINS0_14default_configENS1_33run_length_encode_config_selectorItjNS0_4plusIjEEEEZZNS1_33reduce_by_key_impl_wrapped_configILNS1_25lookback_scan_determinismE0ES3_S7_PKtNS0_17constant_iteratorIjlEEPtPlSF_S6_NS0_8equal_toItEEEE10hipError_tPvRmT2_T3_mT4_T5_T6_T7_T8_P12ihipStream_tbENKUlT_T0_E_clISt17integral_constantIbLb0EESZ_EEDaSU_SV_EUlSU_E_NS1_11comp_targetILNS1_3genE10ELNS1_11target_archE1200ELNS1_3gpuE4ELNS1_3repE0EEENS1_30default_config_static_selectorELNS0_4arch9wavefront6targetE1EEEvT1_,@function
_ZN7rocprim17ROCPRIM_400000_NS6detail17trampoline_kernelINS0_14default_configENS1_33run_length_encode_config_selectorItjNS0_4plusIjEEEEZZNS1_33reduce_by_key_impl_wrapped_configILNS1_25lookback_scan_determinismE0ES3_S7_PKtNS0_17constant_iteratorIjlEEPtPlSF_S6_NS0_8equal_toItEEEE10hipError_tPvRmT2_T3_mT4_T5_T6_T7_T8_P12ihipStream_tbENKUlT_T0_E_clISt17integral_constantIbLb0EESZ_EEDaSU_SV_EUlSU_E_NS1_11comp_targetILNS1_3genE10ELNS1_11target_archE1200ELNS1_3gpuE4ELNS1_3repE0EEENS1_30default_config_static_selectorELNS0_4arch9wavefront6targetE1EEEvT1_: ; @_ZN7rocprim17ROCPRIM_400000_NS6detail17trampoline_kernelINS0_14default_configENS1_33run_length_encode_config_selectorItjNS0_4plusIjEEEEZZNS1_33reduce_by_key_impl_wrapped_configILNS1_25lookback_scan_determinismE0ES3_S7_PKtNS0_17constant_iteratorIjlEEPtPlSF_S6_NS0_8equal_toItEEEE10hipError_tPvRmT2_T3_mT4_T5_T6_T7_T8_P12ihipStream_tbENKUlT_T0_E_clISt17integral_constantIbLb0EESZ_EEDaSU_SV_EUlSU_E_NS1_11comp_targetILNS1_3genE10ELNS1_11target_archE1200ELNS1_3gpuE4ELNS1_3repE0EEENS1_30default_config_static_selectorELNS0_4arch9wavefront6targetE1EEEvT1_
; %bb.0:
	.section	.rodata,"a",@progbits
	.p2align	6, 0x0
	.amdhsa_kernel _ZN7rocprim17ROCPRIM_400000_NS6detail17trampoline_kernelINS0_14default_configENS1_33run_length_encode_config_selectorItjNS0_4plusIjEEEEZZNS1_33reduce_by_key_impl_wrapped_configILNS1_25lookback_scan_determinismE0ES3_S7_PKtNS0_17constant_iteratorIjlEEPtPlSF_S6_NS0_8equal_toItEEEE10hipError_tPvRmT2_T3_mT4_T5_T6_T7_T8_P12ihipStream_tbENKUlT_T0_E_clISt17integral_constantIbLb0EESZ_EEDaSU_SV_EUlSU_E_NS1_11comp_targetILNS1_3genE10ELNS1_11target_archE1200ELNS1_3gpuE4ELNS1_3repE0EEENS1_30default_config_static_selectorELNS0_4arch9wavefront6targetE1EEEvT1_
		.amdhsa_group_segment_fixed_size 0
		.amdhsa_private_segment_fixed_size 0
		.amdhsa_kernarg_size 128
		.amdhsa_user_sgpr_count 2
		.amdhsa_user_sgpr_dispatch_ptr 0
		.amdhsa_user_sgpr_queue_ptr 0
		.amdhsa_user_sgpr_kernarg_segment_ptr 1
		.amdhsa_user_sgpr_dispatch_id 0
		.amdhsa_user_sgpr_kernarg_preload_length 0
		.amdhsa_user_sgpr_kernarg_preload_offset 0
		.amdhsa_user_sgpr_private_segment_size 0
		.amdhsa_uses_dynamic_stack 0
		.amdhsa_enable_private_segment 0
		.amdhsa_system_sgpr_workgroup_id_x 1
		.amdhsa_system_sgpr_workgroup_id_y 0
		.amdhsa_system_sgpr_workgroup_id_z 0
		.amdhsa_system_sgpr_workgroup_info 0
		.amdhsa_system_vgpr_workitem_id 0
		.amdhsa_next_free_vgpr 1
		.amdhsa_next_free_sgpr 0
		.amdhsa_accum_offset 4
		.amdhsa_reserve_vcc 0
		.amdhsa_float_round_mode_32 0
		.amdhsa_float_round_mode_16_64 0
		.amdhsa_float_denorm_mode_32 3
		.amdhsa_float_denorm_mode_16_64 3
		.amdhsa_dx10_clamp 1
		.amdhsa_ieee_mode 1
		.amdhsa_fp16_overflow 0
		.amdhsa_tg_split 0
		.amdhsa_exception_fp_ieee_invalid_op 0
		.amdhsa_exception_fp_denorm_src 0
		.amdhsa_exception_fp_ieee_div_zero 0
		.amdhsa_exception_fp_ieee_overflow 0
		.amdhsa_exception_fp_ieee_underflow 0
		.amdhsa_exception_fp_ieee_inexact 0
		.amdhsa_exception_int_div_zero 0
	.end_amdhsa_kernel
	.section	.text._ZN7rocprim17ROCPRIM_400000_NS6detail17trampoline_kernelINS0_14default_configENS1_33run_length_encode_config_selectorItjNS0_4plusIjEEEEZZNS1_33reduce_by_key_impl_wrapped_configILNS1_25lookback_scan_determinismE0ES3_S7_PKtNS0_17constant_iteratorIjlEEPtPlSF_S6_NS0_8equal_toItEEEE10hipError_tPvRmT2_T3_mT4_T5_T6_T7_T8_P12ihipStream_tbENKUlT_T0_E_clISt17integral_constantIbLb0EESZ_EEDaSU_SV_EUlSU_E_NS1_11comp_targetILNS1_3genE10ELNS1_11target_archE1200ELNS1_3gpuE4ELNS1_3repE0EEENS1_30default_config_static_selectorELNS0_4arch9wavefront6targetE1EEEvT1_,"axG",@progbits,_ZN7rocprim17ROCPRIM_400000_NS6detail17trampoline_kernelINS0_14default_configENS1_33run_length_encode_config_selectorItjNS0_4plusIjEEEEZZNS1_33reduce_by_key_impl_wrapped_configILNS1_25lookback_scan_determinismE0ES3_S7_PKtNS0_17constant_iteratorIjlEEPtPlSF_S6_NS0_8equal_toItEEEE10hipError_tPvRmT2_T3_mT4_T5_T6_T7_T8_P12ihipStream_tbENKUlT_T0_E_clISt17integral_constantIbLb0EESZ_EEDaSU_SV_EUlSU_E_NS1_11comp_targetILNS1_3genE10ELNS1_11target_archE1200ELNS1_3gpuE4ELNS1_3repE0EEENS1_30default_config_static_selectorELNS0_4arch9wavefront6targetE1EEEvT1_,comdat
.Lfunc_end793:
	.size	_ZN7rocprim17ROCPRIM_400000_NS6detail17trampoline_kernelINS0_14default_configENS1_33run_length_encode_config_selectorItjNS0_4plusIjEEEEZZNS1_33reduce_by_key_impl_wrapped_configILNS1_25lookback_scan_determinismE0ES3_S7_PKtNS0_17constant_iteratorIjlEEPtPlSF_S6_NS0_8equal_toItEEEE10hipError_tPvRmT2_T3_mT4_T5_T6_T7_T8_P12ihipStream_tbENKUlT_T0_E_clISt17integral_constantIbLb0EESZ_EEDaSU_SV_EUlSU_E_NS1_11comp_targetILNS1_3genE10ELNS1_11target_archE1200ELNS1_3gpuE4ELNS1_3repE0EEENS1_30default_config_static_selectorELNS0_4arch9wavefront6targetE1EEEvT1_, .Lfunc_end793-_ZN7rocprim17ROCPRIM_400000_NS6detail17trampoline_kernelINS0_14default_configENS1_33run_length_encode_config_selectorItjNS0_4plusIjEEEEZZNS1_33reduce_by_key_impl_wrapped_configILNS1_25lookback_scan_determinismE0ES3_S7_PKtNS0_17constant_iteratorIjlEEPtPlSF_S6_NS0_8equal_toItEEEE10hipError_tPvRmT2_T3_mT4_T5_T6_T7_T8_P12ihipStream_tbENKUlT_T0_E_clISt17integral_constantIbLb0EESZ_EEDaSU_SV_EUlSU_E_NS1_11comp_targetILNS1_3genE10ELNS1_11target_archE1200ELNS1_3gpuE4ELNS1_3repE0EEENS1_30default_config_static_selectorELNS0_4arch9wavefront6targetE1EEEvT1_
                                        ; -- End function
	.section	.AMDGPU.csdata,"",@progbits
; Kernel info:
; codeLenInByte = 0
; NumSgprs: 6
; NumVgprs: 0
; NumAgprs: 0
; TotalNumVgprs: 0
; ScratchSize: 0
; MemoryBound: 0
; FloatMode: 240
; IeeeMode: 1
; LDSByteSize: 0 bytes/workgroup (compile time only)
; SGPRBlocks: 0
; VGPRBlocks: 0
; NumSGPRsForWavesPerEU: 6
; NumVGPRsForWavesPerEU: 1
; AccumOffset: 4
; Occupancy: 8
; WaveLimiterHint : 0
; COMPUTE_PGM_RSRC2:SCRATCH_EN: 0
; COMPUTE_PGM_RSRC2:USER_SGPR: 2
; COMPUTE_PGM_RSRC2:TRAP_HANDLER: 0
; COMPUTE_PGM_RSRC2:TGID_X_EN: 1
; COMPUTE_PGM_RSRC2:TGID_Y_EN: 0
; COMPUTE_PGM_RSRC2:TGID_Z_EN: 0
; COMPUTE_PGM_RSRC2:TIDIG_COMP_CNT: 0
; COMPUTE_PGM_RSRC3_GFX90A:ACCUM_OFFSET: 0
; COMPUTE_PGM_RSRC3_GFX90A:TG_SPLIT: 0
	.section	.text._ZN7rocprim17ROCPRIM_400000_NS6detail17trampoline_kernelINS0_14default_configENS1_33run_length_encode_config_selectorItjNS0_4plusIjEEEEZZNS1_33reduce_by_key_impl_wrapped_configILNS1_25lookback_scan_determinismE0ES3_S7_PKtNS0_17constant_iteratorIjlEEPtPlSF_S6_NS0_8equal_toItEEEE10hipError_tPvRmT2_T3_mT4_T5_T6_T7_T8_P12ihipStream_tbENKUlT_T0_E_clISt17integral_constantIbLb0EESZ_EEDaSU_SV_EUlSU_E_NS1_11comp_targetILNS1_3genE9ELNS1_11target_archE1100ELNS1_3gpuE3ELNS1_3repE0EEENS1_30default_config_static_selectorELNS0_4arch9wavefront6targetE1EEEvT1_,"axG",@progbits,_ZN7rocprim17ROCPRIM_400000_NS6detail17trampoline_kernelINS0_14default_configENS1_33run_length_encode_config_selectorItjNS0_4plusIjEEEEZZNS1_33reduce_by_key_impl_wrapped_configILNS1_25lookback_scan_determinismE0ES3_S7_PKtNS0_17constant_iteratorIjlEEPtPlSF_S6_NS0_8equal_toItEEEE10hipError_tPvRmT2_T3_mT4_T5_T6_T7_T8_P12ihipStream_tbENKUlT_T0_E_clISt17integral_constantIbLb0EESZ_EEDaSU_SV_EUlSU_E_NS1_11comp_targetILNS1_3genE9ELNS1_11target_archE1100ELNS1_3gpuE3ELNS1_3repE0EEENS1_30default_config_static_selectorELNS0_4arch9wavefront6targetE1EEEvT1_,comdat
	.protected	_ZN7rocprim17ROCPRIM_400000_NS6detail17trampoline_kernelINS0_14default_configENS1_33run_length_encode_config_selectorItjNS0_4plusIjEEEEZZNS1_33reduce_by_key_impl_wrapped_configILNS1_25lookback_scan_determinismE0ES3_S7_PKtNS0_17constant_iteratorIjlEEPtPlSF_S6_NS0_8equal_toItEEEE10hipError_tPvRmT2_T3_mT4_T5_T6_T7_T8_P12ihipStream_tbENKUlT_T0_E_clISt17integral_constantIbLb0EESZ_EEDaSU_SV_EUlSU_E_NS1_11comp_targetILNS1_3genE9ELNS1_11target_archE1100ELNS1_3gpuE3ELNS1_3repE0EEENS1_30default_config_static_selectorELNS0_4arch9wavefront6targetE1EEEvT1_ ; -- Begin function _ZN7rocprim17ROCPRIM_400000_NS6detail17trampoline_kernelINS0_14default_configENS1_33run_length_encode_config_selectorItjNS0_4plusIjEEEEZZNS1_33reduce_by_key_impl_wrapped_configILNS1_25lookback_scan_determinismE0ES3_S7_PKtNS0_17constant_iteratorIjlEEPtPlSF_S6_NS0_8equal_toItEEEE10hipError_tPvRmT2_T3_mT4_T5_T6_T7_T8_P12ihipStream_tbENKUlT_T0_E_clISt17integral_constantIbLb0EESZ_EEDaSU_SV_EUlSU_E_NS1_11comp_targetILNS1_3genE9ELNS1_11target_archE1100ELNS1_3gpuE3ELNS1_3repE0EEENS1_30default_config_static_selectorELNS0_4arch9wavefront6targetE1EEEvT1_
	.globl	_ZN7rocprim17ROCPRIM_400000_NS6detail17trampoline_kernelINS0_14default_configENS1_33run_length_encode_config_selectorItjNS0_4plusIjEEEEZZNS1_33reduce_by_key_impl_wrapped_configILNS1_25lookback_scan_determinismE0ES3_S7_PKtNS0_17constant_iteratorIjlEEPtPlSF_S6_NS0_8equal_toItEEEE10hipError_tPvRmT2_T3_mT4_T5_T6_T7_T8_P12ihipStream_tbENKUlT_T0_E_clISt17integral_constantIbLb0EESZ_EEDaSU_SV_EUlSU_E_NS1_11comp_targetILNS1_3genE9ELNS1_11target_archE1100ELNS1_3gpuE3ELNS1_3repE0EEENS1_30default_config_static_selectorELNS0_4arch9wavefront6targetE1EEEvT1_
	.p2align	8
	.type	_ZN7rocprim17ROCPRIM_400000_NS6detail17trampoline_kernelINS0_14default_configENS1_33run_length_encode_config_selectorItjNS0_4plusIjEEEEZZNS1_33reduce_by_key_impl_wrapped_configILNS1_25lookback_scan_determinismE0ES3_S7_PKtNS0_17constant_iteratorIjlEEPtPlSF_S6_NS0_8equal_toItEEEE10hipError_tPvRmT2_T3_mT4_T5_T6_T7_T8_P12ihipStream_tbENKUlT_T0_E_clISt17integral_constantIbLb0EESZ_EEDaSU_SV_EUlSU_E_NS1_11comp_targetILNS1_3genE9ELNS1_11target_archE1100ELNS1_3gpuE3ELNS1_3repE0EEENS1_30default_config_static_selectorELNS0_4arch9wavefront6targetE1EEEvT1_,@function
_ZN7rocprim17ROCPRIM_400000_NS6detail17trampoline_kernelINS0_14default_configENS1_33run_length_encode_config_selectorItjNS0_4plusIjEEEEZZNS1_33reduce_by_key_impl_wrapped_configILNS1_25lookback_scan_determinismE0ES3_S7_PKtNS0_17constant_iteratorIjlEEPtPlSF_S6_NS0_8equal_toItEEEE10hipError_tPvRmT2_T3_mT4_T5_T6_T7_T8_P12ihipStream_tbENKUlT_T0_E_clISt17integral_constantIbLb0EESZ_EEDaSU_SV_EUlSU_E_NS1_11comp_targetILNS1_3genE9ELNS1_11target_archE1100ELNS1_3gpuE3ELNS1_3repE0EEENS1_30default_config_static_selectorELNS0_4arch9wavefront6targetE1EEEvT1_: ; @_ZN7rocprim17ROCPRIM_400000_NS6detail17trampoline_kernelINS0_14default_configENS1_33run_length_encode_config_selectorItjNS0_4plusIjEEEEZZNS1_33reduce_by_key_impl_wrapped_configILNS1_25lookback_scan_determinismE0ES3_S7_PKtNS0_17constant_iteratorIjlEEPtPlSF_S6_NS0_8equal_toItEEEE10hipError_tPvRmT2_T3_mT4_T5_T6_T7_T8_P12ihipStream_tbENKUlT_T0_E_clISt17integral_constantIbLb0EESZ_EEDaSU_SV_EUlSU_E_NS1_11comp_targetILNS1_3genE9ELNS1_11target_archE1100ELNS1_3gpuE3ELNS1_3repE0EEENS1_30default_config_static_selectorELNS0_4arch9wavefront6targetE1EEEvT1_
; %bb.0:
	.section	.rodata,"a",@progbits
	.p2align	6, 0x0
	.amdhsa_kernel _ZN7rocprim17ROCPRIM_400000_NS6detail17trampoline_kernelINS0_14default_configENS1_33run_length_encode_config_selectorItjNS0_4plusIjEEEEZZNS1_33reduce_by_key_impl_wrapped_configILNS1_25lookback_scan_determinismE0ES3_S7_PKtNS0_17constant_iteratorIjlEEPtPlSF_S6_NS0_8equal_toItEEEE10hipError_tPvRmT2_T3_mT4_T5_T6_T7_T8_P12ihipStream_tbENKUlT_T0_E_clISt17integral_constantIbLb0EESZ_EEDaSU_SV_EUlSU_E_NS1_11comp_targetILNS1_3genE9ELNS1_11target_archE1100ELNS1_3gpuE3ELNS1_3repE0EEENS1_30default_config_static_selectorELNS0_4arch9wavefront6targetE1EEEvT1_
		.amdhsa_group_segment_fixed_size 0
		.amdhsa_private_segment_fixed_size 0
		.amdhsa_kernarg_size 128
		.amdhsa_user_sgpr_count 2
		.amdhsa_user_sgpr_dispatch_ptr 0
		.amdhsa_user_sgpr_queue_ptr 0
		.amdhsa_user_sgpr_kernarg_segment_ptr 1
		.amdhsa_user_sgpr_dispatch_id 0
		.amdhsa_user_sgpr_kernarg_preload_length 0
		.amdhsa_user_sgpr_kernarg_preload_offset 0
		.amdhsa_user_sgpr_private_segment_size 0
		.amdhsa_uses_dynamic_stack 0
		.amdhsa_enable_private_segment 0
		.amdhsa_system_sgpr_workgroup_id_x 1
		.amdhsa_system_sgpr_workgroup_id_y 0
		.amdhsa_system_sgpr_workgroup_id_z 0
		.amdhsa_system_sgpr_workgroup_info 0
		.amdhsa_system_vgpr_workitem_id 0
		.amdhsa_next_free_vgpr 1
		.amdhsa_next_free_sgpr 0
		.amdhsa_accum_offset 4
		.amdhsa_reserve_vcc 0
		.amdhsa_float_round_mode_32 0
		.amdhsa_float_round_mode_16_64 0
		.amdhsa_float_denorm_mode_32 3
		.amdhsa_float_denorm_mode_16_64 3
		.amdhsa_dx10_clamp 1
		.amdhsa_ieee_mode 1
		.amdhsa_fp16_overflow 0
		.amdhsa_tg_split 0
		.amdhsa_exception_fp_ieee_invalid_op 0
		.amdhsa_exception_fp_denorm_src 0
		.amdhsa_exception_fp_ieee_div_zero 0
		.amdhsa_exception_fp_ieee_overflow 0
		.amdhsa_exception_fp_ieee_underflow 0
		.amdhsa_exception_fp_ieee_inexact 0
		.amdhsa_exception_int_div_zero 0
	.end_amdhsa_kernel
	.section	.text._ZN7rocprim17ROCPRIM_400000_NS6detail17trampoline_kernelINS0_14default_configENS1_33run_length_encode_config_selectorItjNS0_4plusIjEEEEZZNS1_33reduce_by_key_impl_wrapped_configILNS1_25lookback_scan_determinismE0ES3_S7_PKtNS0_17constant_iteratorIjlEEPtPlSF_S6_NS0_8equal_toItEEEE10hipError_tPvRmT2_T3_mT4_T5_T6_T7_T8_P12ihipStream_tbENKUlT_T0_E_clISt17integral_constantIbLb0EESZ_EEDaSU_SV_EUlSU_E_NS1_11comp_targetILNS1_3genE9ELNS1_11target_archE1100ELNS1_3gpuE3ELNS1_3repE0EEENS1_30default_config_static_selectorELNS0_4arch9wavefront6targetE1EEEvT1_,"axG",@progbits,_ZN7rocprim17ROCPRIM_400000_NS6detail17trampoline_kernelINS0_14default_configENS1_33run_length_encode_config_selectorItjNS0_4plusIjEEEEZZNS1_33reduce_by_key_impl_wrapped_configILNS1_25lookback_scan_determinismE0ES3_S7_PKtNS0_17constant_iteratorIjlEEPtPlSF_S6_NS0_8equal_toItEEEE10hipError_tPvRmT2_T3_mT4_T5_T6_T7_T8_P12ihipStream_tbENKUlT_T0_E_clISt17integral_constantIbLb0EESZ_EEDaSU_SV_EUlSU_E_NS1_11comp_targetILNS1_3genE9ELNS1_11target_archE1100ELNS1_3gpuE3ELNS1_3repE0EEENS1_30default_config_static_selectorELNS0_4arch9wavefront6targetE1EEEvT1_,comdat
.Lfunc_end794:
	.size	_ZN7rocprim17ROCPRIM_400000_NS6detail17trampoline_kernelINS0_14default_configENS1_33run_length_encode_config_selectorItjNS0_4plusIjEEEEZZNS1_33reduce_by_key_impl_wrapped_configILNS1_25lookback_scan_determinismE0ES3_S7_PKtNS0_17constant_iteratorIjlEEPtPlSF_S6_NS0_8equal_toItEEEE10hipError_tPvRmT2_T3_mT4_T5_T6_T7_T8_P12ihipStream_tbENKUlT_T0_E_clISt17integral_constantIbLb0EESZ_EEDaSU_SV_EUlSU_E_NS1_11comp_targetILNS1_3genE9ELNS1_11target_archE1100ELNS1_3gpuE3ELNS1_3repE0EEENS1_30default_config_static_selectorELNS0_4arch9wavefront6targetE1EEEvT1_, .Lfunc_end794-_ZN7rocprim17ROCPRIM_400000_NS6detail17trampoline_kernelINS0_14default_configENS1_33run_length_encode_config_selectorItjNS0_4plusIjEEEEZZNS1_33reduce_by_key_impl_wrapped_configILNS1_25lookback_scan_determinismE0ES3_S7_PKtNS0_17constant_iteratorIjlEEPtPlSF_S6_NS0_8equal_toItEEEE10hipError_tPvRmT2_T3_mT4_T5_T6_T7_T8_P12ihipStream_tbENKUlT_T0_E_clISt17integral_constantIbLb0EESZ_EEDaSU_SV_EUlSU_E_NS1_11comp_targetILNS1_3genE9ELNS1_11target_archE1100ELNS1_3gpuE3ELNS1_3repE0EEENS1_30default_config_static_selectorELNS0_4arch9wavefront6targetE1EEEvT1_
                                        ; -- End function
	.section	.AMDGPU.csdata,"",@progbits
; Kernel info:
; codeLenInByte = 0
; NumSgprs: 6
; NumVgprs: 0
; NumAgprs: 0
; TotalNumVgprs: 0
; ScratchSize: 0
; MemoryBound: 0
; FloatMode: 240
; IeeeMode: 1
; LDSByteSize: 0 bytes/workgroup (compile time only)
; SGPRBlocks: 0
; VGPRBlocks: 0
; NumSGPRsForWavesPerEU: 6
; NumVGPRsForWavesPerEU: 1
; AccumOffset: 4
; Occupancy: 8
; WaveLimiterHint : 0
; COMPUTE_PGM_RSRC2:SCRATCH_EN: 0
; COMPUTE_PGM_RSRC2:USER_SGPR: 2
; COMPUTE_PGM_RSRC2:TRAP_HANDLER: 0
; COMPUTE_PGM_RSRC2:TGID_X_EN: 1
; COMPUTE_PGM_RSRC2:TGID_Y_EN: 0
; COMPUTE_PGM_RSRC2:TGID_Z_EN: 0
; COMPUTE_PGM_RSRC2:TIDIG_COMP_CNT: 0
; COMPUTE_PGM_RSRC3_GFX90A:ACCUM_OFFSET: 0
; COMPUTE_PGM_RSRC3_GFX90A:TG_SPLIT: 0
	.section	.text._ZN7rocprim17ROCPRIM_400000_NS6detail17trampoline_kernelINS0_14default_configENS1_33run_length_encode_config_selectorItjNS0_4plusIjEEEEZZNS1_33reduce_by_key_impl_wrapped_configILNS1_25lookback_scan_determinismE0ES3_S7_PKtNS0_17constant_iteratorIjlEEPtPlSF_S6_NS0_8equal_toItEEEE10hipError_tPvRmT2_T3_mT4_T5_T6_T7_T8_P12ihipStream_tbENKUlT_T0_E_clISt17integral_constantIbLb0EESZ_EEDaSU_SV_EUlSU_E_NS1_11comp_targetILNS1_3genE8ELNS1_11target_archE1030ELNS1_3gpuE2ELNS1_3repE0EEENS1_30default_config_static_selectorELNS0_4arch9wavefront6targetE1EEEvT1_,"axG",@progbits,_ZN7rocprim17ROCPRIM_400000_NS6detail17trampoline_kernelINS0_14default_configENS1_33run_length_encode_config_selectorItjNS0_4plusIjEEEEZZNS1_33reduce_by_key_impl_wrapped_configILNS1_25lookback_scan_determinismE0ES3_S7_PKtNS0_17constant_iteratorIjlEEPtPlSF_S6_NS0_8equal_toItEEEE10hipError_tPvRmT2_T3_mT4_T5_T6_T7_T8_P12ihipStream_tbENKUlT_T0_E_clISt17integral_constantIbLb0EESZ_EEDaSU_SV_EUlSU_E_NS1_11comp_targetILNS1_3genE8ELNS1_11target_archE1030ELNS1_3gpuE2ELNS1_3repE0EEENS1_30default_config_static_selectorELNS0_4arch9wavefront6targetE1EEEvT1_,comdat
	.protected	_ZN7rocprim17ROCPRIM_400000_NS6detail17trampoline_kernelINS0_14default_configENS1_33run_length_encode_config_selectorItjNS0_4plusIjEEEEZZNS1_33reduce_by_key_impl_wrapped_configILNS1_25lookback_scan_determinismE0ES3_S7_PKtNS0_17constant_iteratorIjlEEPtPlSF_S6_NS0_8equal_toItEEEE10hipError_tPvRmT2_T3_mT4_T5_T6_T7_T8_P12ihipStream_tbENKUlT_T0_E_clISt17integral_constantIbLb0EESZ_EEDaSU_SV_EUlSU_E_NS1_11comp_targetILNS1_3genE8ELNS1_11target_archE1030ELNS1_3gpuE2ELNS1_3repE0EEENS1_30default_config_static_selectorELNS0_4arch9wavefront6targetE1EEEvT1_ ; -- Begin function _ZN7rocprim17ROCPRIM_400000_NS6detail17trampoline_kernelINS0_14default_configENS1_33run_length_encode_config_selectorItjNS0_4plusIjEEEEZZNS1_33reduce_by_key_impl_wrapped_configILNS1_25lookback_scan_determinismE0ES3_S7_PKtNS0_17constant_iteratorIjlEEPtPlSF_S6_NS0_8equal_toItEEEE10hipError_tPvRmT2_T3_mT4_T5_T6_T7_T8_P12ihipStream_tbENKUlT_T0_E_clISt17integral_constantIbLb0EESZ_EEDaSU_SV_EUlSU_E_NS1_11comp_targetILNS1_3genE8ELNS1_11target_archE1030ELNS1_3gpuE2ELNS1_3repE0EEENS1_30default_config_static_selectorELNS0_4arch9wavefront6targetE1EEEvT1_
	.globl	_ZN7rocprim17ROCPRIM_400000_NS6detail17trampoline_kernelINS0_14default_configENS1_33run_length_encode_config_selectorItjNS0_4plusIjEEEEZZNS1_33reduce_by_key_impl_wrapped_configILNS1_25lookback_scan_determinismE0ES3_S7_PKtNS0_17constant_iteratorIjlEEPtPlSF_S6_NS0_8equal_toItEEEE10hipError_tPvRmT2_T3_mT4_T5_T6_T7_T8_P12ihipStream_tbENKUlT_T0_E_clISt17integral_constantIbLb0EESZ_EEDaSU_SV_EUlSU_E_NS1_11comp_targetILNS1_3genE8ELNS1_11target_archE1030ELNS1_3gpuE2ELNS1_3repE0EEENS1_30default_config_static_selectorELNS0_4arch9wavefront6targetE1EEEvT1_
	.p2align	8
	.type	_ZN7rocprim17ROCPRIM_400000_NS6detail17trampoline_kernelINS0_14default_configENS1_33run_length_encode_config_selectorItjNS0_4plusIjEEEEZZNS1_33reduce_by_key_impl_wrapped_configILNS1_25lookback_scan_determinismE0ES3_S7_PKtNS0_17constant_iteratorIjlEEPtPlSF_S6_NS0_8equal_toItEEEE10hipError_tPvRmT2_T3_mT4_T5_T6_T7_T8_P12ihipStream_tbENKUlT_T0_E_clISt17integral_constantIbLb0EESZ_EEDaSU_SV_EUlSU_E_NS1_11comp_targetILNS1_3genE8ELNS1_11target_archE1030ELNS1_3gpuE2ELNS1_3repE0EEENS1_30default_config_static_selectorELNS0_4arch9wavefront6targetE1EEEvT1_,@function
_ZN7rocprim17ROCPRIM_400000_NS6detail17trampoline_kernelINS0_14default_configENS1_33run_length_encode_config_selectorItjNS0_4plusIjEEEEZZNS1_33reduce_by_key_impl_wrapped_configILNS1_25lookback_scan_determinismE0ES3_S7_PKtNS0_17constant_iteratorIjlEEPtPlSF_S6_NS0_8equal_toItEEEE10hipError_tPvRmT2_T3_mT4_T5_T6_T7_T8_P12ihipStream_tbENKUlT_T0_E_clISt17integral_constantIbLb0EESZ_EEDaSU_SV_EUlSU_E_NS1_11comp_targetILNS1_3genE8ELNS1_11target_archE1030ELNS1_3gpuE2ELNS1_3repE0EEENS1_30default_config_static_selectorELNS0_4arch9wavefront6targetE1EEEvT1_: ; @_ZN7rocprim17ROCPRIM_400000_NS6detail17trampoline_kernelINS0_14default_configENS1_33run_length_encode_config_selectorItjNS0_4plusIjEEEEZZNS1_33reduce_by_key_impl_wrapped_configILNS1_25lookback_scan_determinismE0ES3_S7_PKtNS0_17constant_iteratorIjlEEPtPlSF_S6_NS0_8equal_toItEEEE10hipError_tPvRmT2_T3_mT4_T5_T6_T7_T8_P12ihipStream_tbENKUlT_T0_E_clISt17integral_constantIbLb0EESZ_EEDaSU_SV_EUlSU_E_NS1_11comp_targetILNS1_3genE8ELNS1_11target_archE1030ELNS1_3gpuE2ELNS1_3repE0EEENS1_30default_config_static_selectorELNS0_4arch9wavefront6targetE1EEEvT1_
; %bb.0:
	.section	.rodata,"a",@progbits
	.p2align	6, 0x0
	.amdhsa_kernel _ZN7rocprim17ROCPRIM_400000_NS6detail17trampoline_kernelINS0_14default_configENS1_33run_length_encode_config_selectorItjNS0_4plusIjEEEEZZNS1_33reduce_by_key_impl_wrapped_configILNS1_25lookback_scan_determinismE0ES3_S7_PKtNS0_17constant_iteratorIjlEEPtPlSF_S6_NS0_8equal_toItEEEE10hipError_tPvRmT2_T3_mT4_T5_T6_T7_T8_P12ihipStream_tbENKUlT_T0_E_clISt17integral_constantIbLb0EESZ_EEDaSU_SV_EUlSU_E_NS1_11comp_targetILNS1_3genE8ELNS1_11target_archE1030ELNS1_3gpuE2ELNS1_3repE0EEENS1_30default_config_static_selectorELNS0_4arch9wavefront6targetE1EEEvT1_
		.amdhsa_group_segment_fixed_size 0
		.amdhsa_private_segment_fixed_size 0
		.amdhsa_kernarg_size 128
		.amdhsa_user_sgpr_count 2
		.amdhsa_user_sgpr_dispatch_ptr 0
		.amdhsa_user_sgpr_queue_ptr 0
		.amdhsa_user_sgpr_kernarg_segment_ptr 1
		.amdhsa_user_sgpr_dispatch_id 0
		.amdhsa_user_sgpr_kernarg_preload_length 0
		.amdhsa_user_sgpr_kernarg_preload_offset 0
		.amdhsa_user_sgpr_private_segment_size 0
		.amdhsa_uses_dynamic_stack 0
		.amdhsa_enable_private_segment 0
		.amdhsa_system_sgpr_workgroup_id_x 1
		.amdhsa_system_sgpr_workgroup_id_y 0
		.amdhsa_system_sgpr_workgroup_id_z 0
		.amdhsa_system_sgpr_workgroup_info 0
		.amdhsa_system_vgpr_workitem_id 0
		.amdhsa_next_free_vgpr 1
		.amdhsa_next_free_sgpr 0
		.amdhsa_accum_offset 4
		.amdhsa_reserve_vcc 0
		.amdhsa_float_round_mode_32 0
		.amdhsa_float_round_mode_16_64 0
		.amdhsa_float_denorm_mode_32 3
		.amdhsa_float_denorm_mode_16_64 3
		.amdhsa_dx10_clamp 1
		.amdhsa_ieee_mode 1
		.amdhsa_fp16_overflow 0
		.amdhsa_tg_split 0
		.amdhsa_exception_fp_ieee_invalid_op 0
		.amdhsa_exception_fp_denorm_src 0
		.amdhsa_exception_fp_ieee_div_zero 0
		.amdhsa_exception_fp_ieee_overflow 0
		.amdhsa_exception_fp_ieee_underflow 0
		.amdhsa_exception_fp_ieee_inexact 0
		.amdhsa_exception_int_div_zero 0
	.end_amdhsa_kernel
	.section	.text._ZN7rocprim17ROCPRIM_400000_NS6detail17trampoline_kernelINS0_14default_configENS1_33run_length_encode_config_selectorItjNS0_4plusIjEEEEZZNS1_33reduce_by_key_impl_wrapped_configILNS1_25lookback_scan_determinismE0ES3_S7_PKtNS0_17constant_iteratorIjlEEPtPlSF_S6_NS0_8equal_toItEEEE10hipError_tPvRmT2_T3_mT4_T5_T6_T7_T8_P12ihipStream_tbENKUlT_T0_E_clISt17integral_constantIbLb0EESZ_EEDaSU_SV_EUlSU_E_NS1_11comp_targetILNS1_3genE8ELNS1_11target_archE1030ELNS1_3gpuE2ELNS1_3repE0EEENS1_30default_config_static_selectorELNS0_4arch9wavefront6targetE1EEEvT1_,"axG",@progbits,_ZN7rocprim17ROCPRIM_400000_NS6detail17trampoline_kernelINS0_14default_configENS1_33run_length_encode_config_selectorItjNS0_4plusIjEEEEZZNS1_33reduce_by_key_impl_wrapped_configILNS1_25lookback_scan_determinismE0ES3_S7_PKtNS0_17constant_iteratorIjlEEPtPlSF_S6_NS0_8equal_toItEEEE10hipError_tPvRmT2_T3_mT4_T5_T6_T7_T8_P12ihipStream_tbENKUlT_T0_E_clISt17integral_constantIbLb0EESZ_EEDaSU_SV_EUlSU_E_NS1_11comp_targetILNS1_3genE8ELNS1_11target_archE1030ELNS1_3gpuE2ELNS1_3repE0EEENS1_30default_config_static_selectorELNS0_4arch9wavefront6targetE1EEEvT1_,comdat
.Lfunc_end795:
	.size	_ZN7rocprim17ROCPRIM_400000_NS6detail17trampoline_kernelINS0_14default_configENS1_33run_length_encode_config_selectorItjNS0_4plusIjEEEEZZNS1_33reduce_by_key_impl_wrapped_configILNS1_25lookback_scan_determinismE0ES3_S7_PKtNS0_17constant_iteratorIjlEEPtPlSF_S6_NS0_8equal_toItEEEE10hipError_tPvRmT2_T3_mT4_T5_T6_T7_T8_P12ihipStream_tbENKUlT_T0_E_clISt17integral_constantIbLb0EESZ_EEDaSU_SV_EUlSU_E_NS1_11comp_targetILNS1_3genE8ELNS1_11target_archE1030ELNS1_3gpuE2ELNS1_3repE0EEENS1_30default_config_static_selectorELNS0_4arch9wavefront6targetE1EEEvT1_, .Lfunc_end795-_ZN7rocprim17ROCPRIM_400000_NS6detail17trampoline_kernelINS0_14default_configENS1_33run_length_encode_config_selectorItjNS0_4plusIjEEEEZZNS1_33reduce_by_key_impl_wrapped_configILNS1_25lookback_scan_determinismE0ES3_S7_PKtNS0_17constant_iteratorIjlEEPtPlSF_S6_NS0_8equal_toItEEEE10hipError_tPvRmT2_T3_mT4_T5_T6_T7_T8_P12ihipStream_tbENKUlT_T0_E_clISt17integral_constantIbLb0EESZ_EEDaSU_SV_EUlSU_E_NS1_11comp_targetILNS1_3genE8ELNS1_11target_archE1030ELNS1_3gpuE2ELNS1_3repE0EEENS1_30default_config_static_selectorELNS0_4arch9wavefront6targetE1EEEvT1_
                                        ; -- End function
	.section	.AMDGPU.csdata,"",@progbits
; Kernel info:
; codeLenInByte = 0
; NumSgprs: 6
; NumVgprs: 0
; NumAgprs: 0
; TotalNumVgprs: 0
; ScratchSize: 0
; MemoryBound: 0
; FloatMode: 240
; IeeeMode: 1
; LDSByteSize: 0 bytes/workgroup (compile time only)
; SGPRBlocks: 0
; VGPRBlocks: 0
; NumSGPRsForWavesPerEU: 6
; NumVGPRsForWavesPerEU: 1
; AccumOffset: 4
; Occupancy: 8
; WaveLimiterHint : 0
; COMPUTE_PGM_RSRC2:SCRATCH_EN: 0
; COMPUTE_PGM_RSRC2:USER_SGPR: 2
; COMPUTE_PGM_RSRC2:TRAP_HANDLER: 0
; COMPUTE_PGM_RSRC2:TGID_X_EN: 1
; COMPUTE_PGM_RSRC2:TGID_Y_EN: 0
; COMPUTE_PGM_RSRC2:TGID_Z_EN: 0
; COMPUTE_PGM_RSRC2:TIDIG_COMP_CNT: 0
; COMPUTE_PGM_RSRC3_GFX90A:ACCUM_OFFSET: 0
; COMPUTE_PGM_RSRC3_GFX90A:TG_SPLIT: 0
	.section	.text._ZN7rocprim17ROCPRIM_400000_NS6detail17trampoline_kernelINS0_14default_configENS1_33run_length_encode_config_selectorItjNS0_4plusIjEEEEZZNS1_33reduce_by_key_impl_wrapped_configILNS1_25lookback_scan_determinismE0ES3_S7_PKtNS0_17constant_iteratorIjlEEPtPlSF_S6_NS0_8equal_toItEEEE10hipError_tPvRmT2_T3_mT4_T5_T6_T7_T8_P12ihipStream_tbENKUlT_T0_E_clISt17integral_constantIbLb1EESZ_EEDaSU_SV_EUlSU_E_NS1_11comp_targetILNS1_3genE0ELNS1_11target_archE4294967295ELNS1_3gpuE0ELNS1_3repE0EEENS1_30default_config_static_selectorELNS0_4arch9wavefront6targetE1EEEvT1_,"axG",@progbits,_ZN7rocprim17ROCPRIM_400000_NS6detail17trampoline_kernelINS0_14default_configENS1_33run_length_encode_config_selectorItjNS0_4plusIjEEEEZZNS1_33reduce_by_key_impl_wrapped_configILNS1_25lookback_scan_determinismE0ES3_S7_PKtNS0_17constant_iteratorIjlEEPtPlSF_S6_NS0_8equal_toItEEEE10hipError_tPvRmT2_T3_mT4_T5_T6_T7_T8_P12ihipStream_tbENKUlT_T0_E_clISt17integral_constantIbLb1EESZ_EEDaSU_SV_EUlSU_E_NS1_11comp_targetILNS1_3genE0ELNS1_11target_archE4294967295ELNS1_3gpuE0ELNS1_3repE0EEENS1_30default_config_static_selectorELNS0_4arch9wavefront6targetE1EEEvT1_,comdat
	.protected	_ZN7rocprim17ROCPRIM_400000_NS6detail17trampoline_kernelINS0_14default_configENS1_33run_length_encode_config_selectorItjNS0_4plusIjEEEEZZNS1_33reduce_by_key_impl_wrapped_configILNS1_25lookback_scan_determinismE0ES3_S7_PKtNS0_17constant_iteratorIjlEEPtPlSF_S6_NS0_8equal_toItEEEE10hipError_tPvRmT2_T3_mT4_T5_T6_T7_T8_P12ihipStream_tbENKUlT_T0_E_clISt17integral_constantIbLb1EESZ_EEDaSU_SV_EUlSU_E_NS1_11comp_targetILNS1_3genE0ELNS1_11target_archE4294967295ELNS1_3gpuE0ELNS1_3repE0EEENS1_30default_config_static_selectorELNS0_4arch9wavefront6targetE1EEEvT1_ ; -- Begin function _ZN7rocprim17ROCPRIM_400000_NS6detail17trampoline_kernelINS0_14default_configENS1_33run_length_encode_config_selectorItjNS0_4plusIjEEEEZZNS1_33reduce_by_key_impl_wrapped_configILNS1_25lookback_scan_determinismE0ES3_S7_PKtNS0_17constant_iteratorIjlEEPtPlSF_S6_NS0_8equal_toItEEEE10hipError_tPvRmT2_T3_mT4_T5_T6_T7_T8_P12ihipStream_tbENKUlT_T0_E_clISt17integral_constantIbLb1EESZ_EEDaSU_SV_EUlSU_E_NS1_11comp_targetILNS1_3genE0ELNS1_11target_archE4294967295ELNS1_3gpuE0ELNS1_3repE0EEENS1_30default_config_static_selectorELNS0_4arch9wavefront6targetE1EEEvT1_
	.globl	_ZN7rocprim17ROCPRIM_400000_NS6detail17trampoline_kernelINS0_14default_configENS1_33run_length_encode_config_selectorItjNS0_4plusIjEEEEZZNS1_33reduce_by_key_impl_wrapped_configILNS1_25lookback_scan_determinismE0ES3_S7_PKtNS0_17constant_iteratorIjlEEPtPlSF_S6_NS0_8equal_toItEEEE10hipError_tPvRmT2_T3_mT4_T5_T6_T7_T8_P12ihipStream_tbENKUlT_T0_E_clISt17integral_constantIbLb1EESZ_EEDaSU_SV_EUlSU_E_NS1_11comp_targetILNS1_3genE0ELNS1_11target_archE4294967295ELNS1_3gpuE0ELNS1_3repE0EEENS1_30default_config_static_selectorELNS0_4arch9wavefront6targetE1EEEvT1_
	.p2align	8
	.type	_ZN7rocprim17ROCPRIM_400000_NS6detail17trampoline_kernelINS0_14default_configENS1_33run_length_encode_config_selectorItjNS0_4plusIjEEEEZZNS1_33reduce_by_key_impl_wrapped_configILNS1_25lookback_scan_determinismE0ES3_S7_PKtNS0_17constant_iteratorIjlEEPtPlSF_S6_NS0_8equal_toItEEEE10hipError_tPvRmT2_T3_mT4_T5_T6_T7_T8_P12ihipStream_tbENKUlT_T0_E_clISt17integral_constantIbLb1EESZ_EEDaSU_SV_EUlSU_E_NS1_11comp_targetILNS1_3genE0ELNS1_11target_archE4294967295ELNS1_3gpuE0ELNS1_3repE0EEENS1_30default_config_static_selectorELNS0_4arch9wavefront6targetE1EEEvT1_,@function
_ZN7rocprim17ROCPRIM_400000_NS6detail17trampoline_kernelINS0_14default_configENS1_33run_length_encode_config_selectorItjNS0_4plusIjEEEEZZNS1_33reduce_by_key_impl_wrapped_configILNS1_25lookback_scan_determinismE0ES3_S7_PKtNS0_17constant_iteratorIjlEEPtPlSF_S6_NS0_8equal_toItEEEE10hipError_tPvRmT2_T3_mT4_T5_T6_T7_T8_P12ihipStream_tbENKUlT_T0_E_clISt17integral_constantIbLb1EESZ_EEDaSU_SV_EUlSU_E_NS1_11comp_targetILNS1_3genE0ELNS1_11target_archE4294967295ELNS1_3gpuE0ELNS1_3repE0EEENS1_30default_config_static_selectorELNS0_4arch9wavefront6targetE1EEEvT1_: ; @_ZN7rocprim17ROCPRIM_400000_NS6detail17trampoline_kernelINS0_14default_configENS1_33run_length_encode_config_selectorItjNS0_4plusIjEEEEZZNS1_33reduce_by_key_impl_wrapped_configILNS1_25lookback_scan_determinismE0ES3_S7_PKtNS0_17constant_iteratorIjlEEPtPlSF_S6_NS0_8equal_toItEEEE10hipError_tPvRmT2_T3_mT4_T5_T6_T7_T8_P12ihipStream_tbENKUlT_T0_E_clISt17integral_constantIbLb1EESZ_EEDaSU_SV_EUlSU_E_NS1_11comp_targetILNS1_3genE0ELNS1_11target_archE4294967295ELNS1_3gpuE0ELNS1_3repE0EEENS1_30default_config_static_selectorELNS0_4arch9wavefront6targetE1EEEvT1_
; %bb.0:
	.section	.rodata,"a",@progbits
	.p2align	6, 0x0
	.amdhsa_kernel _ZN7rocprim17ROCPRIM_400000_NS6detail17trampoline_kernelINS0_14default_configENS1_33run_length_encode_config_selectorItjNS0_4plusIjEEEEZZNS1_33reduce_by_key_impl_wrapped_configILNS1_25lookback_scan_determinismE0ES3_S7_PKtNS0_17constant_iteratorIjlEEPtPlSF_S6_NS0_8equal_toItEEEE10hipError_tPvRmT2_T3_mT4_T5_T6_T7_T8_P12ihipStream_tbENKUlT_T0_E_clISt17integral_constantIbLb1EESZ_EEDaSU_SV_EUlSU_E_NS1_11comp_targetILNS1_3genE0ELNS1_11target_archE4294967295ELNS1_3gpuE0ELNS1_3repE0EEENS1_30default_config_static_selectorELNS0_4arch9wavefront6targetE1EEEvT1_
		.amdhsa_group_segment_fixed_size 0
		.amdhsa_private_segment_fixed_size 0
		.amdhsa_kernarg_size 128
		.amdhsa_user_sgpr_count 2
		.amdhsa_user_sgpr_dispatch_ptr 0
		.amdhsa_user_sgpr_queue_ptr 0
		.amdhsa_user_sgpr_kernarg_segment_ptr 1
		.amdhsa_user_sgpr_dispatch_id 0
		.amdhsa_user_sgpr_kernarg_preload_length 0
		.amdhsa_user_sgpr_kernarg_preload_offset 0
		.amdhsa_user_sgpr_private_segment_size 0
		.amdhsa_uses_dynamic_stack 0
		.amdhsa_enable_private_segment 0
		.amdhsa_system_sgpr_workgroup_id_x 1
		.amdhsa_system_sgpr_workgroup_id_y 0
		.amdhsa_system_sgpr_workgroup_id_z 0
		.amdhsa_system_sgpr_workgroup_info 0
		.amdhsa_system_vgpr_workitem_id 0
		.amdhsa_next_free_vgpr 1
		.amdhsa_next_free_sgpr 0
		.amdhsa_accum_offset 4
		.amdhsa_reserve_vcc 0
		.amdhsa_float_round_mode_32 0
		.amdhsa_float_round_mode_16_64 0
		.amdhsa_float_denorm_mode_32 3
		.amdhsa_float_denorm_mode_16_64 3
		.amdhsa_dx10_clamp 1
		.amdhsa_ieee_mode 1
		.amdhsa_fp16_overflow 0
		.amdhsa_tg_split 0
		.amdhsa_exception_fp_ieee_invalid_op 0
		.amdhsa_exception_fp_denorm_src 0
		.amdhsa_exception_fp_ieee_div_zero 0
		.amdhsa_exception_fp_ieee_overflow 0
		.amdhsa_exception_fp_ieee_underflow 0
		.amdhsa_exception_fp_ieee_inexact 0
		.amdhsa_exception_int_div_zero 0
	.end_amdhsa_kernel
	.section	.text._ZN7rocprim17ROCPRIM_400000_NS6detail17trampoline_kernelINS0_14default_configENS1_33run_length_encode_config_selectorItjNS0_4plusIjEEEEZZNS1_33reduce_by_key_impl_wrapped_configILNS1_25lookback_scan_determinismE0ES3_S7_PKtNS0_17constant_iteratorIjlEEPtPlSF_S6_NS0_8equal_toItEEEE10hipError_tPvRmT2_T3_mT4_T5_T6_T7_T8_P12ihipStream_tbENKUlT_T0_E_clISt17integral_constantIbLb1EESZ_EEDaSU_SV_EUlSU_E_NS1_11comp_targetILNS1_3genE0ELNS1_11target_archE4294967295ELNS1_3gpuE0ELNS1_3repE0EEENS1_30default_config_static_selectorELNS0_4arch9wavefront6targetE1EEEvT1_,"axG",@progbits,_ZN7rocprim17ROCPRIM_400000_NS6detail17trampoline_kernelINS0_14default_configENS1_33run_length_encode_config_selectorItjNS0_4plusIjEEEEZZNS1_33reduce_by_key_impl_wrapped_configILNS1_25lookback_scan_determinismE0ES3_S7_PKtNS0_17constant_iteratorIjlEEPtPlSF_S6_NS0_8equal_toItEEEE10hipError_tPvRmT2_T3_mT4_T5_T6_T7_T8_P12ihipStream_tbENKUlT_T0_E_clISt17integral_constantIbLb1EESZ_EEDaSU_SV_EUlSU_E_NS1_11comp_targetILNS1_3genE0ELNS1_11target_archE4294967295ELNS1_3gpuE0ELNS1_3repE0EEENS1_30default_config_static_selectorELNS0_4arch9wavefront6targetE1EEEvT1_,comdat
.Lfunc_end796:
	.size	_ZN7rocprim17ROCPRIM_400000_NS6detail17trampoline_kernelINS0_14default_configENS1_33run_length_encode_config_selectorItjNS0_4plusIjEEEEZZNS1_33reduce_by_key_impl_wrapped_configILNS1_25lookback_scan_determinismE0ES3_S7_PKtNS0_17constant_iteratorIjlEEPtPlSF_S6_NS0_8equal_toItEEEE10hipError_tPvRmT2_T3_mT4_T5_T6_T7_T8_P12ihipStream_tbENKUlT_T0_E_clISt17integral_constantIbLb1EESZ_EEDaSU_SV_EUlSU_E_NS1_11comp_targetILNS1_3genE0ELNS1_11target_archE4294967295ELNS1_3gpuE0ELNS1_3repE0EEENS1_30default_config_static_selectorELNS0_4arch9wavefront6targetE1EEEvT1_, .Lfunc_end796-_ZN7rocprim17ROCPRIM_400000_NS6detail17trampoline_kernelINS0_14default_configENS1_33run_length_encode_config_selectorItjNS0_4plusIjEEEEZZNS1_33reduce_by_key_impl_wrapped_configILNS1_25lookback_scan_determinismE0ES3_S7_PKtNS0_17constant_iteratorIjlEEPtPlSF_S6_NS0_8equal_toItEEEE10hipError_tPvRmT2_T3_mT4_T5_T6_T7_T8_P12ihipStream_tbENKUlT_T0_E_clISt17integral_constantIbLb1EESZ_EEDaSU_SV_EUlSU_E_NS1_11comp_targetILNS1_3genE0ELNS1_11target_archE4294967295ELNS1_3gpuE0ELNS1_3repE0EEENS1_30default_config_static_selectorELNS0_4arch9wavefront6targetE1EEEvT1_
                                        ; -- End function
	.section	.AMDGPU.csdata,"",@progbits
; Kernel info:
; codeLenInByte = 0
; NumSgprs: 6
; NumVgprs: 0
; NumAgprs: 0
; TotalNumVgprs: 0
; ScratchSize: 0
; MemoryBound: 0
; FloatMode: 240
; IeeeMode: 1
; LDSByteSize: 0 bytes/workgroup (compile time only)
; SGPRBlocks: 0
; VGPRBlocks: 0
; NumSGPRsForWavesPerEU: 6
; NumVGPRsForWavesPerEU: 1
; AccumOffset: 4
; Occupancy: 8
; WaveLimiterHint : 0
; COMPUTE_PGM_RSRC2:SCRATCH_EN: 0
; COMPUTE_PGM_RSRC2:USER_SGPR: 2
; COMPUTE_PGM_RSRC2:TRAP_HANDLER: 0
; COMPUTE_PGM_RSRC2:TGID_X_EN: 1
; COMPUTE_PGM_RSRC2:TGID_Y_EN: 0
; COMPUTE_PGM_RSRC2:TGID_Z_EN: 0
; COMPUTE_PGM_RSRC2:TIDIG_COMP_CNT: 0
; COMPUTE_PGM_RSRC3_GFX90A:ACCUM_OFFSET: 0
; COMPUTE_PGM_RSRC3_GFX90A:TG_SPLIT: 0
	.section	.text._ZN7rocprim17ROCPRIM_400000_NS6detail17trampoline_kernelINS0_14default_configENS1_33run_length_encode_config_selectorItjNS0_4plusIjEEEEZZNS1_33reduce_by_key_impl_wrapped_configILNS1_25lookback_scan_determinismE0ES3_S7_PKtNS0_17constant_iteratorIjlEEPtPlSF_S6_NS0_8equal_toItEEEE10hipError_tPvRmT2_T3_mT4_T5_T6_T7_T8_P12ihipStream_tbENKUlT_T0_E_clISt17integral_constantIbLb1EESZ_EEDaSU_SV_EUlSU_E_NS1_11comp_targetILNS1_3genE5ELNS1_11target_archE942ELNS1_3gpuE9ELNS1_3repE0EEENS1_30default_config_static_selectorELNS0_4arch9wavefront6targetE1EEEvT1_,"axG",@progbits,_ZN7rocprim17ROCPRIM_400000_NS6detail17trampoline_kernelINS0_14default_configENS1_33run_length_encode_config_selectorItjNS0_4plusIjEEEEZZNS1_33reduce_by_key_impl_wrapped_configILNS1_25lookback_scan_determinismE0ES3_S7_PKtNS0_17constant_iteratorIjlEEPtPlSF_S6_NS0_8equal_toItEEEE10hipError_tPvRmT2_T3_mT4_T5_T6_T7_T8_P12ihipStream_tbENKUlT_T0_E_clISt17integral_constantIbLb1EESZ_EEDaSU_SV_EUlSU_E_NS1_11comp_targetILNS1_3genE5ELNS1_11target_archE942ELNS1_3gpuE9ELNS1_3repE0EEENS1_30default_config_static_selectorELNS0_4arch9wavefront6targetE1EEEvT1_,comdat
	.protected	_ZN7rocprim17ROCPRIM_400000_NS6detail17trampoline_kernelINS0_14default_configENS1_33run_length_encode_config_selectorItjNS0_4plusIjEEEEZZNS1_33reduce_by_key_impl_wrapped_configILNS1_25lookback_scan_determinismE0ES3_S7_PKtNS0_17constant_iteratorIjlEEPtPlSF_S6_NS0_8equal_toItEEEE10hipError_tPvRmT2_T3_mT4_T5_T6_T7_T8_P12ihipStream_tbENKUlT_T0_E_clISt17integral_constantIbLb1EESZ_EEDaSU_SV_EUlSU_E_NS1_11comp_targetILNS1_3genE5ELNS1_11target_archE942ELNS1_3gpuE9ELNS1_3repE0EEENS1_30default_config_static_selectorELNS0_4arch9wavefront6targetE1EEEvT1_ ; -- Begin function _ZN7rocprim17ROCPRIM_400000_NS6detail17trampoline_kernelINS0_14default_configENS1_33run_length_encode_config_selectorItjNS0_4plusIjEEEEZZNS1_33reduce_by_key_impl_wrapped_configILNS1_25lookback_scan_determinismE0ES3_S7_PKtNS0_17constant_iteratorIjlEEPtPlSF_S6_NS0_8equal_toItEEEE10hipError_tPvRmT2_T3_mT4_T5_T6_T7_T8_P12ihipStream_tbENKUlT_T0_E_clISt17integral_constantIbLb1EESZ_EEDaSU_SV_EUlSU_E_NS1_11comp_targetILNS1_3genE5ELNS1_11target_archE942ELNS1_3gpuE9ELNS1_3repE0EEENS1_30default_config_static_selectorELNS0_4arch9wavefront6targetE1EEEvT1_
	.globl	_ZN7rocprim17ROCPRIM_400000_NS6detail17trampoline_kernelINS0_14default_configENS1_33run_length_encode_config_selectorItjNS0_4plusIjEEEEZZNS1_33reduce_by_key_impl_wrapped_configILNS1_25lookback_scan_determinismE0ES3_S7_PKtNS0_17constant_iteratorIjlEEPtPlSF_S6_NS0_8equal_toItEEEE10hipError_tPvRmT2_T3_mT4_T5_T6_T7_T8_P12ihipStream_tbENKUlT_T0_E_clISt17integral_constantIbLb1EESZ_EEDaSU_SV_EUlSU_E_NS1_11comp_targetILNS1_3genE5ELNS1_11target_archE942ELNS1_3gpuE9ELNS1_3repE0EEENS1_30default_config_static_selectorELNS0_4arch9wavefront6targetE1EEEvT1_
	.p2align	8
	.type	_ZN7rocprim17ROCPRIM_400000_NS6detail17trampoline_kernelINS0_14default_configENS1_33run_length_encode_config_selectorItjNS0_4plusIjEEEEZZNS1_33reduce_by_key_impl_wrapped_configILNS1_25lookback_scan_determinismE0ES3_S7_PKtNS0_17constant_iteratorIjlEEPtPlSF_S6_NS0_8equal_toItEEEE10hipError_tPvRmT2_T3_mT4_T5_T6_T7_T8_P12ihipStream_tbENKUlT_T0_E_clISt17integral_constantIbLb1EESZ_EEDaSU_SV_EUlSU_E_NS1_11comp_targetILNS1_3genE5ELNS1_11target_archE942ELNS1_3gpuE9ELNS1_3repE0EEENS1_30default_config_static_selectorELNS0_4arch9wavefront6targetE1EEEvT1_,@function
_ZN7rocprim17ROCPRIM_400000_NS6detail17trampoline_kernelINS0_14default_configENS1_33run_length_encode_config_selectorItjNS0_4plusIjEEEEZZNS1_33reduce_by_key_impl_wrapped_configILNS1_25lookback_scan_determinismE0ES3_S7_PKtNS0_17constant_iteratorIjlEEPtPlSF_S6_NS0_8equal_toItEEEE10hipError_tPvRmT2_T3_mT4_T5_T6_T7_T8_P12ihipStream_tbENKUlT_T0_E_clISt17integral_constantIbLb1EESZ_EEDaSU_SV_EUlSU_E_NS1_11comp_targetILNS1_3genE5ELNS1_11target_archE942ELNS1_3gpuE9ELNS1_3repE0EEENS1_30default_config_static_selectorELNS0_4arch9wavefront6targetE1EEEvT1_: ; @_ZN7rocprim17ROCPRIM_400000_NS6detail17trampoline_kernelINS0_14default_configENS1_33run_length_encode_config_selectorItjNS0_4plusIjEEEEZZNS1_33reduce_by_key_impl_wrapped_configILNS1_25lookback_scan_determinismE0ES3_S7_PKtNS0_17constant_iteratorIjlEEPtPlSF_S6_NS0_8equal_toItEEEE10hipError_tPvRmT2_T3_mT4_T5_T6_T7_T8_P12ihipStream_tbENKUlT_T0_E_clISt17integral_constantIbLb1EESZ_EEDaSU_SV_EUlSU_E_NS1_11comp_targetILNS1_3genE5ELNS1_11target_archE942ELNS1_3gpuE9ELNS1_3repE0EEENS1_30default_config_static_selectorELNS0_4arch9wavefront6targetE1EEEvT1_
; %bb.0:
	s_load_dword s10, s[0:1], 0x10
	s_load_dwordx4 s[44:47], s[0:1], 0x20
	s_load_dwordx2 s[34:35], s[0:1], 0x30
	s_load_dwordx2 s[28:29], s[0:1], 0x70
	s_load_dwordx4 s[48:51], s[0:1], 0x60
	s_load_dwordx8 s[36:43], s[0:1], 0x40
	v_cmp_ne_u32_e64 s[2:3], 0, v0
	v_cmp_eq_u32_e64 s[30:31], 0, v0
	s_and_saveexec_b64 s[4:5], s[30:31]
	s_cbranch_execz .LBB797_4
; %bb.1:
	s_mov_b64 s[8:9], exec
	v_mbcnt_lo_u32_b32 v1, s8, 0
	v_mbcnt_hi_u32_b32 v1, s9, v1
	v_cmp_eq_u32_e32 vcc, 0, v1
                                        ; implicit-def: $vgpr2
	s_and_saveexec_b64 s[6:7], vcc
	s_cbranch_execz .LBB797_3
; %bb.2:
	s_load_dwordx2 s[12:13], s[0:1], 0x78
	s_bcnt1_i32_b64 s8, s[8:9]
	v_mov_b32_e32 v2, 0
	v_mov_b32_e32 v3, s8
	s_waitcnt lgkmcnt(0)
	global_atomic_add v2, v2, v3, s[12:13] sc0
.LBB797_3:
	s_or_b64 exec, exec, s[6:7]
	s_waitcnt vmcnt(0)
	v_readfirstlane_b32 s6, v2
	v_mov_b32_e32 v2, 0
	s_nop 0
	v_add_u32_e32 v1, s6, v1
	ds_write_b32 v2, v1
.LBB797_4:
	s_or_b64 exec, exec, s[4:5]
	s_load_dwordx4 s[4:7], s[0:1], 0x0
	v_mov_b32_e32 v5, 0
	s_waitcnt lgkmcnt(0)
	s_barrier
	ds_read_b32 v1, v5
	s_mul_i32 s0, s40, s39
	s_mul_hi_u32 s1, s40, s38
	s_add_i32 s0, s1, s0
	s_mul_i32 s1, s41, s38
	s_add_i32 s8, s0, s1
	s_lshl_b64 s[0:1], s[6:7], 1
	s_add_u32 s0, s4, s0
	s_movk_i32 s4, 0x1c00
	s_waitcnt lgkmcnt(0)
	v_mul_lo_u32 v4, v1, s4
	s_mul_i32 s9, s40, s38
	s_addc_u32 s1, s5, s1
	v_readfirstlane_b32 s56, v1
	v_lshlrev_b64 v[2:3], 1, v[4:5]
	v_lshl_add_u64 v[2:3], s[0:1], 0, v[2:3]
	s_add_u32 s0, s9, s56
	s_addc_u32 s1, s8, 0
	s_add_u32 s4, s42, -1
	s_addc_u32 s5, s43, -1
	s_cmp_eq_u64 s[0:1], s[4:5]
	s_cselect_b64 s[40:41], -1, 0
	s_cmp_lg_u64 s[0:1], s[4:5]
	s_mov_b64 s[8:9], -1
	s_cselect_b64 s[6:7], -1, 0
	s_mul_i32 s33, s4, 0xffffe400
	s_and_b64 vcc, exec, s[40:41]
	s_barrier
	s_cbranch_vccnz .LBB797_6
; %bb.5:
	v_lshlrev_b32_e32 v4, 1, v0
	v_lshl_add_u64 v[6:7], v[2:3], 0, v[4:5]
	v_add_co_u32_e32 v8, vcc, 0x1000, v6
	v_readfirstlane_b32 s4, v2
	s_nop 0
	v_addc_co_u32_e32 v9, vcc, 0, v7, vcc
	v_add_co_u32_e32 v10, vcc, 0x2000, v6
	v_readfirstlane_b32 s5, v3
	s_nop 0
	v_addc_co_u32_e32 v11, vcc, 0, v7, vcc
	v_add_co_u32_e32 v6, vcc, 0x3000, v6
	s_nop 1
	global_load_ushort v1, v4, s[4:5]
	global_load_ushort v5, v4, s[4:5] offset:1024
	global_load_ushort v12, v4, s[4:5] offset:2048
	;; [unrolled: 1-line block ×3, first 2 shown]
	v_addc_co_u32_e32 v7, vcc, 0, v7, vcc
	global_load_ushort v14, v[8:9], off
	global_load_ushort v15, v[8:9], off offset:1024
	global_load_ushort v16, v[8:9], off offset:2048
	;; [unrolled: 1-line block ×3, first 2 shown]
	global_load_ushort v18, v[10:11], off
	global_load_ushort v19, v[10:11], off offset:1024
	global_load_ushort v20, v[10:11], off offset:2048
	;; [unrolled: 1-line block ×3, first 2 shown]
	s_nop 0
	global_load_ushort v8, v[6:7], off
	global_load_ushort v9, v[6:7], off offset:1024
	v_mad_u32_u24 v6, v0, 26, v4
	s_mov_b64 s[4:5], -1
	s_waitcnt vmcnt(13)
	ds_write_b16 v4, v1
	s_waitcnt vmcnt(12)
	ds_write_b16 v4, v5 offset:1024
	s_waitcnt vmcnt(11)
	ds_write_b16 v4, v12 offset:2048
	;; [unrolled: 2-line block ×13, first 2 shown]
	s_waitcnt lgkmcnt(0)
	s_barrier
	ds_read2_b32 v[12:13], v6 offset1:1
	ds_read2_b32 v[10:11], v6 offset0:2 offset1:3
	ds_read2_b32 v[8:9], v6 offset0:4 offset1:5
	ds_read_b32 v1, v6 offset:24
	s_add_i32 s33, s33, s48
	s_cbranch_execz .LBB797_7
	s_branch .LBB797_36
.LBB797_6:
	s_mov_b64 s[4:5], 0
                                        ; implicit-def: $vgpr12
                                        ; implicit-def: $vgpr10
                                        ; implicit-def: $vgpr8
                                        ; implicit-def: $vgpr1
	s_add_i32 s33, s33, s48
	s_andn2_b64 vcc, exec, s[8:9]
	s_cbranch_vccnz .LBB797_36
.LBB797_7:
	v_cmp_gt_u32_e32 vcc, s33, v0
                                        ; implicit-def: $vgpr1
	s_and_saveexec_b64 s[4:5], vcc
	s_cbranch_execz .LBB797_9
; %bb.8:
	s_waitcnt lgkmcnt(0)
	v_lshlrev_b32_e32 v1, 1, v0
	v_readfirstlane_b32 s8, v2
	v_readfirstlane_b32 s9, v3
	s_nop 4
	global_load_ushort v1, v1, s[8:9]
.LBB797_9:
	s_or_b64 exec, exec, s[4:5]
	v_or_b32_e32 v4, 0x200, v0
	v_cmp_gt_u32_e32 vcc, s33, v4
                                        ; implicit-def: $vgpr4
	s_and_saveexec_b64 s[4:5], vcc
	s_cbranch_execz .LBB797_11
; %bb.10:
	v_lshlrev_b32_e32 v4, 1, v0
	v_readfirstlane_b32 s8, v2
	v_readfirstlane_b32 s9, v3
	s_nop 4
	global_load_ushort v4, v4, s[8:9] offset:1024
.LBB797_11:
	s_or_b64 exec, exec, s[4:5]
	v_or_b32_e32 v5, 0x400, v0
	v_cmp_gt_u32_e32 vcc, s33, v5
                                        ; implicit-def: $vgpr5
	s_and_saveexec_b64 s[4:5], vcc
	s_cbranch_execz .LBB797_13
; %bb.12:
	v_lshlrev_b32_e32 v5, 1, v0
	v_readfirstlane_b32 s8, v2
	v_readfirstlane_b32 s9, v3
	s_nop 4
	global_load_ushort v5, v5, s[8:9] offset:2048
.LBB797_13:
	s_or_b64 exec, exec, s[4:5]
	v_or_b32_e32 v6, 0x600, v0
	v_cmp_gt_u32_e32 vcc, s33, v6
                                        ; implicit-def: $vgpr6
	s_and_saveexec_b64 s[4:5], vcc
	s_cbranch_execz .LBB797_15
; %bb.14:
	v_lshlrev_b32_e32 v6, 1, v0
	v_readfirstlane_b32 s8, v2
	v_readfirstlane_b32 s9, v3
	s_nop 4
	global_load_ushort v6, v6, s[8:9] offset:3072
.LBB797_15:
	s_or_b64 exec, exec, s[4:5]
	s_waitcnt lgkmcnt(1)
	v_or_b32_e32 v8, 0x800, v0
	v_cmp_gt_u32_e32 vcc, s33, v8
                                        ; implicit-def: $vgpr7
	s_and_saveexec_b64 s[4:5], vcc
	s_cbranch_execz .LBB797_17
; %bb.16:
	v_lshlrev_b32_e32 v7, 1, v8
	v_readfirstlane_b32 s8, v2
	v_readfirstlane_b32 s9, v3
	s_nop 4
	global_load_ushort v7, v7, s[8:9]
.LBB797_17:
	s_or_b64 exec, exec, s[4:5]
	v_or_b32_e32 v9, 0xa00, v0
	v_cmp_gt_u32_e32 vcc, s33, v9
                                        ; implicit-def: $vgpr8
	s_and_saveexec_b64 s[4:5], vcc
	s_cbranch_execz .LBB797_19
; %bb.18:
	v_lshlrev_b32_e32 v8, 1, v9
	v_readfirstlane_b32 s8, v2
	v_readfirstlane_b32 s9, v3
	s_nop 4
	global_load_ushort v8, v8, s[8:9]
.LBB797_19:
	s_or_b64 exec, exec, s[4:5]
	v_or_b32_e32 v10, 0xc00, v0
	v_cmp_gt_u32_e32 vcc, s33, v10
                                        ; implicit-def: $vgpr9
	s_and_saveexec_b64 s[4:5], vcc
	s_cbranch_execz .LBB797_21
; %bb.20:
	v_lshlrev_b32_e32 v9, 1, v10
	v_readfirstlane_b32 s8, v2
	v_readfirstlane_b32 s9, v3
	s_nop 4
	global_load_ushort v9, v9, s[8:9]
.LBB797_21:
	s_or_b64 exec, exec, s[4:5]
	v_or_b32_e32 v11, 0xe00, v0
	v_cmp_gt_u32_e32 vcc, s33, v11
                                        ; implicit-def: $vgpr10
	s_and_saveexec_b64 s[4:5], vcc
	s_cbranch_execz .LBB797_23
; %bb.22:
	v_lshlrev_b32_e32 v10, 1, v11
	v_readfirstlane_b32 s8, v2
	v_readfirstlane_b32 s9, v3
	s_nop 4
	global_load_ushort v10, v10, s[8:9]
.LBB797_23:
	s_or_b64 exec, exec, s[4:5]
	v_or_b32_e32 v12, 0x1000, v0
	v_cmp_gt_u32_e32 vcc, s33, v12
                                        ; implicit-def: $vgpr11
	s_and_saveexec_b64 s[4:5], vcc
	s_cbranch_execz .LBB797_25
; %bb.24:
	v_lshlrev_b32_e32 v11, 1, v12
	v_readfirstlane_b32 s8, v2
	v_readfirstlane_b32 s9, v3
	s_nop 4
	global_load_ushort v11, v11, s[8:9]
.LBB797_25:
	s_or_b64 exec, exec, s[4:5]
	v_or_b32_e32 v13, 0x1200, v0
	v_cmp_gt_u32_e32 vcc, s33, v13
                                        ; implicit-def: $vgpr12
	s_and_saveexec_b64 s[4:5], vcc
	s_cbranch_execz .LBB797_27
; %bb.26:
	v_lshlrev_b32_e32 v12, 1, v13
	v_readfirstlane_b32 s8, v2
	v_readfirstlane_b32 s9, v3
	s_nop 4
	global_load_ushort v12, v12, s[8:9]
.LBB797_27:
	s_or_b64 exec, exec, s[4:5]
	v_or_b32_e32 v14, 0x1400, v0
	v_cmp_gt_u32_e32 vcc, s33, v14
                                        ; implicit-def: $vgpr13
	s_and_saveexec_b64 s[4:5], vcc
	s_cbranch_execz .LBB797_29
; %bb.28:
	v_lshlrev_b32_e32 v13, 1, v14
	v_readfirstlane_b32 s8, v2
	v_readfirstlane_b32 s9, v3
	s_nop 4
	global_load_ushort v13, v13, s[8:9]
.LBB797_29:
	s_or_b64 exec, exec, s[4:5]
	v_or_b32_e32 v15, 0x1600, v0
	v_cmp_gt_u32_e32 vcc, s33, v15
                                        ; implicit-def: $vgpr14
	s_and_saveexec_b64 s[4:5], vcc
	s_cbranch_execz .LBB797_31
; %bb.30:
	v_lshlrev_b32_e32 v14, 1, v15
	v_readfirstlane_b32 s8, v2
	v_readfirstlane_b32 s9, v3
	s_nop 4
	global_load_ushort v14, v14, s[8:9]
.LBB797_31:
	s_or_b64 exec, exec, s[4:5]
	v_or_b32_e32 v16, 0x1800, v0
	v_cmp_gt_u32_e32 vcc, s33, v16
                                        ; implicit-def: $vgpr15
	s_and_saveexec_b64 s[4:5], vcc
	s_cbranch_execz .LBB797_33
; %bb.32:
	v_lshlrev_b32_e32 v15, 1, v16
	v_readfirstlane_b32 s8, v2
	v_readfirstlane_b32 s9, v3
	s_nop 4
	global_load_ushort v15, v15, s[8:9]
.LBB797_33:
	s_or_b64 exec, exec, s[4:5]
	v_or_b32_e32 v17, 0x1a00, v0
	v_cmp_gt_u32_e32 vcc, s33, v17
                                        ; implicit-def: $vgpr16
	s_and_saveexec_b64 s[4:5], vcc
	s_cbranch_execz .LBB797_35
; %bb.34:
	v_lshlrev_b32_e32 v16, 1, v17
	v_readfirstlane_b32 s8, v2
	v_readfirstlane_b32 s9, v3
	s_nop 4
	global_load_ushort v16, v16, s[8:9]
.LBB797_35:
	s_or_b64 exec, exec, s[4:5]
	v_lshlrev_b32_e32 v17, 1, v0
	s_waitcnt vmcnt(0) lgkmcnt(0)
	ds_write_b16 v17, v1
	ds_write_b16 v17, v4 offset:1024
	ds_write_b16 v17, v5 offset:2048
	;; [unrolled: 1-line block ×13, first 2 shown]
	v_mad_u32_u24 v1, v0, 26, v17
	s_waitcnt lgkmcnt(0)
	s_barrier
	ds_read2_b32 v[12:13], v1 offset1:1
	ds_read2_b32 v[10:11], v1 offset0:2 offset1:3
	ds_read2_b32 v[8:9], v1 offset0:4 offset1:5
	ds_read_b32 v1, v1 offset:24
	v_mad_u32_u24 v4, v0, 14, 13
	v_cmp_gt_u32_e64 s[4:5], s33, v4
.LBB797_36:
	v_mov_b32_e32 v44, s10
                                        ; implicit-def: $vgpr45
	s_and_saveexec_b64 s[8:9], s[4:5]
; %bb.37:
	v_mov_b32_e32 v45, s10
; %bb.38:
	s_or_b64 exec, exec, s[8:9]
	s_cmp_eq_u64 s[0:1], 0
	s_cselect_b64 s[42:43], -1, 0
	s_cmp_lg_u64 s[0:1], 0
	s_mov_b64 s[4:5], 0
	s_cselect_b64 s[8:9], -1, 0
	s_and_b64 vcc, exec, s[6:7]
	s_waitcnt lgkmcnt(0)
	s_barrier
	s_cbranch_vccz .LBB797_44
; %bb.39:
	s_and_b64 vcc, exec, s[8:9]
	s_cbranch_vccz .LBB797_45
; %bb.40:
	global_load_ushort v4, v[2:3], off offset:-2
	v_lshrrev_b32_e32 v6, 16, v1
	v_lshlrev_b32_e32 v5, 1, v0
	v_cmp_ne_u16_e32 vcc, v1, v6
	v_cmp_ne_u16_sdwa s[4:5], v9, v1 src0_sel:WORD_1 src1_sel:DWORD
	v_cmp_ne_u16_sdwa s[6:7], v9, v9 src0_sel:DWORD src1_sel:WORD_1
	v_cmp_ne_u16_sdwa s[10:11], v8, v9 src0_sel:WORD_1 src1_sel:DWORD
	v_cmp_ne_u16_sdwa s[12:13], v8, v8 src0_sel:DWORD src1_sel:WORD_1
	;; [unrolled: 2-line block ×6, first 2 shown]
	ds_write_b16 v5, v6
	s_waitcnt lgkmcnt(0)
	s_barrier
	s_and_saveexec_b64 s[54:55], s[2:3]
	s_cbranch_execz .LBB797_42
; %bb.41:
	s_waitcnt vmcnt(0)
	v_add_u32_e32 v4, -2, v5
	ds_read_u16 v4, v4
.LBB797_42:
	s_or_b64 exec, exec, s[54:55]
	v_cndmask_b32_e64 v48, 0, 1, vcc
	v_cndmask_b32_e64 v49, 0, 1, s[4:5]
	v_cndmask_b32_e64 v50, 0, 1, s[6:7]
	;; [unrolled: 1-line block ×12, first 2 shown]
	s_waitcnt vmcnt(0) lgkmcnt(0)
	v_cmp_ne_u16_e64 s[6:7], v4, v12
	s_mov_b64 s[4:5], -1
.LBB797_43:
                                        ; implicit-def: $sgpr12
	s_branch .LBB797_57
.LBB797_44:
                                        ; implicit-def: $sgpr6_sgpr7
                                        ; implicit-def: $vgpr48
                                        ; implicit-def: $vgpr49
                                        ; implicit-def: $vgpr50
                                        ; implicit-def: $vgpr51
                                        ; implicit-def: $vgpr52
                                        ; implicit-def: $vgpr53
                                        ; implicit-def: $vgpr54
                                        ; implicit-def: $vgpr55
                                        ; implicit-def: $vgpr56
                                        ; implicit-def: $vgpr57
                                        ; implicit-def: $vgpr58
                                        ; implicit-def: $vgpr59
                                        ; implicit-def: $vgpr60
                                        ; implicit-def: $sgpr12
	s_cbranch_execnz .LBB797_49
	s_branch .LBB797_57
.LBB797_45:
                                        ; implicit-def: $sgpr6_sgpr7
                                        ; implicit-def: $vgpr48
                                        ; implicit-def: $vgpr49
                                        ; implicit-def: $vgpr50
                                        ; implicit-def: $vgpr51
                                        ; implicit-def: $vgpr52
                                        ; implicit-def: $vgpr53
                                        ; implicit-def: $vgpr54
                                        ; implicit-def: $vgpr55
                                        ; implicit-def: $vgpr56
                                        ; implicit-def: $vgpr57
                                        ; implicit-def: $vgpr58
                                        ; implicit-def: $vgpr59
                                        ; implicit-def: $vgpr60
	s_cbranch_execz .LBB797_43
; %bb.46:
	v_cmp_ne_u16_sdwa s[6:7], v9, v1 src0_sel:WORD_1 src1_sel:DWORD
	v_lshrrev_b32_e32 v5, 16, v1
	v_cmp_ne_u16_e32 vcc, v1, v5
	v_cndmask_b32_e64 v49, 0, 1, s[6:7]
	v_cmp_ne_u16_sdwa s[6:7], v9, v9 src0_sel:DWORD src1_sel:WORD_1
	s_mov_b32 s12, 1
	v_lshlrev_b32_e32 v4, 1, v0
	v_cndmask_b32_e64 v50, 0, 1, s[6:7]
	v_cmp_ne_u16_sdwa s[6:7], v8, v9 src0_sel:WORD_1 src1_sel:DWORD
	v_cndmask_b32_e64 v48, 0, 1, vcc
	ds_write_b16 v4, v5
	v_cndmask_b32_e64 v51, 0, 1, s[6:7]
	v_cmp_ne_u16_sdwa s[6:7], v8, v8 src0_sel:DWORD src1_sel:WORD_1
	s_waitcnt lgkmcnt(0)
	s_barrier
	v_cndmask_b32_e64 v52, 0, 1, s[6:7]
	v_cmp_ne_u16_sdwa s[6:7], v11, v8 src0_sel:WORD_1 src1_sel:DWORD
	s_nop 1
	v_cndmask_b32_e64 v53, 0, 1, s[6:7]
	v_cmp_ne_u16_sdwa s[6:7], v11, v11 src0_sel:DWORD src1_sel:WORD_1
	s_nop 1
	v_cndmask_b32_e64 v54, 0, 1, s[6:7]
	v_cmp_ne_u16_sdwa s[6:7], v10, v11 src0_sel:WORD_1 src1_sel:DWORD
	s_nop 1
	v_cndmask_b32_e64 v55, 0, 1, s[6:7]
	v_cmp_ne_u16_sdwa s[6:7], v10, v10 src0_sel:DWORD src1_sel:WORD_1
	s_nop 1
	;; [unrolled: 6-line block ×4, first 2 shown]
	v_cndmask_b32_e64 v60, 0, 1, s[6:7]
                                        ; implicit-def: $sgpr6_sgpr7
	s_and_saveexec_b64 s[10:11], s[2:3]
	s_xor_b64 s[10:11], exec, s[10:11]
	s_cbranch_execz .LBB797_48
; %bb.47:
	v_add_u32_e32 v4, -2, v4
	ds_read_u16 v4, v4
	s_or_b64 s[4:5], s[4:5], exec
	s_waitcnt lgkmcnt(0)
	v_cmp_ne_u16_e32 vcc, v4, v12
	s_and_b64 s[6:7], vcc, exec
.LBB797_48:
	s_or_b64 exec, exec, s[10:11]
	s_branch .LBB797_57
.LBB797_49:
	s_mul_hi_u32 s6, s0, 0xffffe400
	s_mulk_i32 s1, 0xe400
	s_sub_i32 s6, s6, s0
	s_add_i32 s6, s6, s1
	s_mulk_i32 s0, 0xe400
	s_add_u32 s10, s0, s48
	s_addc_u32 s11, s6, s49
	s_and_b64 vcc, exec, s[8:9]
	s_cbranch_vccz .LBB797_54
; %bb.50:
	global_load_ushort v6, v[2:3], off offset:-2
	v_lshrrev_b32_e32 v7, 16, v1
	v_mad_u32_u24 v4, v0, 14, 13
	v_mov_b32_e32 v5, 0
	v_cmp_gt_u64_e32 vcc, s[10:11], v[4:5]
	v_cmp_ne_u16_e64 s[0:1], v1, v7
	v_mad_u32_u24 v4, v0, 14, 12
	s_and_b64 s[0:1], vcc, s[0:1]
	v_cmp_gt_u64_e32 vcc, s[10:11], v[4:5]
	v_cmp_ne_u16_sdwa s[4:5], v9, v1 src0_sel:WORD_1 src1_sel:DWORD
	v_mad_u32_u24 v4, v0, 14, 11
	s_and_b64 s[4:5], vcc, s[4:5]
	v_cmp_gt_u64_e32 vcc, s[10:11], v[4:5]
	v_cmp_ne_u16_sdwa s[6:7], v9, v9 src0_sel:DWORD src1_sel:WORD_1
	v_mad_u32_u24 v4, v0, 14, 10
	s_and_b64 s[6:7], vcc, s[6:7]
	v_cmp_gt_u64_e32 vcc, s[10:11], v[4:5]
	v_cmp_ne_u16_sdwa s[8:9], v8, v9 src0_sel:WORD_1 src1_sel:DWORD
	v_mad_u32_u24 v4, v0, 14, 9
	s_and_b64 s[8:9], vcc, s[8:9]
	v_cmp_gt_u64_e32 vcc, s[10:11], v[4:5]
	v_cmp_ne_u16_sdwa s[12:13], v8, v8 src0_sel:DWORD src1_sel:WORD_1
	v_mad_u32_u24 v4, v0, 14, 8
	s_and_b64 s[12:13], vcc, s[12:13]
	v_cmp_gt_u64_e32 vcc, s[10:11], v[4:5]
	v_cmp_ne_u16_sdwa s[14:15], v11, v8 src0_sel:WORD_1 src1_sel:DWORD
	v_mad_u32_u24 v4, v0, 14, 7
	s_and_b64 s[14:15], vcc, s[14:15]
	v_cmp_gt_u64_e32 vcc, s[10:11], v[4:5]
	v_cmp_ne_u16_sdwa s[16:17], v11, v11 src0_sel:DWORD src1_sel:WORD_1
	v_mad_u32_u24 v4, v0, 14, 6
	s_and_b64 s[16:17], vcc, s[16:17]
	v_cmp_gt_u64_e32 vcc, s[10:11], v[4:5]
	v_cmp_ne_u16_sdwa s[18:19], v10, v11 src0_sel:WORD_1 src1_sel:DWORD
	v_mad_u32_u24 v4, v0, 14, 5
	s_and_b64 s[18:19], vcc, s[18:19]
	v_cmp_gt_u64_e32 vcc, s[10:11], v[4:5]
	v_cmp_ne_u16_sdwa s[20:21], v10, v10 src0_sel:DWORD src1_sel:WORD_1
	v_mad_u32_u24 v4, v0, 14, 4
	s_and_b64 s[20:21], vcc, s[20:21]
	v_cmp_gt_u64_e32 vcc, s[10:11], v[4:5]
	v_cmp_ne_u16_sdwa s[22:23], v13, v10 src0_sel:WORD_1 src1_sel:DWORD
	v_mad_u32_u24 v4, v0, 14, 3
	v_mul_u32_u24_e32 v2, 14, v0
	s_and_b64 s[22:23], vcc, s[22:23]
	v_cmp_gt_u64_e32 vcc, s[10:11], v[4:5]
	v_cmp_ne_u16_sdwa s[24:25], v13, v13 src0_sel:DWORD src1_sel:WORD_1
	v_mad_u32_u24 v4, v0, 14, 2
	s_and_b64 s[24:25], vcc, s[24:25]
	v_cmp_gt_u64_e32 vcc, s[10:11], v[4:5]
	v_cmp_ne_u16_sdwa s[26:27], v12, v13 src0_sel:WORD_1 src1_sel:DWORD
	v_or_b32_e32 v4, 1, v2
	s_and_b64 s[26:27], vcc, s[26:27]
	v_cmp_gt_u64_e32 vcc, s[10:11], v[4:5]
	v_cmp_ne_u16_sdwa s[48:49], v12, v12 src0_sel:DWORD src1_sel:WORD_1
	v_lshlrev_b32_e32 v3, 1, v0
	s_and_b64 s[48:49], vcc, s[48:49]
	ds_write_b16 v3, v7
	s_waitcnt lgkmcnt(0)
	s_barrier
	s_and_saveexec_b64 s[52:53], s[2:3]
	s_cbranch_execz .LBB797_52
; %bb.51:
	v_add_u32_e32 v3, -2, v3
	s_waitcnt vmcnt(0)
	ds_read_u16 v6, v3
.LBB797_52:
	s_or_b64 exec, exec, s[52:53]
	v_mov_b32_e32 v3, v5
	v_cndmask_b32_e64 v48, 0, 1, s[0:1]
	v_cmp_gt_u64_e32 vcc, s[10:11], v[2:3]
	s_waitcnt vmcnt(0) lgkmcnt(0)
	v_cmp_ne_u16_e64 s[0:1], v6, v12
	v_cndmask_b32_e64 v49, 0, 1, s[4:5]
	v_cndmask_b32_e64 v50, 0, 1, s[6:7]
	;; [unrolled: 1-line block ×12, first 2 shown]
	s_and_b64 s[6:7], vcc, s[0:1]
	s_mov_b64 s[4:5], -1
.LBB797_53:
                                        ; implicit-def: $sgpr12
	v_mov_b32_e32 v61, s12
	s_and_saveexec_b64 s[0:1], s[4:5]
	s_cbranch_execnz .LBB797_58
	s_branch .LBB797_59
.LBB797_54:
                                        ; implicit-def: $sgpr6_sgpr7
                                        ; implicit-def: $vgpr48
                                        ; implicit-def: $vgpr49
                                        ; implicit-def: $vgpr50
                                        ; implicit-def: $vgpr51
                                        ; implicit-def: $vgpr52
                                        ; implicit-def: $vgpr53
                                        ; implicit-def: $vgpr54
                                        ; implicit-def: $vgpr55
                                        ; implicit-def: $vgpr56
                                        ; implicit-def: $vgpr57
                                        ; implicit-def: $vgpr58
                                        ; implicit-def: $vgpr59
                                        ; implicit-def: $vgpr60
	s_cbranch_execz .LBB797_53
; %bb.55:
	v_lshrrev_b32_e32 v6, 16, v1
	v_mad_u32_u24 v4, v0, 14, 13
	v_mov_b32_e32 v5, 0
	v_cmp_gt_u64_e32 vcc, s[10:11], v[4:5]
	v_cmp_ne_u16_e64 s[0:1], v1, v6
	s_and_b64 s[0:1], vcc, s[0:1]
	v_mad_u32_u24 v4, v0, 14, 12
	v_cndmask_b32_e64 v48, 0, 1, s[0:1]
	v_cmp_gt_u64_e32 vcc, s[10:11], v[4:5]
	v_cmp_ne_u16_sdwa s[0:1], v9, v1 src0_sel:WORD_1 src1_sel:DWORD
	s_and_b64 s[0:1], vcc, s[0:1]
	v_mad_u32_u24 v4, v0, 14, 11
	v_cndmask_b32_e64 v49, 0, 1, s[0:1]
	v_cmp_gt_u64_e32 vcc, s[10:11], v[4:5]
	v_cmp_ne_u16_sdwa s[0:1], v9, v9 src0_sel:DWORD src1_sel:WORD_1
	s_and_b64 s[0:1], vcc, s[0:1]
	v_mad_u32_u24 v4, v0, 14, 10
	v_cndmask_b32_e64 v50, 0, 1, s[0:1]
	v_cmp_gt_u64_e32 vcc, s[10:11], v[4:5]
	v_cmp_ne_u16_sdwa s[0:1], v8, v9 src0_sel:WORD_1 src1_sel:DWORD
	s_and_b64 s[0:1], vcc, s[0:1]
	v_mad_u32_u24 v4, v0, 14, 9
	v_cndmask_b32_e64 v51, 0, 1, s[0:1]
	v_cmp_gt_u64_e32 vcc, s[10:11], v[4:5]
	v_cmp_ne_u16_sdwa s[0:1], v8, v8 src0_sel:DWORD src1_sel:WORD_1
	;; [unrolled: 10-line block ×5, first 2 shown]
	s_and_b64 s[0:1], vcc, s[0:1]
	v_mad_u32_u24 v4, v0, 14, 2
	v_mul_u32_u24_e32 v2, 14, v0
	v_cndmask_b32_e64 v58, 0, 1, s[0:1]
	v_cmp_gt_u64_e32 vcc, s[10:11], v[4:5]
	v_cmp_ne_u16_sdwa s[0:1], v12, v13 src0_sel:WORD_1 src1_sel:DWORD
	s_and_b64 s[0:1], vcc, s[0:1]
	v_or_b32_e32 v4, 1, v2
	v_cndmask_b32_e64 v59, 0, 1, s[0:1]
	v_cmp_gt_u64_e32 vcc, s[10:11], v[4:5]
	v_cmp_ne_u16_sdwa s[0:1], v12, v12 src0_sel:DWORD src1_sel:WORD_1
	s_and_b64 s[0:1], vcc, s[0:1]
	s_mov_b32 s12, 1
	v_lshlrev_b32_e32 v3, 1, v0
	v_cndmask_b32_e64 v60, 0, 1, s[0:1]
	ds_write_b16 v3, v6
	s_waitcnt lgkmcnt(0)
	s_barrier
	s_waitcnt lgkmcnt(0)
                                        ; implicit-def: $sgpr6_sgpr7
	s_and_saveexec_b64 s[8:9], s[2:3]
	s_cbranch_execz .LBB797_152
; %bb.56:
	v_add_u32_e32 v3, -2, v3
	ds_read_u16 v4, v3
	v_mov_b32_e32 v3, v5
	v_cmp_gt_u64_e32 vcc, s[10:11], v[2:3]
	s_or_b64 s[4:5], s[4:5], exec
	s_waitcnt lgkmcnt(0)
	v_cmp_ne_u16_e64 s[0:1], v4, v12
	s_and_b64 s[0:1], vcc, s[0:1]
	s_and_b64 s[6:7], s[0:1], exec
	s_or_b64 exec, exec, s[8:9]
.LBB797_57:
	v_mov_b32_e32 v61, s12
	s_and_saveexec_b64 s[0:1], s[4:5]
.LBB797_58:
	v_cndmask_b32_e64 v61, 0, 1, s[6:7]
.LBB797_59:
	s_or_b64 exec, exec, s[0:1]
	s_cmp_eq_u64 s[38:39], 0
	v_add_u32_e32 v2, v60, v61
	s_cselect_b64 s[38:39], -1, 0
	s_cmp_lg_u32 s56, 0
	v_cmp_eq_u32_e64 s[24:25], 0, v60
	v_cmp_eq_u32_e64 s[22:23], 0, v59
	v_add3_u32 v63, v2, v59, v58
	v_cmp_eq_u32_e64 s[20:21], 0, v58
	v_cmp_eq_u32_e64 s[18:19], 0, v57
	;; [unrolled: 1-line block ×10, first 2 shown]
	v_cmp_eq_u32_e32 vcc, 0, v48
	v_mbcnt_lo_u32_b32 v62, -1, 0
	v_lshrrev_b32_e32 v46, 6, v0
	v_or_b32_e32 v47, 63, v0
	s_cbranch_scc0 .LBB797_90
; %bb.60:
	v_cndmask_b32_e64 v2, 0, v44, s[24:25]
	v_add_u32_e32 v2, v2, v44
	v_cndmask_b32_e64 v2, 0, v2, s[22:23]
	v_add_u32_e32 v2, v2, v44
	;; [unrolled: 2-line block ×10, first 2 shown]
	v_cndmask_b32_e64 v2, 0, v2, s[4:5]
	v_add3_u32 v3, v63, v57, v56
	v_add_u32_e32 v2, v2, v44
	v_add3_u32 v3, v3, v55, v54
	v_cndmask_b32_e64 v2, 0, v2, s[2:3]
	v_add3_u32 v3, v3, v53, v52
	v_add_u32_e32 v2, v2, v44
	v_add3_u32 v3, v3, v51, v50
	v_cndmask_b32_e32 v2, 0, v2, vcc
	v_add3_u32 v3, v3, v49, v48
	v_add_u32_e32 v2, v2, v45
	v_mbcnt_hi_u32_b32 v17, -1, v62
	v_and_b32_e32 v4, 15, v17
	v_mov_b32_dpp v6, v2 row_shr:1 row_mask:0xf bank_mask:0xf
	v_cmp_eq_u32_e32 vcc, 0, v3
	v_mov_b32_dpp v5, v3 row_shr:1 row_mask:0xf bank_mask:0xf
	v_cmp_lt_u32_e64 s[0:1], 1, v4
	v_cndmask_b32_e32 v6, 0, v6, vcc
	v_cmp_eq_u32_e32 vcc, 0, v4
	s_nop 1
	v_cndmask_b32_e64 v5, v5, 0, vcc
	v_add_u32_e32 v3, v5, v3
	v_cndmask_b32_e64 v5, v6, 0, vcc
	v_add_u32_e32 v2, v5, v2
	v_cmp_eq_u32_e32 vcc, 0, v3
	v_mov_b32_dpp v5, v3 row_shr:2 row_mask:0xf bank_mask:0xf
	v_mov_b32_dpp v6, v2 row_shr:2 row_mask:0xf bank_mask:0xf
	v_cndmask_b32_e64 v5, 0, v5, s[0:1]
	s_and_b64 vcc, s[0:1], vcc
	v_cndmask_b32_e32 v6, 0, v6, vcc
	v_add_u32_e32 v3, v3, v5
	v_add_u32_e32 v2, v6, v2
	v_cmp_eq_u32_e32 vcc, 0, v3
	v_mov_b32_dpp v5, v3 row_shr:4 row_mask:0xf bank_mask:0xf
	v_cmp_lt_u32_e64 s[0:1], 3, v4
	v_mov_b32_dpp v6, v2 row_shr:4 row_mask:0xf bank_mask:0xf
	s_and_b64 vcc, s[0:1], vcc
	v_cndmask_b32_e64 v5, 0, v5, s[0:1]
	v_cndmask_b32_e32 v6, 0, v6, vcc
	v_add_u32_e32 v3, v5, v3
	v_add_u32_e32 v2, v2, v6
	v_cmp_eq_u32_e32 vcc, 0, v3
	v_cmp_lt_u32_e64 s[0:1], 7, v4
	v_mov_b32_dpp v5, v3 row_shr:8 row_mask:0xf bank_mask:0xf
	v_mov_b32_dpp v6, v2 row_shr:8 row_mask:0xf bank_mask:0xf
	s_and_b64 vcc, s[0:1], vcc
	v_cndmask_b32_e64 v4, 0, v5, s[0:1]
	v_cndmask_b32_e32 v5, 0, v6, vcc
	v_add_u32_e32 v2, v5, v2
	v_add_u32_e32 v3, v4, v3
	v_bfe_i32 v6, v17, 4, 1
	v_mov_b32_dpp v5, v2 row_bcast:15 row_mask:0xf bank_mask:0xf
	v_mov_b32_dpp v4, v3 row_bcast:15 row_mask:0xf bank_mask:0xf
	v_cmp_eq_u32_e32 vcc, 0, v3
	v_and_b32_e32 v4, v6, v4
	v_add_u32_e32 v3, v4, v3
	v_cndmask_b32_e32 v5, 0, v5, vcc
	v_and_b32_e32 v4, v6, v5
	v_add_u32_e32 v4, v4, v2
	v_mov_b32_dpp v2, v3 row_bcast:31 row_mask:0xf bank_mask:0xf
	v_cmp_eq_u32_e32 vcc, 0, v3
	v_cmp_lt_u32_e64 s[0:1], 31, v17
	v_mov_b32_dpp v5, v4 row_bcast:31 row_mask:0xf bank_mask:0xf
	s_and_b64 vcc, s[0:1], vcc
	v_cndmask_b32_e64 v2, 0, v2, s[0:1]
	v_add_u32_e32 v2, v2, v3
	v_cndmask_b32_e32 v3, 0, v5, vcc
	v_add_u32_e32 v3, v3, v4
	v_cmp_eq_u32_e32 vcc, v47, v0
	v_lshlrev_b32_e32 v4, 3, v46
	s_and_saveexec_b64 s[0:1], vcc
	s_cbranch_execz .LBB797_62
; %bb.61:
	ds_write_b64 v4, v[2:3] offset:2064
.LBB797_62:
	s_or_b64 exec, exec, s[0:1]
	v_cmp_gt_u32_e32 vcc, 8, v0
	s_waitcnt lgkmcnt(0)
	s_barrier
	s_and_saveexec_b64 s[26:27], vcc
	s_cbranch_execz .LBB797_64
; %bb.63:
	v_lshlrev_b32_e32 v5, 3, v0
	ds_read_b64 v[6:7], v5 offset:2064
	v_and_b32_e32 v14, 7, v17
	v_cmp_lt_u32_e64 s[0:1], 1, v14
	s_waitcnt lgkmcnt(0)
	v_mov_b32_dpp v16, v7 row_shr:1 row_mask:0xf bank_mask:0xf
	v_cmp_eq_u32_e32 vcc, 0, v6
	v_mov_b32_dpp v15, v6 row_shr:1 row_mask:0xf bank_mask:0xf
	s_nop 0
	v_cndmask_b32_e32 v16, 0, v16, vcc
	v_cmp_eq_u32_e32 vcc, 0, v14
	s_nop 1
	v_cndmask_b32_e64 v15, v15, 0, vcc
	v_add_u32_e32 v6, v15, v6
	v_cndmask_b32_e64 v15, v16, 0, vcc
	v_add_u32_e32 v7, v15, v7
	v_cmp_eq_u32_e32 vcc, 0, v6
	v_mov_b32_dpp v15, v6 row_shr:2 row_mask:0xf bank_mask:0xf
	v_mov_b32_dpp v16, v7 row_shr:2 row_mask:0xf bank_mask:0xf
	v_cndmask_b32_e64 v15, 0, v15, s[0:1]
	s_and_b64 vcc, s[0:1], vcc
	v_cndmask_b32_e32 v16, 0, v16, vcc
	v_add_u32_e32 v6, v15, v6
	v_add_u32_e32 v7, v16, v7
	v_cmp_eq_u32_e32 vcc, 0, v6
	v_mov_b32_dpp v15, v6 row_shr:4 row_mask:0xf bank_mask:0xf
	v_cmp_lt_u32_e64 s[0:1], 3, v14
	v_mov_b32_dpp v16, v7 row_shr:4 row_mask:0xf bank_mask:0xf
	s_and_b64 vcc, s[0:1], vcc
	v_cndmask_b32_e64 v14, 0, v15, s[0:1]
	v_add_u32_e32 v6, v14, v6
	v_cndmask_b32_e32 v14, 0, v16, vcc
	v_add_u32_e32 v7, v14, v7
	ds_write_b64 v5, v[6:7] offset:2064
.LBB797_64:
	s_or_b64 exec, exec, s[26:27]
	v_cmp_gt_u32_e32 vcc, 64, v0
	v_cmp_lt_u32_e64 s[0:1], 63, v0
	v_mov_b32_e32 v14, 0
	v_mov_b32_e32 v15, 0
	s_waitcnt lgkmcnt(0)
	s_barrier
	s_and_saveexec_b64 s[26:27], s[0:1]
	s_cbranch_execz .LBB797_66
; %bb.65:
	ds_read_b64 v[14:15], v4 offset:2056
	v_cmp_eq_u32_e64 s[0:1], 0, v2
	s_waitcnt lgkmcnt(0)
	v_add_u32_e32 v4, v14, v2
	v_cndmask_b32_e64 v2, 0, v15, s[0:1]
	v_add_u32_e32 v3, v2, v3
	v_mov_b32_e32 v2, v4
.LBB797_66:
	s_or_b64 exec, exec, s[26:27]
	v_add_u32_e32 v4, -1, v17
	v_and_b32_e32 v5, 64, v17
	v_cmp_lt_i32_e64 s[0:1], v4, v5
	v_cmp_eq_u32_e64 s[26:27], 0, v17
	s_nop 0
	v_cndmask_b32_e64 v4, v4, v17, s[0:1]
	v_lshlrev_b32_e32 v4, 2, v4
	ds_bpermute_b32 v22, v4, v2
	ds_bpermute_b32 v23, v4, v3
	s_and_saveexec_b64 s[48:49], vcc
	s_cbranch_execz .LBB797_89
; %bb.67:
	v_mov_b32_e32 v7, 0
	ds_read_b64 v[2:3], v7 offset:2120
	s_waitcnt lgkmcnt(0)
	v_readfirstlane_b32 s54, v2
	v_readfirstlane_b32 s55, v3
	s_and_saveexec_b64 s[0:1], s[26:27]
	s_cbranch_execz .LBB797_69
; %bb.68:
	s_add_i32 s52, s56, 64
	s_mov_b32 s53, 0
	s_lshl_b64 s[58:59], s[52:53], 4
	s_add_u32 s58, s36, s58
	s_addc_u32 s59, s37, s59
	s_and_b32 s61, s55, 0xff000000
	s_mov_b32 s60, s53
	s_and_b32 s63, s55, 0xff0000
	s_mov_b32 s62, s53
	s_or_b64 s[60:61], s[62:63], s[60:61]
	s_and_b32 s63, s55, 0xff00
	s_or_b64 s[60:61], s[60:61], s[62:63]
	s_and_b32 s63, s55, 0xff
	s_or_b64 s[52:53], s[60:61], s[62:63]
	v_mov_b32_e32 v4, s54
	v_mov_b32_e32 v5, s53
	;; [unrolled: 1-line block ×3, first 2 shown]
	v_mov_b64_e32 v[2:3], s[58:59]
	;;#ASMSTART
	global_store_dwordx4 v[2:3], v[4:7] off sc1	
s_waitcnt vmcnt(0)
	;;#ASMEND
.LBB797_69:
	s_or_b64 exec, exec, s[0:1]
	v_xad_u32 v16, v17, -1, s56
	v_add_u32_e32 v6, 64, v16
	v_lshl_add_u64 v[18:19], v[6:7], 4, s[36:37]
	;;#ASMSTART
	global_load_dwordx4 v[2:5], v[18:19] off sc1	
s_waitcnt vmcnt(0)
	;;#ASMEND
	s_nop 0
	v_and_b32_e32 v5, 0xff, v3
	v_and_b32_e32 v6, 0xff00, v3
	v_or3_b32 v2, v2, 0, 0
	v_and_b32_e32 v20, 0xff000000, v3
	v_or3_b32 v5, 0, v5, v6
	;; [unrolled: 2-line block ×3, first 2 shown]
	v_or3_b32 v2, v2, 0, 0
	v_cmp_eq_u16_sdwa s[52:53], v4, v7 src0_sel:BYTE_0 src1_sel:DWORD
	s_and_saveexec_b64 s[0:1], s[52:53]
	s_cbranch_execz .LBB797_75
; %bb.70:
	s_mov_b32 s57, 1
	s_mov_b64 s[52:53], 0
	v_mov_b32_e32 v6, 0
.LBB797_71:                             ; =>This Loop Header: Depth=1
                                        ;     Child Loop BB797_72 Depth 2
	s_max_u32 s58, s57, 1
.LBB797_72:                             ;   Parent Loop BB797_71 Depth=1
                                        ; =>  This Inner Loop Header: Depth=2
	s_add_i32 s58, s58, -1
	s_cmp_eq_u32 s58, 0
	s_sleep 1
	s_cbranch_scc0 .LBB797_72
; %bb.73:                               ;   in Loop: Header=BB797_71 Depth=1
	s_cmp_lt_u32 s57, 32
	s_cselect_b64 s[58:59], -1, 0
	s_cmp_lg_u64 s[58:59], 0
	s_addc_u32 s57, s57, 0
	;;#ASMSTART
	global_load_dwordx4 v[2:5], v[18:19] off sc1	
s_waitcnt vmcnt(0)
	;;#ASMEND
	s_nop 0
	v_cmp_ne_u16_sdwa s[58:59], v4, v6 src0_sel:BYTE_0 src1_sel:DWORD
	s_or_b64 s[52:53], s[58:59], s[52:53]
	s_andn2_b64 exec, exec, s[52:53]
	s_cbranch_execnz .LBB797_71
; %bb.74:
	s_or_b64 exec, exec, s[52:53]
.LBB797_75:
	s_or_b64 exec, exec, s[0:1]
	v_mov_b32_e32 v24, 2
	v_cmp_eq_u16_sdwa s[0:1], v4, v24 src0_sel:BYTE_0 src1_sel:DWORD
	v_lshlrev_b64 v[18:19], v17, -1
	v_and_b32_e32 v25, 63, v17
	v_and_b32_e32 v5, s1, v19
	v_or_b32_e32 v5, 0x80000000, v5
	v_cmp_ne_u32_e32 vcc, 63, v25
	v_and_b32_e32 v6, s0, v18
	v_ffbl_b32_e32 v5, v5
	v_addc_co_u32_e32 v7, vcc, 0, v17, vcc
	v_add_u32_e32 v5, 32, v5
	v_ffbl_b32_e32 v6, v6
	v_lshlrev_b32_e32 v26, 2, v7
	v_min_u32_e32 v5, v6, v5
	ds_bpermute_b32 v6, v26, v3
	v_cmp_eq_u32_e32 vcc, 0, v2
	v_cmp_lt_u32_e64 s[0:1], v25, v5
	ds_bpermute_b32 v7, v26, v2
	s_and_b64 vcc, s[0:1], vcc
	s_waitcnt lgkmcnt(1)
	v_cndmask_b32_e32 v6, 0, v6, vcc
	v_cmp_gt_u32_e32 vcc, 62, v25
	v_add_u32_e32 v3, v6, v3
	s_waitcnt lgkmcnt(0)
	v_cndmask_b32_e64 v7, 0, v7, s[0:1]
	v_cndmask_b32_e64 v6, 0, 1, vcc
	v_lshlrev_b32_e32 v6, 1, v6
	v_add_lshl_u32 v27, v6, v17, 2
	ds_bpermute_b32 v6, v27, v3
	v_add_u32_e32 v2, v7, v2
	ds_bpermute_b32 v7, v27, v2
	v_add_u32_e32 v28, 2, v25
	v_cmp_eq_u32_e32 vcc, 0, v2
	v_add_u32_e32 v30, 4, v25
	v_add_u32_e32 v32, 8, v25
	s_waitcnt lgkmcnt(1)
	v_cndmask_b32_e32 v6, 0, v6, vcc
	v_cmp_gt_u32_e32 vcc, v28, v5
	v_add_u32_e32 v34, 16, v25
	v_add_u32_e32 v36, 32, v25
	v_cndmask_b32_e64 v6, v6, 0, vcc
	v_add_u32_e32 v3, v6, v3
	s_waitcnt lgkmcnt(0)
	v_cndmask_b32_e64 v6, v7, 0, vcc
	v_cmp_gt_u32_e32 vcc, 60, v25
	v_add_u32_e32 v2, v2, v6
	s_nop 0
	v_cndmask_b32_e64 v7, 0, 1, vcc
	v_lshlrev_b32_e32 v7, 2, v7
	v_add_lshl_u32 v29, v7, v17, 2
	ds_bpermute_b32 v7, v29, v3
	ds_bpermute_b32 v6, v29, v2
	v_cmp_eq_u32_e32 vcc, 0, v2
	s_waitcnt lgkmcnt(1)
	s_nop 0
	v_cndmask_b32_e32 v7, 0, v7, vcc
	v_cmp_gt_u32_e32 vcc, v30, v5
	s_nop 1
	v_cndmask_b32_e64 v7, v7, 0, vcc
	s_waitcnt lgkmcnt(0)
	v_cndmask_b32_e64 v6, v6, 0, vcc
	v_cmp_gt_u32_e32 vcc, 56, v25
	v_add_u32_e32 v3, v3, v7
	v_add_u32_e32 v2, v2, v6
	v_cndmask_b32_e64 v7, 0, 1, vcc
	v_lshlrev_b32_e32 v7, 3, v7
	v_add_lshl_u32 v31, v7, v17, 2
	ds_bpermute_b32 v7, v31, v3
	ds_bpermute_b32 v6, v31, v2
	v_cmp_eq_u32_e32 vcc, 0, v2
	s_waitcnt lgkmcnt(1)
	s_nop 0
	v_cndmask_b32_e32 v7, 0, v7, vcc
	v_cmp_gt_u32_e32 vcc, v32, v5
	s_nop 1
	v_cndmask_b32_e64 v7, v7, 0, vcc
	s_waitcnt lgkmcnt(0)
	v_cndmask_b32_e64 v6, v6, 0, vcc
	v_cmp_gt_u32_e32 vcc, 48, v25
	v_add_u32_e32 v3, v3, v7
	v_add_u32_e32 v2, v2, v6
	;; [unrolled: 17-line block ×3, first 2 shown]
	v_cndmask_b32_e64 v7, 0, 1, vcc
	v_lshlrev_b32_e32 v7, 5, v7
	v_add_lshl_u32 v35, v7, v17, 2
	ds_bpermute_b32 v7, v35, v3
	ds_bpermute_b32 v6, v35, v2
	v_cmp_eq_u32_e32 vcc, 0, v2
	v_mov_b32_e32 v17, 0
	s_waitcnt lgkmcnt(1)
	v_cndmask_b32_e32 v7, 0, v7, vcc
	v_cmp_gt_u32_e32 vcc, v36, v5
	s_nop 1
	v_cndmask_b32_e64 v5, v7, 0, vcc
	v_add_u32_e32 v3, v5, v3
	s_waitcnt lgkmcnt(0)
	v_cndmask_b32_e64 v5, v6, 0, vcc
	v_add_u32_e32 v2, v5, v2
	s_branch .LBB797_77
.LBB797_76:                             ;   in Loop: Header=BB797_77 Depth=1
	s_or_b64 exec, exec, s[0:1]
	v_cmp_eq_u16_sdwa s[0:1], v4, v24 src0_sel:BYTE_0 src1_sel:DWORD
	v_cmp_eq_u32_e32 vcc, 0, v2
	ds_bpermute_b32 v21, v26, v2
	v_and_b32_e32 v5, s1, v19
	v_or_b32_e32 v5, 0x80000000, v5
	v_and_b32_e32 v20, s0, v18
	v_ffbl_b32_e32 v5, v5
	v_add_u32_e32 v5, 32, v5
	v_ffbl_b32_e32 v20, v20
	v_min_u32_e32 v5, v20, v5
	ds_bpermute_b32 v20, v26, v3
	v_cmp_lt_u32_e64 s[0:1], v25, v5
	s_and_b64 vcc, s[0:1], vcc
	v_subrev_u32_e32 v16, 64, v16
	s_waitcnt lgkmcnt(1)
	v_cndmask_b32_e64 v21, 0, v21, s[0:1]
	s_waitcnt lgkmcnt(0)
	v_cndmask_b32_e32 v20, 0, v20, vcc
	v_add_u32_e32 v3, v20, v3
	ds_bpermute_b32 v20, v27, v3
	v_add_u32_e32 v2, v21, v2
	v_cmp_eq_u32_e32 vcc, 0, v2
	ds_bpermute_b32 v21, v27, v2
	s_waitcnt lgkmcnt(1)
	v_cndmask_b32_e32 v20, 0, v20, vcc
	v_cmp_gt_u32_e32 vcc, v28, v5
	s_nop 1
	v_cndmask_b32_e64 v20, v20, 0, vcc
	v_add_u32_e32 v3, v20, v3
	ds_bpermute_b32 v20, v29, v3
	s_waitcnt lgkmcnt(1)
	v_cndmask_b32_e64 v21, v21, 0, vcc
	v_add_u32_e32 v2, v2, v21
	v_cmp_eq_u32_e32 vcc, 0, v2
	ds_bpermute_b32 v21, v29, v2
	s_waitcnt lgkmcnt(1)
	v_cndmask_b32_e32 v20, 0, v20, vcc
	v_cmp_gt_u32_e32 vcc, v30, v5
	s_nop 1
	v_cndmask_b32_e64 v20, v20, 0, vcc
	v_add_u32_e32 v3, v3, v20
	ds_bpermute_b32 v20, v31, v3
	s_waitcnt lgkmcnt(1)
	v_cndmask_b32_e64 v21, v21, 0, vcc
	v_add_u32_e32 v2, v2, v21
	ds_bpermute_b32 v21, v31, v2
	v_cmp_eq_u32_e32 vcc, 0, v2
	s_waitcnt lgkmcnt(1)
	s_nop 0
	v_cndmask_b32_e32 v20, 0, v20, vcc
	v_cmp_gt_u32_e32 vcc, v32, v5
	s_nop 1
	v_cndmask_b32_e64 v20, v20, 0, vcc
	v_add_u32_e32 v3, v3, v20
	ds_bpermute_b32 v20, v33, v3
	s_waitcnt lgkmcnt(1)
	v_cndmask_b32_e64 v21, v21, 0, vcc
	v_add_u32_e32 v2, v2, v21
	ds_bpermute_b32 v21, v33, v2
	v_cmp_eq_u32_e32 vcc, 0, v2
	s_waitcnt lgkmcnt(1)
	s_nop 0
	;; [unrolled: 13-line block ×3, first 2 shown]
	v_cndmask_b32_e32 v20, 0, v20, vcc
	v_cmp_gt_u32_e32 vcc, v36, v5
	s_nop 1
	v_cndmask_b32_e64 v5, v20, 0, vcc
	v_add_u32_e32 v3, v5, v3
	s_waitcnt lgkmcnt(0)
	v_cndmask_b32_e64 v5, v21, 0, vcc
	v_cmp_eq_u32_e32 vcc, 0, v6
	v_add3_u32 v2, v2, v6, v5
	s_nop 0
	v_cndmask_b32_e32 v3, 0, v3, vcc
	v_add_u32_e32 v3, v3, v7
.LBB797_77:                             ; =>This Loop Header: Depth=1
                                        ;     Child Loop BB797_80 Depth 2
                                        ;       Child Loop BB797_81 Depth 3
	v_cmp_ne_u16_sdwa s[0:1], v4, v24 src0_sel:BYTE_0 src1_sel:DWORD
	v_mov_b32_e32 v7, v3
	v_mov_b32_e32 v6, v2
	v_cndmask_b32_e64 v3, 0, 1, s[0:1]
	;;#ASMSTART
	;;#ASMEND
	s_nop 0
	v_cmp_ne_u32_e32 vcc, 0, v3
	s_cmp_lg_u64 vcc, exec
	s_cbranch_scc1 .LBB797_84
; %bb.78:                               ;   in Loop: Header=BB797_77 Depth=1
	v_lshl_add_u64 v[20:21], v[16:17], 4, s[36:37]
	;;#ASMSTART
	global_load_dwordx4 v[2:5], v[20:21] off sc1	
s_waitcnt vmcnt(0)
	;;#ASMEND
	s_nop 0
	v_and_b32_e32 v5, 0xff, v3
	v_and_b32_e32 v37, 0xff00, v3
	v_or3_b32 v2, v2, 0, 0
	v_and_b32_e32 v38, 0xff000000, v3
	v_or3_b32 v5, 0, v5, v37
	;; [unrolled: 2-line block ×3, first 2 shown]
	v_or3_b32 v2, v2, 0, 0
	v_cmp_eq_u16_sdwa s[52:53], v4, v17 src0_sel:BYTE_0 src1_sel:DWORD
	s_and_saveexec_b64 s[0:1], s[52:53]
	s_cbranch_execz .LBB797_76
; %bb.79:                               ;   in Loop: Header=BB797_77 Depth=1
	s_mov_b32 s57, 1
	s_mov_b64 s[52:53], 0
.LBB797_80:                             ;   Parent Loop BB797_77 Depth=1
                                        ; =>  This Loop Header: Depth=2
                                        ;       Child Loop BB797_81 Depth 3
	s_max_u32 s58, s57, 1
.LBB797_81:                             ;   Parent Loop BB797_77 Depth=1
                                        ;     Parent Loop BB797_80 Depth=2
                                        ; =>    This Inner Loop Header: Depth=3
	s_add_i32 s58, s58, -1
	s_cmp_eq_u32 s58, 0
	s_sleep 1
	s_cbranch_scc0 .LBB797_81
; %bb.82:                               ;   in Loop: Header=BB797_80 Depth=2
	s_cmp_lt_u32 s57, 32
	s_cselect_b64 s[58:59], -1, 0
	s_cmp_lg_u64 s[58:59], 0
	s_addc_u32 s57, s57, 0
	;;#ASMSTART
	global_load_dwordx4 v[2:5], v[20:21] off sc1	
s_waitcnt vmcnt(0)
	;;#ASMEND
	s_nop 0
	v_cmp_ne_u16_sdwa s[58:59], v4, v17 src0_sel:BYTE_0 src1_sel:DWORD
	s_or_b64 s[52:53], s[58:59], s[52:53]
	s_andn2_b64 exec, exec, s[52:53]
	s_cbranch_execnz .LBB797_80
; %bb.83:                               ;   in Loop: Header=BB797_77 Depth=1
	s_or_b64 exec, exec, s[52:53]
	s_branch .LBB797_76
.LBB797_84:                             ;   in Loop: Header=BB797_77 Depth=1
                                        ; implicit-def: $vgpr3
                                        ; implicit-def: $vgpr2
                                        ; implicit-def: $vgpr4
	s_cbranch_execz .LBB797_77
; %bb.85:
	s_and_saveexec_b64 s[0:1], s[26:27]
	s_cbranch_execz .LBB797_87
; %bb.86:
	s_cmp_eq_u32 s54, 0
	s_cselect_b64 vcc, -1, 0
	s_mov_b32 s53, 0
	v_cndmask_b32_e32 v2, 0, v7, vcc
	s_add_i32 s52, s56, 64
	v_add_u32_e32 v2, s55, v2
	s_lshl_b64 s[52:53], s[52:53], 4
	s_add_u32 s52, s36, s52
	v_and_b32_e32 v3, 0xff000000, v2
	v_and_b32_e32 v4, 0xff0000, v2
	s_addc_u32 s53, s37, s53
	v_or_b32_e32 v3, v4, v3
	v_and_b32_e32 v4, 0xff00, v2
	v_and_b32_e32 v2, 0xff, v2
	v_add_u32_e32 v16, s54, v6
	v_mov_b32_e32 v19, 0
	v_or3_b32 v17, v3, v4, v2
	v_mov_b32_e32 v18, 2
	v_mov_b64_e32 v[2:3], s[52:53]
	;;#ASMSTART
	global_store_dwordx4 v[2:3], v[16:19] off sc1	
s_waitcnt vmcnt(0)
	;;#ASMEND
	v_mov_b32_e32 v4, s54
	v_mov_b32_e32 v5, s55
	ds_write_b128 v19, v[4:7] offset:2048
.LBB797_87:
	s_or_b64 exec, exec, s[0:1]
	s_and_b64 exec, exec, s[30:31]
	s_cbranch_execz .LBB797_89
; %bb.88:
	v_mov_b32_e32 v2, 0
	ds_write_b64 v2, v[6:7] offset:2120
.LBB797_89:
	s_or_b64 exec, exec, s[48:49]
	v_mov_b32_e32 v4, 0
	s_waitcnt lgkmcnt(0)
	s_barrier
	ds_read_b64 v[2:3], v4 offset:2120
	v_cndmask_b32_e64 v6, v22, v14, s[26:27]
	v_cmp_eq_u32_e32 vcc, 0, v6
	v_cndmask_b32_e64 v5, v23, v15, s[26:27]
	s_waitcnt lgkmcnt(0)
	v_cndmask_b32_e32 v7, 0, v3, vcc
	v_add_u32_e32 v5, v7, v5
	v_cndmask_b32_e64 v43, v5, v3, s[30:31]
	v_cndmask_b32_e64 v3, v6, 0, s[30:31]
	v_cmp_eq_u32_e32 vcc, 0, v61
	v_add_u32_e32 v42, v2, v3
	v_add_u32_e32 v40, v42, v61
	v_cndmask_b32_e32 v2, 0, v43, vcc
	v_add_u32_e32 v41, v2, v44
	v_cndmask_b32_e64 v2, 0, v41, s[24:25]
	v_add_u32_e32 v39, v2, v44
	v_cndmask_b32_e64 v2, 0, v39, s[22:23]
	;; [unrolled: 2-line block ×7, first 2 shown]
	v_add_u32_e32 v38, v40, v60
	v_add_u32_e32 v27, v2, v44
	;; [unrolled: 1-line block ×3, first 2 shown]
	v_cndmask_b32_e64 v2, 0, v27, s[10:11]
	v_add_u32_e32 v34, v36, v58
	v_add_u32_e32 v25, v2, v44
	;; [unrolled: 1-line block ×3, first 2 shown]
	v_cndmask_b32_e64 v2, 0, v25, s[8:9]
	v_add_u32_e32 v30, v32, v56
	v_add_u32_e32 v23, v2, v44
	s_barrier
	ds_read_b128 v[4:7], v4 offset:2048
	v_add_u32_e32 v28, v30, v55
	v_cndmask_b32_e64 v2, 0, v23, s[6:7]
	v_add_u32_e32 v26, v28, v54
	v_add_u32_e32 v21, v2, v44
	;; [unrolled: 1-line block ×3, first 2 shown]
	v_cndmask_b32_e64 v2, 0, v21, s[4:5]
	v_add_u32_e32 v22, v24, v52
	v_add_u32_e32 v17, v2, v44
	;; [unrolled: 1-line block ×3, first 2 shown]
	v_cndmask_b32_e64 v2, 0, v17, s[2:3]
	s_waitcnt lgkmcnt(0)
	v_cmp_eq_u32_e32 vcc, 0, v4
	v_add_u32_e32 v16, v20, v50
	v_add_u32_e32 v19, v2, v44
	v_cndmask_b32_e32 v2, 0, v7, vcc
	v_add_u32_e32 v18, v16, v49
	v_add_u32_e32 v14, v2, v5
	s_branch .LBB797_102
.LBB797_90:
                                        ; implicit-def: $vgpr4
                                        ; implicit-def: $vgpr14
                                        ; implicit-def: $vgpr18_vgpr19
                                        ; implicit-def: $vgpr16_vgpr17
                                        ; implicit-def: $vgpr20_vgpr21
                                        ; implicit-def: $vgpr22_vgpr23
                                        ; implicit-def: $vgpr42_vgpr43
                                        ; implicit-def: $vgpr40_vgpr41
                                        ; implicit-def: $vgpr38_vgpr39
                                        ; implicit-def: $vgpr36_vgpr37
                                        ; implicit-def: $vgpr34_vgpr35
                                        ; implicit-def: $vgpr32_vgpr33
                                        ; implicit-def: $vgpr30_vgpr31
                                        ; implicit-def: $vgpr28_vgpr29
                                        ; implicit-def: $vgpr26_vgpr27
                                        ; implicit-def: $vgpr24_vgpr25
	s_cbranch_execz .LBB797_102
; %bb.91:
	s_and_b64 s[0:1], s[38:39], exec
	s_cselect_b32 s1, 0, s29
	s_cselect_b32 s0, 0, s28
	s_cmp_eq_u64 s[0:1], 0
	v_mov_b32_e32 v6, v44
	s_cbranch_scc1 .LBB797_93
; %bb.92:
	v_mov_b32_e32 v2, 0
	global_load_dword v6, v2, s[0:1]
.LBB797_93:
	v_cmp_eq_u32_e64 s[2:3], 0, v60
	v_cmp_eq_u32_e64 s[4:5], 0, v59
	v_cmp_eq_u32_e64 s[6:7], 0, v58
	v_cndmask_b32_e64 v2, 0, v44, s[2:3]
	v_add_u32_e32 v2, v2, v44
	v_cndmask_b32_e64 v2, 0, v2, s[4:5]
	v_add_u32_e32 v2, v2, v44
	v_cndmask_b32_e64 v2, 0, v2, s[6:7]
	v_add_u32_e32 v2, v2, v44
	v_cmp_eq_u32_e64 s[8:9], 0, v57
	v_cmp_eq_u32_e64 s[10:11], 0, v56
	v_cmp_eq_u32_e64 s[12:13], 0, v55
	v_cndmask_b32_e64 v2, 0, v2, s[8:9]
	v_add_u32_e32 v2, v2, v44
	v_cndmask_b32_e64 v2, 0, v2, s[10:11]
	v_add_u32_e32 v2, v2, v44
	v_cndmask_b32_e64 v2, 0, v2, s[12:13]
	v_add_u32_e32 v2, v2, v44
	;; [unrolled: 9-line block ×3, first 2 shown]
	v_cmp_eq_u32_e64 s[20:21], 0, v51
	v_cmp_eq_u32_e64 s[22:23], 0, v50
	v_add3_u32 v3, v63, v57, v56
	v_cndmask_b32_e64 v2, 0, v2, s[20:21]
	v_add_u32_e32 v2, v2, v44
	v_cndmask_b32_e64 v2, 0, v2, s[22:23]
	v_add_u32_e32 v2, v2, v44
	v_cmp_eq_u32_e32 vcc, 0, v49
	v_add3_u32 v3, v3, v55, v54
	v_add3_u32 v3, v3, v53, v52
	v_cndmask_b32_e32 v2, 0, v2, vcc
	v_add_u32_e32 v2, v2, v44
	v_cmp_eq_u32_e64 s[0:1], 0, v48
	v_add3_u32 v3, v3, v51, v50
	v_add3_u32 v3, v3, v49, v48
	v_cndmask_b32_e64 v2, 0, v2, s[0:1]
	v_add_u32_e32 v2, v2, v45
	v_mbcnt_hi_u32_b32 v7, -1, v62
	v_and_b32_e32 v4, 15, v7
	v_mov_b32_dpp v14, v2 row_shr:1 row_mask:0xf bank_mask:0xf
	v_cmp_eq_u32_e64 s[0:1], 0, v3
	v_mov_b32_dpp v5, v3 row_shr:1 row_mask:0xf bank_mask:0xf
	v_cmp_lt_u32_e64 s[24:25], 1, v4
	v_cndmask_b32_e64 v14, 0, v14, s[0:1]
	v_cmp_eq_u32_e64 s[0:1], 0, v4
	s_nop 1
	v_cndmask_b32_e64 v5, v5, 0, s[0:1]
	v_add_u32_e32 v3, v5, v3
	v_cndmask_b32_e64 v5, v14, 0, s[0:1]
	v_add_u32_e32 v2, v5, v2
	v_cmp_eq_u32_e64 s[0:1], 0, v3
	v_mov_b32_dpp v5, v3 row_shr:2 row_mask:0xf bank_mask:0xf
	v_mov_b32_dpp v14, v2 row_shr:2 row_mask:0xf bank_mask:0xf
	v_cndmask_b32_e64 v5, 0, v5, s[24:25]
	s_and_b64 s[0:1], s[24:25], s[0:1]
	v_cndmask_b32_e64 v14, 0, v14, s[0:1]
	v_add_u32_e32 v3, v3, v5
	v_add_u32_e32 v2, v14, v2
	v_cmp_eq_u32_e64 s[0:1], 0, v3
	v_mov_b32_dpp v5, v3 row_shr:4 row_mask:0xf bank_mask:0xf
	v_cmp_lt_u32_e64 s[24:25], 3, v4
	v_mov_b32_dpp v14, v2 row_shr:4 row_mask:0xf bank_mask:0xf
	s_and_b64 s[0:1], s[24:25], s[0:1]
	v_cndmask_b32_e64 v5, 0, v5, s[24:25]
	v_cndmask_b32_e64 v14, 0, v14, s[0:1]
	v_add_u32_e32 v3, v5, v3
	v_add_u32_e32 v2, v2, v14
	v_cmp_eq_u32_e64 s[0:1], 0, v3
	v_cmp_lt_u32_e64 s[24:25], 7, v4
	v_mov_b32_dpp v5, v3 row_shr:8 row_mask:0xf bank_mask:0xf
	v_mov_b32_dpp v14, v2 row_shr:8 row_mask:0xf bank_mask:0xf
	s_and_b64 s[0:1], s[24:25], s[0:1]
	v_cndmask_b32_e64 v4, 0, v5, s[24:25]
	v_cndmask_b32_e64 v5, 0, v14, s[0:1]
	v_add_u32_e32 v2, v5, v2
	v_add_u32_e32 v3, v4, v3
	v_bfe_i32 v14, v7, 4, 1
	v_mov_b32_dpp v5, v2 row_bcast:15 row_mask:0xf bank_mask:0xf
	v_mov_b32_dpp v4, v3 row_bcast:15 row_mask:0xf bank_mask:0xf
	v_cmp_eq_u32_e64 s[0:1], 0, v3
	v_and_b32_e32 v4, v14, v4
	v_add_u32_e32 v3, v4, v3
	v_cndmask_b32_e64 v5, 0, v5, s[0:1]
	v_and_b32_e32 v4, v14, v5
	v_add_u32_e32 v4, v4, v2
	v_mov_b32_dpp v2, v3 row_bcast:31 row_mask:0xf bank_mask:0xf
	v_cmp_eq_u32_e64 s[0:1], 0, v3
	v_cmp_lt_u32_e64 s[24:25], 31, v7
	v_mov_b32_dpp v5, v4 row_bcast:31 row_mask:0xf bank_mask:0xf
	s_and_b64 s[0:1], s[24:25], s[0:1]
	v_cndmask_b32_e64 v2, 0, v2, s[24:25]
	v_add_u32_e32 v2, v2, v3
	v_cndmask_b32_e64 v3, 0, v5, s[0:1]
	v_add_u32_e32 v3, v3, v4
	v_cmp_eq_u32_e64 s[0:1], v47, v0
	s_and_saveexec_b64 s[24:25], s[0:1]
	s_cbranch_execz .LBB797_95
; %bb.94:
	v_lshlrev_b32_e32 v4, 3, v46
	ds_write_b64 v4, v[2:3] offset:2064
.LBB797_95:
	s_or_b64 exec, exec, s[24:25]
	v_cmp_gt_u32_e64 s[0:1], 8, v0
	s_waitcnt lgkmcnt(0)
	s_barrier
	s_and_saveexec_b64 s[26:27], s[0:1]
	s_cbranch_execz .LBB797_97
; %bb.96:
	v_lshlrev_b32_e32 v14, 3, v0
	ds_read_b64 v[4:5], v14 offset:2064
	v_and_b32_e32 v15, 7, v7
	v_cmp_lt_u32_e64 s[24:25], 1, v15
	s_waitcnt lgkmcnt(0)
	v_mov_b32_dpp v17, v5 row_shr:1 row_mask:0xf bank_mask:0xf
	v_cmp_eq_u32_e64 s[0:1], 0, v4
	v_mov_b32_dpp v16, v4 row_shr:1 row_mask:0xf bank_mask:0xf
	s_nop 0
	v_cndmask_b32_e64 v17, 0, v17, s[0:1]
	v_cmp_eq_u32_e64 s[0:1], 0, v15
	s_nop 1
	v_cndmask_b32_e64 v16, v16, 0, s[0:1]
	v_add_u32_e32 v4, v16, v4
	v_cndmask_b32_e64 v16, v17, 0, s[0:1]
	v_add_u32_e32 v5, v16, v5
	v_cmp_eq_u32_e64 s[0:1], 0, v4
	v_mov_b32_dpp v16, v4 row_shr:2 row_mask:0xf bank_mask:0xf
	v_mov_b32_dpp v17, v5 row_shr:2 row_mask:0xf bank_mask:0xf
	v_cndmask_b32_e64 v16, 0, v16, s[24:25]
	s_and_b64 s[0:1], s[24:25], s[0:1]
	v_cndmask_b32_e64 v17, 0, v17, s[0:1]
	v_add_u32_e32 v4, v16, v4
	v_add_u32_e32 v5, v17, v5
	v_cmp_eq_u32_e64 s[0:1], 0, v4
	v_mov_b32_dpp v16, v4 row_shr:4 row_mask:0xf bank_mask:0xf
	v_cmp_lt_u32_e64 s[24:25], 3, v15
	v_mov_b32_dpp v17, v5 row_shr:4 row_mask:0xf bank_mask:0xf
	s_and_b64 s[0:1], s[24:25], s[0:1]
	v_cndmask_b32_e64 v15, 0, v16, s[24:25]
	v_add_u32_e32 v4, v15, v4
	v_cndmask_b32_e64 v15, 0, v17, s[0:1]
	v_add_u32_e32 v5, v15, v5
	ds_write_b64 v14, v[4:5] offset:2064
.LBB797_97:
	s_or_b64 exec, exec, s[26:27]
	v_cmp_lt_u32_e64 s[0:1], 63, v0
	v_mov_b32_e32 v14, 0
	v_mov_b32_e32 v4, 0
	s_waitcnt vmcnt(0)
	v_mov_b32_e32 v5, v6
	s_waitcnt lgkmcnt(0)
	s_barrier
	s_and_saveexec_b64 s[24:25], s[0:1]
	s_cbranch_execz .LBB797_99
; %bb.98:
	v_lshlrev_b32_e32 v4, 3, v46
	ds_read_b64 v[4:5], v4 offset:2056
	s_waitcnt lgkmcnt(0)
	v_cmp_eq_u32_e64 s[0:1], 0, v4
	s_nop 1
	v_cndmask_b32_e64 v15, 0, v6, s[0:1]
	v_add_u32_e32 v5, v15, v5
.LBB797_99:
	s_or_b64 exec, exec, s[24:25]
	v_cmp_eq_u32_e64 s[0:1], 0, v2
	v_add_u32_e32 v15, v4, v2
	v_and_b32_e32 v16, 64, v7
	v_cndmask_b32_e64 v2, 0, v5, s[0:1]
	v_add_u32_e32 v2, v2, v3
	v_add_u32_e32 v3, -1, v7
	v_cmp_lt_i32_e64 s[0:1], v3, v16
	s_nop 1
	v_cndmask_b32_e64 v3, v3, v7, s[0:1]
	v_lshlrev_b32_e32 v3, 2, v3
	ds_bpermute_b32 v2, v3, v2
	ds_bpermute_b32 v15, v3, v15
	v_cmp_eq_u32_e64 s[0:1], 0, v7
	s_waitcnt lgkmcnt(1)
	s_nop 0
	v_cndmask_b32_e64 v2, v2, v5, s[0:1]
	s_waitcnt lgkmcnt(0)
	v_cndmask_b32_e64 v3, v15, v4, s[0:1]
	v_cndmask_b32_e64 v43, v2, v6, s[30:31]
	v_cmp_eq_u32_e64 s[0:1], 0, v61
	v_cndmask_b32_e64 v42, v3, 0, s[30:31]
	v_add_u32_e32 v40, v42, v61
	v_cndmask_b32_e64 v2, 0, v43, s[0:1]
	v_add_u32_e32 v41, v2, v44
	;; [unrolled: 2-line block ×9, first 2 shown]
	v_add_u32_e32 v27, v2, v44
	v_add_u32_e32 v36, v38, v59
	v_cndmask_b32_e64 v2, 0, v27, s[16:17]
	v_add_u32_e32 v34, v36, v58
	v_add_u32_e32 v25, v2, v44
	;; [unrolled: 1-line block ×3, first 2 shown]
	v_cndmask_b32_e64 v2, 0, v25, s[18:19]
	v_add_u32_e32 v30, v32, v56
	v_add_u32_e32 v23, v2, v44
	ds_read_b64 v[4:5], v14 offset:2120
	v_add_u32_e32 v28, v30, v55
	v_cndmask_b32_e64 v2, 0, v23, s[20:21]
	v_add_u32_e32 v26, v28, v54
	v_add_u32_e32 v21, v2, v44
	;; [unrolled: 1-line block ×3, first 2 shown]
	v_cndmask_b32_e64 v2, 0, v21, s[22:23]
	v_add_u32_e32 v22, v24, v52
	v_add_u32_e32 v17, v2, v44
	;; [unrolled: 1-line block ×3, first 2 shown]
	v_cndmask_b32_e32 v2, 0, v17, vcc
	s_waitcnt lgkmcnt(0)
	v_cmp_eq_u32_e32 vcc, 0, v4
	v_add_u32_e32 v16, v20, v50
	v_add_u32_e32 v19, v2, v44
	v_cndmask_b32_e32 v2, 0, v6, vcc
	v_add_u32_e32 v18, v16, v49
	v_add_u32_e32 v14, v2, v5
	s_and_saveexec_b64 s[0:1], s[30:31]
	s_cbranch_execz .LBB797_101
; %bb.100:
	s_add_u32 s2, s36, 0x400
	v_and_b32_e32 v2, 0xff000000, v14
	v_and_b32_e32 v3, 0xff0000, v14
	s_addc_u32 s3, s37, 0
	v_or_b32_e32 v2, v3, v2
	v_and_b32_e32 v3, 0xff00, v14
	v_and_b32_e32 v5, 0xff, v14
	v_mov_b32_e32 v7, 0
	v_or3_b32 v5, v2, v3, v5
	v_mov_b32_e32 v6, 2
	v_mov_b64_e32 v[2:3], s[2:3]
	;;#ASMSTART
	global_store_dwordx4 v[2:3], v[4:7] off sc1	
s_waitcnt vmcnt(0)
	;;#ASMEND
.LBB797_101:
	s_or_b64 exec, exec, s[0:1]
	v_mov_b32_e32 v6, 0
.LBB797_102:
	s_and_b64 s[0:1], s[38:39], exec
	s_cselect_b32 s1, 0, s51
	s_cselect_b32 s0, 0, s50
	s_cmp_eq_u64 s[0:1], 0
	v_mov_b64_e32 v[44:45], 0
	s_barrier
	s_cbranch_scc1 .LBB797_104
; %bb.103:
	v_mov_b32_e32 v2, 0
	global_load_dwordx2 v[44:45], v2, s[0:1]
.LBB797_104:
	s_waitcnt vmcnt(0)
	v_lshlrev_b64 v[2:3], 1, v[44:45]
	v_mov_b32_e32 v7, 0
	v_lshl_add_u64 v[2:3], s[44:45], 0, v[2:3]
	v_lshlrev_b64 v[46:47], 1, v[6:7]
	v_cmp_eq_u32_e32 vcc, 0, v61
	v_lshl_add_u64 v[46:47], v[2:3], 0, v[46:47]
	s_movk_i32 s0, 0x200
	v_cndmask_b32_e64 v2, 1, 2, vcc
	v_cmp_eq_u32_e32 vcc, 0, v60
	v_cmp_ne_u32_e64 s[28:29], 0, v61
	v_cmp_ne_u32_e64 s[26:27], 0, v60
	v_cndmask_b32_e64 v3, 1, 2, vcc
	v_cmp_eq_u32_e32 vcc, 0, v59
	v_and_b32_e32 v2, v3, v2
	v_cmp_ne_u32_e64 s[24:25], 0, v59
	v_cndmask_b32_e64 v3, 1, 2, vcc
	v_cmp_eq_u32_e32 vcc, 0, v58
	v_and_b32_e32 v2, v2, v3
	;; [unrolled: 4-line block ×12, first 2 shown]
	v_cmp_ne_u32_e64 s[2:3], 0, v48
	v_cndmask_b32_e64 v3, 1, 2, vcc
	v_and_b32_e32 v2, v2, v3
	v_cmp_gt_u32_e32 vcc, s0, v4
	s_mov_b64 s[36:37], -1
	v_cmp_gt_i16_e64 s[0:1], 2, v2
	s_cbranch_vccz .LBB797_111
; %bb.105:
	s_and_saveexec_b64 s[36:37], s[0:1]
	s_cbranch_execz .LBB797_110
; %bb.106:
	v_cmp_ne_u16_e32 vcc, 1, v2
	s_mov_b64 s[38:39], 0
	s_and_saveexec_b64 s[0:1], vcc
	s_xor_b64 s[0:1], exec, s[0:1]
	s_cbranch_execnz .LBB797_153
; %bb.107:
	s_andn2_saveexec_b64 s[0:1], s[0:1]
	s_cbranch_execnz .LBB797_168
.LBB797_108:
	s_or_b64 exec, exec, s[0:1]
	s_and_b64 exec, exec, s[38:39]
	s_cbranch_execz .LBB797_110
.LBB797_109:
	v_sub_u32_e32 v62, v18, v6
	v_mov_b32_e32 v63, 0
	v_lshl_add_u64 v[62:63], v[62:63], 1, v[46:47]
	global_store_short_d16_hi v[62:63], v1, off
.LBB797_110:
	s_or_b64 exec, exec, s[36:37]
	s_mov_b64 s[36:37], 0
.LBB797_111:
	s_and_b64 vcc, exec, s[36:37]
	s_cbranch_vccz .LBB797_131
; %bb.112:
	v_cmp_gt_i16_e32 vcc, 2, v2
	s_and_saveexec_b64 s[0:1], vcc
	s_cbranch_execz .LBB797_117
; %bb.113:
	v_cmp_ne_u16_e32 vcc, 1, v2
	s_mov_b64 s[38:39], 0
	s_and_saveexec_b64 s[36:37], vcc
	s_xor_b64 s[36:37], exec, s[36:37]
	s_cbranch_execnz .LBB797_169
; %bb.114:
	s_andn2_saveexec_b64 s[2:3], s[36:37]
	s_cbranch_execnz .LBB797_184
.LBB797_115:
	s_or_b64 exec, exec, s[2:3]
	s_and_b64 exec, exec, s[38:39]
	s_cbranch_execz .LBB797_117
.LBB797_116:
	v_sub_u32_e32 v2, v18, v6
	v_lshlrev_b32_e32 v2, 1, v2
	ds_write_b16_d16_hi v2, v1
.LBB797_117:
	s_or_b64 exec, exec, s[0:1]
	v_cmp_lt_u32_e32 vcc, v0, v4
	s_waitcnt lgkmcnt(0)
	s_barrier
	s_and_saveexec_b64 s[0:1], vcc
	s_cbranch_execz .LBB797_130
; %bb.118:
	v_xad_u32 v1, v0, -1, v4
	s_movk_i32 s2, 0x5ff
	v_cmp_lt_u32_e32 vcc, s2, v1
	s_mov_b64 s[4:5], -1
	v_mov_b32_e32 v2, v0
	s_and_saveexec_b64 s[2:3], vcc
	s_cbranch_execz .LBB797_127
; %bb.119:
	v_lshrrev_b32_e32 v5, 9, v1
	v_add_u32_e32 v8, -3, v5
	v_or_b32_e32 v3, 0x600, v0
	v_or_b32_e32 v2, 0x400, v0
	v_lshrrev_b32_e32 v9, 2, v8
	v_or_b32_e32 v1, 0x200, v0
	v_add_u32_e32 v62, 1, v9
	v_cmp_lt_u32_e32 vcc, 11, v8
	v_mov_b64_e32 v[10:11], v[2:3]
	v_mov_b32_e32 v65, 0
	v_lshlrev_b32_e32 v15, 1, v0
	v_mov_b64_e32 v[8:9], v[0:1]
	s_and_saveexec_b64 s[4:5], vcc
	s_cbranch_execz .LBB797_123
; %bb.120:
	v_mov_b64_e32 v[10:11], v[2:3]
	v_and_b32_e32 v63, 0x7ffffffc, v62
	s_mov_b32 s8, 0
	s_mov_b64 s[6:7], 0
	v_mov_b32_e32 v13, 0
	v_mov_b32_e32 v64, v15
	v_mov_b64_e32 v[8:9], v[0:1]
.LBB797_121:                            ; =>This Inner Loop Header: Depth=1
	v_mov_b32_e32 v12, v8
	ds_read_u16 v1, v64
	ds_read_u16 v90, v64 offset:1024
	ds_read_u16 v91, v64 offset:2048
	;; [unrolled: 1-line block ×7, first 2 shown]
	v_lshl_add_u64 v[82:83], v[12:13], 1, v[46:47]
	v_mov_b32_e32 v12, v9
	v_lshl_add_u64 v[84:85], v[12:13], 1, v[46:47]
	v_mov_b32_e32 v12, v10
	ds_read_u16 v97, v64 offset:8192
	ds_read_u16 v98, v64 offset:9216
	;; [unrolled: 1-line block ×8, first 2 shown]
	v_lshl_add_u64 v[86:87], v[12:13], 1, v[46:47]
	v_mov_b32_e32 v12, v11
	v_add_u32_e32 v2, 0x800, v11
	v_mov_b32_e32 v3, v13
	v_lshl_add_u64 v[88:89], v[12:13], 1, v[46:47]
	v_add_u32_e32 v12, 0x800, v8
	v_add_u32_e32 v66, 0x800, v10
	v_add_u32_e32 v68, 0x800, v9
	v_mov_b32_e32 v69, v13
	v_mov_b32_e32 v67, v13
	v_add_u32_e32 v63, -4, v63
	v_lshl_add_u64 v[2:3], v[2:3], 1, v[46:47]
	s_waitcnt lgkmcnt(14)
	global_store_short v[82:83], v1, off
	global_store_short v[84:85], v90, off
	s_waitcnt lgkmcnt(13)
	global_store_short v[86:87], v91, off
	s_waitcnt lgkmcnt(12)
	global_store_short v[88:89], v92, off
	v_lshl_add_u64 v[82:83], v[12:13], 1, v[46:47]
	v_add_u32_e32 v12, 0x1000, v8
	v_add_u32_e32 v70, 0x1000, v11
	;; [unrolled: 1-line block ×4, first 2 shown]
	v_mov_b32_e32 v75, v13
	v_mov_b32_e32 v73, v13
	;; [unrolled: 1-line block ×3, first 2 shown]
	s_add_i32 s8, s8, 16
	v_lshl_add_u64 v[68:69], v[68:69], 1, v[46:47]
	v_lshl_add_u64 v[66:67], v[66:67], 1, v[46:47]
	v_cmp_eq_u32_e32 vcc, 0, v63
	s_waitcnt lgkmcnt(11)
	global_store_short v[82:83], v93, off
	s_waitcnt lgkmcnt(10)
	global_store_short v[68:69], v94, off
	;; [unrolled: 2-line block ×4, first 2 shown]
	v_lshl_add_u64 v[2:3], v[12:13], 1, v[46:47]
	v_add_u32_e32 v12, 0x1800, v8
	v_add_u32_e32 v76, 0x1800, v11
	;; [unrolled: 1-line block ×4, first 2 shown]
	v_mov_b32_e32 v81, v13
	v_mov_b32_e32 v79, v13
	;; [unrolled: 1-line block ×3, first 2 shown]
	v_add_u32_e32 v64, 0x4000, v64
	v_lshl_add_u64 v[74:75], v[74:75], 1, v[46:47]
	v_lshl_add_u64 v[72:73], v[72:73], 1, v[46:47]
	v_lshl_add_u64 v[70:71], v[70:71], 1, v[46:47]
	v_add_u32_e32 v9, 0x2000, v9
	v_mov_b32_e32 v65, s8
	v_add_u32_e32 v10, 0x2000, v10
	s_or_b64 s[6:7], vcc, s[6:7]
	v_add_u32_e32 v11, 0x2000, v11
	v_add_u32_e32 v8, 0x2000, v8
	s_waitcnt lgkmcnt(7)
	global_store_short v[2:3], v97, off
	s_waitcnt lgkmcnt(6)
	global_store_short v[74:75], v98, off
	;; [unrolled: 2-line block ×4, first 2 shown]
	v_lshl_add_u64 v[2:3], v[12:13], 1, v[46:47]
	v_lshl_add_u64 v[80:81], v[80:81], 1, v[46:47]
	;; [unrolled: 1-line block ×4, first 2 shown]
	s_waitcnt lgkmcnt(3)
	global_store_short v[2:3], v101, off
	s_waitcnt lgkmcnt(2)
	global_store_short v[80:81], v102, off
	;; [unrolled: 2-line block ×4, first 2 shown]
	s_andn2_b64 exec, exec, s[6:7]
	s_cbranch_execnz .LBB797_121
; %bb.122:
	s_or_b64 exec, exec, s[6:7]
.LBB797_123:
	s_or_b64 exec, exec, s[4:5]
	v_and_b32_e32 v1, 3, v62
	v_cmp_ne_u32_e32 vcc, 0, v1
	s_and_saveexec_b64 s[4:5], vcc
	s_cbranch_execz .LBB797_126
; %bb.124:
	v_lshl_or_b32 v12, v65, 10, v15
	s_mov_b64 s[6:7], 0
	v_mov_b32_e32 v3, 0
.LBB797_125:                            ; =>This Inner Loop Header: Depth=1
	ds_read_u16 v13, v12
	ds_read_u16 v15, v12 offset:1024
	ds_read_u16 v70, v12 offset:2048
	;; [unrolled: 1-line block ×3, first 2 shown]
	v_mov_b32_e32 v2, v8
	v_add_u32_e32 v1, -1, v1
	v_lshl_add_u64 v[62:63], v[2:3], 1, v[46:47]
	v_mov_b32_e32 v2, v9
	v_cmp_eq_u32_e32 vcc, 0, v1
	v_lshl_add_u64 v[64:65], v[2:3], 1, v[46:47]
	v_mov_b32_e32 v2, v10
	v_add_u32_e32 v8, 0x800, v8
	v_add_u32_e32 v12, 0x1000, v12
	;; [unrolled: 1-line block ×4, first 2 shown]
	s_or_b64 s[6:7], vcc, s[6:7]
	v_lshl_add_u64 v[66:67], v[2:3], 1, v[46:47]
	v_mov_b32_e32 v2, v11
	v_add_u32_e32 v11, 0x800, v11
	v_lshl_add_u64 v[68:69], v[2:3], 1, v[46:47]
	s_waitcnt lgkmcnt(3)
	global_store_short v[62:63], v13, off
	s_waitcnt lgkmcnt(2)
	global_store_short v[64:65], v15, off
	;; [unrolled: 2-line block ×4, first 2 shown]
	s_andn2_b64 exec, exec, s[6:7]
	s_cbranch_execnz .LBB797_125
.LBB797_126:
	s_or_b64 exec, exec, s[4:5]
	v_add_u32_e32 v1, 1, v5
	v_and_b32_e32 v3, 0xfffffc, v1
	v_cmp_ne_u32_e32 vcc, v1, v3
	v_lshl_or_b32 v2, v3, 9, v0
	s_orn2_b64 s[4:5], vcc, exec
.LBB797_127:
	s_or_b64 exec, exec, s[2:3]
	s_and_b64 exec, exec, s[4:5]
	s_cbranch_execz .LBB797_130
; %bb.128:
	v_lshlrev_b32_e32 v1, 1, v2
	s_mov_b64 s[2:3], 0
	v_mov_b32_e32 v3, 0
.LBB797_129:                            ; =>This Inner Loop Header: Depth=1
	ds_read_u16 v5, v1
	v_lshl_add_u64 v[8:9], v[2:3], 1, v[46:47]
	v_add_u32_e32 v2, 0x200, v2
	v_cmp_ge_u32_e32 vcc, v2, v4
	v_add_u32_e32 v1, 0x400, v1
	s_or_b64 s[2:3], vcc, s[2:3]
	s_waitcnt lgkmcnt(0)
	global_store_short v[8:9], v5, off
	s_andn2_b64 exec, exec, s[2:3]
	s_cbranch_execnz .LBB797_129
.LBB797_130:
	s_or_b64 exec, exec, s[0:1]
.LBB797_131:
	s_cmpk_lg_i32 s33, 0x1c00
	s_cselect_b64 s[0:1], -1, 0
	v_cndmask_b32_e64 v46, 0, 1, s[42:43]
	s_and_b64 s[0:1], s[0:1], s[40:41]
	v_sub_u32_e32 v1, v4, v46
	v_cndmask_b32_e64 v2, 0, 1, s[0:1]
	s_and_b64 s[0:1], s[30:31], s[42:43]
	v_add_u32_e32 v1, v1, v2
	v_cndmask_b32_e64 v2, v61, 0, s[0:1]
	s_lshr_b32 s0, s33, 1
	s_mul_hi_u32 s0, s0, 0x92492493
	s_lshr_b32 s0, s0, 2
	v_mad_i32_i24 v3, v0, -14, s33
	v_cmp_eq_u32_e32 vcc, s0, v0
	v_cmp_ne_u32_e64 s[0:1], 0, v3
	s_and_b64 vcc, vcc, s[40:41]
	s_mov_b32 s2, 0
	v_cndmask_b32_e64 v5, 1, v2, s[0:1]
	v_cmp_ne_u32_e64 s[0:1], 1, v3
	s_movk_i32 s28, 0x200
	s_mov_b64 s[30:31], -1
	v_cndmask_b32_e64 v8, 1, v60, s[0:1]
	v_cmp_ne_u32_e64 s[0:1], 2, v3
	s_barrier
	s_nop 0
	v_cndmask_b32_e64 v9, 1, v59, s[0:1]
	v_cmp_ne_u32_e64 s[0:1], 3, v3
	s_nop 1
	v_cndmask_b32_e64 v10, 1, v58, s[0:1]
	v_cmp_ne_u32_e64 s[0:1], 4, v3
	;; [unrolled: 3-line block ×6, first 2 shown]
	v_cndmask_b32_e32 v15, v54, v15, vcc
	v_cndmask_b32_e32 v54, v55, v13, vcc
	v_cndmask_b32_e64 v47, 1, v53, s[0:1]
	v_cmp_ne_u32_e64 s[0:1], 9, v3
	v_cndmask_b32_e32 v55, v56, v12, vcc
	v_cndmask_b32_e32 v56, v57, v11, vcc
	v_cndmask_b32_e64 v61, 1, v52, s[0:1]
	v_cmp_ne_u32_e64 s[0:1], 10, v3
	;; [unrolled: 4-line block ×5, first 2 shown]
	v_cndmask_b32_e32 v49, v49, v64, vcc
	v_cndmask_b32_e32 v52, v52, v61, vcc
	v_cndmask_b32_e64 v3, 1, v48, s[0:1]
	v_cndmask_b32_e32 v48, v48, v3, vcc
	v_cndmask_b32_e32 v53, v53, v47, vcc
	v_mov_b32_e32 v47, s2
	v_cmp_eq_u32_e32 vcc, 0, v60
	v_lshl_add_u64 v[12:13], v[46:47], 0, -1
	v_add_u32_e32 v5, v6, v46
	v_cndmask_b32_e64 v46, 1, 2, vcc
	v_cmp_eq_u32_e32 vcc, 0, v59
	v_cmp_ne_u32_e64 s[12:13], 0, v15
	v_lshlrev_b64 v[8:9], 3, v[44:45]
	v_cndmask_b32_e64 v47, 1, 2, vcc
	v_cmp_eq_u32_e32 vcc, 0, v58
	v_and_b32_e32 v46, v47, v46
	v_lshl_add_u64 v[2:3], s[46:47], 0, v[8:9]
	v_cndmask_b32_e64 v47, 1, 2, vcc
	v_cmp_eq_u32_e32 vcc, 0, v57
	v_and_b32_e32 v46, v46, v47
	v_lshlrev_b64 v[10:11], 3, v[6:7]
	v_cndmask_b32_e64 v47, 1, 2, vcc
	v_cmp_eq_u32_e32 vcc, 0, v56
	v_and_b32_e32 v46, v46, v47
	v_lshl_add_u64 v[2:3], v[2:3], 0, v[10:11]
	v_cndmask_b32_e64 v47, 1, 2, vcc
	v_cmp_eq_u32_e32 vcc, 0, v55
	v_and_b32_e32 v46, v46, v47
	v_cmp_ne_u32_e64 s[26:27], 0, v60
	v_cndmask_b32_e64 v47, 1, 2, vcc
	v_cmp_eq_u32_e32 vcc, 0, v54
	v_and_b32_e32 v46, v46, v47
	v_cmp_ne_u32_e64 s[24:25], 0, v59
	;; [unrolled: 4-line block ×9, first 2 shown]
	v_cndmask_b32_e64 v46, 1, 2, vcc
	v_and_b32_e32 v15, v15, v46
	v_cmp_gt_u32_e32 vcc, s28, v1
	v_cmp_ne_u32_e64 s[6:7], 0, v51
	v_cmp_ne_u32_e64 s[4:5], 0, v50
	;; [unrolled: 1-line block ×4, first 2 shown]
	v_cmp_gt_i16_e64 s[28:29], 2, v15
	s_cbranch_vccz .LBB797_138
; %bb.132:
	s_and_saveexec_b64 s[30:31], s[28:29]
	s_cbranch_execz .LBB797_137
; %bb.133:
	v_lshlrev_b64 v[46:47], 3, v[12:13]
	v_lshl_add_u64 v[46:47], v[2:3], 0, v[46:47]
	v_cmp_ne_u16_e32 vcc, 1, v15
	s_mov_b64 s[36:37], 0
	s_and_saveexec_b64 s[28:29], vcc
	s_xor_b64 s[28:29], exec, s[28:29]
	s_cbranch_execnz .LBB797_185
; %bb.134:
	s_andn2_saveexec_b64 s[28:29], s[28:29]
	s_cbranch_execnz .LBB797_200
.LBB797_135:
	s_or_b64 exec, exec, s[28:29]
	s_and_b64 exec, exec, s[36:37]
	s_cbranch_execz .LBB797_137
.LBB797_136:
	v_mov_b32_e32 v49, 0
	v_sub_u32_e32 v50, v18, v5
	v_mov_b32_e32 v51, v49
	v_mov_b32_e32 v48, v19
	v_lshl_add_u64 v[46:47], v[50:51], 3, v[46:47]
	global_store_dwordx2 v[46:47], v[48:49], off
.LBB797_137:
	s_or_b64 exec, exec, s[30:31]
	s_mov_b64 s[30:31], 0
.LBB797_138:
	s_and_b64 vcc, exec, s[30:31]
	s_cbranch_vccz .LBB797_148
; %bb.139:
	v_cmp_gt_i16_e32 vcc, 2, v15
	s_and_saveexec_b64 s[28:29], vcc
	s_cbranch_execz .LBB797_144
; %bb.140:
	v_cmp_ne_u16_e32 vcc, 1, v15
	s_mov_b64 s[36:37], 0
	s_and_saveexec_b64 s[30:31], vcc
	s_xor_b64 s[30:31], exec, s[30:31]
	s_cbranch_execnz .LBB797_201
; %bb.141:
	s_andn2_saveexec_b64 s[0:1], s[30:31]
	s_cbranch_execnz .LBB797_216
.LBB797_142:
	s_or_b64 exec, exec, s[0:1]
	s_and_b64 exec, exec, s[36:37]
	s_cbranch_execz .LBB797_144
.LBB797_143:
	v_sub_u32_e32 v5, v18, v5
	v_lshlrev_b32_e32 v5, 2, v5
	ds_write_b32 v5, v19
.LBB797_144:
	s_or_b64 exec, exec, s[28:29]
	v_cmp_lt_u32_e32 vcc, v0, v1
	s_waitcnt lgkmcnt(0)
	s_barrier
	s_and_saveexec_b64 s[0:1], vcc
	s_cbranch_execz .LBB797_147
; %bb.145:
	v_lshlrev_b64 v[12:13], 3, v[12:13]
	v_lshl_add_u64 v[8:9], v[8:9], 0, v[12:13]
	v_lshl_add_u64 v[10:11], v[8:9], 0, v[10:11]
	v_lshlrev_b32_e32 v8, 3, v0
	v_mov_b32_e32 v9, 0
	v_lshl_add_u64 v[10:11], s[46:47], 0, v[10:11]
	v_lshlrev_b32_e32 v5, 2, v0
	v_lshl_add_u64 v[10:11], v[10:11], 0, v[8:9]
	s_mov_b64 s[2:3], 0
	s_mov_b64 s[4:5], 0x1000
	v_mov_b32_e32 v12, v0
.LBB797_146:                            ; =>This Inner Loop Header: Depth=1
	ds_read_b32 v8, v5
	v_add_u32_e32 v12, 0x200, v12
	v_cmp_ge_u32_e32 vcc, v12, v1
	v_add_u32_e32 v5, 0x800, v5
	s_or_b64 s[2:3], vcc, s[2:3]
	s_waitcnt lgkmcnt(0)
	global_store_dwordx2 v[10:11], v[8:9], off
	v_lshl_add_u64 v[10:11], v[10:11], 0, s[4:5]
	s_andn2_b64 exec, exec, s[2:3]
	s_cbranch_execnz .LBB797_146
.LBB797_147:
	s_or_b64 exec, exec, s[0:1]
.LBB797_148:
	s_movk_i32 s0, 0x1ff
	v_cmp_eq_u32_e32 vcc, s0, v0
	s_and_b64 s[0:1], vcc, s[40:41]
	s_and_saveexec_b64 s[2:3], s[0:1]
	s_cbranch_execz .LBB797_151
; %bb.149:
	v_mov_b32_e32 v5, 0
	v_lshl_add_u64 v[0:1], v[4:5], 0, v[6:7]
	v_lshl_add_u64 v[0:1], v[0:1], 0, v[44:45]
	s_cmpk_lg_i32 s33, 0x1c00
	global_store_dwordx2 v5, v[0:1], s[34:35]
	s_cbranch_scc1 .LBB797_151
; %bb.150:
	v_lshlrev_b64 v[0:1], 3, v[4:5]
	v_mov_b32_e32 v15, v5
	v_lshl_add_u64 v[0:1], v[2:3], 0, v[0:1]
	global_store_dwordx2 v[0:1], v[14:15], off offset:-8
.LBB797_151:
	s_endpgm
.LBB797_152:
	s_or_b64 exec, exec, s[8:9]
	v_mov_b32_e32 v61, s12
	s_and_saveexec_b64 s[0:1], s[4:5]
	s_cbranch_execnz .LBB797_58
	s_branch .LBB797_59
.LBB797_153:
	s_and_saveexec_b64 s[38:39], s[28:29]
	s_cbranch_execnz .LBB797_217
; %bb.154:
	s_or_b64 exec, exec, s[38:39]
	s_and_saveexec_b64 s[38:39], s[26:27]
	s_cbranch_execnz .LBB797_218
.LBB797_155:
	s_or_b64 exec, exec, s[38:39]
	s_and_saveexec_b64 s[38:39], s[24:25]
	s_cbranch_execnz .LBB797_219
.LBB797_156:
	s_or_b64 exec, exec, s[38:39]
	s_and_saveexec_b64 s[38:39], s[22:23]
	s_cbranch_execnz .LBB797_220
.LBB797_157:
	s_or_b64 exec, exec, s[38:39]
	s_and_saveexec_b64 s[38:39], s[20:21]
	s_cbranch_execnz .LBB797_221
.LBB797_158:
	s_or_b64 exec, exec, s[38:39]
	s_and_saveexec_b64 s[38:39], s[18:19]
	s_cbranch_execnz .LBB797_222
.LBB797_159:
	s_or_b64 exec, exec, s[38:39]
	s_and_saveexec_b64 s[38:39], s[16:17]
	s_cbranch_execnz .LBB797_223
.LBB797_160:
	s_or_b64 exec, exec, s[38:39]
	s_and_saveexec_b64 s[38:39], s[14:15]
	s_cbranch_execnz .LBB797_224
.LBB797_161:
	s_or_b64 exec, exec, s[38:39]
	s_and_saveexec_b64 s[38:39], s[12:13]
	s_cbranch_execnz .LBB797_225
.LBB797_162:
	s_or_b64 exec, exec, s[38:39]
	s_and_saveexec_b64 s[38:39], s[10:11]
	s_cbranch_execnz .LBB797_226
.LBB797_163:
	s_or_b64 exec, exec, s[38:39]
	s_and_saveexec_b64 s[38:39], s[8:9]
	s_cbranch_execnz .LBB797_227
.LBB797_164:
	s_or_b64 exec, exec, s[38:39]
	s_and_saveexec_b64 s[38:39], s[6:7]
	s_cbranch_execnz .LBB797_228
.LBB797_165:
	s_or_b64 exec, exec, s[38:39]
	s_and_saveexec_b64 s[38:39], s[4:5]
	s_cbranch_execz .LBB797_167
.LBB797_166:
	v_sub_u32_e32 v62, v16, v6
	v_mov_b32_e32 v63, 0
	v_lshl_add_u64 v[62:63], v[62:63], 1, v[46:47]
	global_store_short v[62:63], v1, off
.LBB797_167:
	s_or_b64 exec, exec, s[38:39]
	s_and_b64 s[38:39], s[2:3], exec
	s_andn2_saveexec_b64 s[0:1], s[0:1]
	s_cbranch_execz .LBB797_108
.LBB797_168:
	v_sub_u32_e32 v62, v42, v6
	v_mov_b32_e32 v63, 0
	v_lshl_add_u64 v[64:65], v[62:63], 1, v[46:47]
	v_sub_u32_e32 v62, v40, v6
	global_store_short v[64:65], v12, off
	v_lshl_add_u64 v[64:65], v[62:63], 1, v[46:47]
	v_sub_u32_e32 v62, v38, v6
	global_store_short_d16_hi v[64:65], v12, off
	v_lshl_add_u64 v[64:65], v[62:63], 1, v[46:47]
	v_sub_u32_e32 v62, v36, v6
	global_store_short v[64:65], v13, off
	v_lshl_add_u64 v[64:65], v[62:63], 1, v[46:47]
	v_sub_u32_e32 v62, v34, v6
	global_store_short_d16_hi v[64:65], v13, off
	;; [unrolled: 6-line block ×5, first 2 shown]
	v_lshl_add_u64 v[64:65], v[62:63], 1, v[46:47]
	v_sub_u32_e32 v62, v20, v6
	global_store_short v[64:65], v9, off
	v_lshl_add_u64 v[64:65], v[62:63], 1, v[46:47]
	v_sub_u32_e32 v62, v16, v6
	v_lshl_add_u64 v[62:63], v[62:63], 1, v[46:47]
	s_or_b64 s[38:39], s[38:39], exec
	global_store_short_d16_hi v[64:65], v9, off
	global_store_short v[62:63], v1, off
	s_or_b64 exec, exec, s[0:1]
	s_and_b64 exec, exec, s[38:39]
	s_cbranch_execnz .LBB797_109
	s_branch .LBB797_110
.LBB797_169:
	s_and_saveexec_b64 s[38:39], s[28:29]
	s_cbranch_execnz .LBB797_229
; %bb.170:
	s_or_b64 exec, exec, s[38:39]
	s_and_saveexec_b64 s[28:29], s[26:27]
	s_cbranch_execnz .LBB797_230
.LBB797_171:
	s_or_b64 exec, exec, s[28:29]
	s_and_saveexec_b64 s[26:27], s[24:25]
	s_cbranch_execnz .LBB797_231
.LBB797_172:
	s_or_b64 exec, exec, s[26:27]
	s_and_saveexec_b64 s[24:25], s[22:23]
	s_cbranch_execnz .LBB797_232
.LBB797_173:
	s_or_b64 exec, exec, s[24:25]
	s_and_saveexec_b64 s[22:23], s[20:21]
	s_cbranch_execnz .LBB797_233
.LBB797_174:
	s_or_b64 exec, exec, s[22:23]
	s_and_saveexec_b64 s[20:21], s[18:19]
	s_cbranch_execnz .LBB797_234
.LBB797_175:
	s_or_b64 exec, exec, s[20:21]
	s_and_saveexec_b64 s[18:19], s[16:17]
	s_cbranch_execnz .LBB797_235
.LBB797_176:
	s_or_b64 exec, exec, s[18:19]
	s_and_saveexec_b64 s[16:17], s[14:15]
	s_cbranch_execnz .LBB797_236
.LBB797_177:
	s_or_b64 exec, exec, s[16:17]
	s_and_saveexec_b64 s[14:15], s[12:13]
	s_cbranch_execnz .LBB797_237
.LBB797_178:
	s_or_b64 exec, exec, s[14:15]
	s_and_saveexec_b64 s[12:13], s[10:11]
	s_cbranch_execnz .LBB797_238
.LBB797_179:
	s_or_b64 exec, exec, s[12:13]
	s_and_saveexec_b64 s[10:11], s[8:9]
	s_cbranch_execnz .LBB797_239
.LBB797_180:
	s_or_b64 exec, exec, s[10:11]
	s_and_saveexec_b64 s[8:9], s[6:7]
	s_cbranch_execnz .LBB797_240
.LBB797_181:
	s_or_b64 exec, exec, s[8:9]
	s_and_saveexec_b64 s[6:7], s[4:5]
	s_cbranch_execz .LBB797_183
.LBB797_182:
	v_sub_u32_e32 v2, v16, v6
	v_lshlrev_b32_e32 v2, 1, v2
	ds_write_b16 v2, v1
.LBB797_183:
	s_or_b64 exec, exec, s[6:7]
	s_and_b64 s[38:39], s[2:3], exec
                                        ; implicit-def: $vgpr12
                                        ; implicit-def: $vgpr10
                                        ; implicit-def: $vgpr8
	s_andn2_saveexec_b64 s[2:3], s[36:37]
	s_cbranch_execz .LBB797_115
.LBB797_184:
	v_sub_u32_e32 v2, v42, v6
	v_lshlrev_b32_e32 v2, 1, v2
	ds_write_b16 v2, v12
	v_sub_u32_e32 v2, v40, v6
	v_lshlrev_b32_e32 v2, 1, v2
	ds_write_b16_d16_hi v2, v12
	v_sub_u32_e32 v2, v38, v6
	v_lshlrev_b32_e32 v2, 1, v2
	ds_write_b16 v2, v13
	v_sub_u32_e32 v2, v36, v6
	v_lshlrev_b32_e32 v2, 1, v2
	ds_write_b16_d16_hi v2, v13
	;; [unrolled: 6-line block ×6, first 2 shown]
	v_sub_u32_e32 v2, v16, v6
	v_lshlrev_b32_e32 v2, 1, v2
	s_or_b64 s[38:39], s[38:39], exec
	ds_write_b16 v2, v1
	s_or_b64 exec, exec, s[2:3]
	s_and_b64 exec, exec, s[38:39]
	s_cbranch_execnz .LBB797_116
	s_branch .LBB797_117
.LBB797_185:
	s_and_saveexec_b64 s[36:37], s[26:27]
	s_cbranch_execnz .LBB797_241
; %bb.186:
	s_or_b64 exec, exec, s[36:37]
	s_and_saveexec_b64 s[36:37], s[24:25]
	s_cbranch_execnz .LBB797_242
.LBB797_187:
	s_or_b64 exec, exec, s[36:37]
	s_and_saveexec_b64 s[36:37], s[22:23]
	s_cbranch_execnz .LBB797_243
.LBB797_188:
	s_or_b64 exec, exec, s[36:37]
	s_and_saveexec_b64 s[36:37], s[20:21]
	s_cbranch_execnz .LBB797_244
.LBB797_189:
	s_or_b64 exec, exec, s[36:37]
	s_and_saveexec_b64 s[36:37], s[18:19]
	s_cbranch_execnz .LBB797_245
.LBB797_190:
	s_or_b64 exec, exec, s[36:37]
	s_and_saveexec_b64 s[36:37], s[16:17]
	s_cbranch_execnz .LBB797_246
.LBB797_191:
	s_or_b64 exec, exec, s[36:37]
	s_and_saveexec_b64 s[36:37], s[14:15]
	s_cbranch_execnz .LBB797_247
.LBB797_192:
	s_or_b64 exec, exec, s[36:37]
	s_and_saveexec_b64 s[36:37], s[12:13]
	s_cbranch_execnz .LBB797_248
.LBB797_193:
	s_or_b64 exec, exec, s[36:37]
	s_and_saveexec_b64 s[36:37], s[10:11]
	s_cbranch_execnz .LBB797_249
.LBB797_194:
	s_or_b64 exec, exec, s[36:37]
	s_and_saveexec_b64 s[36:37], s[8:9]
	s_cbranch_execnz .LBB797_250
.LBB797_195:
	s_or_b64 exec, exec, s[36:37]
	s_and_saveexec_b64 s[36:37], s[6:7]
	s_cbranch_execnz .LBB797_251
.LBB797_196:
	s_or_b64 exec, exec, s[36:37]
	s_and_saveexec_b64 s[36:37], s[4:5]
	s_cbranch_execnz .LBB797_252
.LBB797_197:
	s_or_b64 exec, exec, s[36:37]
	s_and_saveexec_b64 s[36:37], s[2:3]
	s_cbranch_execz .LBB797_199
.LBB797_198:
	v_sub_u32_e32 v48, v16, v5
	v_mov_b32_e32 v49, 0
	v_lshl_add_u64 v[50:51], v[48:49], 3, v[46:47]
	v_mov_b32_e32 v48, v17
	global_store_dwordx2 v[50:51], v[48:49], off
.LBB797_199:
	s_or_b64 exec, exec, s[36:37]
	s_and_b64 s[36:37], s[0:1], exec
	s_andn2_saveexec_b64 s[28:29], s[28:29]
	s_cbranch_execz .LBB797_135
.LBB797_200:
	v_mov_b32_e32 v49, 0
	v_sub_u32_e32 v50, v42, v5
	v_mov_b32_e32 v51, v49
	v_mov_b32_e32 v48, v43
	v_lshl_add_u64 v[50:51], v[50:51], 3, v[46:47]
	global_store_dwordx2 v[50:51], v[48:49], off
	v_sub_u32_e32 v50, v40, v5
	v_mov_b32_e32 v51, v49
	v_mov_b32_e32 v48, v41
	v_lshl_add_u64 v[50:51], v[50:51], 3, v[46:47]
	global_store_dwordx2 v[50:51], v[48:49], off
	;; [unrolled: 5-line block ×12, first 2 shown]
	v_sub_u32_e32 v50, v16, v5
	v_mov_b32_e32 v51, v49
	v_mov_b32_e32 v48, v17
	v_lshl_add_u64 v[50:51], v[50:51], 3, v[46:47]
	s_or_b64 s[36:37], s[36:37], exec
	global_store_dwordx2 v[50:51], v[48:49], off
	s_or_b64 exec, exec, s[28:29]
	s_and_b64 exec, exec, s[36:37]
	s_cbranch_execnz .LBB797_136
	s_branch .LBB797_137
.LBB797_201:
	s_and_saveexec_b64 s[36:37], s[26:27]
	s_cbranch_execnz .LBB797_253
; %bb.202:
	s_or_b64 exec, exec, s[36:37]
	s_and_saveexec_b64 s[26:27], s[24:25]
	s_cbranch_execnz .LBB797_254
.LBB797_203:
	s_or_b64 exec, exec, s[26:27]
	s_and_saveexec_b64 s[24:25], s[22:23]
	s_cbranch_execnz .LBB797_255
.LBB797_204:
	s_or_b64 exec, exec, s[24:25]
	s_and_saveexec_b64 s[22:23], s[20:21]
	s_cbranch_execnz .LBB797_256
.LBB797_205:
	s_or_b64 exec, exec, s[22:23]
	s_and_saveexec_b64 s[20:21], s[18:19]
	s_cbranch_execnz .LBB797_257
.LBB797_206:
	s_or_b64 exec, exec, s[20:21]
	s_and_saveexec_b64 s[18:19], s[16:17]
	s_cbranch_execnz .LBB797_258
.LBB797_207:
	s_or_b64 exec, exec, s[18:19]
	s_and_saveexec_b64 s[16:17], s[14:15]
	s_cbranch_execnz .LBB797_259
.LBB797_208:
	s_or_b64 exec, exec, s[16:17]
	s_and_saveexec_b64 s[14:15], s[12:13]
	s_cbranch_execnz .LBB797_260
.LBB797_209:
	s_or_b64 exec, exec, s[14:15]
	s_and_saveexec_b64 s[12:13], s[10:11]
	s_cbranch_execnz .LBB797_261
.LBB797_210:
	s_or_b64 exec, exec, s[12:13]
	s_and_saveexec_b64 s[10:11], s[8:9]
	s_cbranch_execnz .LBB797_262
.LBB797_211:
	s_or_b64 exec, exec, s[10:11]
	s_and_saveexec_b64 s[8:9], s[6:7]
	s_cbranch_execnz .LBB797_263
.LBB797_212:
	s_or_b64 exec, exec, s[8:9]
	s_and_saveexec_b64 s[6:7], s[4:5]
	s_cbranch_execnz .LBB797_264
.LBB797_213:
	s_or_b64 exec, exec, s[6:7]
	s_and_saveexec_b64 s[4:5], s[2:3]
	s_cbranch_execz .LBB797_215
.LBB797_214:
	v_sub_u32_e32 v15, v16, v5
	v_lshlrev_b32_e32 v15, 2, v15
	ds_write_b32 v15, v17
.LBB797_215:
	s_or_b64 exec, exec, s[4:5]
	s_and_b64 s[36:37], s[0:1], exec
                                        ; implicit-def: $vgpr16_vgpr17
                                        ; implicit-def: $vgpr20_vgpr21
                                        ; implicit-def: $vgpr22_vgpr23
                                        ; implicit-def: $vgpr42_vgpr43
                                        ; implicit-def: $vgpr40_vgpr41
                                        ; implicit-def: $vgpr38_vgpr39
                                        ; implicit-def: $vgpr36_vgpr37
                                        ; implicit-def: $vgpr34_vgpr35
                                        ; implicit-def: $vgpr32_vgpr33
                                        ; implicit-def: $vgpr30_vgpr31
                                        ; implicit-def: $vgpr28_vgpr29
                                        ; implicit-def: $vgpr26_vgpr27
                                        ; implicit-def: $vgpr24_vgpr25
	s_andn2_saveexec_b64 s[0:1], s[30:31]
	s_cbranch_execz .LBB797_142
.LBB797_216:
	v_sub_u32_e32 v15, v42, v5
	v_lshlrev_b32_e32 v15, 2, v15
	ds_write_b32 v15, v43
	v_sub_u32_e32 v15, v40, v5
	v_lshlrev_b32_e32 v15, 2, v15
	ds_write_b32 v15, v41
	;; [unrolled: 3-line block ×12, first 2 shown]
	v_sub_u32_e32 v15, v16, v5
	v_lshlrev_b32_e32 v15, 2, v15
	s_or_b64 s[36:37], s[36:37], exec
	ds_write_b32 v15, v17
	s_or_b64 exec, exec, s[0:1]
	s_and_b64 exec, exec, s[36:37]
	s_cbranch_execnz .LBB797_143
	s_branch .LBB797_144
.LBB797_217:
	v_sub_u32_e32 v62, v42, v6
	v_mov_b32_e32 v63, 0
	v_lshl_add_u64 v[62:63], v[62:63], 1, v[46:47]
	global_store_short v[62:63], v12, off
	s_or_b64 exec, exec, s[38:39]
	s_and_saveexec_b64 s[38:39], s[26:27]
	s_cbranch_execz .LBB797_155
.LBB797_218:
	v_sub_u32_e32 v62, v40, v6
	v_mov_b32_e32 v63, 0
	v_lshl_add_u64 v[62:63], v[62:63], 1, v[46:47]
	global_store_short_d16_hi v[62:63], v12, off
	s_or_b64 exec, exec, s[38:39]
	s_and_saveexec_b64 s[38:39], s[24:25]
	s_cbranch_execz .LBB797_156
.LBB797_219:
	v_sub_u32_e32 v62, v38, v6
	v_mov_b32_e32 v63, 0
	v_lshl_add_u64 v[62:63], v[62:63], 1, v[46:47]
	global_store_short v[62:63], v13, off
	s_or_b64 exec, exec, s[38:39]
	s_and_saveexec_b64 s[38:39], s[22:23]
	s_cbranch_execz .LBB797_157
.LBB797_220:
	v_sub_u32_e32 v62, v36, v6
	v_mov_b32_e32 v63, 0
	v_lshl_add_u64 v[62:63], v[62:63], 1, v[46:47]
	global_store_short_d16_hi v[62:63], v13, off
	s_or_b64 exec, exec, s[38:39]
	s_and_saveexec_b64 s[38:39], s[20:21]
	s_cbranch_execz .LBB797_158
.LBB797_221:
	v_sub_u32_e32 v62, v34, v6
	v_mov_b32_e32 v63, 0
	v_lshl_add_u64 v[62:63], v[62:63], 1, v[46:47]
	global_store_short v[62:63], v10, off
	s_or_b64 exec, exec, s[38:39]
	s_and_saveexec_b64 s[38:39], s[18:19]
	s_cbranch_execz .LBB797_159
.LBB797_222:
	v_sub_u32_e32 v62, v32, v6
	v_mov_b32_e32 v63, 0
	v_lshl_add_u64 v[62:63], v[62:63], 1, v[46:47]
	global_store_short_d16_hi v[62:63], v10, off
	s_or_b64 exec, exec, s[38:39]
	s_and_saveexec_b64 s[38:39], s[16:17]
	s_cbranch_execz .LBB797_160
.LBB797_223:
	v_sub_u32_e32 v62, v30, v6
	v_mov_b32_e32 v63, 0
	v_lshl_add_u64 v[62:63], v[62:63], 1, v[46:47]
	global_store_short v[62:63], v11, off
	s_or_b64 exec, exec, s[38:39]
	s_and_saveexec_b64 s[38:39], s[14:15]
	s_cbranch_execz .LBB797_161
.LBB797_224:
	v_sub_u32_e32 v62, v28, v6
	v_mov_b32_e32 v63, 0
	v_lshl_add_u64 v[62:63], v[62:63], 1, v[46:47]
	global_store_short_d16_hi v[62:63], v11, off
	s_or_b64 exec, exec, s[38:39]
	s_and_saveexec_b64 s[38:39], s[12:13]
	s_cbranch_execz .LBB797_162
.LBB797_225:
	v_sub_u32_e32 v62, v26, v6
	v_mov_b32_e32 v63, 0
	v_lshl_add_u64 v[62:63], v[62:63], 1, v[46:47]
	global_store_short v[62:63], v8, off
	s_or_b64 exec, exec, s[38:39]
	s_and_saveexec_b64 s[38:39], s[10:11]
	s_cbranch_execz .LBB797_163
.LBB797_226:
	v_sub_u32_e32 v62, v24, v6
	v_mov_b32_e32 v63, 0
	v_lshl_add_u64 v[62:63], v[62:63], 1, v[46:47]
	global_store_short_d16_hi v[62:63], v8, off
	s_or_b64 exec, exec, s[38:39]
	s_and_saveexec_b64 s[38:39], s[8:9]
	s_cbranch_execz .LBB797_164
.LBB797_227:
	v_sub_u32_e32 v62, v22, v6
	v_mov_b32_e32 v63, 0
	v_lshl_add_u64 v[62:63], v[62:63], 1, v[46:47]
	global_store_short v[62:63], v9, off
	s_or_b64 exec, exec, s[38:39]
	s_and_saveexec_b64 s[38:39], s[6:7]
	s_cbranch_execz .LBB797_165
.LBB797_228:
	v_sub_u32_e32 v62, v20, v6
	v_mov_b32_e32 v63, 0
	v_lshl_add_u64 v[62:63], v[62:63], 1, v[46:47]
	global_store_short_d16_hi v[62:63], v9, off
	s_or_b64 exec, exec, s[38:39]
	s_and_saveexec_b64 s[38:39], s[4:5]
	s_cbranch_execnz .LBB797_166
	s_branch .LBB797_167
.LBB797_229:
	v_sub_u32_e32 v2, v42, v6
	v_lshlrev_b32_e32 v2, 1, v2
	ds_write_b16 v2, v12
	s_or_b64 exec, exec, s[38:39]
	s_and_saveexec_b64 s[28:29], s[26:27]
	s_cbranch_execz .LBB797_171
.LBB797_230:
	v_sub_u32_e32 v2, v40, v6
	v_lshlrev_b32_e32 v2, 1, v2
	ds_write_b16_d16_hi v2, v12
	s_or_b64 exec, exec, s[28:29]
	s_and_saveexec_b64 s[26:27], s[24:25]
	s_cbranch_execz .LBB797_172
.LBB797_231:
	v_sub_u32_e32 v2, v38, v6
	v_lshlrev_b32_e32 v2, 1, v2
	ds_write_b16 v2, v13
	s_or_b64 exec, exec, s[26:27]
	s_and_saveexec_b64 s[24:25], s[22:23]
	s_cbranch_execz .LBB797_173
.LBB797_232:
	v_sub_u32_e32 v2, v36, v6
	v_lshlrev_b32_e32 v2, 1, v2
	ds_write_b16_d16_hi v2, v13
	s_or_b64 exec, exec, s[24:25]
	s_and_saveexec_b64 s[22:23], s[20:21]
	s_cbranch_execz .LBB797_174
.LBB797_233:
	v_sub_u32_e32 v2, v34, v6
	v_lshlrev_b32_e32 v2, 1, v2
	ds_write_b16 v2, v10
	s_or_b64 exec, exec, s[22:23]
	s_and_saveexec_b64 s[20:21], s[18:19]
	s_cbranch_execz .LBB797_175
.LBB797_234:
	v_sub_u32_e32 v2, v32, v6
	v_lshlrev_b32_e32 v2, 1, v2
	ds_write_b16_d16_hi v2, v10
	s_or_b64 exec, exec, s[20:21]
	s_and_saveexec_b64 s[18:19], s[16:17]
	s_cbranch_execz .LBB797_176
.LBB797_235:
	v_sub_u32_e32 v2, v30, v6
	v_lshlrev_b32_e32 v2, 1, v2
	ds_write_b16 v2, v11
	s_or_b64 exec, exec, s[18:19]
	s_and_saveexec_b64 s[16:17], s[14:15]
	s_cbranch_execz .LBB797_177
.LBB797_236:
	v_sub_u32_e32 v2, v28, v6
	v_lshlrev_b32_e32 v2, 1, v2
	ds_write_b16_d16_hi v2, v11
	s_or_b64 exec, exec, s[16:17]
	s_and_saveexec_b64 s[14:15], s[12:13]
	s_cbranch_execz .LBB797_178
.LBB797_237:
	v_sub_u32_e32 v2, v26, v6
	v_lshlrev_b32_e32 v2, 1, v2
	ds_write_b16 v2, v8
	s_or_b64 exec, exec, s[14:15]
	s_and_saveexec_b64 s[12:13], s[10:11]
	s_cbranch_execz .LBB797_179
.LBB797_238:
	v_sub_u32_e32 v2, v24, v6
	v_lshlrev_b32_e32 v2, 1, v2
	ds_write_b16_d16_hi v2, v8
	s_or_b64 exec, exec, s[12:13]
	s_and_saveexec_b64 s[10:11], s[8:9]
	s_cbranch_execz .LBB797_180
.LBB797_239:
	v_sub_u32_e32 v2, v22, v6
	v_lshlrev_b32_e32 v2, 1, v2
	ds_write_b16 v2, v9
	s_or_b64 exec, exec, s[10:11]
	s_and_saveexec_b64 s[8:9], s[6:7]
	s_cbranch_execz .LBB797_181
.LBB797_240:
	v_sub_u32_e32 v2, v20, v6
	v_lshlrev_b32_e32 v2, 1, v2
	ds_write_b16_d16_hi v2, v9
	s_or_b64 exec, exec, s[8:9]
	s_and_saveexec_b64 s[6:7], s[4:5]
	s_cbranch_execnz .LBB797_182
	s_branch .LBB797_183
.LBB797_241:
	v_sub_u32_e32 v48, v42, v5
	v_mov_b32_e32 v49, 0
	v_lshl_add_u64 v[50:51], v[48:49], 3, v[46:47]
	v_mov_b32_e32 v48, v43
	global_store_dwordx2 v[50:51], v[48:49], off
	s_or_b64 exec, exec, s[36:37]
	s_and_saveexec_b64 s[36:37], s[24:25]
	s_cbranch_execz .LBB797_187
.LBB797_242:
	v_sub_u32_e32 v48, v40, v5
	v_mov_b32_e32 v49, 0
	v_lshl_add_u64 v[50:51], v[48:49], 3, v[46:47]
	v_mov_b32_e32 v48, v41
	global_store_dwordx2 v[50:51], v[48:49], off
	s_or_b64 exec, exec, s[36:37]
	s_and_saveexec_b64 s[36:37], s[22:23]
	s_cbranch_execz .LBB797_188
.LBB797_243:
	v_sub_u32_e32 v48, v38, v5
	v_mov_b32_e32 v49, 0
	v_lshl_add_u64 v[50:51], v[48:49], 3, v[46:47]
	v_mov_b32_e32 v48, v39
	global_store_dwordx2 v[50:51], v[48:49], off
	s_or_b64 exec, exec, s[36:37]
	s_and_saveexec_b64 s[36:37], s[20:21]
	s_cbranch_execz .LBB797_189
.LBB797_244:
	v_sub_u32_e32 v48, v36, v5
	v_mov_b32_e32 v49, 0
	v_lshl_add_u64 v[50:51], v[48:49], 3, v[46:47]
	v_mov_b32_e32 v48, v37
	global_store_dwordx2 v[50:51], v[48:49], off
	s_or_b64 exec, exec, s[36:37]
	s_and_saveexec_b64 s[36:37], s[18:19]
	s_cbranch_execz .LBB797_190
.LBB797_245:
	v_sub_u32_e32 v48, v34, v5
	v_mov_b32_e32 v49, 0
	v_lshl_add_u64 v[50:51], v[48:49], 3, v[46:47]
	v_mov_b32_e32 v48, v35
	global_store_dwordx2 v[50:51], v[48:49], off
	s_or_b64 exec, exec, s[36:37]
	s_and_saveexec_b64 s[36:37], s[16:17]
	s_cbranch_execz .LBB797_191
.LBB797_246:
	v_sub_u32_e32 v48, v32, v5
	v_mov_b32_e32 v49, 0
	v_lshl_add_u64 v[50:51], v[48:49], 3, v[46:47]
	v_mov_b32_e32 v48, v33
	global_store_dwordx2 v[50:51], v[48:49], off
	s_or_b64 exec, exec, s[36:37]
	s_and_saveexec_b64 s[36:37], s[14:15]
	s_cbranch_execz .LBB797_192
.LBB797_247:
	v_sub_u32_e32 v48, v30, v5
	v_mov_b32_e32 v49, 0
	v_lshl_add_u64 v[50:51], v[48:49], 3, v[46:47]
	v_mov_b32_e32 v48, v31
	global_store_dwordx2 v[50:51], v[48:49], off
	s_or_b64 exec, exec, s[36:37]
	s_and_saveexec_b64 s[36:37], s[12:13]
	s_cbranch_execz .LBB797_193
.LBB797_248:
	v_sub_u32_e32 v48, v28, v5
	v_mov_b32_e32 v49, 0
	v_lshl_add_u64 v[50:51], v[48:49], 3, v[46:47]
	v_mov_b32_e32 v48, v29
	global_store_dwordx2 v[50:51], v[48:49], off
	s_or_b64 exec, exec, s[36:37]
	s_and_saveexec_b64 s[36:37], s[10:11]
	s_cbranch_execz .LBB797_194
.LBB797_249:
	v_sub_u32_e32 v48, v26, v5
	v_mov_b32_e32 v49, 0
	v_lshl_add_u64 v[50:51], v[48:49], 3, v[46:47]
	v_mov_b32_e32 v48, v27
	global_store_dwordx2 v[50:51], v[48:49], off
	s_or_b64 exec, exec, s[36:37]
	s_and_saveexec_b64 s[36:37], s[8:9]
	s_cbranch_execz .LBB797_195
.LBB797_250:
	v_sub_u32_e32 v48, v24, v5
	v_mov_b32_e32 v49, 0
	v_lshl_add_u64 v[50:51], v[48:49], 3, v[46:47]
	v_mov_b32_e32 v48, v25
	global_store_dwordx2 v[50:51], v[48:49], off
	s_or_b64 exec, exec, s[36:37]
	s_and_saveexec_b64 s[36:37], s[6:7]
	s_cbranch_execz .LBB797_196
.LBB797_251:
	v_sub_u32_e32 v48, v22, v5
	v_mov_b32_e32 v49, 0
	v_lshl_add_u64 v[50:51], v[48:49], 3, v[46:47]
	v_mov_b32_e32 v48, v23
	global_store_dwordx2 v[50:51], v[48:49], off
	s_or_b64 exec, exec, s[36:37]
	s_and_saveexec_b64 s[36:37], s[4:5]
	s_cbranch_execz .LBB797_197
.LBB797_252:
	v_sub_u32_e32 v48, v20, v5
	v_mov_b32_e32 v49, 0
	v_lshl_add_u64 v[50:51], v[48:49], 3, v[46:47]
	v_mov_b32_e32 v48, v21
	global_store_dwordx2 v[50:51], v[48:49], off
	s_or_b64 exec, exec, s[36:37]
	s_and_saveexec_b64 s[36:37], s[2:3]
	s_cbranch_execnz .LBB797_198
	s_branch .LBB797_199
.LBB797_253:
	v_sub_u32_e32 v15, v42, v5
	v_lshlrev_b32_e32 v15, 2, v15
	ds_write_b32 v15, v43
	s_or_b64 exec, exec, s[36:37]
	s_and_saveexec_b64 s[26:27], s[24:25]
	s_cbranch_execz .LBB797_203
.LBB797_254:
	v_sub_u32_e32 v15, v40, v5
	v_lshlrev_b32_e32 v15, 2, v15
	ds_write_b32 v15, v41
	s_or_b64 exec, exec, s[26:27]
	s_and_saveexec_b64 s[24:25], s[22:23]
	s_cbranch_execz .LBB797_204
.LBB797_255:
	v_sub_u32_e32 v15, v38, v5
	v_lshlrev_b32_e32 v15, 2, v15
	ds_write_b32 v15, v39
	s_or_b64 exec, exec, s[24:25]
	s_and_saveexec_b64 s[22:23], s[20:21]
	s_cbranch_execz .LBB797_205
.LBB797_256:
	v_sub_u32_e32 v15, v36, v5
	v_lshlrev_b32_e32 v15, 2, v15
	ds_write_b32 v15, v37
	s_or_b64 exec, exec, s[22:23]
	s_and_saveexec_b64 s[20:21], s[18:19]
	s_cbranch_execz .LBB797_206
.LBB797_257:
	v_sub_u32_e32 v15, v34, v5
	v_lshlrev_b32_e32 v15, 2, v15
	ds_write_b32 v15, v35
	s_or_b64 exec, exec, s[20:21]
	s_and_saveexec_b64 s[18:19], s[16:17]
	s_cbranch_execz .LBB797_207
.LBB797_258:
	v_sub_u32_e32 v15, v32, v5
	v_lshlrev_b32_e32 v15, 2, v15
	ds_write_b32 v15, v33
	s_or_b64 exec, exec, s[18:19]
	s_and_saveexec_b64 s[16:17], s[14:15]
	s_cbranch_execz .LBB797_208
.LBB797_259:
	v_sub_u32_e32 v15, v30, v5
	v_lshlrev_b32_e32 v15, 2, v15
	ds_write_b32 v15, v31
	s_or_b64 exec, exec, s[16:17]
	s_and_saveexec_b64 s[14:15], s[12:13]
	s_cbranch_execz .LBB797_209
.LBB797_260:
	v_sub_u32_e32 v15, v28, v5
	v_lshlrev_b32_e32 v15, 2, v15
	ds_write_b32 v15, v29
	s_or_b64 exec, exec, s[14:15]
	s_and_saveexec_b64 s[12:13], s[10:11]
	s_cbranch_execz .LBB797_210
.LBB797_261:
	v_sub_u32_e32 v15, v26, v5
	v_lshlrev_b32_e32 v15, 2, v15
	ds_write_b32 v15, v27
	s_or_b64 exec, exec, s[12:13]
	s_and_saveexec_b64 s[10:11], s[8:9]
	s_cbranch_execz .LBB797_211
.LBB797_262:
	v_sub_u32_e32 v15, v24, v5
	v_lshlrev_b32_e32 v15, 2, v15
	ds_write_b32 v15, v25
	s_or_b64 exec, exec, s[10:11]
	s_and_saveexec_b64 s[8:9], s[6:7]
	s_cbranch_execz .LBB797_212
.LBB797_263:
	v_sub_u32_e32 v15, v22, v5
	v_lshlrev_b32_e32 v15, 2, v15
	ds_write_b32 v15, v23
	s_or_b64 exec, exec, s[8:9]
	s_and_saveexec_b64 s[6:7], s[4:5]
	s_cbranch_execz .LBB797_213
.LBB797_264:
	v_sub_u32_e32 v15, v20, v5
	v_lshlrev_b32_e32 v15, 2, v15
	ds_write_b32 v15, v21
	s_or_b64 exec, exec, s[6:7]
	s_and_saveexec_b64 s[4:5], s[2:3]
	s_cbranch_execnz .LBB797_214
	s_branch .LBB797_215
	.section	.rodata,"a",@progbits
	.p2align	6, 0x0
	.amdhsa_kernel _ZN7rocprim17ROCPRIM_400000_NS6detail17trampoline_kernelINS0_14default_configENS1_33run_length_encode_config_selectorItjNS0_4plusIjEEEEZZNS1_33reduce_by_key_impl_wrapped_configILNS1_25lookback_scan_determinismE0ES3_S7_PKtNS0_17constant_iteratorIjlEEPtPlSF_S6_NS0_8equal_toItEEEE10hipError_tPvRmT2_T3_mT4_T5_T6_T7_T8_P12ihipStream_tbENKUlT_T0_E_clISt17integral_constantIbLb1EESZ_EEDaSU_SV_EUlSU_E_NS1_11comp_targetILNS1_3genE5ELNS1_11target_archE942ELNS1_3gpuE9ELNS1_3repE0EEENS1_30default_config_static_selectorELNS0_4arch9wavefront6targetE1EEEvT1_
		.amdhsa_group_segment_fixed_size 28672
		.amdhsa_private_segment_fixed_size 0
		.amdhsa_kernarg_size 128
		.amdhsa_user_sgpr_count 2
		.amdhsa_user_sgpr_dispatch_ptr 0
		.amdhsa_user_sgpr_queue_ptr 0
		.amdhsa_user_sgpr_kernarg_segment_ptr 1
		.amdhsa_user_sgpr_dispatch_id 0
		.amdhsa_user_sgpr_kernarg_preload_length 0
		.amdhsa_user_sgpr_kernarg_preload_offset 0
		.amdhsa_user_sgpr_private_segment_size 0
		.amdhsa_uses_dynamic_stack 0
		.amdhsa_enable_private_segment 0
		.amdhsa_system_sgpr_workgroup_id_x 1
		.amdhsa_system_sgpr_workgroup_id_y 0
		.amdhsa_system_sgpr_workgroup_id_z 0
		.amdhsa_system_sgpr_workgroup_info 0
		.amdhsa_system_vgpr_workitem_id 0
		.amdhsa_next_free_vgpr 105
		.amdhsa_next_free_sgpr 64
		.amdhsa_accum_offset 108
		.amdhsa_reserve_vcc 1
		.amdhsa_float_round_mode_32 0
		.amdhsa_float_round_mode_16_64 0
		.amdhsa_float_denorm_mode_32 3
		.amdhsa_float_denorm_mode_16_64 3
		.amdhsa_dx10_clamp 1
		.amdhsa_ieee_mode 1
		.amdhsa_fp16_overflow 0
		.amdhsa_tg_split 0
		.amdhsa_exception_fp_ieee_invalid_op 0
		.amdhsa_exception_fp_denorm_src 0
		.amdhsa_exception_fp_ieee_div_zero 0
		.amdhsa_exception_fp_ieee_overflow 0
		.amdhsa_exception_fp_ieee_underflow 0
		.amdhsa_exception_fp_ieee_inexact 0
		.amdhsa_exception_int_div_zero 0
	.end_amdhsa_kernel
	.section	.text._ZN7rocprim17ROCPRIM_400000_NS6detail17trampoline_kernelINS0_14default_configENS1_33run_length_encode_config_selectorItjNS0_4plusIjEEEEZZNS1_33reduce_by_key_impl_wrapped_configILNS1_25lookback_scan_determinismE0ES3_S7_PKtNS0_17constant_iteratorIjlEEPtPlSF_S6_NS0_8equal_toItEEEE10hipError_tPvRmT2_T3_mT4_T5_T6_T7_T8_P12ihipStream_tbENKUlT_T0_E_clISt17integral_constantIbLb1EESZ_EEDaSU_SV_EUlSU_E_NS1_11comp_targetILNS1_3genE5ELNS1_11target_archE942ELNS1_3gpuE9ELNS1_3repE0EEENS1_30default_config_static_selectorELNS0_4arch9wavefront6targetE1EEEvT1_,"axG",@progbits,_ZN7rocprim17ROCPRIM_400000_NS6detail17trampoline_kernelINS0_14default_configENS1_33run_length_encode_config_selectorItjNS0_4plusIjEEEEZZNS1_33reduce_by_key_impl_wrapped_configILNS1_25lookback_scan_determinismE0ES3_S7_PKtNS0_17constant_iteratorIjlEEPtPlSF_S6_NS0_8equal_toItEEEE10hipError_tPvRmT2_T3_mT4_T5_T6_T7_T8_P12ihipStream_tbENKUlT_T0_E_clISt17integral_constantIbLb1EESZ_EEDaSU_SV_EUlSU_E_NS1_11comp_targetILNS1_3genE5ELNS1_11target_archE942ELNS1_3gpuE9ELNS1_3repE0EEENS1_30default_config_static_selectorELNS0_4arch9wavefront6targetE1EEEvT1_,comdat
.Lfunc_end797:
	.size	_ZN7rocprim17ROCPRIM_400000_NS6detail17trampoline_kernelINS0_14default_configENS1_33run_length_encode_config_selectorItjNS0_4plusIjEEEEZZNS1_33reduce_by_key_impl_wrapped_configILNS1_25lookback_scan_determinismE0ES3_S7_PKtNS0_17constant_iteratorIjlEEPtPlSF_S6_NS0_8equal_toItEEEE10hipError_tPvRmT2_T3_mT4_T5_T6_T7_T8_P12ihipStream_tbENKUlT_T0_E_clISt17integral_constantIbLb1EESZ_EEDaSU_SV_EUlSU_E_NS1_11comp_targetILNS1_3genE5ELNS1_11target_archE942ELNS1_3gpuE9ELNS1_3repE0EEENS1_30default_config_static_selectorELNS0_4arch9wavefront6targetE1EEEvT1_, .Lfunc_end797-_ZN7rocprim17ROCPRIM_400000_NS6detail17trampoline_kernelINS0_14default_configENS1_33run_length_encode_config_selectorItjNS0_4plusIjEEEEZZNS1_33reduce_by_key_impl_wrapped_configILNS1_25lookback_scan_determinismE0ES3_S7_PKtNS0_17constant_iteratorIjlEEPtPlSF_S6_NS0_8equal_toItEEEE10hipError_tPvRmT2_T3_mT4_T5_T6_T7_T8_P12ihipStream_tbENKUlT_T0_E_clISt17integral_constantIbLb1EESZ_EEDaSU_SV_EUlSU_E_NS1_11comp_targetILNS1_3genE5ELNS1_11target_archE942ELNS1_3gpuE9ELNS1_3repE0EEENS1_30default_config_static_selectorELNS0_4arch9wavefront6targetE1EEEvT1_
                                        ; -- End function
	.section	.AMDGPU.csdata,"",@progbits
; Kernel info:
; codeLenInByte = 14584
; NumSgprs: 70
; NumVgprs: 105
; NumAgprs: 0
; TotalNumVgprs: 105
; ScratchSize: 0
; MemoryBound: 0
; FloatMode: 240
; IeeeMode: 1
; LDSByteSize: 28672 bytes/workgroup (compile time only)
; SGPRBlocks: 8
; VGPRBlocks: 13
; NumSGPRsForWavesPerEU: 70
; NumVGPRsForWavesPerEU: 105
; AccumOffset: 108
; Occupancy: 4
; WaveLimiterHint : 1
; COMPUTE_PGM_RSRC2:SCRATCH_EN: 0
; COMPUTE_PGM_RSRC2:USER_SGPR: 2
; COMPUTE_PGM_RSRC2:TRAP_HANDLER: 0
; COMPUTE_PGM_RSRC2:TGID_X_EN: 1
; COMPUTE_PGM_RSRC2:TGID_Y_EN: 0
; COMPUTE_PGM_RSRC2:TGID_Z_EN: 0
; COMPUTE_PGM_RSRC2:TIDIG_COMP_CNT: 0
; COMPUTE_PGM_RSRC3_GFX90A:ACCUM_OFFSET: 26
; COMPUTE_PGM_RSRC3_GFX90A:TG_SPLIT: 0
	.section	.text._ZN7rocprim17ROCPRIM_400000_NS6detail17trampoline_kernelINS0_14default_configENS1_33run_length_encode_config_selectorItjNS0_4plusIjEEEEZZNS1_33reduce_by_key_impl_wrapped_configILNS1_25lookback_scan_determinismE0ES3_S7_PKtNS0_17constant_iteratorIjlEEPtPlSF_S6_NS0_8equal_toItEEEE10hipError_tPvRmT2_T3_mT4_T5_T6_T7_T8_P12ihipStream_tbENKUlT_T0_E_clISt17integral_constantIbLb1EESZ_EEDaSU_SV_EUlSU_E_NS1_11comp_targetILNS1_3genE4ELNS1_11target_archE910ELNS1_3gpuE8ELNS1_3repE0EEENS1_30default_config_static_selectorELNS0_4arch9wavefront6targetE1EEEvT1_,"axG",@progbits,_ZN7rocprim17ROCPRIM_400000_NS6detail17trampoline_kernelINS0_14default_configENS1_33run_length_encode_config_selectorItjNS0_4plusIjEEEEZZNS1_33reduce_by_key_impl_wrapped_configILNS1_25lookback_scan_determinismE0ES3_S7_PKtNS0_17constant_iteratorIjlEEPtPlSF_S6_NS0_8equal_toItEEEE10hipError_tPvRmT2_T3_mT4_T5_T6_T7_T8_P12ihipStream_tbENKUlT_T0_E_clISt17integral_constantIbLb1EESZ_EEDaSU_SV_EUlSU_E_NS1_11comp_targetILNS1_3genE4ELNS1_11target_archE910ELNS1_3gpuE8ELNS1_3repE0EEENS1_30default_config_static_selectorELNS0_4arch9wavefront6targetE1EEEvT1_,comdat
	.protected	_ZN7rocprim17ROCPRIM_400000_NS6detail17trampoline_kernelINS0_14default_configENS1_33run_length_encode_config_selectorItjNS0_4plusIjEEEEZZNS1_33reduce_by_key_impl_wrapped_configILNS1_25lookback_scan_determinismE0ES3_S7_PKtNS0_17constant_iteratorIjlEEPtPlSF_S6_NS0_8equal_toItEEEE10hipError_tPvRmT2_T3_mT4_T5_T6_T7_T8_P12ihipStream_tbENKUlT_T0_E_clISt17integral_constantIbLb1EESZ_EEDaSU_SV_EUlSU_E_NS1_11comp_targetILNS1_3genE4ELNS1_11target_archE910ELNS1_3gpuE8ELNS1_3repE0EEENS1_30default_config_static_selectorELNS0_4arch9wavefront6targetE1EEEvT1_ ; -- Begin function _ZN7rocprim17ROCPRIM_400000_NS6detail17trampoline_kernelINS0_14default_configENS1_33run_length_encode_config_selectorItjNS0_4plusIjEEEEZZNS1_33reduce_by_key_impl_wrapped_configILNS1_25lookback_scan_determinismE0ES3_S7_PKtNS0_17constant_iteratorIjlEEPtPlSF_S6_NS0_8equal_toItEEEE10hipError_tPvRmT2_T3_mT4_T5_T6_T7_T8_P12ihipStream_tbENKUlT_T0_E_clISt17integral_constantIbLb1EESZ_EEDaSU_SV_EUlSU_E_NS1_11comp_targetILNS1_3genE4ELNS1_11target_archE910ELNS1_3gpuE8ELNS1_3repE0EEENS1_30default_config_static_selectorELNS0_4arch9wavefront6targetE1EEEvT1_
	.globl	_ZN7rocprim17ROCPRIM_400000_NS6detail17trampoline_kernelINS0_14default_configENS1_33run_length_encode_config_selectorItjNS0_4plusIjEEEEZZNS1_33reduce_by_key_impl_wrapped_configILNS1_25lookback_scan_determinismE0ES3_S7_PKtNS0_17constant_iteratorIjlEEPtPlSF_S6_NS0_8equal_toItEEEE10hipError_tPvRmT2_T3_mT4_T5_T6_T7_T8_P12ihipStream_tbENKUlT_T0_E_clISt17integral_constantIbLb1EESZ_EEDaSU_SV_EUlSU_E_NS1_11comp_targetILNS1_3genE4ELNS1_11target_archE910ELNS1_3gpuE8ELNS1_3repE0EEENS1_30default_config_static_selectorELNS0_4arch9wavefront6targetE1EEEvT1_
	.p2align	8
	.type	_ZN7rocprim17ROCPRIM_400000_NS6detail17trampoline_kernelINS0_14default_configENS1_33run_length_encode_config_selectorItjNS0_4plusIjEEEEZZNS1_33reduce_by_key_impl_wrapped_configILNS1_25lookback_scan_determinismE0ES3_S7_PKtNS0_17constant_iteratorIjlEEPtPlSF_S6_NS0_8equal_toItEEEE10hipError_tPvRmT2_T3_mT4_T5_T6_T7_T8_P12ihipStream_tbENKUlT_T0_E_clISt17integral_constantIbLb1EESZ_EEDaSU_SV_EUlSU_E_NS1_11comp_targetILNS1_3genE4ELNS1_11target_archE910ELNS1_3gpuE8ELNS1_3repE0EEENS1_30default_config_static_selectorELNS0_4arch9wavefront6targetE1EEEvT1_,@function
_ZN7rocprim17ROCPRIM_400000_NS6detail17trampoline_kernelINS0_14default_configENS1_33run_length_encode_config_selectorItjNS0_4plusIjEEEEZZNS1_33reduce_by_key_impl_wrapped_configILNS1_25lookback_scan_determinismE0ES3_S7_PKtNS0_17constant_iteratorIjlEEPtPlSF_S6_NS0_8equal_toItEEEE10hipError_tPvRmT2_T3_mT4_T5_T6_T7_T8_P12ihipStream_tbENKUlT_T0_E_clISt17integral_constantIbLb1EESZ_EEDaSU_SV_EUlSU_E_NS1_11comp_targetILNS1_3genE4ELNS1_11target_archE910ELNS1_3gpuE8ELNS1_3repE0EEENS1_30default_config_static_selectorELNS0_4arch9wavefront6targetE1EEEvT1_: ; @_ZN7rocprim17ROCPRIM_400000_NS6detail17trampoline_kernelINS0_14default_configENS1_33run_length_encode_config_selectorItjNS0_4plusIjEEEEZZNS1_33reduce_by_key_impl_wrapped_configILNS1_25lookback_scan_determinismE0ES3_S7_PKtNS0_17constant_iteratorIjlEEPtPlSF_S6_NS0_8equal_toItEEEE10hipError_tPvRmT2_T3_mT4_T5_T6_T7_T8_P12ihipStream_tbENKUlT_T0_E_clISt17integral_constantIbLb1EESZ_EEDaSU_SV_EUlSU_E_NS1_11comp_targetILNS1_3genE4ELNS1_11target_archE910ELNS1_3gpuE8ELNS1_3repE0EEENS1_30default_config_static_selectorELNS0_4arch9wavefront6targetE1EEEvT1_
; %bb.0:
	.section	.rodata,"a",@progbits
	.p2align	6, 0x0
	.amdhsa_kernel _ZN7rocprim17ROCPRIM_400000_NS6detail17trampoline_kernelINS0_14default_configENS1_33run_length_encode_config_selectorItjNS0_4plusIjEEEEZZNS1_33reduce_by_key_impl_wrapped_configILNS1_25lookback_scan_determinismE0ES3_S7_PKtNS0_17constant_iteratorIjlEEPtPlSF_S6_NS0_8equal_toItEEEE10hipError_tPvRmT2_T3_mT4_T5_T6_T7_T8_P12ihipStream_tbENKUlT_T0_E_clISt17integral_constantIbLb1EESZ_EEDaSU_SV_EUlSU_E_NS1_11comp_targetILNS1_3genE4ELNS1_11target_archE910ELNS1_3gpuE8ELNS1_3repE0EEENS1_30default_config_static_selectorELNS0_4arch9wavefront6targetE1EEEvT1_
		.amdhsa_group_segment_fixed_size 0
		.amdhsa_private_segment_fixed_size 0
		.amdhsa_kernarg_size 128
		.amdhsa_user_sgpr_count 2
		.amdhsa_user_sgpr_dispatch_ptr 0
		.amdhsa_user_sgpr_queue_ptr 0
		.amdhsa_user_sgpr_kernarg_segment_ptr 1
		.amdhsa_user_sgpr_dispatch_id 0
		.amdhsa_user_sgpr_kernarg_preload_length 0
		.amdhsa_user_sgpr_kernarg_preload_offset 0
		.amdhsa_user_sgpr_private_segment_size 0
		.amdhsa_uses_dynamic_stack 0
		.amdhsa_enable_private_segment 0
		.amdhsa_system_sgpr_workgroup_id_x 1
		.amdhsa_system_sgpr_workgroup_id_y 0
		.amdhsa_system_sgpr_workgroup_id_z 0
		.amdhsa_system_sgpr_workgroup_info 0
		.amdhsa_system_vgpr_workitem_id 0
		.amdhsa_next_free_vgpr 1
		.amdhsa_next_free_sgpr 0
		.amdhsa_accum_offset 4
		.amdhsa_reserve_vcc 0
		.amdhsa_float_round_mode_32 0
		.amdhsa_float_round_mode_16_64 0
		.amdhsa_float_denorm_mode_32 3
		.amdhsa_float_denorm_mode_16_64 3
		.amdhsa_dx10_clamp 1
		.amdhsa_ieee_mode 1
		.amdhsa_fp16_overflow 0
		.amdhsa_tg_split 0
		.amdhsa_exception_fp_ieee_invalid_op 0
		.amdhsa_exception_fp_denorm_src 0
		.amdhsa_exception_fp_ieee_div_zero 0
		.amdhsa_exception_fp_ieee_overflow 0
		.amdhsa_exception_fp_ieee_underflow 0
		.amdhsa_exception_fp_ieee_inexact 0
		.amdhsa_exception_int_div_zero 0
	.end_amdhsa_kernel
	.section	.text._ZN7rocprim17ROCPRIM_400000_NS6detail17trampoline_kernelINS0_14default_configENS1_33run_length_encode_config_selectorItjNS0_4plusIjEEEEZZNS1_33reduce_by_key_impl_wrapped_configILNS1_25lookback_scan_determinismE0ES3_S7_PKtNS0_17constant_iteratorIjlEEPtPlSF_S6_NS0_8equal_toItEEEE10hipError_tPvRmT2_T3_mT4_T5_T6_T7_T8_P12ihipStream_tbENKUlT_T0_E_clISt17integral_constantIbLb1EESZ_EEDaSU_SV_EUlSU_E_NS1_11comp_targetILNS1_3genE4ELNS1_11target_archE910ELNS1_3gpuE8ELNS1_3repE0EEENS1_30default_config_static_selectorELNS0_4arch9wavefront6targetE1EEEvT1_,"axG",@progbits,_ZN7rocprim17ROCPRIM_400000_NS6detail17trampoline_kernelINS0_14default_configENS1_33run_length_encode_config_selectorItjNS0_4plusIjEEEEZZNS1_33reduce_by_key_impl_wrapped_configILNS1_25lookback_scan_determinismE0ES3_S7_PKtNS0_17constant_iteratorIjlEEPtPlSF_S6_NS0_8equal_toItEEEE10hipError_tPvRmT2_T3_mT4_T5_T6_T7_T8_P12ihipStream_tbENKUlT_T0_E_clISt17integral_constantIbLb1EESZ_EEDaSU_SV_EUlSU_E_NS1_11comp_targetILNS1_3genE4ELNS1_11target_archE910ELNS1_3gpuE8ELNS1_3repE0EEENS1_30default_config_static_selectorELNS0_4arch9wavefront6targetE1EEEvT1_,comdat
.Lfunc_end798:
	.size	_ZN7rocprim17ROCPRIM_400000_NS6detail17trampoline_kernelINS0_14default_configENS1_33run_length_encode_config_selectorItjNS0_4plusIjEEEEZZNS1_33reduce_by_key_impl_wrapped_configILNS1_25lookback_scan_determinismE0ES3_S7_PKtNS0_17constant_iteratorIjlEEPtPlSF_S6_NS0_8equal_toItEEEE10hipError_tPvRmT2_T3_mT4_T5_T6_T7_T8_P12ihipStream_tbENKUlT_T0_E_clISt17integral_constantIbLb1EESZ_EEDaSU_SV_EUlSU_E_NS1_11comp_targetILNS1_3genE4ELNS1_11target_archE910ELNS1_3gpuE8ELNS1_3repE0EEENS1_30default_config_static_selectorELNS0_4arch9wavefront6targetE1EEEvT1_, .Lfunc_end798-_ZN7rocprim17ROCPRIM_400000_NS6detail17trampoline_kernelINS0_14default_configENS1_33run_length_encode_config_selectorItjNS0_4plusIjEEEEZZNS1_33reduce_by_key_impl_wrapped_configILNS1_25lookback_scan_determinismE0ES3_S7_PKtNS0_17constant_iteratorIjlEEPtPlSF_S6_NS0_8equal_toItEEEE10hipError_tPvRmT2_T3_mT4_T5_T6_T7_T8_P12ihipStream_tbENKUlT_T0_E_clISt17integral_constantIbLb1EESZ_EEDaSU_SV_EUlSU_E_NS1_11comp_targetILNS1_3genE4ELNS1_11target_archE910ELNS1_3gpuE8ELNS1_3repE0EEENS1_30default_config_static_selectorELNS0_4arch9wavefront6targetE1EEEvT1_
                                        ; -- End function
	.section	.AMDGPU.csdata,"",@progbits
; Kernel info:
; codeLenInByte = 0
; NumSgprs: 6
; NumVgprs: 0
; NumAgprs: 0
; TotalNumVgprs: 0
; ScratchSize: 0
; MemoryBound: 0
; FloatMode: 240
; IeeeMode: 1
; LDSByteSize: 0 bytes/workgroup (compile time only)
; SGPRBlocks: 0
; VGPRBlocks: 0
; NumSGPRsForWavesPerEU: 6
; NumVGPRsForWavesPerEU: 1
; AccumOffset: 4
; Occupancy: 8
; WaveLimiterHint : 0
; COMPUTE_PGM_RSRC2:SCRATCH_EN: 0
; COMPUTE_PGM_RSRC2:USER_SGPR: 2
; COMPUTE_PGM_RSRC2:TRAP_HANDLER: 0
; COMPUTE_PGM_RSRC2:TGID_X_EN: 1
; COMPUTE_PGM_RSRC2:TGID_Y_EN: 0
; COMPUTE_PGM_RSRC2:TGID_Z_EN: 0
; COMPUTE_PGM_RSRC2:TIDIG_COMP_CNT: 0
; COMPUTE_PGM_RSRC3_GFX90A:ACCUM_OFFSET: 0
; COMPUTE_PGM_RSRC3_GFX90A:TG_SPLIT: 0
	.section	.text._ZN7rocprim17ROCPRIM_400000_NS6detail17trampoline_kernelINS0_14default_configENS1_33run_length_encode_config_selectorItjNS0_4plusIjEEEEZZNS1_33reduce_by_key_impl_wrapped_configILNS1_25lookback_scan_determinismE0ES3_S7_PKtNS0_17constant_iteratorIjlEEPtPlSF_S6_NS0_8equal_toItEEEE10hipError_tPvRmT2_T3_mT4_T5_T6_T7_T8_P12ihipStream_tbENKUlT_T0_E_clISt17integral_constantIbLb1EESZ_EEDaSU_SV_EUlSU_E_NS1_11comp_targetILNS1_3genE3ELNS1_11target_archE908ELNS1_3gpuE7ELNS1_3repE0EEENS1_30default_config_static_selectorELNS0_4arch9wavefront6targetE1EEEvT1_,"axG",@progbits,_ZN7rocprim17ROCPRIM_400000_NS6detail17trampoline_kernelINS0_14default_configENS1_33run_length_encode_config_selectorItjNS0_4plusIjEEEEZZNS1_33reduce_by_key_impl_wrapped_configILNS1_25lookback_scan_determinismE0ES3_S7_PKtNS0_17constant_iteratorIjlEEPtPlSF_S6_NS0_8equal_toItEEEE10hipError_tPvRmT2_T3_mT4_T5_T6_T7_T8_P12ihipStream_tbENKUlT_T0_E_clISt17integral_constantIbLb1EESZ_EEDaSU_SV_EUlSU_E_NS1_11comp_targetILNS1_3genE3ELNS1_11target_archE908ELNS1_3gpuE7ELNS1_3repE0EEENS1_30default_config_static_selectorELNS0_4arch9wavefront6targetE1EEEvT1_,comdat
	.protected	_ZN7rocprim17ROCPRIM_400000_NS6detail17trampoline_kernelINS0_14default_configENS1_33run_length_encode_config_selectorItjNS0_4plusIjEEEEZZNS1_33reduce_by_key_impl_wrapped_configILNS1_25lookback_scan_determinismE0ES3_S7_PKtNS0_17constant_iteratorIjlEEPtPlSF_S6_NS0_8equal_toItEEEE10hipError_tPvRmT2_T3_mT4_T5_T6_T7_T8_P12ihipStream_tbENKUlT_T0_E_clISt17integral_constantIbLb1EESZ_EEDaSU_SV_EUlSU_E_NS1_11comp_targetILNS1_3genE3ELNS1_11target_archE908ELNS1_3gpuE7ELNS1_3repE0EEENS1_30default_config_static_selectorELNS0_4arch9wavefront6targetE1EEEvT1_ ; -- Begin function _ZN7rocprim17ROCPRIM_400000_NS6detail17trampoline_kernelINS0_14default_configENS1_33run_length_encode_config_selectorItjNS0_4plusIjEEEEZZNS1_33reduce_by_key_impl_wrapped_configILNS1_25lookback_scan_determinismE0ES3_S7_PKtNS0_17constant_iteratorIjlEEPtPlSF_S6_NS0_8equal_toItEEEE10hipError_tPvRmT2_T3_mT4_T5_T6_T7_T8_P12ihipStream_tbENKUlT_T0_E_clISt17integral_constantIbLb1EESZ_EEDaSU_SV_EUlSU_E_NS1_11comp_targetILNS1_3genE3ELNS1_11target_archE908ELNS1_3gpuE7ELNS1_3repE0EEENS1_30default_config_static_selectorELNS0_4arch9wavefront6targetE1EEEvT1_
	.globl	_ZN7rocprim17ROCPRIM_400000_NS6detail17trampoline_kernelINS0_14default_configENS1_33run_length_encode_config_selectorItjNS0_4plusIjEEEEZZNS1_33reduce_by_key_impl_wrapped_configILNS1_25lookback_scan_determinismE0ES3_S7_PKtNS0_17constant_iteratorIjlEEPtPlSF_S6_NS0_8equal_toItEEEE10hipError_tPvRmT2_T3_mT4_T5_T6_T7_T8_P12ihipStream_tbENKUlT_T0_E_clISt17integral_constantIbLb1EESZ_EEDaSU_SV_EUlSU_E_NS1_11comp_targetILNS1_3genE3ELNS1_11target_archE908ELNS1_3gpuE7ELNS1_3repE0EEENS1_30default_config_static_selectorELNS0_4arch9wavefront6targetE1EEEvT1_
	.p2align	8
	.type	_ZN7rocprim17ROCPRIM_400000_NS6detail17trampoline_kernelINS0_14default_configENS1_33run_length_encode_config_selectorItjNS0_4plusIjEEEEZZNS1_33reduce_by_key_impl_wrapped_configILNS1_25lookback_scan_determinismE0ES3_S7_PKtNS0_17constant_iteratorIjlEEPtPlSF_S6_NS0_8equal_toItEEEE10hipError_tPvRmT2_T3_mT4_T5_T6_T7_T8_P12ihipStream_tbENKUlT_T0_E_clISt17integral_constantIbLb1EESZ_EEDaSU_SV_EUlSU_E_NS1_11comp_targetILNS1_3genE3ELNS1_11target_archE908ELNS1_3gpuE7ELNS1_3repE0EEENS1_30default_config_static_selectorELNS0_4arch9wavefront6targetE1EEEvT1_,@function
_ZN7rocprim17ROCPRIM_400000_NS6detail17trampoline_kernelINS0_14default_configENS1_33run_length_encode_config_selectorItjNS0_4plusIjEEEEZZNS1_33reduce_by_key_impl_wrapped_configILNS1_25lookback_scan_determinismE0ES3_S7_PKtNS0_17constant_iteratorIjlEEPtPlSF_S6_NS0_8equal_toItEEEE10hipError_tPvRmT2_T3_mT4_T5_T6_T7_T8_P12ihipStream_tbENKUlT_T0_E_clISt17integral_constantIbLb1EESZ_EEDaSU_SV_EUlSU_E_NS1_11comp_targetILNS1_3genE3ELNS1_11target_archE908ELNS1_3gpuE7ELNS1_3repE0EEENS1_30default_config_static_selectorELNS0_4arch9wavefront6targetE1EEEvT1_: ; @_ZN7rocprim17ROCPRIM_400000_NS6detail17trampoline_kernelINS0_14default_configENS1_33run_length_encode_config_selectorItjNS0_4plusIjEEEEZZNS1_33reduce_by_key_impl_wrapped_configILNS1_25lookback_scan_determinismE0ES3_S7_PKtNS0_17constant_iteratorIjlEEPtPlSF_S6_NS0_8equal_toItEEEE10hipError_tPvRmT2_T3_mT4_T5_T6_T7_T8_P12ihipStream_tbENKUlT_T0_E_clISt17integral_constantIbLb1EESZ_EEDaSU_SV_EUlSU_E_NS1_11comp_targetILNS1_3genE3ELNS1_11target_archE908ELNS1_3gpuE7ELNS1_3repE0EEENS1_30default_config_static_selectorELNS0_4arch9wavefront6targetE1EEEvT1_
; %bb.0:
	.section	.rodata,"a",@progbits
	.p2align	6, 0x0
	.amdhsa_kernel _ZN7rocprim17ROCPRIM_400000_NS6detail17trampoline_kernelINS0_14default_configENS1_33run_length_encode_config_selectorItjNS0_4plusIjEEEEZZNS1_33reduce_by_key_impl_wrapped_configILNS1_25lookback_scan_determinismE0ES3_S7_PKtNS0_17constant_iteratorIjlEEPtPlSF_S6_NS0_8equal_toItEEEE10hipError_tPvRmT2_T3_mT4_T5_T6_T7_T8_P12ihipStream_tbENKUlT_T0_E_clISt17integral_constantIbLb1EESZ_EEDaSU_SV_EUlSU_E_NS1_11comp_targetILNS1_3genE3ELNS1_11target_archE908ELNS1_3gpuE7ELNS1_3repE0EEENS1_30default_config_static_selectorELNS0_4arch9wavefront6targetE1EEEvT1_
		.amdhsa_group_segment_fixed_size 0
		.amdhsa_private_segment_fixed_size 0
		.amdhsa_kernarg_size 128
		.amdhsa_user_sgpr_count 2
		.amdhsa_user_sgpr_dispatch_ptr 0
		.amdhsa_user_sgpr_queue_ptr 0
		.amdhsa_user_sgpr_kernarg_segment_ptr 1
		.amdhsa_user_sgpr_dispatch_id 0
		.amdhsa_user_sgpr_kernarg_preload_length 0
		.amdhsa_user_sgpr_kernarg_preload_offset 0
		.amdhsa_user_sgpr_private_segment_size 0
		.amdhsa_uses_dynamic_stack 0
		.amdhsa_enable_private_segment 0
		.amdhsa_system_sgpr_workgroup_id_x 1
		.amdhsa_system_sgpr_workgroup_id_y 0
		.amdhsa_system_sgpr_workgroup_id_z 0
		.amdhsa_system_sgpr_workgroup_info 0
		.amdhsa_system_vgpr_workitem_id 0
		.amdhsa_next_free_vgpr 1
		.amdhsa_next_free_sgpr 0
		.amdhsa_accum_offset 4
		.amdhsa_reserve_vcc 0
		.amdhsa_float_round_mode_32 0
		.amdhsa_float_round_mode_16_64 0
		.amdhsa_float_denorm_mode_32 3
		.amdhsa_float_denorm_mode_16_64 3
		.amdhsa_dx10_clamp 1
		.amdhsa_ieee_mode 1
		.amdhsa_fp16_overflow 0
		.amdhsa_tg_split 0
		.amdhsa_exception_fp_ieee_invalid_op 0
		.amdhsa_exception_fp_denorm_src 0
		.amdhsa_exception_fp_ieee_div_zero 0
		.amdhsa_exception_fp_ieee_overflow 0
		.amdhsa_exception_fp_ieee_underflow 0
		.amdhsa_exception_fp_ieee_inexact 0
		.amdhsa_exception_int_div_zero 0
	.end_amdhsa_kernel
	.section	.text._ZN7rocprim17ROCPRIM_400000_NS6detail17trampoline_kernelINS0_14default_configENS1_33run_length_encode_config_selectorItjNS0_4plusIjEEEEZZNS1_33reduce_by_key_impl_wrapped_configILNS1_25lookback_scan_determinismE0ES3_S7_PKtNS0_17constant_iteratorIjlEEPtPlSF_S6_NS0_8equal_toItEEEE10hipError_tPvRmT2_T3_mT4_T5_T6_T7_T8_P12ihipStream_tbENKUlT_T0_E_clISt17integral_constantIbLb1EESZ_EEDaSU_SV_EUlSU_E_NS1_11comp_targetILNS1_3genE3ELNS1_11target_archE908ELNS1_3gpuE7ELNS1_3repE0EEENS1_30default_config_static_selectorELNS0_4arch9wavefront6targetE1EEEvT1_,"axG",@progbits,_ZN7rocprim17ROCPRIM_400000_NS6detail17trampoline_kernelINS0_14default_configENS1_33run_length_encode_config_selectorItjNS0_4plusIjEEEEZZNS1_33reduce_by_key_impl_wrapped_configILNS1_25lookback_scan_determinismE0ES3_S7_PKtNS0_17constant_iteratorIjlEEPtPlSF_S6_NS0_8equal_toItEEEE10hipError_tPvRmT2_T3_mT4_T5_T6_T7_T8_P12ihipStream_tbENKUlT_T0_E_clISt17integral_constantIbLb1EESZ_EEDaSU_SV_EUlSU_E_NS1_11comp_targetILNS1_3genE3ELNS1_11target_archE908ELNS1_3gpuE7ELNS1_3repE0EEENS1_30default_config_static_selectorELNS0_4arch9wavefront6targetE1EEEvT1_,comdat
.Lfunc_end799:
	.size	_ZN7rocprim17ROCPRIM_400000_NS6detail17trampoline_kernelINS0_14default_configENS1_33run_length_encode_config_selectorItjNS0_4plusIjEEEEZZNS1_33reduce_by_key_impl_wrapped_configILNS1_25lookback_scan_determinismE0ES3_S7_PKtNS0_17constant_iteratorIjlEEPtPlSF_S6_NS0_8equal_toItEEEE10hipError_tPvRmT2_T3_mT4_T5_T6_T7_T8_P12ihipStream_tbENKUlT_T0_E_clISt17integral_constantIbLb1EESZ_EEDaSU_SV_EUlSU_E_NS1_11comp_targetILNS1_3genE3ELNS1_11target_archE908ELNS1_3gpuE7ELNS1_3repE0EEENS1_30default_config_static_selectorELNS0_4arch9wavefront6targetE1EEEvT1_, .Lfunc_end799-_ZN7rocprim17ROCPRIM_400000_NS6detail17trampoline_kernelINS0_14default_configENS1_33run_length_encode_config_selectorItjNS0_4plusIjEEEEZZNS1_33reduce_by_key_impl_wrapped_configILNS1_25lookback_scan_determinismE0ES3_S7_PKtNS0_17constant_iteratorIjlEEPtPlSF_S6_NS0_8equal_toItEEEE10hipError_tPvRmT2_T3_mT4_T5_T6_T7_T8_P12ihipStream_tbENKUlT_T0_E_clISt17integral_constantIbLb1EESZ_EEDaSU_SV_EUlSU_E_NS1_11comp_targetILNS1_3genE3ELNS1_11target_archE908ELNS1_3gpuE7ELNS1_3repE0EEENS1_30default_config_static_selectorELNS0_4arch9wavefront6targetE1EEEvT1_
                                        ; -- End function
	.section	.AMDGPU.csdata,"",@progbits
; Kernel info:
; codeLenInByte = 0
; NumSgprs: 6
; NumVgprs: 0
; NumAgprs: 0
; TotalNumVgprs: 0
; ScratchSize: 0
; MemoryBound: 0
; FloatMode: 240
; IeeeMode: 1
; LDSByteSize: 0 bytes/workgroup (compile time only)
; SGPRBlocks: 0
; VGPRBlocks: 0
; NumSGPRsForWavesPerEU: 6
; NumVGPRsForWavesPerEU: 1
; AccumOffset: 4
; Occupancy: 8
; WaveLimiterHint : 0
; COMPUTE_PGM_RSRC2:SCRATCH_EN: 0
; COMPUTE_PGM_RSRC2:USER_SGPR: 2
; COMPUTE_PGM_RSRC2:TRAP_HANDLER: 0
; COMPUTE_PGM_RSRC2:TGID_X_EN: 1
; COMPUTE_PGM_RSRC2:TGID_Y_EN: 0
; COMPUTE_PGM_RSRC2:TGID_Z_EN: 0
; COMPUTE_PGM_RSRC2:TIDIG_COMP_CNT: 0
; COMPUTE_PGM_RSRC3_GFX90A:ACCUM_OFFSET: 0
; COMPUTE_PGM_RSRC3_GFX90A:TG_SPLIT: 0
	.section	.text._ZN7rocprim17ROCPRIM_400000_NS6detail17trampoline_kernelINS0_14default_configENS1_33run_length_encode_config_selectorItjNS0_4plusIjEEEEZZNS1_33reduce_by_key_impl_wrapped_configILNS1_25lookback_scan_determinismE0ES3_S7_PKtNS0_17constant_iteratorIjlEEPtPlSF_S6_NS0_8equal_toItEEEE10hipError_tPvRmT2_T3_mT4_T5_T6_T7_T8_P12ihipStream_tbENKUlT_T0_E_clISt17integral_constantIbLb1EESZ_EEDaSU_SV_EUlSU_E_NS1_11comp_targetILNS1_3genE2ELNS1_11target_archE906ELNS1_3gpuE6ELNS1_3repE0EEENS1_30default_config_static_selectorELNS0_4arch9wavefront6targetE1EEEvT1_,"axG",@progbits,_ZN7rocprim17ROCPRIM_400000_NS6detail17trampoline_kernelINS0_14default_configENS1_33run_length_encode_config_selectorItjNS0_4plusIjEEEEZZNS1_33reduce_by_key_impl_wrapped_configILNS1_25lookback_scan_determinismE0ES3_S7_PKtNS0_17constant_iteratorIjlEEPtPlSF_S6_NS0_8equal_toItEEEE10hipError_tPvRmT2_T3_mT4_T5_T6_T7_T8_P12ihipStream_tbENKUlT_T0_E_clISt17integral_constantIbLb1EESZ_EEDaSU_SV_EUlSU_E_NS1_11comp_targetILNS1_3genE2ELNS1_11target_archE906ELNS1_3gpuE6ELNS1_3repE0EEENS1_30default_config_static_selectorELNS0_4arch9wavefront6targetE1EEEvT1_,comdat
	.protected	_ZN7rocprim17ROCPRIM_400000_NS6detail17trampoline_kernelINS0_14default_configENS1_33run_length_encode_config_selectorItjNS0_4plusIjEEEEZZNS1_33reduce_by_key_impl_wrapped_configILNS1_25lookback_scan_determinismE0ES3_S7_PKtNS0_17constant_iteratorIjlEEPtPlSF_S6_NS0_8equal_toItEEEE10hipError_tPvRmT2_T3_mT4_T5_T6_T7_T8_P12ihipStream_tbENKUlT_T0_E_clISt17integral_constantIbLb1EESZ_EEDaSU_SV_EUlSU_E_NS1_11comp_targetILNS1_3genE2ELNS1_11target_archE906ELNS1_3gpuE6ELNS1_3repE0EEENS1_30default_config_static_selectorELNS0_4arch9wavefront6targetE1EEEvT1_ ; -- Begin function _ZN7rocprim17ROCPRIM_400000_NS6detail17trampoline_kernelINS0_14default_configENS1_33run_length_encode_config_selectorItjNS0_4plusIjEEEEZZNS1_33reduce_by_key_impl_wrapped_configILNS1_25lookback_scan_determinismE0ES3_S7_PKtNS0_17constant_iteratorIjlEEPtPlSF_S6_NS0_8equal_toItEEEE10hipError_tPvRmT2_T3_mT4_T5_T6_T7_T8_P12ihipStream_tbENKUlT_T0_E_clISt17integral_constantIbLb1EESZ_EEDaSU_SV_EUlSU_E_NS1_11comp_targetILNS1_3genE2ELNS1_11target_archE906ELNS1_3gpuE6ELNS1_3repE0EEENS1_30default_config_static_selectorELNS0_4arch9wavefront6targetE1EEEvT1_
	.globl	_ZN7rocprim17ROCPRIM_400000_NS6detail17trampoline_kernelINS0_14default_configENS1_33run_length_encode_config_selectorItjNS0_4plusIjEEEEZZNS1_33reduce_by_key_impl_wrapped_configILNS1_25lookback_scan_determinismE0ES3_S7_PKtNS0_17constant_iteratorIjlEEPtPlSF_S6_NS0_8equal_toItEEEE10hipError_tPvRmT2_T3_mT4_T5_T6_T7_T8_P12ihipStream_tbENKUlT_T0_E_clISt17integral_constantIbLb1EESZ_EEDaSU_SV_EUlSU_E_NS1_11comp_targetILNS1_3genE2ELNS1_11target_archE906ELNS1_3gpuE6ELNS1_3repE0EEENS1_30default_config_static_selectorELNS0_4arch9wavefront6targetE1EEEvT1_
	.p2align	8
	.type	_ZN7rocprim17ROCPRIM_400000_NS6detail17trampoline_kernelINS0_14default_configENS1_33run_length_encode_config_selectorItjNS0_4plusIjEEEEZZNS1_33reduce_by_key_impl_wrapped_configILNS1_25lookback_scan_determinismE0ES3_S7_PKtNS0_17constant_iteratorIjlEEPtPlSF_S6_NS0_8equal_toItEEEE10hipError_tPvRmT2_T3_mT4_T5_T6_T7_T8_P12ihipStream_tbENKUlT_T0_E_clISt17integral_constantIbLb1EESZ_EEDaSU_SV_EUlSU_E_NS1_11comp_targetILNS1_3genE2ELNS1_11target_archE906ELNS1_3gpuE6ELNS1_3repE0EEENS1_30default_config_static_selectorELNS0_4arch9wavefront6targetE1EEEvT1_,@function
_ZN7rocprim17ROCPRIM_400000_NS6detail17trampoline_kernelINS0_14default_configENS1_33run_length_encode_config_selectorItjNS0_4plusIjEEEEZZNS1_33reduce_by_key_impl_wrapped_configILNS1_25lookback_scan_determinismE0ES3_S7_PKtNS0_17constant_iteratorIjlEEPtPlSF_S6_NS0_8equal_toItEEEE10hipError_tPvRmT2_T3_mT4_T5_T6_T7_T8_P12ihipStream_tbENKUlT_T0_E_clISt17integral_constantIbLb1EESZ_EEDaSU_SV_EUlSU_E_NS1_11comp_targetILNS1_3genE2ELNS1_11target_archE906ELNS1_3gpuE6ELNS1_3repE0EEENS1_30default_config_static_selectorELNS0_4arch9wavefront6targetE1EEEvT1_: ; @_ZN7rocprim17ROCPRIM_400000_NS6detail17trampoline_kernelINS0_14default_configENS1_33run_length_encode_config_selectorItjNS0_4plusIjEEEEZZNS1_33reduce_by_key_impl_wrapped_configILNS1_25lookback_scan_determinismE0ES3_S7_PKtNS0_17constant_iteratorIjlEEPtPlSF_S6_NS0_8equal_toItEEEE10hipError_tPvRmT2_T3_mT4_T5_T6_T7_T8_P12ihipStream_tbENKUlT_T0_E_clISt17integral_constantIbLb1EESZ_EEDaSU_SV_EUlSU_E_NS1_11comp_targetILNS1_3genE2ELNS1_11target_archE906ELNS1_3gpuE6ELNS1_3repE0EEENS1_30default_config_static_selectorELNS0_4arch9wavefront6targetE1EEEvT1_
; %bb.0:
	.section	.rodata,"a",@progbits
	.p2align	6, 0x0
	.amdhsa_kernel _ZN7rocprim17ROCPRIM_400000_NS6detail17trampoline_kernelINS0_14default_configENS1_33run_length_encode_config_selectorItjNS0_4plusIjEEEEZZNS1_33reduce_by_key_impl_wrapped_configILNS1_25lookback_scan_determinismE0ES3_S7_PKtNS0_17constant_iteratorIjlEEPtPlSF_S6_NS0_8equal_toItEEEE10hipError_tPvRmT2_T3_mT4_T5_T6_T7_T8_P12ihipStream_tbENKUlT_T0_E_clISt17integral_constantIbLb1EESZ_EEDaSU_SV_EUlSU_E_NS1_11comp_targetILNS1_3genE2ELNS1_11target_archE906ELNS1_3gpuE6ELNS1_3repE0EEENS1_30default_config_static_selectorELNS0_4arch9wavefront6targetE1EEEvT1_
		.amdhsa_group_segment_fixed_size 0
		.amdhsa_private_segment_fixed_size 0
		.amdhsa_kernarg_size 128
		.amdhsa_user_sgpr_count 2
		.amdhsa_user_sgpr_dispatch_ptr 0
		.amdhsa_user_sgpr_queue_ptr 0
		.amdhsa_user_sgpr_kernarg_segment_ptr 1
		.amdhsa_user_sgpr_dispatch_id 0
		.amdhsa_user_sgpr_kernarg_preload_length 0
		.amdhsa_user_sgpr_kernarg_preload_offset 0
		.amdhsa_user_sgpr_private_segment_size 0
		.amdhsa_uses_dynamic_stack 0
		.amdhsa_enable_private_segment 0
		.amdhsa_system_sgpr_workgroup_id_x 1
		.amdhsa_system_sgpr_workgroup_id_y 0
		.amdhsa_system_sgpr_workgroup_id_z 0
		.amdhsa_system_sgpr_workgroup_info 0
		.amdhsa_system_vgpr_workitem_id 0
		.amdhsa_next_free_vgpr 1
		.amdhsa_next_free_sgpr 0
		.amdhsa_accum_offset 4
		.amdhsa_reserve_vcc 0
		.amdhsa_float_round_mode_32 0
		.amdhsa_float_round_mode_16_64 0
		.amdhsa_float_denorm_mode_32 3
		.amdhsa_float_denorm_mode_16_64 3
		.amdhsa_dx10_clamp 1
		.amdhsa_ieee_mode 1
		.amdhsa_fp16_overflow 0
		.amdhsa_tg_split 0
		.amdhsa_exception_fp_ieee_invalid_op 0
		.amdhsa_exception_fp_denorm_src 0
		.amdhsa_exception_fp_ieee_div_zero 0
		.amdhsa_exception_fp_ieee_overflow 0
		.amdhsa_exception_fp_ieee_underflow 0
		.amdhsa_exception_fp_ieee_inexact 0
		.amdhsa_exception_int_div_zero 0
	.end_amdhsa_kernel
	.section	.text._ZN7rocprim17ROCPRIM_400000_NS6detail17trampoline_kernelINS0_14default_configENS1_33run_length_encode_config_selectorItjNS0_4plusIjEEEEZZNS1_33reduce_by_key_impl_wrapped_configILNS1_25lookback_scan_determinismE0ES3_S7_PKtNS0_17constant_iteratorIjlEEPtPlSF_S6_NS0_8equal_toItEEEE10hipError_tPvRmT2_T3_mT4_T5_T6_T7_T8_P12ihipStream_tbENKUlT_T0_E_clISt17integral_constantIbLb1EESZ_EEDaSU_SV_EUlSU_E_NS1_11comp_targetILNS1_3genE2ELNS1_11target_archE906ELNS1_3gpuE6ELNS1_3repE0EEENS1_30default_config_static_selectorELNS0_4arch9wavefront6targetE1EEEvT1_,"axG",@progbits,_ZN7rocprim17ROCPRIM_400000_NS6detail17trampoline_kernelINS0_14default_configENS1_33run_length_encode_config_selectorItjNS0_4plusIjEEEEZZNS1_33reduce_by_key_impl_wrapped_configILNS1_25lookback_scan_determinismE0ES3_S7_PKtNS0_17constant_iteratorIjlEEPtPlSF_S6_NS0_8equal_toItEEEE10hipError_tPvRmT2_T3_mT4_T5_T6_T7_T8_P12ihipStream_tbENKUlT_T0_E_clISt17integral_constantIbLb1EESZ_EEDaSU_SV_EUlSU_E_NS1_11comp_targetILNS1_3genE2ELNS1_11target_archE906ELNS1_3gpuE6ELNS1_3repE0EEENS1_30default_config_static_selectorELNS0_4arch9wavefront6targetE1EEEvT1_,comdat
.Lfunc_end800:
	.size	_ZN7rocprim17ROCPRIM_400000_NS6detail17trampoline_kernelINS0_14default_configENS1_33run_length_encode_config_selectorItjNS0_4plusIjEEEEZZNS1_33reduce_by_key_impl_wrapped_configILNS1_25lookback_scan_determinismE0ES3_S7_PKtNS0_17constant_iteratorIjlEEPtPlSF_S6_NS0_8equal_toItEEEE10hipError_tPvRmT2_T3_mT4_T5_T6_T7_T8_P12ihipStream_tbENKUlT_T0_E_clISt17integral_constantIbLb1EESZ_EEDaSU_SV_EUlSU_E_NS1_11comp_targetILNS1_3genE2ELNS1_11target_archE906ELNS1_3gpuE6ELNS1_3repE0EEENS1_30default_config_static_selectorELNS0_4arch9wavefront6targetE1EEEvT1_, .Lfunc_end800-_ZN7rocprim17ROCPRIM_400000_NS6detail17trampoline_kernelINS0_14default_configENS1_33run_length_encode_config_selectorItjNS0_4plusIjEEEEZZNS1_33reduce_by_key_impl_wrapped_configILNS1_25lookback_scan_determinismE0ES3_S7_PKtNS0_17constant_iteratorIjlEEPtPlSF_S6_NS0_8equal_toItEEEE10hipError_tPvRmT2_T3_mT4_T5_T6_T7_T8_P12ihipStream_tbENKUlT_T0_E_clISt17integral_constantIbLb1EESZ_EEDaSU_SV_EUlSU_E_NS1_11comp_targetILNS1_3genE2ELNS1_11target_archE906ELNS1_3gpuE6ELNS1_3repE0EEENS1_30default_config_static_selectorELNS0_4arch9wavefront6targetE1EEEvT1_
                                        ; -- End function
	.section	.AMDGPU.csdata,"",@progbits
; Kernel info:
; codeLenInByte = 0
; NumSgprs: 6
; NumVgprs: 0
; NumAgprs: 0
; TotalNumVgprs: 0
; ScratchSize: 0
; MemoryBound: 0
; FloatMode: 240
; IeeeMode: 1
; LDSByteSize: 0 bytes/workgroup (compile time only)
; SGPRBlocks: 0
; VGPRBlocks: 0
; NumSGPRsForWavesPerEU: 6
; NumVGPRsForWavesPerEU: 1
; AccumOffset: 4
; Occupancy: 8
; WaveLimiterHint : 0
; COMPUTE_PGM_RSRC2:SCRATCH_EN: 0
; COMPUTE_PGM_RSRC2:USER_SGPR: 2
; COMPUTE_PGM_RSRC2:TRAP_HANDLER: 0
; COMPUTE_PGM_RSRC2:TGID_X_EN: 1
; COMPUTE_PGM_RSRC2:TGID_Y_EN: 0
; COMPUTE_PGM_RSRC2:TGID_Z_EN: 0
; COMPUTE_PGM_RSRC2:TIDIG_COMP_CNT: 0
; COMPUTE_PGM_RSRC3_GFX90A:ACCUM_OFFSET: 0
; COMPUTE_PGM_RSRC3_GFX90A:TG_SPLIT: 0
	.section	.text._ZN7rocprim17ROCPRIM_400000_NS6detail17trampoline_kernelINS0_14default_configENS1_33run_length_encode_config_selectorItjNS0_4plusIjEEEEZZNS1_33reduce_by_key_impl_wrapped_configILNS1_25lookback_scan_determinismE0ES3_S7_PKtNS0_17constant_iteratorIjlEEPtPlSF_S6_NS0_8equal_toItEEEE10hipError_tPvRmT2_T3_mT4_T5_T6_T7_T8_P12ihipStream_tbENKUlT_T0_E_clISt17integral_constantIbLb1EESZ_EEDaSU_SV_EUlSU_E_NS1_11comp_targetILNS1_3genE10ELNS1_11target_archE1201ELNS1_3gpuE5ELNS1_3repE0EEENS1_30default_config_static_selectorELNS0_4arch9wavefront6targetE1EEEvT1_,"axG",@progbits,_ZN7rocprim17ROCPRIM_400000_NS6detail17trampoline_kernelINS0_14default_configENS1_33run_length_encode_config_selectorItjNS0_4plusIjEEEEZZNS1_33reduce_by_key_impl_wrapped_configILNS1_25lookback_scan_determinismE0ES3_S7_PKtNS0_17constant_iteratorIjlEEPtPlSF_S6_NS0_8equal_toItEEEE10hipError_tPvRmT2_T3_mT4_T5_T6_T7_T8_P12ihipStream_tbENKUlT_T0_E_clISt17integral_constantIbLb1EESZ_EEDaSU_SV_EUlSU_E_NS1_11comp_targetILNS1_3genE10ELNS1_11target_archE1201ELNS1_3gpuE5ELNS1_3repE0EEENS1_30default_config_static_selectorELNS0_4arch9wavefront6targetE1EEEvT1_,comdat
	.protected	_ZN7rocprim17ROCPRIM_400000_NS6detail17trampoline_kernelINS0_14default_configENS1_33run_length_encode_config_selectorItjNS0_4plusIjEEEEZZNS1_33reduce_by_key_impl_wrapped_configILNS1_25lookback_scan_determinismE0ES3_S7_PKtNS0_17constant_iteratorIjlEEPtPlSF_S6_NS0_8equal_toItEEEE10hipError_tPvRmT2_T3_mT4_T5_T6_T7_T8_P12ihipStream_tbENKUlT_T0_E_clISt17integral_constantIbLb1EESZ_EEDaSU_SV_EUlSU_E_NS1_11comp_targetILNS1_3genE10ELNS1_11target_archE1201ELNS1_3gpuE5ELNS1_3repE0EEENS1_30default_config_static_selectorELNS0_4arch9wavefront6targetE1EEEvT1_ ; -- Begin function _ZN7rocprim17ROCPRIM_400000_NS6detail17trampoline_kernelINS0_14default_configENS1_33run_length_encode_config_selectorItjNS0_4plusIjEEEEZZNS1_33reduce_by_key_impl_wrapped_configILNS1_25lookback_scan_determinismE0ES3_S7_PKtNS0_17constant_iteratorIjlEEPtPlSF_S6_NS0_8equal_toItEEEE10hipError_tPvRmT2_T3_mT4_T5_T6_T7_T8_P12ihipStream_tbENKUlT_T0_E_clISt17integral_constantIbLb1EESZ_EEDaSU_SV_EUlSU_E_NS1_11comp_targetILNS1_3genE10ELNS1_11target_archE1201ELNS1_3gpuE5ELNS1_3repE0EEENS1_30default_config_static_selectorELNS0_4arch9wavefront6targetE1EEEvT1_
	.globl	_ZN7rocprim17ROCPRIM_400000_NS6detail17trampoline_kernelINS0_14default_configENS1_33run_length_encode_config_selectorItjNS0_4plusIjEEEEZZNS1_33reduce_by_key_impl_wrapped_configILNS1_25lookback_scan_determinismE0ES3_S7_PKtNS0_17constant_iteratorIjlEEPtPlSF_S6_NS0_8equal_toItEEEE10hipError_tPvRmT2_T3_mT4_T5_T6_T7_T8_P12ihipStream_tbENKUlT_T0_E_clISt17integral_constantIbLb1EESZ_EEDaSU_SV_EUlSU_E_NS1_11comp_targetILNS1_3genE10ELNS1_11target_archE1201ELNS1_3gpuE5ELNS1_3repE0EEENS1_30default_config_static_selectorELNS0_4arch9wavefront6targetE1EEEvT1_
	.p2align	8
	.type	_ZN7rocprim17ROCPRIM_400000_NS6detail17trampoline_kernelINS0_14default_configENS1_33run_length_encode_config_selectorItjNS0_4plusIjEEEEZZNS1_33reduce_by_key_impl_wrapped_configILNS1_25lookback_scan_determinismE0ES3_S7_PKtNS0_17constant_iteratorIjlEEPtPlSF_S6_NS0_8equal_toItEEEE10hipError_tPvRmT2_T3_mT4_T5_T6_T7_T8_P12ihipStream_tbENKUlT_T0_E_clISt17integral_constantIbLb1EESZ_EEDaSU_SV_EUlSU_E_NS1_11comp_targetILNS1_3genE10ELNS1_11target_archE1201ELNS1_3gpuE5ELNS1_3repE0EEENS1_30default_config_static_selectorELNS0_4arch9wavefront6targetE1EEEvT1_,@function
_ZN7rocprim17ROCPRIM_400000_NS6detail17trampoline_kernelINS0_14default_configENS1_33run_length_encode_config_selectorItjNS0_4plusIjEEEEZZNS1_33reduce_by_key_impl_wrapped_configILNS1_25lookback_scan_determinismE0ES3_S7_PKtNS0_17constant_iteratorIjlEEPtPlSF_S6_NS0_8equal_toItEEEE10hipError_tPvRmT2_T3_mT4_T5_T6_T7_T8_P12ihipStream_tbENKUlT_T0_E_clISt17integral_constantIbLb1EESZ_EEDaSU_SV_EUlSU_E_NS1_11comp_targetILNS1_3genE10ELNS1_11target_archE1201ELNS1_3gpuE5ELNS1_3repE0EEENS1_30default_config_static_selectorELNS0_4arch9wavefront6targetE1EEEvT1_: ; @_ZN7rocprim17ROCPRIM_400000_NS6detail17trampoline_kernelINS0_14default_configENS1_33run_length_encode_config_selectorItjNS0_4plusIjEEEEZZNS1_33reduce_by_key_impl_wrapped_configILNS1_25lookback_scan_determinismE0ES3_S7_PKtNS0_17constant_iteratorIjlEEPtPlSF_S6_NS0_8equal_toItEEEE10hipError_tPvRmT2_T3_mT4_T5_T6_T7_T8_P12ihipStream_tbENKUlT_T0_E_clISt17integral_constantIbLb1EESZ_EEDaSU_SV_EUlSU_E_NS1_11comp_targetILNS1_3genE10ELNS1_11target_archE1201ELNS1_3gpuE5ELNS1_3repE0EEENS1_30default_config_static_selectorELNS0_4arch9wavefront6targetE1EEEvT1_
; %bb.0:
	.section	.rodata,"a",@progbits
	.p2align	6, 0x0
	.amdhsa_kernel _ZN7rocprim17ROCPRIM_400000_NS6detail17trampoline_kernelINS0_14default_configENS1_33run_length_encode_config_selectorItjNS0_4plusIjEEEEZZNS1_33reduce_by_key_impl_wrapped_configILNS1_25lookback_scan_determinismE0ES3_S7_PKtNS0_17constant_iteratorIjlEEPtPlSF_S6_NS0_8equal_toItEEEE10hipError_tPvRmT2_T3_mT4_T5_T6_T7_T8_P12ihipStream_tbENKUlT_T0_E_clISt17integral_constantIbLb1EESZ_EEDaSU_SV_EUlSU_E_NS1_11comp_targetILNS1_3genE10ELNS1_11target_archE1201ELNS1_3gpuE5ELNS1_3repE0EEENS1_30default_config_static_selectorELNS0_4arch9wavefront6targetE1EEEvT1_
		.amdhsa_group_segment_fixed_size 0
		.amdhsa_private_segment_fixed_size 0
		.amdhsa_kernarg_size 128
		.amdhsa_user_sgpr_count 2
		.amdhsa_user_sgpr_dispatch_ptr 0
		.amdhsa_user_sgpr_queue_ptr 0
		.amdhsa_user_sgpr_kernarg_segment_ptr 1
		.amdhsa_user_sgpr_dispatch_id 0
		.amdhsa_user_sgpr_kernarg_preload_length 0
		.amdhsa_user_sgpr_kernarg_preload_offset 0
		.amdhsa_user_sgpr_private_segment_size 0
		.amdhsa_uses_dynamic_stack 0
		.amdhsa_enable_private_segment 0
		.amdhsa_system_sgpr_workgroup_id_x 1
		.amdhsa_system_sgpr_workgroup_id_y 0
		.amdhsa_system_sgpr_workgroup_id_z 0
		.amdhsa_system_sgpr_workgroup_info 0
		.amdhsa_system_vgpr_workitem_id 0
		.amdhsa_next_free_vgpr 1
		.amdhsa_next_free_sgpr 0
		.amdhsa_accum_offset 4
		.amdhsa_reserve_vcc 0
		.amdhsa_float_round_mode_32 0
		.amdhsa_float_round_mode_16_64 0
		.amdhsa_float_denorm_mode_32 3
		.amdhsa_float_denorm_mode_16_64 3
		.amdhsa_dx10_clamp 1
		.amdhsa_ieee_mode 1
		.amdhsa_fp16_overflow 0
		.amdhsa_tg_split 0
		.amdhsa_exception_fp_ieee_invalid_op 0
		.amdhsa_exception_fp_denorm_src 0
		.amdhsa_exception_fp_ieee_div_zero 0
		.amdhsa_exception_fp_ieee_overflow 0
		.amdhsa_exception_fp_ieee_underflow 0
		.amdhsa_exception_fp_ieee_inexact 0
		.amdhsa_exception_int_div_zero 0
	.end_amdhsa_kernel
	.section	.text._ZN7rocprim17ROCPRIM_400000_NS6detail17trampoline_kernelINS0_14default_configENS1_33run_length_encode_config_selectorItjNS0_4plusIjEEEEZZNS1_33reduce_by_key_impl_wrapped_configILNS1_25lookback_scan_determinismE0ES3_S7_PKtNS0_17constant_iteratorIjlEEPtPlSF_S6_NS0_8equal_toItEEEE10hipError_tPvRmT2_T3_mT4_T5_T6_T7_T8_P12ihipStream_tbENKUlT_T0_E_clISt17integral_constantIbLb1EESZ_EEDaSU_SV_EUlSU_E_NS1_11comp_targetILNS1_3genE10ELNS1_11target_archE1201ELNS1_3gpuE5ELNS1_3repE0EEENS1_30default_config_static_selectorELNS0_4arch9wavefront6targetE1EEEvT1_,"axG",@progbits,_ZN7rocprim17ROCPRIM_400000_NS6detail17trampoline_kernelINS0_14default_configENS1_33run_length_encode_config_selectorItjNS0_4plusIjEEEEZZNS1_33reduce_by_key_impl_wrapped_configILNS1_25lookback_scan_determinismE0ES3_S7_PKtNS0_17constant_iteratorIjlEEPtPlSF_S6_NS0_8equal_toItEEEE10hipError_tPvRmT2_T3_mT4_T5_T6_T7_T8_P12ihipStream_tbENKUlT_T0_E_clISt17integral_constantIbLb1EESZ_EEDaSU_SV_EUlSU_E_NS1_11comp_targetILNS1_3genE10ELNS1_11target_archE1201ELNS1_3gpuE5ELNS1_3repE0EEENS1_30default_config_static_selectorELNS0_4arch9wavefront6targetE1EEEvT1_,comdat
.Lfunc_end801:
	.size	_ZN7rocprim17ROCPRIM_400000_NS6detail17trampoline_kernelINS0_14default_configENS1_33run_length_encode_config_selectorItjNS0_4plusIjEEEEZZNS1_33reduce_by_key_impl_wrapped_configILNS1_25lookback_scan_determinismE0ES3_S7_PKtNS0_17constant_iteratorIjlEEPtPlSF_S6_NS0_8equal_toItEEEE10hipError_tPvRmT2_T3_mT4_T5_T6_T7_T8_P12ihipStream_tbENKUlT_T0_E_clISt17integral_constantIbLb1EESZ_EEDaSU_SV_EUlSU_E_NS1_11comp_targetILNS1_3genE10ELNS1_11target_archE1201ELNS1_3gpuE5ELNS1_3repE0EEENS1_30default_config_static_selectorELNS0_4arch9wavefront6targetE1EEEvT1_, .Lfunc_end801-_ZN7rocprim17ROCPRIM_400000_NS6detail17trampoline_kernelINS0_14default_configENS1_33run_length_encode_config_selectorItjNS0_4plusIjEEEEZZNS1_33reduce_by_key_impl_wrapped_configILNS1_25lookback_scan_determinismE0ES3_S7_PKtNS0_17constant_iteratorIjlEEPtPlSF_S6_NS0_8equal_toItEEEE10hipError_tPvRmT2_T3_mT4_T5_T6_T7_T8_P12ihipStream_tbENKUlT_T0_E_clISt17integral_constantIbLb1EESZ_EEDaSU_SV_EUlSU_E_NS1_11comp_targetILNS1_3genE10ELNS1_11target_archE1201ELNS1_3gpuE5ELNS1_3repE0EEENS1_30default_config_static_selectorELNS0_4arch9wavefront6targetE1EEEvT1_
                                        ; -- End function
	.section	.AMDGPU.csdata,"",@progbits
; Kernel info:
; codeLenInByte = 0
; NumSgprs: 6
; NumVgprs: 0
; NumAgprs: 0
; TotalNumVgprs: 0
; ScratchSize: 0
; MemoryBound: 0
; FloatMode: 240
; IeeeMode: 1
; LDSByteSize: 0 bytes/workgroup (compile time only)
; SGPRBlocks: 0
; VGPRBlocks: 0
; NumSGPRsForWavesPerEU: 6
; NumVGPRsForWavesPerEU: 1
; AccumOffset: 4
; Occupancy: 8
; WaveLimiterHint : 0
; COMPUTE_PGM_RSRC2:SCRATCH_EN: 0
; COMPUTE_PGM_RSRC2:USER_SGPR: 2
; COMPUTE_PGM_RSRC2:TRAP_HANDLER: 0
; COMPUTE_PGM_RSRC2:TGID_X_EN: 1
; COMPUTE_PGM_RSRC2:TGID_Y_EN: 0
; COMPUTE_PGM_RSRC2:TGID_Z_EN: 0
; COMPUTE_PGM_RSRC2:TIDIG_COMP_CNT: 0
; COMPUTE_PGM_RSRC3_GFX90A:ACCUM_OFFSET: 0
; COMPUTE_PGM_RSRC3_GFX90A:TG_SPLIT: 0
	.section	.text._ZN7rocprim17ROCPRIM_400000_NS6detail17trampoline_kernelINS0_14default_configENS1_33run_length_encode_config_selectorItjNS0_4plusIjEEEEZZNS1_33reduce_by_key_impl_wrapped_configILNS1_25lookback_scan_determinismE0ES3_S7_PKtNS0_17constant_iteratorIjlEEPtPlSF_S6_NS0_8equal_toItEEEE10hipError_tPvRmT2_T3_mT4_T5_T6_T7_T8_P12ihipStream_tbENKUlT_T0_E_clISt17integral_constantIbLb1EESZ_EEDaSU_SV_EUlSU_E_NS1_11comp_targetILNS1_3genE10ELNS1_11target_archE1200ELNS1_3gpuE4ELNS1_3repE0EEENS1_30default_config_static_selectorELNS0_4arch9wavefront6targetE1EEEvT1_,"axG",@progbits,_ZN7rocprim17ROCPRIM_400000_NS6detail17trampoline_kernelINS0_14default_configENS1_33run_length_encode_config_selectorItjNS0_4plusIjEEEEZZNS1_33reduce_by_key_impl_wrapped_configILNS1_25lookback_scan_determinismE0ES3_S7_PKtNS0_17constant_iteratorIjlEEPtPlSF_S6_NS0_8equal_toItEEEE10hipError_tPvRmT2_T3_mT4_T5_T6_T7_T8_P12ihipStream_tbENKUlT_T0_E_clISt17integral_constantIbLb1EESZ_EEDaSU_SV_EUlSU_E_NS1_11comp_targetILNS1_3genE10ELNS1_11target_archE1200ELNS1_3gpuE4ELNS1_3repE0EEENS1_30default_config_static_selectorELNS0_4arch9wavefront6targetE1EEEvT1_,comdat
	.protected	_ZN7rocprim17ROCPRIM_400000_NS6detail17trampoline_kernelINS0_14default_configENS1_33run_length_encode_config_selectorItjNS0_4plusIjEEEEZZNS1_33reduce_by_key_impl_wrapped_configILNS1_25lookback_scan_determinismE0ES3_S7_PKtNS0_17constant_iteratorIjlEEPtPlSF_S6_NS0_8equal_toItEEEE10hipError_tPvRmT2_T3_mT4_T5_T6_T7_T8_P12ihipStream_tbENKUlT_T0_E_clISt17integral_constantIbLb1EESZ_EEDaSU_SV_EUlSU_E_NS1_11comp_targetILNS1_3genE10ELNS1_11target_archE1200ELNS1_3gpuE4ELNS1_3repE0EEENS1_30default_config_static_selectorELNS0_4arch9wavefront6targetE1EEEvT1_ ; -- Begin function _ZN7rocprim17ROCPRIM_400000_NS6detail17trampoline_kernelINS0_14default_configENS1_33run_length_encode_config_selectorItjNS0_4plusIjEEEEZZNS1_33reduce_by_key_impl_wrapped_configILNS1_25lookback_scan_determinismE0ES3_S7_PKtNS0_17constant_iteratorIjlEEPtPlSF_S6_NS0_8equal_toItEEEE10hipError_tPvRmT2_T3_mT4_T5_T6_T7_T8_P12ihipStream_tbENKUlT_T0_E_clISt17integral_constantIbLb1EESZ_EEDaSU_SV_EUlSU_E_NS1_11comp_targetILNS1_3genE10ELNS1_11target_archE1200ELNS1_3gpuE4ELNS1_3repE0EEENS1_30default_config_static_selectorELNS0_4arch9wavefront6targetE1EEEvT1_
	.globl	_ZN7rocprim17ROCPRIM_400000_NS6detail17trampoline_kernelINS0_14default_configENS1_33run_length_encode_config_selectorItjNS0_4plusIjEEEEZZNS1_33reduce_by_key_impl_wrapped_configILNS1_25lookback_scan_determinismE0ES3_S7_PKtNS0_17constant_iteratorIjlEEPtPlSF_S6_NS0_8equal_toItEEEE10hipError_tPvRmT2_T3_mT4_T5_T6_T7_T8_P12ihipStream_tbENKUlT_T0_E_clISt17integral_constantIbLb1EESZ_EEDaSU_SV_EUlSU_E_NS1_11comp_targetILNS1_3genE10ELNS1_11target_archE1200ELNS1_3gpuE4ELNS1_3repE0EEENS1_30default_config_static_selectorELNS0_4arch9wavefront6targetE1EEEvT1_
	.p2align	8
	.type	_ZN7rocprim17ROCPRIM_400000_NS6detail17trampoline_kernelINS0_14default_configENS1_33run_length_encode_config_selectorItjNS0_4plusIjEEEEZZNS1_33reduce_by_key_impl_wrapped_configILNS1_25lookback_scan_determinismE0ES3_S7_PKtNS0_17constant_iteratorIjlEEPtPlSF_S6_NS0_8equal_toItEEEE10hipError_tPvRmT2_T3_mT4_T5_T6_T7_T8_P12ihipStream_tbENKUlT_T0_E_clISt17integral_constantIbLb1EESZ_EEDaSU_SV_EUlSU_E_NS1_11comp_targetILNS1_3genE10ELNS1_11target_archE1200ELNS1_3gpuE4ELNS1_3repE0EEENS1_30default_config_static_selectorELNS0_4arch9wavefront6targetE1EEEvT1_,@function
_ZN7rocprim17ROCPRIM_400000_NS6detail17trampoline_kernelINS0_14default_configENS1_33run_length_encode_config_selectorItjNS0_4plusIjEEEEZZNS1_33reduce_by_key_impl_wrapped_configILNS1_25lookback_scan_determinismE0ES3_S7_PKtNS0_17constant_iteratorIjlEEPtPlSF_S6_NS0_8equal_toItEEEE10hipError_tPvRmT2_T3_mT4_T5_T6_T7_T8_P12ihipStream_tbENKUlT_T0_E_clISt17integral_constantIbLb1EESZ_EEDaSU_SV_EUlSU_E_NS1_11comp_targetILNS1_3genE10ELNS1_11target_archE1200ELNS1_3gpuE4ELNS1_3repE0EEENS1_30default_config_static_selectorELNS0_4arch9wavefront6targetE1EEEvT1_: ; @_ZN7rocprim17ROCPRIM_400000_NS6detail17trampoline_kernelINS0_14default_configENS1_33run_length_encode_config_selectorItjNS0_4plusIjEEEEZZNS1_33reduce_by_key_impl_wrapped_configILNS1_25lookback_scan_determinismE0ES3_S7_PKtNS0_17constant_iteratorIjlEEPtPlSF_S6_NS0_8equal_toItEEEE10hipError_tPvRmT2_T3_mT4_T5_T6_T7_T8_P12ihipStream_tbENKUlT_T0_E_clISt17integral_constantIbLb1EESZ_EEDaSU_SV_EUlSU_E_NS1_11comp_targetILNS1_3genE10ELNS1_11target_archE1200ELNS1_3gpuE4ELNS1_3repE0EEENS1_30default_config_static_selectorELNS0_4arch9wavefront6targetE1EEEvT1_
; %bb.0:
	.section	.rodata,"a",@progbits
	.p2align	6, 0x0
	.amdhsa_kernel _ZN7rocprim17ROCPRIM_400000_NS6detail17trampoline_kernelINS0_14default_configENS1_33run_length_encode_config_selectorItjNS0_4plusIjEEEEZZNS1_33reduce_by_key_impl_wrapped_configILNS1_25lookback_scan_determinismE0ES3_S7_PKtNS0_17constant_iteratorIjlEEPtPlSF_S6_NS0_8equal_toItEEEE10hipError_tPvRmT2_T3_mT4_T5_T6_T7_T8_P12ihipStream_tbENKUlT_T0_E_clISt17integral_constantIbLb1EESZ_EEDaSU_SV_EUlSU_E_NS1_11comp_targetILNS1_3genE10ELNS1_11target_archE1200ELNS1_3gpuE4ELNS1_3repE0EEENS1_30default_config_static_selectorELNS0_4arch9wavefront6targetE1EEEvT1_
		.amdhsa_group_segment_fixed_size 0
		.amdhsa_private_segment_fixed_size 0
		.amdhsa_kernarg_size 128
		.amdhsa_user_sgpr_count 2
		.amdhsa_user_sgpr_dispatch_ptr 0
		.amdhsa_user_sgpr_queue_ptr 0
		.amdhsa_user_sgpr_kernarg_segment_ptr 1
		.amdhsa_user_sgpr_dispatch_id 0
		.amdhsa_user_sgpr_kernarg_preload_length 0
		.amdhsa_user_sgpr_kernarg_preload_offset 0
		.amdhsa_user_sgpr_private_segment_size 0
		.amdhsa_uses_dynamic_stack 0
		.amdhsa_enable_private_segment 0
		.amdhsa_system_sgpr_workgroup_id_x 1
		.amdhsa_system_sgpr_workgroup_id_y 0
		.amdhsa_system_sgpr_workgroup_id_z 0
		.amdhsa_system_sgpr_workgroup_info 0
		.amdhsa_system_vgpr_workitem_id 0
		.amdhsa_next_free_vgpr 1
		.amdhsa_next_free_sgpr 0
		.amdhsa_accum_offset 4
		.amdhsa_reserve_vcc 0
		.amdhsa_float_round_mode_32 0
		.amdhsa_float_round_mode_16_64 0
		.amdhsa_float_denorm_mode_32 3
		.amdhsa_float_denorm_mode_16_64 3
		.amdhsa_dx10_clamp 1
		.amdhsa_ieee_mode 1
		.amdhsa_fp16_overflow 0
		.amdhsa_tg_split 0
		.amdhsa_exception_fp_ieee_invalid_op 0
		.amdhsa_exception_fp_denorm_src 0
		.amdhsa_exception_fp_ieee_div_zero 0
		.amdhsa_exception_fp_ieee_overflow 0
		.amdhsa_exception_fp_ieee_underflow 0
		.amdhsa_exception_fp_ieee_inexact 0
		.amdhsa_exception_int_div_zero 0
	.end_amdhsa_kernel
	.section	.text._ZN7rocprim17ROCPRIM_400000_NS6detail17trampoline_kernelINS0_14default_configENS1_33run_length_encode_config_selectorItjNS0_4plusIjEEEEZZNS1_33reduce_by_key_impl_wrapped_configILNS1_25lookback_scan_determinismE0ES3_S7_PKtNS0_17constant_iteratorIjlEEPtPlSF_S6_NS0_8equal_toItEEEE10hipError_tPvRmT2_T3_mT4_T5_T6_T7_T8_P12ihipStream_tbENKUlT_T0_E_clISt17integral_constantIbLb1EESZ_EEDaSU_SV_EUlSU_E_NS1_11comp_targetILNS1_3genE10ELNS1_11target_archE1200ELNS1_3gpuE4ELNS1_3repE0EEENS1_30default_config_static_selectorELNS0_4arch9wavefront6targetE1EEEvT1_,"axG",@progbits,_ZN7rocprim17ROCPRIM_400000_NS6detail17trampoline_kernelINS0_14default_configENS1_33run_length_encode_config_selectorItjNS0_4plusIjEEEEZZNS1_33reduce_by_key_impl_wrapped_configILNS1_25lookback_scan_determinismE0ES3_S7_PKtNS0_17constant_iteratorIjlEEPtPlSF_S6_NS0_8equal_toItEEEE10hipError_tPvRmT2_T3_mT4_T5_T6_T7_T8_P12ihipStream_tbENKUlT_T0_E_clISt17integral_constantIbLb1EESZ_EEDaSU_SV_EUlSU_E_NS1_11comp_targetILNS1_3genE10ELNS1_11target_archE1200ELNS1_3gpuE4ELNS1_3repE0EEENS1_30default_config_static_selectorELNS0_4arch9wavefront6targetE1EEEvT1_,comdat
.Lfunc_end802:
	.size	_ZN7rocprim17ROCPRIM_400000_NS6detail17trampoline_kernelINS0_14default_configENS1_33run_length_encode_config_selectorItjNS0_4plusIjEEEEZZNS1_33reduce_by_key_impl_wrapped_configILNS1_25lookback_scan_determinismE0ES3_S7_PKtNS0_17constant_iteratorIjlEEPtPlSF_S6_NS0_8equal_toItEEEE10hipError_tPvRmT2_T3_mT4_T5_T6_T7_T8_P12ihipStream_tbENKUlT_T0_E_clISt17integral_constantIbLb1EESZ_EEDaSU_SV_EUlSU_E_NS1_11comp_targetILNS1_3genE10ELNS1_11target_archE1200ELNS1_3gpuE4ELNS1_3repE0EEENS1_30default_config_static_selectorELNS0_4arch9wavefront6targetE1EEEvT1_, .Lfunc_end802-_ZN7rocprim17ROCPRIM_400000_NS6detail17trampoline_kernelINS0_14default_configENS1_33run_length_encode_config_selectorItjNS0_4plusIjEEEEZZNS1_33reduce_by_key_impl_wrapped_configILNS1_25lookback_scan_determinismE0ES3_S7_PKtNS0_17constant_iteratorIjlEEPtPlSF_S6_NS0_8equal_toItEEEE10hipError_tPvRmT2_T3_mT4_T5_T6_T7_T8_P12ihipStream_tbENKUlT_T0_E_clISt17integral_constantIbLb1EESZ_EEDaSU_SV_EUlSU_E_NS1_11comp_targetILNS1_3genE10ELNS1_11target_archE1200ELNS1_3gpuE4ELNS1_3repE0EEENS1_30default_config_static_selectorELNS0_4arch9wavefront6targetE1EEEvT1_
                                        ; -- End function
	.section	.AMDGPU.csdata,"",@progbits
; Kernel info:
; codeLenInByte = 0
; NumSgprs: 6
; NumVgprs: 0
; NumAgprs: 0
; TotalNumVgprs: 0
; ScratchSize: 0
; MemoryBound: 0
; FloatMode: 240
; IeeeMode: 1
; LDSByteSize: 0 bytes/workgroup (compile time only)
; SGPRBlocks: 0
; VGPRBlocks: 0
; NumSGPRsForWavesPerEU: 6
; NumVGPRsForWavesPerEU: 1
; AccumOffset: 4
; Occupancy: 8
; WaveLimiterHint : 0
; COMPUTE_PGM_RSRC2:SCRATCH_EN: 0
; COMPUTE_PGM_RSRC2:USER_SGPR: 2
; COMPUTE_PGM_RSRC2:TRAP_HANDLER: 0
; COMPUTE_PGM_RSRC2:TGID_X_EN: 1
; COMPUTE_PGM_RSRC2:TGID_Y_EN: 0
; COMPUTE_PGM_RSRC2:TGID_Z_EN: 0
; COMPUTE_PGM_RSRC2:TIDIG_COMP_CNT: 0
; COMPUTE_PGM_RSRC3_GFX90A:ACCUM_OFFSET: 0
; COMPUTE_PGM_RSRC3_GFX90A:TG_SPLIT: 0
	.section	.text._ZN7rocprim17ROCPRIM_400000_NS6detail17trampoline_kernelINS0_14default_configENS1_33run_length_encode_config_selectorItjNS0_4plusIjEEEEZZNS1_33reduce_by_key_impl_wrapped_configILNS1_25lookback_scan_determinismE0ES3_S7_PKtNS0_17constant_iteratorIjlEEPtPlSF_S6_NS0_8equal_toItEEEE10hipError_tPvRmT2_T3_mT4_T5_T6_T7_T8_P12ihipStream_tbENKUlT_T0_E_clISt17integral_constantIbLb1EESZ_EEDaSU_SV_EUlSU_E_NS1_11comp_targetILNS1_3genE9ELNS1_11target_archE1100ELNS1_3gpuE3ELNS1_3repE0EEENS1_30default_config_static_selectorELNS0_4arch9wavefront6targetE1EEEvT1_,"axG",@progbits,_ZN7rocprim17ROCPRIM_400000_NS6detail17trampoline_kernelINS0_14default_configENS1_33run_length_encode_config_selectorItjNS0_4plusIjEEEEZZNS1_33reduce_by_key_impl_wrapped_configILNS1_25lookback_scan_determinismE0ES3_S7_PKtNS0_17constant_iteratorIjlEEPtPlSF_S6_NS0_8equal_toItEEEE10hipError_tPvRmT2_T3_mT4_T5_T6_T7_T8_P12ihipStream_tbENKUlT_T0_E_clISt17integral_constantIbLb1EESZ_EEDaSU_SV_EUlSU_E_NS1_11comp_targetILNS1_3genE9ELNS1_11target_archE1100ELNS1_3gpuE3ELNS1_3repE0EEENS1_30default_config_static_selectorELNS0_4arch9wavefront6targetE1EEEvT1_,comdat
	.protected	_ZN7rocprim17ROCPRIM_400000_NS6detail17trampoline_kernelINS0_14default_configENS1_33run_length_encode_config_selectorItjNS0_4plusIjEEEEZZNS1_33reduce_by_key_impl_wrapped_configILNS1_25lookback_scan_determinismE0ES3_S7_PKtNS0_17constant_iteratorIjlEEPtPlSF_S6_NS0_8equal_toItEEEE10hipError_tPvRmT2_T3_mT4_T5_T6_T7_T8_P12ihipStream_tbENKUlT_T0_E_clISt17integral_constantIbLb1EESZ_EEDaSU_SV_EUlSU_E_NS1_11comp_targetILNS1_3genE9ELNS1_11target_archE1100ELNS1_3gpuE3ELNS1_3repE0EEENS1_30default_config_static_selectorELNS0_4arch9wavefront6targetE1EEEvT1_ ; -- Begin function _ZN7rocprim17ROCPRIM_400000_NS6detail17trampoline_kernelINS0_14default_configENS1_33run_length_encode_config_selectorItjNS0_4plusIjEEEEZZNS1_33reduce_by_key_impl_wrapped_configILNS1_25lookback_scan_determinismE0ES3_S7_PKtNS0_17constant_iteratorIjlEEPtPlSF_S6_NS0_8equal_toItEEEE10hipError_tPvRmT2_T3_mT4_T5_T6_T7_T8_P12ihipStream_tbENKUlT_T0_E_clISt17integral_constantIbLb1EESZ_EEDaSU_SV_EUlSU_E_NS1_11comp_targetILNS1_3genE9ELNS1_11target_archE1100ELNS1_3gpuE3ELNS1_3repE0EEENS1_30default_config_static_selectorELNS0_4arch9wavefront6targetE1EEEvT1_
	.globl	_ZN7rocprim17ROCPRIM_400000_NS6detail17trampoline_kernelINS0_14default_configENS1_33run_length_encode_config_selectorItjNS0_4plusIjEEEEZZNS1_33reduce_by_key_impl_wrapped_configILNS1_25lookback_scan_determinismE0ES3_S7_PKtNS0_17constant_iteratorIjlEEPtPlSF_S6_NS0_8equal_toItEEEE10hipError_tPvRmT2_T3_mT4_T5_T6_T7_T8_P12ihipStream_tbENKUlT_T0_E_clISt17integral_constantIbLb1EESZ_EEDaSU_SV_EUlSU_E_NS1_11comp_targetILNS1_3genE9ELNS1_11target_archE1100ELNS1_3gpuE3ELNS1_3repE0EEENS1_30default_config_static_selectorELNS0_4arch9wavefront6targetE1EEEvT1_
	.p2align	8
	.type	_ZN7rocprim17ROCPRIM_400000_NS6detail17trampoline_kernelINS0_14default_configENS1_33run_length_encode_config_selectorItjNS0_4plusIjEEEEZZNS1_33reduce_by_key_impl_wrapped_configILNS1_25lookback_scan_determinismE0ES3_S7_PKtNS0_17constant_iteratorIjlEEPtPlSF_S6_NS0_8equal_toItEEEE10hipError_tPvRmT2_T3_mT4_T5_T6_T7_T8_P12ihipStream_tbENKUlT_T0_E_clISt17integral_constantIbLb1EESZ_EEDaSU_SV_EUlSU_E_NS1_11comp_targetILNS1_3genE9ELNS1_11target_archE1100ELNS1_3gpuE3ELNS1_3repE0EEENS1_30default_config_static_selectorELNS0_4arch9wavefront6targetE1EEEvT1_,@function
_ZN7rocprim17ROCPRIM_400000_NS6detail17trampoline_kernelINS0_14default_configENS1_33run_length_encode_config_selectorItjNS0_4plusIjEEEEZZNS1_33reduce_by_key_impl_wrapped_configILNS1_25lookback_scan_determinismE0ES3_S7_PKtNS0_17constant_iteratorIjlEEPtPlSF_S6_NS0_8equal_toItEEEE10hipError_tPvRmT2_T3_mT4_T5_T6_T7_T8_P12ihipStream_tbENKUlT_T0_E_clISt17integral_constantIbLb1EESZ_EEDaSU_SV_EUlSU_E_NS1_11comp_targetILNS1_3genE9ELNS1_11target_archE1100ELNS1_3gpuE3ELNS1_3repE0EEENS1_30default_config_static_selectorELNS0_4arch9wavefront6targetE1EEEvT1_: ; @_ZN7rocprim17ROCPRIM_400000_NS6detail17trampoline_kernelINS0_14default_configENS1_33run_length_encode_config_selectorItjNS0_4plusIjEEEEZZNS1_33reduce_by_key_impl_wrapped_configILNS1_25lookback_scan_determinismE0ES3_S7_PKtNS0_17constant_iteratorIjlEEPtPlSF_S6_NS0_8equal_toItEEEE10hipError_tPvRmT2_T3_mT4_T5_T6_T7_T8_P12ihipStream_tbENKUlT_T0_E_clISt17integral_constantIbLb1EESZ_EEDaSU_SV_EUlSU_E_NS1_11comp_targetILNS1_3genE9ELNS1_11target_archE1100ELNS1_3gpuE3ELNS1_3repE0EEENS1_30default_config_static_selectorELNS0_4arch9wavefront6targetE1EEEvT1_
; %bb.0:
	.section	.rodata,"a",@progbits
	.p2align	6, 0x0
	.amdhsa_kernel _ZN7rocprim17ROCPRIM_400000_NS6detail17trampoline_kernelINS0_14default_configENS1_33run_length_encode_config_selectorItjNS0_4plusIjEEEEZZNS1_33reduce_by_key_impl_wrapped_configILNS1_25lookback_scan_determinismE0ES3_S7_PKtNS0_17constant_iteratorIjlEEPtPlSF_S6_NS0_8equal_toItEEEE10hipError_tPvRmT2_T3_mT4_T5_T6_T7_T8_P12ihipStream_tbENKUlT_T0_E_clISt17integral_constantIbLb1EESZ_EEDaSU_SV_EUlSU_E_NS1_11comp_targetILNS1_3genE9ELNS1_11target_archE1100ELNS1_3gpuE3ELNS1_3repE0EEENS1_30default_config_static_selectorELNS0_4arch9wavefront6targetE1EEEvT1_
		.amdhsa_group_segment_fixed_size 0
		.amdhsa_private_segment_fixed_size 0
		.amdhsa_kernarg_size 128
		.amdhsa_user_sgpr_count 2
		.amdhsa_user_sgpr_dispatch_ptr 0
		.amdhsa_user_sgpr_queue_ptr 0
		.amdhsa_user_sgpr_kernarg_segment_ptr 1
		.amdhsa_user_sgpr_dispatch_id 0
		.amdhsa_user_sgpr_kernarg_preload_length 0
		.amdhsa_user_sgpr_kernarg_preload_offset 0
		.amdhsa_user_sgpr_private_segment_size 0
		.amdhsa_uses_dynamic_stack 0
		.amdhsa_enable_private_segment 0
		.amdhsa_system_sgpr_workgroup_id_x 1
		.amdhsa_system_sgpr_workgroup_id_y 0
		.amdhsa_system_sgpr_workgroup_id_z 0
		.amdhsa_system_sgpr_workgroup_info 0
		.amdhsa_system_vgpr_workitem_id 0
		.amdhsa_next_free_vgpr 1
		.amdhsa_next_free_sgpr 0
		.amdhsa_accum_offset 4
		.amdhsa_reserve_vcc 0
		.amdhsa_float_round_mode_32 0
		.amdhsa_float_round_mode_16_64 0
		.amdhsa_float_denorm_mode_32 3
		.amdhsa_float_denorm_mode_16_64 3
		.amdhsa_dx10_clamp 1
		.amdhsa_ieee_mode 1
		.amdhsa_fp16_overflow 0
		.amdhsa_tg_split 0
		.amdhsa_exception_fp_ieee_invalid_op 0
		.amdhsa_exception_fp_denorm_src 0
		.amdhsa_exception_fp_ieee_div_zero 0
		.amdhsa_exception_fp_ieee_overflow 0
		.amdhsa_exception_fp_ieee_underflow 0
		.amdhsa_exception_fp_ieee_inexact 0
		.amdhsa_exception_int_div_zero 0
	.end_amdhsa_kernel
	.section	.text._ZN7rocprim17ROCPRIM_400000_NS6detail17trampoline_kernelINS0_14default_configENS1_33run_length_encode_config_selectorItjNS0_4plusIjEEEEZZNS1_33reduce_by_key_impl_wrapped_configILNS1_25lookback_scan_determinismE0ES3_S7_PKtNS0_17constant_iteratorIjlEEPtPlSF_S6_NS0_8equal_toItEEEE10hipError_tPvRmT2_T3_mT4_T5_T6_T7_T8_P12ihipStream_tbENKUlT_T0_E_clISt17integral_constantIbLb1EESZ_EEDaSU_SV_EUlSU_E_NS1_11comp_targetILNS1_3genE9ELNS1_11target_archE1100ELNS1_3gpuE3ELNS1_3repE0EEENS1_30default_config_static_selectorELNS0_4arch9wavefront6targetE1EEEvT1_,"axG",@progbits,_ZN7rocprim17ROCPRIM_400000_NS6detail17trampoline_kernelINS0_14default_configENS1_33run_length_encode_config_selectorItjNS0_4plusIjEEEEZZNS1_33reduce_by_key_impl_wrapped_configILNS1_25lookback_scan_determinismE0ES3_S7_PKtNS0_17constant_iteratorIjlEEPtPlSF_S6_NS0_8equal_toItEEEE10hipError_tPvRmT2_T3_mT4_T5_T6_T7_T8_P12ihipStream_tbENKUlT_T0_E_clISt17integral_constantIbLb1EESZ_EEDaSU_SV_EUlSU_E_NS1_11comp_targetILNS1_3genE9ELNS1_11target_archE1100ELNS1_3gpuE3ELNS1_3repE0EEENS1_30default_config_static_selectorELNS0_4arch9wavefront6targetE1EEEvT1_,comdat
.Lfunc_end803:
	.size	_ZN7rocprim17ROCPRIM_400000_NS6detail17trampoline_kernelINS0_14default_configENS1_33run_length_encode_config_selectorItjNS0_4plusIjEEEEZZNS1_33reduce_by_key_impl_wrapped_configILNS1_25lookback_scan_determinismE0ES3_S7_PKtNS0_17constant_iteratorIjlEEPtPlSF_S6_NS0_8equal_toItEEEE10hipError_tPvRmT2_T3_mT4_T5_T6_T7_T8_P12ihipStream_tbENKUlT_T0_E_clISt17integral_constantIbLb1EESZ_EEDaSU_SV_EUlSU_E_NS1_11comp_targetILNS1_3genE9ELNS1_11target_archE1100ELNS1_3gpuE3ELNS1_3repE0EEENS1_30default_config_static_selectorELNS0_4arch9wavefront6targetE1EEEvT1_, .Lfunc_end803-_ZN7rocprim17ROCPRIM_400000_NS6detail17trampoline_kernelINS0_14default_configENS1_33run_length_encode_config_selectorItjNS0_4plusIjEEEEZZNS1_33reduce_by_key_impl_wrapped_configILNS1_25lookback_scan_determinismE0ES3_S7_PKtNS0_17constant_iteratorIjlEEPtPlSF_S6_NS0_8equal_toItEEEE10hipError_tPvRmT2_T3_mT4_T5_T6_T7_T8_P12ihipStream_tbENKUlT_T0_E_clISt17integral_constantIbLb1EESZ_EEDaSU_SV_EUlSU_E_NS1_11comp_targetILNS1_3genE9ELNS1_11target_archE1100ELNS1_3gpuE3ELNS1_3repE0EEENS1_30default_config_static_selectorELNS0_4arch9wavefront6targetE1EEEvT1_
                                        ; -- End function
	.section	.AMDGPU.csdata,"",@progbits
; Kernel info:
; codeLenInByte = 0
; NumSgprs: 6
; NumVgprs: 0
; NumAgprs: 0
; TotalNumVgprs: 0
; ScratchSize: 0
; MemoryBound: 0
; FloatMode: 240
; IeeeMode: 1
; LDSByteSize: 0 bytes/workgroup (compile time only)
; SGPRBlocks: 0
; VGPRBlocks: 0
; NumSGPRsForWavesPerEU: 6
; NumVGPRsForWavesPerEU: 1
; AccumOffset: 4
; Occupancy: 8
; WaveLimiterHint : 0
; COMPUTE_PGM_RSRC2:SCRATCH_EN: 0
; COMPUTE_PGM_RSRC2:USER_SGPR: 2
; COMPUTE_PGM_RSRC2:TRAP_HANDLER: 0
; COMPUTE_PGM_RSRC2:TGID_X_EN: 1
; COMPUTE_PGM_RSRC2:TGID_Y_EN: 0
; COMPUTE_PGM_RSRC2:TGID_Z_EN: 0
; COMPUTE_PGM_RSRC2:TIDIG_COMP_CNT: 0
; COMPUTE_PGM_RSRC3_GFX90A:ACCUM_OFFSET: 0
; COMPUTE_PGM_RSRC3_GFX90A:TG_SPLIT: 0
	.section	.text._ZN7rocprim17ROCPRIM_400000_NS6detail17trampoline_kernelINS0_14default_configENS1_33run_length_encode_config_selectorItjNS0_4plusIjEEEEZZNS1_33reduce_by_key_impl_wrapped_configILNS1_25lookback_scan_determinismE0ES3_S7_PKtNS0_17constant_iteratorIjlEEPtPlSF_S6_NS0_8equal_toItEEEE10hipError_tPvRmT2_T3_mT4_T5_T6_T7_T8_P12ihipStream_tbENKUlT_T0_E_clISt17integral_constantIbLb1EESZ_EEDaSU_SV_EUlSU_E_NS1_11comp_targetILNS1_3genE8ELNS1_11target_archE1030ELNS1_3gpuE2ELNS1_3repE0EEENS1_30default_config_static_selectorELNS0_4arch9wavefront6targetE1EEEvT1_,"axG",@progbits,_ZN7rocprim17ROCPRIM_400000_NS6detail17trampoline_kernelINS0_14default_configENS1_33run_length_encode_config_selectorItjNS0_4plusIjEEEEZZNS1_33reduce_by_key_impl_wrapped_configILNS1_25lookback_scan_determinismE0ES3_S7_PKtNS0_17constant_iteratorIjlEEPtPlSF_S6_NS0_8equal_toItEEEE10hipError_tPvRmT2_T3_mT4_T5_T6_T7_T8_P12ihipStream_tbENKUlT_T0_E_clISt17integral_constantIbLb1EESZ_EEDaSU_SV_EUlSU_E_NS1_11comp_targetILNS1_3genE8ELNS1_11target_archE1030ELNS1_3gpuE2ELNS1_3repE0EEENS1_30default_config_static_selectorELNS0_4arch9wavefront6targetE1EEEvT1_,comdat
	.protected	_ZN7rocprim17ROCPRIM_400000_NS6detail17trampoline_kernelINS0_14default_configENS1_33run_length_encode_config_selectorItjNS0_4plusIjEEEEZZNS1_33reduce_by_key_impl_wrapped_configILNS1_25lookback_scan_determinismE0ES3_S7_PKtNS0_17constant_iteratorIjlEEPtPlSF_S6_NS0_8equal_toItEEEE10hipError_tPvRmT2_T3_mT4_T5_T6_T7_T8_P12ihipStream_tbENKUlT_T0_E_clISt17integral_constantIbLb1EESZ_EEDaSU_SV_EUlSU_E_NS1_11comp_targetILNS1_3genE8ELNS1_11target_archE1030ELNS1_3gpuE2ELNS1_3repE0EEENS1_30default_config_static_selectorELNS0_4arch9wavefront6targetE1EEEvT1_ ; -- Begin function _ZN7rocprim17ROCPRIM_400000_NS6detail17trampoline_kernelINS0_14default_configENS1_33run_length_encode_config_selectorItjNS0_4plusIjEEEEZZNS1_33reduce_by_key_impl_wrapped_configILNS1_25lookback_scan_determinismE0ES3_S7_PKtNS0_17constant_iteratorIjlEEPtPlSF_S6_NS0_8equal_toItEEEE10hipError_tPvRmT2_T3_mT4_T5_T6_T7_T8_P12ihipStream_tbENKUlT_T0_E_clISt17integral_constantIbLb1EESZ_EEDaSU_SV_EUlSU_E_NS1_11comp_targetILNS1_3genE8ELNS1_11target_archE1030ELNS1_3gpuE2ELNS1_3repE0EEENS1_30default_config_static_selectorELNS0_4arch9wavefront6targetE1EEEvT1_
	.globl	_ZN7rocprim17ROCPRIM_400000_NS6detail17trampoline_kernelINS0_14default_configENS1_33run_length_encode_config_selectorItjNS0_4plusIjEEEEZZNS1_33reduce_by_key_impl_wrapped_configILNS1_25lookback_scan_determinismE0ES3_S7_PKtNS0_17constant_iteratorIjlEEPtPlSF_S6_NS0_8equal_toItEEEE10hipError_tPvRmT2_T3_mT4_T5_T6_T7_T8_P12ihipStream_tbENKUlT_T0_E_clISt17integral_constantIbLb1EESZ_EEDaSU_SV_EUlSU_E_NS1_11comp_targetILNS1_3genE8ELNS1_11target_archE1030ELNS1_3gpuE2ELNS1_3repE0EEENS1_30default_config_static_selectorELNS0_4arch9wavefront6targetE1EEEvT1_
	.p2align	8
	.type	_ZN7rocprim17ROCPRIM_400000_NS6detail17trampoline_kernelINS0_14default_configENS1_33run_length_encode_config_selectorItjNS0_4plusIjEEEEZZNS1_33reduce_by_key_impl_wrapped_configILNS1_25lookback_scan_determinismE0ES3_S7_PKtNS0_17constant_iteratorIjlEEPtPlSF_S6_NS0_8equal_toItEEEE10hipError_tPvRmT2_T3_mT4_T5_T6_T7_T8_P12ihipStream_tbENKUlT_T0_E_clISt17integral_constantIbLb1EESZ_EEDaSU_SV_EUlSU_E_NS1_11comp_targetILNS1_3genE8ELNS1_11target_archE1030ELNS1_3gpuE2ELNS1_3repE0EEENS1_30default_config_static_selectorELNS0_4arch9wavefront6targetE1EEEvT1_,@function
_ZN7rocprim17ROCPRIM_400000_NS6detail17trampoline_kernelINS0_14default_configENS1_33run_length_encode_config_selectorItjNS0_4plusIjEEEEZZNS1_33reduce_by_key_impl_wrapped_configILNS1_25lookback_scan_determinismE0ES3_S7_PKtNS0_17constant_iteratorIjlEEPtPlSF_S6_NS0_8equal_toItEEEE10hipError_tPvRmT2_T3_mT4_T5_T6_T7_T8_P12ihipStream_tbENKUlT_T0_E_clISt17integral_constantIbLb1EESZ_EEDaSU_SV_EUlSU_E_NS1_11comp_targetILNS1_3genE8ELNS1_11target_archE1030ELNS1_3gpuE2ELNS1_3repE0EEENS1_30default_config_static_selectorELNS0_4arch9wavefront6targetE1EEEvT1_: ; @_ZN7rocprim17ROCPRIM_400000_NS6detail17trampoline_kernelINS0_14default_configENS1_33run_length_encode_config_selectorItjNS0_4plusIjEEEEZZNS1_33reduce_by_key_impl_wrapped_configILNS1_25lookback_scan_determinismE0ES3_S7_PKtNS0_17constant_iteratorIjlEEPtPlSF_S6_NS0_8equal_toItEEEE10hipError_tPvRmT2_T3_mT4_T5_T6_T7_T8_P12ihipStream_tbENKUlT_T0_E_clISt17integral_constantIbLb1EESZ_EEDaSU_SV_EUlSU_E_NS1_11comp_targetILNS1_3genE8ELNS1_11target_archE1030ELNS1_3gpuE2ELNS1_3repE0EEENS1_30default_config_static_selectorELNS0_4arch9wavefront6targetE1EEEvT1_
; %bb.0:
	.section	.rodata,"a",@progbits
	.p2align	6, 0x0
	.amdhsa_kernel _ZN7rocprim17ROCPRIM_400000_NS6detail17trampoline_kernelINS0_14default_configENS1_33run_length_encode_config_selectorItjNS0_4plusIjEEEEZZNS1_33reduce_by_key_impl_wrapped_configILNS1_25lookback_scan_determinismE0ES3_S7_PKtNS0_17constant_iteratorIjlEEPtPlSF_S6_NS0_8equal_toItEEEE10hipError_tPvRmT2_T3_mT4_T5_T6_T7_T8_P12ihipStream_tbENKUlT_T0_E_clISt17integral_constantIbLb1EESZ_EEDaSU_SV_EUlSU_E_NS1_11comp_targetILNS1_3genE8ELNS1_11target_archE1030ELNS1_3gpuE2ELNS1_3repE0EEENS1_30default_config_static_selectorELNS0_4arch9wavefront6targetE1EEEvT1_
		.amdhsa_group_segment_fixed_size 0
		.amdhsa_private_segment_fixed_size 0
		.amdhsa_kernarg_size 128
		.amdhsa_user_sgpr_count 2
		.amdhsa_user_sgpr_dispatch_ptr 0
		.amdhsa_user_sgpr_queue_ptr 0
		.amdhsa_user_sgpr_kernarg_segment_ptr 1
		.amdhsa_user_sgpr_dispatch_id 0
		.amdhsa_user_sgpr_kernarg_preload_length 0
		.amdhsa_user_sgpr_kernarg_preload_offset 0
		.amdhsa_user_sgpr_private_segment_size 0
		.amdhsa_uses_dynamic_stack 0
		.amdhsa_enable_private_segment 0
		.amdhsa_system_sgpr_workgroup_id_x 1
		.amdhsa_system_sgpr_workgroup_id_y 0
		.amdhsa_system_sgpr_workgroup_id_z 0
		.amdhsa_system_sgpr_workgroup_info 0
		.amdhsa_system_vgpr_workitem_id 0
		.amdhsa_next_free_vgpr 1
		.amdhsa_next_free_sgpr 0
		.amdhsa_accum_offset 4
		.amdhsa_reserve_vcc 0
		.amdhsa_float_round_mode_32 0
		.amdhsa_float_round_mode_16_64 0
		.amdhsa_float_denorm_mode_32 3
		.amdhsa_float_denorm_mode_16_64 3
		.amdhsa_dx10_clamp 1
		.amdhsa_ieee_mode 1
		.amdhsa_fp16_overflow 0
		.amdhsa_tg_split 0
		.amdhsa_exception_fp_ieee_invalid_op 0
		.amdhsa_exception_fp_denorm_src 0
		.amdhsa_exception_fp_ieee_div_zero 0
		.amdhsa_exception_fp_ieee_overflow 0
		.amdhsa_exception_fp_ieee_underflow 0
		.amdhsa_exception_fp_ieee_inexact 0
		.amdhsa_exception_int_div_zero 0
	.end_amdhsa_kernel
	.section	.text._ZN7rocprim17ROCPRIM_400000_NS6detail17trampoline_kernelINS0_14default_configENS1_33run_length_encode_config_selectorItjNS0_4plusIjEEEEZZNS1_33reduce_by_key_impl_wrapped_configILNS1_25lookback_scan_determinismE0ES3_S7_PKtNS0_17constant_iteratorIjlEEPtPlSF_S6_NS0_8equal_toItEEEE10hipError_tPvRmT2_T3_mT4_T5_T6_T7_T8_P12ihipStream_tbENKUlT_T0_E_clISt17integral_constantIbLb1EESZ_EEDaSU_SV_EUlSU_E_NS1_11comp_targetILNS1_3genE8ELNS1_11target_archE1030ELNS1_3gpuE2ELNS1_3repE0EEENS1_30default_config_static_selectorELNS0_4arch9wavefront6targetE1EEEvT1_,"axG",@progbits,_ZN7rocprim17ROCPRIM_400000_NS6detail17trampoline_kernelINS0_14default_configENS1_33run_length_encode_config_selectorItjNS0_4plusIjEEEEZZNS1_33reduce_by_key_impl_wrapped_configILNS1_25lookback_scan_determinismE0ES3_S7_PKtNS0_17constant_iteratorIjlEEPtPlSF_S6_NS0_8equal_toItEEEE10hipError_tPvRmT2_T3_mT4_T5_T6_T7_T8_P12ihipStream_tbENKUlT_T0_E_clISt17integral_constantIbLb1EESZ_EEDaSU_SV_EUlSU_E_NS1_11comp_targetILNS1_3genE8ELNS1_11target_archE1030ELNS1_3gpuE2ELNS1_3repE0EEENS1_30default_config_static_selectorELNS0_4arch9wavefront6targetE1EEEvT1_,comdat
.Lfunc_end804:
	.size	_ZN7rocprim17ROCPRIM_400000_NS6detail17trampoline_kernelINS0_14default_configENS1_33run_length_encode_config_selectorItjNS0_4plusIjEEEEZZNS1_33reduce_by_key_impl_wrapped_configILNS1_25lookback_scan_determinismE0ES3_S7_PKtNS0_17constant_iteratorIjlEEPtPlSF_S6_NS0_8equal_toItEEEE10hipError_tPvRmT2_T3_mT4_T5_T6_T7_T8_P12ihipStream_tbENKUlT_T0_E_clISt17integral_constantIbLb1EESZ_EEDaSU_SV_EUlSU_E_NS1_11comp_targetILNS1_3genE8ELNS1_11target_archE1030ELNS1_3gpuE2ELNS1_3repE0EEENS1_30default_config_static_selectorELNS0_4arch9wavefront6targetE1EEEvT1_, .Lfunc_end804-_ZN7rocprim17ROCPRIM_400000_NS6detail17trampoline_kernelINS0_14default_configENS1_33run_length_encode_config_selectorItjNS0_4plusIjEEEEZZNS1_33reduce_by_key_impl_wrapped_configILNS1_25lookback_scan_determinismE0ES3_S7_PKtNS0_17constant_iteratorIjlEEPtPlSF_S6_NS0_8equal_toItEEEE10hipError_tPvRmT2_T3_mT4_T5_T6_T7_T8_P12ihipStream_tbENKUlT_T0_E_clISt17integral_constantIbLb1EESZ_EEDaSU_SV_EUlSU_E_NS1_11comp_targetILNS1_3genE8ELNS1_11target_archE1030ELNS1_3gpuE2ELNS1_3repE0EEENS1_30default_config_static_selectorELNS0_4arch9wavefront6targetE1EEEvT1_
                                        ; -- End function
	.section	.AMDGPU.csdata,"",@progbits
; Kernel info:
; codeLenInByte = 0
; NumSgprs: 6
; NumVgprs: 0
; NumAgprs: 0
; TotalNumVgprs: 0
; ScratchSize: 0
; MemoryBound: 0
; FloatMode: 240
; IeeeMode: 1
; LDSByteSize: 0 bytes/workgroup (compile time only)
; SGPRBlocks: 0
; VGPRBlocks: 0
; NumSGPRsForWavesPerEU: 6
; NumVGPRsForWavesPerEU: 1
; AccumOffset: 4
; Occupancy: 8
; WaveLimiterHint : 0
; COMPUTE_PGM_RSRC2:SCRATCH_EN: 0
; COMPUTE_PGM_RSRC2:USER_SGPR: 2
; COMPUTE_PGM_RSRC2:TRAP_HANDLER: 0
; COMPUTE_PGM_RSRC2:TGID_X_EN: 1
; COMPUTE_PGM_RSRC2:TGID_Y_EN: 0
; COMPUTE_PGM_RSRC2:TGID_Z_EN: 0
; COMPUTE_PGM_RSRC2:TIDIG_COMP_CNT: 0
; COMPUTE_PGM_RSRC3_GFX90A:ACCUM_OFFSET: 0
; COMPUTE_PGM_RSRC3_GFX90A:TG_SPLIT: 0
	.section	.text._ZN7rocprim17ROCPRIM_400000_NS6detail17trampoline_kernelINS0_14default_configENS1_33run_length_encode_config_selectorItjNS0_4plusIjEEEEZZNS1_33reduce_by_key_impl_wrapped_configILNS1_25lookback_scan_determinismE0ES3_S7_PKtNS0_17constant_iteratorIjlEEPtPlSF_S6_NS0_8equal_toItEEEE10hipError_tPvRmT2_T3_mT4_T5_T6_T7_T8_P12ihipStream_tbENKUlT_T0_E_clISt17integral_constantIbLb1EESY_IbLb0EEEEDaSU_SV_EUlSU_E_NS1_11comp_targetILNS1_3genE0ELNS1_11target_archE4294967295ELNS1_3gpuE0ELNS1_3repE0EEENS1_30default_config_static_selectorELNS0_4arch9wavefront6targetE1EEEvT1_,"axG",@progbits,_ZN7rocprim17ROCPRIM_400000_NS6detail17trampoline_kernelINS0_14default_configENS1_33run_length_encode_config_selectorItjNS0_4plusIjEEEEZZNS1_33reduce_by_key_impl_wrapped_configILNS1_25lookback_scan_determinismE0ES3_S7_PKtNS0_17constant_iteratorIjlEEPtPlSF_S6_NS0_8equal_toItEEEE10hipError_tPvRmT2_T3_mT4_T5_T6_T7_T8_P12ihipStream_tbENKUlT_T0_E_clISt17integral_constantIbLb1EESY_IbLb0EEEEDaSU_SV_EUlSU_E_NS1_11comp_targetILNS1_3genE0ELNS1_11target_archE4294967295ELNS1_3gpuE0ELNS1_3repE0EEENS1_30default_config_static_selectorELNS0_4arch9wavefront6targetE1EEEvT1_,comdat
	.protected	_ZN7rocprim17ROCPRIM_400000_NS6detail17trampoline_kernelINS0_14default_configENS1_33run_length_encode_config_selectorItjNS0_4plusIjEEEEZZNS1_33reduce_by_key_impl_wrapped_configILNS1_25lookback_scan_determinismE0ES3_S7_PKtNS0_17constant_iteratorIjlEEPtPlSF_S6_NS0_8equal_toItEEEE10hipError_tPvRmT2_T3_mT4_T5_T6_T7_T8_P12ihipStream_tbENKUlT_T0_E_clISt17integral_constantIbLb1EESY_IbLb0EEEEDaSU_SV_EUlSU_E_NS1_11comp_targetILNS1_3genE0ELNS1_11target_archE4294967295ELNS1_3gpuE0ELNS1_3repE0EEENS1_30default_config_static_selectorELNS0_4arch9wavefront6targetE1EEEvT1_ ; -- Begin function _ZN7rocprim17ROCPRIM_400000_NS6detail17trampoline_kernelINS0_14default_configENS1_33run_length_encode_config_selectorItjNS0_4plusIjEEEEZZNS1_33reduce_by_key_impl_wrapped_configILNS1_25lookback_scan_determinismE0ES3_S7_PKtNS0_17constant_iteratorIjlEEPtPlSF_S6_NS0_8equal_toItEEEE10hipError_tPvRmT2_T3_mT4_T5_T6_T7_T8_P12ihipStream_tbENKUlT_T0_E_clISt17integral_constantIbLb1EESY_IbLb0EEEEDaSU_SV_EUlSU_E_NS1_11comp_targetILNS1_3genE0ELNS1_11target_archE4294967295ELNS1_3gpuE0ELNS1_3repE0EEENS1_30default_config_static_selectorELNS0_4arch9wavefront6targetE1EEEvT1_
	.globl	_ZN7rocprim17ROCPRIM_400000_NS6detail17trampoline_kernelINS0_14default_configENS1_33run_length_encode_config_selectorItjNS0_4plusIjEEEEZZNS1_33reduce_by_key_impl_wrapped_configILNS1_25lookback_scan_determinismE0ES3_S7_PKtNS0_17constant_iteratorIjlEEPtPlSF_S6_NS0_8equal_toItEEEE10hipError_tPvRmT2_T3_mT4_T5_T6_T7_T8_P12ihipStream_tbENKUlT_T0_E_clISt17integral_constantIbLb1EESY_IbLb0EEEEDaSU_SV_EUlSU_E_NS1_11comp_targetILNS1_3genE0ELNS1_11target_archE4294967295ELNS1_3gpuE0ELNS1_3repE0EEENS1_30default_config_static_selectorELNS0_4arch9wavefront6targetE1EEEvT1_
	.p2align	8
	.type	_ZN7rocprim17ROCPRIM_400000_NS6detail17trampoline_kernelINS0_14default_configENS1_33run_length_encode_config_selectorItjNS0_4plusIjEEEEZZNS1_33reduce_by_key_impl_wrapped_configILNS1_25lookback_scan_determinismE0ES3_S7_PKtNS0_17constant_iteratorIjlEEPtPlSF_S6_NS0_8equal_toItEEEE10hipError_tPvRmT2_T3_mT4_T5_T6_T7_T8_P12ihipStream_tbENKUlT_T0_E_clISt17integral_constantIbLb1EESY_IbLb0EEEEDaSU_SV_EUlSU_E_NS1_11comp_targetILNS1_3genE0ELNS1_11target_archE4294967295ELNS1_3gpuE0ELNS1_3repE0EEENS1_30default_config_static_selectorELNS0_4arch9wavefront6targetE1EEEvT1_,@function
_ZN7rocprim17ROCPRIM_400000_NS6detail17trampoline_kernelINS0_14default_configENS1_33run_length_encode_config_selectorItjNS0_4plusIjEEEEZZNS1_33reduce_by_key_impl_wrapped_configILNS1_25lookback_scan_determinismE0ES3_S7_PKtNS0_17constant_iteratorIjlEEPtPlSF_S6_NS0_8equal_toItEEEE10hipError_tPvRmT2_T3_mT4_T5_T6_T7_T8_P12ihipStream_tbENKUlT_T0_E_clISt17integral_constantIbLb1EESY_IbLb0EEEEDaSU_SV_EUlSU_E_NS1_11comp_targetILNS1_3genE0ELNS1_11target_archE4294967295ELNS1_3gpuE0ELNS1_3repE0EEENS1_30default_config_static_selectorELNS0_4arch9wavefront6targetE1EEEvT1_: ; @_ZN7rocprim17ROCPRIM_400000_NS6detail17trampoline_kernelINS0_14default_configENS1_33run_length_encode_config_selectorItjNS0_4plusIjEEEEZZNS1_33reduce_by_key_impl_wrapped_configILNS1_25lookback_scan_determinismE0ES3_S7_PKtNS0_17constant_iteratorIjlEEPtPlSF_S6_NS0_8equal_toItEEEE10hipError_tPvRmT2_T3_mT4_T5_T6_T7_T8_P12ihipStream_tbENKUlT_T0_E_clISt17integral_constantIbLb1EESY_IbLb0EEEEDaSU_SV_EUlSU_E_NS1_11comp_targetILNS1_3genE0ELNS1_11target_archE4294967295ELNS1_3gpuE0ELNS1_3repE0EEENS1_30default_config_static_selectorELNS0_4arch9wavefront6targetE1EEEvT1_
; %bb.0:
	.section	.rodata,"a",@progbits
	.p2align	6, 0x0
	.amdhsa_kernel _ZN7rocprim17ROCPRIM_400000_NS6detail17trampoline_kernelINS0_14default_configENS1_33run_length_encode_config_selectorItjNS0_4plusIjEEEEZZNS1_33reduce_by_key_impl_wrapped_configILNS1_25lookback_scan_determinismE0ES3_S7_PKtNS0_17constant_iteratorIjlEEPtPlSF_S6_NS0_8equal_toItEEEE10hipError_tPvRmT2_T3_mT4_T5_T6_T7_T8_P12ihipStream_tbENKUlT_T0_E_clISt17integral_constantIbLb1EESY_IbLb0EEEEDaSU_SV_EUlSU_E_NS1_11comp_targetILNS1_3genE0ELNS1_11target_archE4294967295ELNS1_3gpuE0ELNS1_3repE0EEENS1_30default_config_static_selectorELNS0_4arch9wavefront6targetE1EEEvT1_
		.amdhsa_group_segment_fixed_size 0
		.amdhsa_private_segment_fixed_size 0
		.amdhsa_kernarg_size 128
		.amdhsa_user_sgpr_count 2
		.amdhsa_user_sgpr_dispatch_ptr 0
		.amdhsa_user_sgpr_queue_ptr 0
		.amdhsa_user_sgpr_kernarg_segment_ptr 1
		.amdhsa_user_sgpr_dispatch_id 0
		.amdhsa_user_sgpr_kernarg_preload_length 0
		.amdhsa_user_sgpr_kernarg_preload_offset 0
		.amdhsa_user_sgpr_private_segment_size 0
		.amdhsa_uses_dynamic_stack 0
		.amdhsa_enable_private_segment 0
		.amdhsa_system_sgpr_workgroup_id_x 1
		.amdhsa_system_sgpr_workgroup_id_y 0
		.amdhsa_system_sgpr_workgroup_id_z 0
		.amdhsa_system_sgpr_workgroup_info 0
		.amdhsa_system_vgpr_workitem_id 0
		.amdhsa_next_free_vgpr 1
		.amdhsa_next_free_sgpr 0
		.amdhsa_accum_offset 4
		.amdhsa_reserve_vcc 0
		.amdhsa_float_round_mode_32 0
		.amdhsa_float_round_mode_16_64 0
		.amdhsa_float_denorm_mode_32 3
		.amdhsa_float_denorm_mode_16_64 3
		.amdhsa_dx10_clamp 1
		.amdhsa_ieee_mode 1
		.amdhsa_fp16_overflow 0
		.amdhsa_tg_split 0
		.amdhsa_exception_fp_ieee_invalid_op 0
		.amdhsa_exception_fp_denorm_src 0
		.amdhsa_exception_fp_ieee_div_zero 0
		.amdhsa_exception_fp_ieee_overflow 0
		.amdhsa_exception_fp_ieee_underflow 0
		.amdhsa_exception_fp_ieee_inexact 0
		.amdhsa_exception_int_div_zero 0
	.end_amdhsa_kernel
	.section	.text._ZN7rocprim17ROCPRIM_400000_NS6detail17trampoline_kernelINS0_14default_configENS1_33run_length_encode_config_selectorItjNS0_4plusIjEEEEZZNS1_33reduce_by_key_impl_wrapped_configILNS1_25lookback_scan_determinismE0ES3_S7_PKtNS0_17constant_iteratorIjlEEPtPlSF_S6_NS0_8equal_toItEEEE10hipError_tPvRmT2_T3_mT4_T5_T6_T7_T8_P12ihipStream_tbENKUlT_T0_E_clISt17integral_constantIbLb1EESY_IbLb0EEEEDaSU_SV_EUlSU_E_NS1_11comp_targetILNS1_3genE0ELNS1_11target_archE4294967295ELNS1_3gpuE0ELNS1_3repE0EEENS1_30default_config_static_selectorELNS0_4arch9wavefront6targetE1EEEvT1_,"axG",@progbits,_ZN7rocprim17ROCPRIM_400000_NS6detail17trampoline_kernelINS0_14default_configENS1_33run_length_encode_config_selectorItjNS0_4plusIjEEEEZZNS1_33reduce_by_key_impl_wrapped_configILNS1_25lookback_scan_determinismE0ES3_S7_PKtNS0_17constant_iteratorIjlEEPtPlSF_S6_NS0_8equal_toItEEEE10hipError_tPvRmT2_T3_mT4_T5_T6_T7_T8_P12ihipStream_tbENKUlT_T0_E_clISt17integral_constantIbLb1EESY_IbLb0EEEEDaSU_SV_EUlSU_E_NS1_11comp_targetILNS1_3genE0ELNS1_11target_archE4294967295ELNS1_3gpuE0ELNS1_3repE0EEENS1_30default_config_static_selectorELNS0_4arch9wavefront6targetE1EEEvT1_,comdat
.Lfunc_end805:
	.size	_ZN7rocprim17ROCPRIM_400000_NS6detail17trampoline_kernelINS0_14default_configENS1_33run_length_encode_config_selectorItjNS0_4plusIjEEEEZZNS1_33reduce_by_key_impl_wrapped_configILNS1_25lookback_scan_determinismE0ES3_S7_PKtNS0_17constant_iteratorIjlEEPtPlSF_S6_NS0_8equal_toItEEEE10hipError_tPvRmT2_T3_mT4_T5_T6_T7_T8_P12ihipStream_tbENKUlT_T0_E_clISt17integral_constantIbLb1EESY_IbLb0EEEEDaSU_SV_EUlSU_E_NS1_11comp_targetILNS1_3genE0ELNS1_11target_archE4294967295ELNS1_3gpuE0ELNS1_3repE0EEENS1_30default_config_static_selectorELNS0_4arch9wavefront6targetE1EEEvT1_, .Lfunc_end805-_ZN7rocprim17ROCPRIM_400000_NS6detail17trampoline_kernelINS0_14default_configENS1_33run_length_encode_config_selectorItjNS0_4plusIjEEEEZZNS1_33reduce_by_key_impl_wrapped_configILNS1_25lookback_scan_determinismE0ES3_S7_PKtNS0_17constant_iteratorIjlEEPtPlSF_S6_NS0_8equal_toItEEEE10hipError_tPvRmT2_T3_mT4_T5_T6_T7_T8_P12ihipStream_tbENKUlT_T0_E_clISt17integral_constantIbLb1EESY_IbLb0EEEEDaSU_SV_EUlSU_E_NS1_11comp_targetILNS1_3genE0ELNS1_11target_archE4294967295ELNS1_3gpuE0ELNS1_3repE0EEENS1_30default_config_static_selectorELNS0_4arch9wavefront6targetE1EEEvT1_
                                        ; -- End function
	.section	.AMDGPU.csdata,"",@progbits
; Kernel info:
; codeLenInByte = 0
; NumSgprs: 6
; NumVgprs: 0
; NumAgprs: 0
; TotalNumVgprs: 0
; ScratchSize: 0
; MemoryBound: 0
; FloatMode: 240
; IeeeMode: 1
; LDSByteSize: 0 bytes/workgroup (compile time only)
; SGPRBlocks: 0
; VGPRBlocks: 0
; NumSGPRsForWavesPerEU: 6
; NumVGPRsForWavesPerEU: 1
; AccumOffset: 4
; Occupancy: 8
; WaveLimiterHint : 0
; COMPUTE_PGM_RSRC2:SCRATCH_EN: 0
; COMPUTE_PGM_RSRC2:USER_SGPR: 2
; COMPUTE_PGM_RSRC2:TRAP_HANDLER: 0
; COMPUTE_PGM_RSRC2:TGID_X_EN: 1
; COMPUTE_PGM_RSRC2:TGID_Y_EN: 0
; COMPUTE_PGM_RSRC2:TGID_Z_EN: 0
; COMPUTE_PGM_RSRC2:TIDIG_COMP_CNT: 0
; COMPUTE_PGM_RSRC3_GFX90A:ACCUM_OFFSET: 0
; COMPUTE_PGM_RSRC3_GFX90A:TG_SPLIT: 0
	.section	.text._ZN7rocprim17ROCPRIM_400000_NS6detail17trampoline_kernelINS0_14default_configENS1_33run_length_encode_config_selectorItjNS0_4plusIjEEEEZZNS1_33reduce_by_key_impl_wrapped_configILNS1_25lookback_scan_determinismE0ES3_S7_PKtNS0_17constant_iteratorIjlEEPtPlSF_S6_NS0_8equal_toItEEEE10hipError_tPvRmT2_T3_mT4_T5_T6_T7_T8_P12ihipStream_tbENKUlT_T0_E_clISt17integral_constantIbLb1EESY_IbLb0EEEEDaSU_SV_EUlSU_E_NS1_11comp_targetILNS1_3genE5ELNS1_11target_archE942ELNS1_3gpuE9ELNS1_3repE0EEENS1_30default_config_static_selectorELNS0_4arch9wavefront6targetE1EEEvT1_,"axG",@progbits,_ZN7rocprim17ROCPRIM_400000_NS6detail17trampoline_kernelINS0_14default_configENS1_33run_length_encode_config_selectorItjNS0_4plusIjEEEEZZNS1_33reduce_by_key_impl_wrapped_configILNS1_25lookback_scan_determinismE0ES3_S7_PKtNS0_17constant_iteratorIjlEEPtPlSF_S6_NS0_8equal_toItEEEE10hipError_tPvRmT2_T3_mT4_T5_T6_T7_T8_P12ihipStream_tbENKUlT_T0_E_clISt17integral_constantIbLb1EESY_IbLb0EEEEDaSU_SV_EUlSU_E_NS1_11comp_targetILNS1_3genE5ELNS1_11target_archE942ELNS1_3gpuE9ELNS1_3repE0EEENS1_30default_config_static_selectorELNS0_4arch9wavefront6targetE1EEEvT1_,comdat
	.protected	_ZN7rocprim17ROCPRIM_400000_NS6detail17trampoline_kernelINS0_14default_configENS1_33run_length_encode_config_selectorItjNS0_4plusIjEEEEZZNS1_33reduce_by_key_impl_wrapped_configILNS1_25lookback_scan_determinismE0ES3_S7_PKtNS0_17constant_iteratorIjlEEPtPlSF_S6_NS0_8equal_toItEEEE10hipError_tPvRmT2_T3_mT4_T5_T6_T7_T8_P12ihipStream_tbENKUlT_T0_E_clISt17integral_constantIbLb1EESY_IbLb0EEEEDaSU_SV_EUlSU_E_NS1_11comp_targetILNS1_3genE5ELNS1_11target_archE942ELNS1_3gpuE9ELNS1_3repE0EEENS1_30default_config_static_selectorELNS0_4arch9wavefront6targetE1EEEvT1_ ; -- Begin function _ZN7rocprim17ROCPRIM_400000_NS6detail17trampoline_kernelINS0_14default_configENS1_33run_length_encode_config_selectorItjNS0_4plusIjEEEEZZNS1_33reduce_by_key_impl_wrapped_configILNS1_25lookback_scan_determinismE0ES3_S7_PKtNS0_17constant_iteratorIjlEEPtPlSF_S6_NS0_8equal_toItEEEE10hipError_tPvRmT2_T3_mT4_T5_T6_T7_T8_P12ihipStream_tbENKUlT_T0_E_clISt17integral_constantIbLb1EESY_IbLb0EEEEDaSU_SV_EUlSU_E_NS1_11comp_targetILNS1_3genE5ELNS1_11target_archE942ELNS1_3gpuE9ELNS1_3repE0EEENS1_30default_config_static_selectorELNS0_4arch9wavefront6targetE1EEEvT1_
	.globl	_ZN7rocprim17ROCPRIM_400000_NS6detail17trampoline_kernelINS0_14default_configENS1_33run_length_encode_config_selectorItjNS0_4plusIjEEEEZZNS1_33reduce_by_key_impl_wrapped_configILNS1_25lookback_scan_determinismE0ES3_S7_PKtNS0_17constant_iteratorIjlEEPtPlSF_S6_NS0_8equal_toItEEEE10hipError_tPvRmT2_T3_mT4_T5_T6_T7_T8_P12ihipStream_tbENKUlT_T0_E_clISt17integral_constantIbLb1EESY_IbLb0EEEEDaSU_SV_EUlSU_E_NS1_11comp_targetILNS1_3genE5ELNS1_11target_archE942ELNS1_3gpuE9ELNS1_3repE0EEENS1_30default_config_static_selectorELNS0_4arch9wavefront6targetE1EEEvT1_
	.p2align	8
	.type	_ZN7rocprim17ROCPRIM_400000_NS6detail17trampoline_kernelINS0_14default_configENS1_33run_length_encode_config_selectorItjNS0_4plusIjEEEEZZNS1_33reduce_by_key_impl_wrapped_configILNS1_25lookback_scan_determinismE0ES3_S7_PKtNS0_17constant_iteratorIjlEEPtPlSF_S6_NS0_8equal_toItEEEE10hipError_tPvRmT2_T3_mT4_T5_T6_T7_T8_P12ihipStream_tbENKUlT_T0_E_clISt17integral_constantIbLb1EESY_IbLb0EEEEDaSU_SV_EUlSU_E_NS1_11comp_targetILNS1_3genE5ELNS1_11target_archE942ELNS1_3gpuE9ELNS1_3repE0EEENS1_30default_config_static_selectorELNS0_4arch9wavefront6targetE1EEEvT1_,@function
_ZN7rocprim17ROCPRIM_400000_NS6detail17trampoline_kernelINS0_14default_configENS1_33run_length_encode_config_selectorItjNS0_4plusIjEEEEZZNS1_33reduce_by_key_impl_wrapped_configILNS1_25lookback_scan_determinismE0ES3_S7_PKtNS0_17constant_iteratorIjlEEPtPlSF_S6_NS0_8equal_toItEEEE10hipError_tPvRmT2_T3_mT4_T5_T6_T7_T8_P12ihipStream_tbENKUlT_T0_E_clISt17integral_constantIbLb1EESY_IbLb0EEEEDaSU_SV_EUlSU_E_NS1_11comp_targetILNS1_3genE5ELNS1_11target_archE942ELNS1_3gpuE9ELNS1_3repE0EEENS1_30default_config_static_selectorELNS0_4arch9wavefront6targetE1EEEvT1_: ; @_ZN7rocprim17ROCPRIM_400000_NS6detail17trampoline_kernelINS0_14default_configENS1_33run_length_encode_config_selectorItjNS0_4plusIjEEEEZZNS1_33reduce_by_key_impl_wrapped_configILNS1_25lookback_scan_determinismE0ES3_S7_PKtNS0_17constant_iteratorIjlEEPtPlSF_S6_NS0_8equal_toItEEEE10hipError_tPvRmT2_T3_mT4_T5_T6_T7_T8_P12ihipStream_tbENKUlT_T0_E_clISt17integral_constantIbLb1EESY_IbLb0EEEEDaSU_SV_EUlSU_E_NS1_11comp_targetILNS1_3genE5ELNS1_11target_archE942ELNS1_3gpuE9ELNS1_3repE0EEENS1_30default_config_static_selectorELNS0_4arch9wavefront6targetE1EEEvT1_
; %bb.0:
	s_load_dwordx8 s[36:43], s[0:1], 0x40
	s_load_dwordx4 s[4:7], s[0:1], 0x0
	s_load_dword s3, s[0:1], 0x10
	s_load_dwordx4 s[28:31], s[0:1], 0x60
	s_mov_b64 s[12:13], -1
	s_waitcnt lgkmcnt(0)
	s_mul_i32 s8, s40, s39
	s_mul_hi_u32 s9, s40, s38
	s_add_i32 s8, s9, s8
	s_mul_i32 s9, s41, s38
	s_add_i32 s9, s8, s9
	s_lshl_b64 s[6:7], s[6:7], 1
	s_add_u32 s6, s4, s6
	s_addc_u32 s7, s5, s7
	s_mul_i32 s4, s2, 0x1c00
	s_mov_b32 s5, 0
	s_lshl_b64 s[4:5], s[4:5], 1
	s_add_u32 s6, s6, s4
	s_mul_i32 s8, s40, s38
	s_addc_u32 s7, s7, s5
	s_add_u32 s8, s8, s2
	s_addc_u32 s9, s9, 0
	s_add_u32 s10, s42, -1
	s_addc_u32 s11, s43, -1
	s_cmp_eq_u64 s[8:9], s[10:11]
	s_cselect_b64 s[34:35], -1, 0
	s_cmp_lg_u64 s[8:9], s[10:11]
	s_cselect_b64 s[4:5], -1, 0
	s_mul_i32 s33, s10, 0xffffe400
	s_and_b64 vcc, exec, s[34:35]
	s_cbranch_vccnz .LBB806_2
; %bb.1:
	v_lshlrev_b32_e32 v2, 1, v0
	v_mov_b32_e32 v3, 0
	v_lshl_add_u64 v[4:5], s[6:7], 0, v[2:3]
	v_add_co_u32_e32 v6, vcc, 0x1000, v4
	global_load_ushort v1, v2, s[6:7]
	global_load_ushort v3, v2, s[6:7] offset:1024
	global_load_ushort v10, v2, s[6:7] offset:2048
	;; [unrolled: 1-line block ×3, first 2 shown]
	v_addc_co_u32_e32 v7, vcc, 0, v5, vcc
	v_add_co_u32_e32 v8, vcc, 0x2000, v4
	s_nop 1
	v_addc_co_u32_e32 v9, vcc, 0, v5, vcc
	v_add_co_u32_e32 v4, vcc, 0x3000, v4
	global_load_ushort v12, v[6:7], off
	global_load_ushort v13, v[6:7], off offset:1024
	global_load_ushort v14, v[6:7], off offset:2048
	;; [unrolled: 1-line block ×3, first 2 shown]
	global_load_ushort v16, v[8:9], off
	global_load_ushort v17, v[8:9], off offset:1024
	global_load_ushort v18, v[8:9], off offset:2048
	;; [unrolled: 1-line block ×3, first 2 shown]
	v_addc_co_u32_e32 v5, vcc, 0, v5, vcc
	global_load_ushort v6, v[4:5], off
	global_load_ushort v7, v[4:5], off offset:1024
	v_mad_u32_u24 v4, v0, 26, v2
	s_mov_b64 s[10:11], -1
	s_waitcnt vmcnt(13)
	ds_write_b16 v2, v1
	s_waitcnt vmcnt(12)
	ds_write_b16 v2, v3 offset:1024
	s_waitcnt vmcnt(11)
	ds_write_b16 v2, v10 offset:2048
	;; [unrolled: 2-line block ×13, first 2 shown]
	s_waitcnt lgkmcnt(0)
	s_barrier
	ds_read2_b32 v[12:13], v4 offset1:1
	ds_read2_b32 v[10:11], v4 offset0:2 offset1:3
	ds_read2_b32 v[8:9], v4 offset0:4 offset1:5
	ds_read_b32 v1, v4 offset:24
	s_add_i32 s33, s33, s28
	s_cbranch_execz .LBB806_3
	s_branch .LBB806_32
.LBB806_2:
	s_mov_b64 s[10:11], 0
                                        ; implicit-def: $vgpr12
                                        ; implicit-def: $vgpr10
                                        ; implicit-def: $vgpr8
                                        ; implicit-def: $vgpr1
	s_add_i32 s33, s33, s28
	s_andn2_b64 vcc, exec, s[12:13]
	s_cbranch_vccnz .LBB806_32
.LBB806_3:
	v_cmp_gt_u32_e32 vcc, s33, v0
                                        ; implicit-def: $vgpr1
	s_and_saveexec_b64 s[10:11], vcc
	s_cbranch_execz .LBB806_5
; %bb.4:
	s_waitcnt lgkmcnt(0)
	v_lshlrev_b32_e32 v1, 1, v0
	global_load_ushort v1, v1, s[6:7]
.LBB806_5:
	s_or_b64 exec, exec, s[10:11]
	v_or_b32_e32 v2, 0x200, v0
	v_cmp_gt_u32_e32 vcc, s33, v2
                                        ; implicit-def: $vgpr2
	s_and_saveexec_b64 s[10:11], vcc
	s_cbranch_execz .LBB806_7
; %bb.6:
	v_lshlrev_b32_e32 v2, 1, v0
	global_load_ushort v2, v2, s[6:7] offset:1024
.LBB806_7:
	s_or_b64 exec, exec, s[10:11]
	v_or_b32_e32 v3, 0x400, v0
	v_cmp_gt_u32_e32 vcc, s33, v3
                                        ; implicit-def: $vgpr3
	s_and_saveexec_b64 s[10:11], vcc
	s_cbranch_execz .LBB806_9
; %bb.8:
	v_lshlrev_b32_e32 v3, 1, v0
	global_load_ushort v3, v3, s[6:7] offset:2048
.LBB806_9:
	s_or_b64 exec, exec, s[10:11]
	v_or_b32_e32 v4, 0x600, v0
	v_cmp_gt_u32_e32 vcc, s33, v4
                                        ; implicit-def: $vgpr4
	s_and_saveexec_b64 s[10:11], vcc
	s_cbranch_execz .LBB806_11
; %bb.10:
	v_lshlrev_b32_e32 v4, 1, v0
	global_load_ushort v4, v4, s[6:7] offset:3072
.LBB806_11:
	s_or_b64 exec, exec, s[10:11]
	v_or_b32_e32 v6, 0x800, v0
	v_cmp_gt_u32_e32 vcc, s33, v6
                                        ; implicit-def: $vgpr5
	s_and_saveexec_b64 s[10:11], vcc
	s_cbranch_execz .LBB806_13
; %bb.12:
	v_lshlrev_b32_e32 v5, 1, v6
	global_load_ushort v5, v5, s[6:7]
.LBB806_13:
	s_or_b64 exec, exec, s[10:11]
	v_or_b32_e32 v7, 0xa00, v0
	v_cmp_gt_u32_e32 vcc, s33, v7
                                        ; implicit-def: $vgpr6
	s_and_saveexec_b64 s[10:11], vcc
	s_cbranch_execz .LBB806_15
; %bb.14:
	v_lshlrev_b32_e32 v6, 1, v7
	global_load_ushort v6, v6, s[6:7]
.LBB806_15:
	s_or_b64 exec, exec, s[10:11]
	s_waitcnt lgkmcnt(1)
	v_or_b32_e32 v8, 0xc00, v0
	v_cmp_gt_u32_e32 vcc, s33, v8
                                        ; implicit-def: $vgpr7
	s_and_saveexec_b64 s[10:11], vcc
	s_cbranch_execz .LBB806_17
; %bb.16:
	v_lshlrev_b32_e32 v7, 1, v8
	global_load_ushort v7, v7, s[6:7]
.LBB806_17:
	s_or_b64 exec, exec, s[10:11]
	v_or_b32_e32 v9, 0xe00, v0
	v_cmp_gt_u32_e32 vcc, s33, v9
                                        ; implicit-def: $vgpr8
	s_and_saveexec_b64 s[10:11], vcc
	s_cbranch_execz .LBB806_19
; %bb.18:
	v_lshlrev_b32_e32 v8, 1, v9
	global_load_ushort v8, v8, s[6:7]
.LBB806_19:
	s_or_b64 exec, exec, s[10:11]
	v_or_b32_e32 v10, 0x1000, v0
	v_cmp_gt_u32_e32 vcc, s33, v10
                                        ; implicit-def: $vgpr9
	s_and_saveexec_b64 s[10:11], vcc
	s_cbranch_execz .LBB806_21
; %bb.20:
	v_lshlrev_b32_e32 v9, 1, v10
	global_load_ushort v9, v9, s[6:7]
.LBB806_21:
	s_or_b64 exec, exec, s[10:11]
	v_or_b32_e32 v11, 0x1200, v0
	v_cmp_gt_u32_e32 vcc, s33, v11
                                        ; implicit-def: $vgpr10
	s_and_saveexec_b64 s[10:11], vcc
	s_cbranch_execz .LBB806_23
; %bb.22:
	v_lshlrev_b32_e32 v10, 1, v11
	global_load_ushort v10, v10, s[6:7]
.LBB806_23:
	s_or_b64 exec, exec, s[10:11]
	v_or_b32_e32 v12, 0x1400, v0
	v_cmp_gt_u32_e32 vcc, s33, v12
                                        ; implicit-def: $vgpr11
	s_and_saveexec_b64 s[10:11], vcc
	s_cbranch_execz .LBB806_25
; %bb.24:
	v_lshlrev_b32_e32 v11, 1, v12
	global_load_ushort v11, v11, s[6:7]
.LBB806_25:
	s_or_b64 exec, exec, s[10:11]
	v_or_b32_e32 v13, 0x1600, v0
	v_cmp_gt_u32_e32 vcc, s33, v13
                                        ; implicit-def: $vgpr12
	s_and_saveexec_b64 s[10:11], vcc
	s_cbranch_execz .LBB806_27
; %bb.26:
	v_lshlrev_b32_e32 v12, 1, v13
	global_load_ushort v12, v12, s[6:7]
.LBB806_27:
	s_or_b64 exec, exec, s[10:11]
	v_or_b32_e32 v14, 0x1800, v0
	v_cmp_gt_u32_e32 vcc, s33, v14
                                        ; implicit-def: $vgpr13
	s_and_saveexec_b64 s[10:11], vcc
	s_cbranch_execz .LBB806_29
; %bb.28:
	v_lshlrev_b32_e32 v13, 1, v14
	global_load_ushort v13, v13, s[6:7]
.LBB806_29:
	s_or_b64 exec, exec, s[10:11]
	v_or_b32_e32 v15, 0x1a00, v0
	v_cmp_gt_u32_e32 vcc, s33, v15
                                        ; implicit-def: $vgpr14
	s_and_saveexec_b64 s[10:11], vcc
	s_cbranch_execz .LBB806_31
; %bb.30:
	v_lshlrev_b32_e32 v14, 1, v15
	global_load_ushort v14, v14, s[6:7]
.LBB806_31:
	s_or_b64 exec, exec, s[10:11]
	v_lshlrev_b32_e32 v15, 1, v0
	s_waitcnt vmcnt(0) lgkmcnt(0)
	ds_write_b16 v15, v1
	ds_write_b16 v15, v2 offset:1024
	ds_write_b16 v15, v3 offset:2048
	;; [unrolled: 1-line block ×13, first 2 shown]
	v_mad_u32_u24 v1, v0, 26, v15
	s_waitcnt lgkmcnt(0)
	s_barrier
	ds_read2_b32 v[12:13], v1 offset1:1
	ds_read2_b32 v[10:11], v1 offset0:2 offset1:3
	ds_read2_b32 v[8:9], v1 offset0:4 offset1:5
	ds_read_b32 v1, v1 offset:24
	v_mad_u32_u24 v2, v0, 14, 13
	v_cmp_gt_u32_e64 s[10:11], s33, v2
.LBB806_32:
	v_mov_b32_e32 v44, s3
                                        ; implicit-def: $vgpr45
	s_and_saveexec_b64 s[12:13], s[10:11]
; %bb.33:
	v_mov_b32_e32 v45, s3
; %bb.34:
	s_or_b64 exec, exec, s[12:13]
	s_load_dwordx2 s[48:49], s[0:1], 0x70
	s_cmp_eq_u64 s[8:9], 0
	s_cselect_b64 s[44:45], -1, 0
	s_cmp_lg_u64 s[8:9], 0
	s_mov_b64 s[10:11], 0
	s_cselect_b64 s[12:13], -1, 0
	s_and_b64 vcc, exec, s[4:5]
	s_waitcnt lgkmcnt(0)
	s_barrier
	s_cbranch_vccz .LBB806_40
; %bb.35:
	s_and_b64 vcc, exec, s[12:13]
	s_cbranch_vccz .LBB806_41
; %bb.36:
	v_mov_b32_e32 v2, 0
	global_load_ushort v2, v2, s[6:7] offset:-2
	v_lshrrev_b32_e32 v4, 16, v1
	v_lshlrev_b32_e32 v3, 1, v0
	v_cmp_ne_u16_e32 vcc, v1, v4
	v_cmp_ne_u16_sdwa s[10:11], v9, v1 src0_sel:WORD_1 src1_sel:DWORD
	v_cmp_ne_u16_sdwa s[14:15], v9, v9 src0_sel:DWORD src1_sel:WORD_1
	v_cmp_ne_u16_sdwa s[16:17], v8, v9 src0_sel:WORD_1 src1_sel:DWORD
	v_cmp_ne_u16_sdwa s[18:19], v8, v8 src0_sel:DWORD src1_sel:WORD_1
	;; [unrolled: 2-line block ×6, first 2 shown]
	v_cmp_ne_u32_e64 s[4:5], 0, v0
	ds_write_b16 v3, v4
	s_waitcnt lgkmcnt(0)
	s_barrier
	s_and_saveexec_b64 s[52:53], s[4:5]
	s_cbranch_execz .LBB806_38
; %bb.37:
	s_waitcnt vmcnt(0)
	v_add_u32_e32 v2, -2, v3
	ds_read_u16 v2, v2
.LBB806_38:
	s_or_b64 exec, exec, s[52:53]
	v_cndmask_b32_e64 v48, 0, 1, vcc
	v_cndmask_b32_e64 v49, 0, 1, s[10:11]
	v_cndmask_b32_e64 v50, 0, 1, s[14:15]
	v_cndmask_b32_e64 v51, 0, 1, s[16:17]
	v_cndmask_b32_e64 v52, 0, 1, s[18:19]
	v_cndmask_b32_e64 v53, 0, 1, s[20:21]
	v_cndmask_b32_e64 v54, 0, 1, s[22:23]
	v_cndmask_b32_e64 v55, 0, 1, s[24:25]
	v_cndmask_b32_e64 v56, 0, 1, s[26:27]
	v_cndmask_b32_e64 v57, 0, 1, s[40:41]
	v_cndmask_b32_e64 v58, 0, 1, s[42:43]
	v_cndmask_b32_e64 v59, 0, 1, s[46:47]
	v_cndmask_b32_e64 v60, 0, 1, s[50:51]
	s_waitcnt vmcnt(0) lgkmcnt(0)
	v_cmp_ne_u16_e64 s[4:5], v2, v12
	s_mov_b64 s[10:11], -1
.LBB806_39:
                                        ; implicit-def: $sgpr3
	s_branch .LBB806_53
.LBB806_40:
                                        ; implicit-def: $sgpr4_sgpr5
                                        ; implicit-def: $vgpr48
                                        ; implicit-def: $vgpr49
                                        ; implicit-def: $vgpr50
                                        ; implicit-def: $vgpr51
                                        ; implicit-def: $vgpr52
                                        ; implicit-def: $vgpr53
                                        ; implicit-def: $vgpr54
                                        ; implicit-def: $vgpr55
                                        ; implicit-def: $vgpr56
                                        ; implicit-def: $vgpr57
                                        ; implicit-def: $vgpr58
                                        ; implicit-def: $vgpr59
                                        ; implicit-def: $vgpr60
                                        ; implicit-def: $sgpr3
	s_cbranch_execnz .LBB806_45
	s_branch .LBB806_53
.LBB806_41:
                                        ; implicit-def: $sgpr4_sgpr5
                                        ; implicit-def: $vgpr48
                                        ; implicit-def: $vgpr49
                                        ; implicit-def: $vgpr50
                                        ; implicit-def: $vgpr51
                                        ; implicit-def: $vgpr52
                                        ; implicit-def: $vgpr53
                                        ; implicit-def: $vgpr54
                                        ; implicit-def: $vgpr55
                                        ; implicit-def: $vgpr56
                                        ; implicit-def: $vgpr57
                                        ; implicit-def: $vgpr58
                                        ; implicit-def: $vgpr59
                                        ; implicit-def: $vgpr60
	s_cbranch_execz .LBB806_39
; %bb.42:
	v_cmp_ne_u16_sdwa s[4:5], v9, v1 src0_sel:WORD_1 src1_sel:DWORD
	v_lshrrev_b32_e32 v3, 16, v1
	v_cmp_ne_u16_e32 vcc, v1, v3
	v_cndmask_b32_e64 v49, 0, 1, s[4:5]
	v_cmp_ne_u16_sdwa s[4:5], v9, v9 src0_sel:DWORD src1_sel:WORD_1
	s_mov_b32 s3, 1
	v_lshlrev_b32_e32 v2, 1, v0
	v_cndmask_b32_e64 v50, 0, 1, s[4:5]
	v_cmp_ne_u16_sdwa s[4:5], v8, v9 src0_sel:WORD_1 src1_sel:DWORD
	v_cndmask_b32_e64 v48, 0, 1, vcc
	v_cmp_ne_u32_e32 vcc, 0, v0
	v_cndmask_b32_e64 v51, 0, 1, s[4:5]
	v_cmp_ne_u16_sdwa s[4:5], v8, v8 src0_sel:DWORD src1_sel:WORD_1
	ds_write_b16 v2, v3
	s_waitcnt lgkmcnt(0)
	v_cndmask_b32_e64 v52, 0, 1, s[4:5]
	v_cmp_ne_u16_sdwa s[4:5], v11, v8 src0_sel:WORD_1 src1_sel:DWORD
	s_barrier
	s_nop 0
	v_cndmask_b32_e64 v53, 0, 1, s[4:5]
	v_cmp_ne_u16_sdwa s[4:5], v11, v11 src0_sel:DWORD src1_sel:WORD_1
	s_nop 1
	v_cndmask_b32_e64 v54, 0, 1, s[4:5]
	v_cmp_ne_u16_sdwa s[4:5], v10, v11 src0_sel:WORD_1 src1_sel:DWORD
	s_nop 1
	v_cndmask_b32_e64 v55, 0, 1, s[4:5]
	v_cmp_ne_u16_sdwa s[4:5], v10, v10 src0_sel:DWORD src1_sel:WORD_1
	s_nop 1
	v_cndmask_b32_e64 v56, 0, 1, s[4:5]
	v_cmp_ne_u16_sdwa s[4:5], v13, v10 src0_sel:WORD_1 src1_sel:DWORD
	;; [unrolled: 6-line block ×3, first 2 shown]
	s_nop 1
	v_cndmask_b32_e64 v59, 0, 1, s[4:5]
	v_cmp_ne_u16_sdwa s[4:5], v12, v12 src0_sel:DWORD src1_sel:WORD_1
	s_nop 1
	v_cndmask_b32_e64 v60, 0, 1, s[4:5]
                                        ; implicit-def: $sgpr4_sgpr5
	s_and_saveexec_b64 s[14:15], vcc
	s_xor_b64 s[14:15], exec, s[14:15]
	s_cbranch_execz .LBB806_44
; %bb.43:
	v_add_u32_e32 v2, -2, v2
	ds_read_u16 v2, v2
	s_or_b64 s[10:11], s[10:11], exec
	s_waitcnt lgkmcnt(0)
	v_cmp_ne_u16_e32 vcc, v2, v12
	s_and_b64 s[4:5], vcc, exec
.LBB806_44:
	s_or_b64 exec, exec, s[14:15]
	s_branch .LBB806_53
.LBB806_45:
	s_mul_hi_u32 s4, s8, 0xffffe400
	s_mul_i32 s3, s9, 0xffffe400
	s_sub_i32 s4, s4, s8
	s_add_i32 s4, s4, s3
	s_mul_i32 s3, s8, 0xffffe400
	s_add_u32 s8, s3, s28
	s_addc_u32 s9, s4, s29
	s_and_b64 vcc, exec, s[12:13]
	s_cbranch_vccz .LBB806_50
; %bb.46:
	v_mov_b32_e32 v3, 0
	global_load_ushort v6, v3, s[6:7] offset:-2
	v_lshrrev_b32_e32 v7, 16, v1
	v_mad_u32_u24 v2, v0, 14, 13
	v_cmp_gt_u64_e32 vcc, s[8:9], v[2:3]
	v_cmp_ne_u16_e64 s[4:5], v1, v7
	v_mad_u32_u24 v2, v0, 14, 12
	s_and_b64 s[4:5], vcc, s[4:5]
	v_cmp_gt_u64_e32 vcc, s[8:9], v[2:3]
	v_cmp_ne_u16_sdwa s[6:7], v9, v1 src0_sel:WORD_1 src1_sel:DWORD
	v_mad_u32_u24 v2, v0, 14, 11
	s_and_b64 s[6:7], vcc, s[6:7]
	v_cmp_gt_u64_e32 vcc, s[8:9], v[2:3]
	v_cmp_ne_u16_sdwa s[10:11], v9, v9 src0_sel:DWORD src1_sel:WORD_1
	v_mad_u32_u24 v2, v0, 14, 10
	s_and_b64 s[10:11], vcc, s[10:11]
	v_cmp_gt_u64_e32 vcc, s[8:9], v[2:3]
	v_cmp_ne_u16_sdwa s[12:13], v8, v9 src0_sel:WORD_1 src1_sel:DWORD
	v_mad_u32_u24 v2, v0, 14, 9
	s_and_b64 s[12:13], vcc, s[12:13]
	v_cmp_gt_u64_e32 vcc, s[8:9], v[2:3]
	v_cmp_ne_u16_sdwa s[14:15], v8, v8 src0_sel:DWORD src1_sel:WORD_1
	;; [unrolled: 8-line block ×4, first 2 shown]
	v_mad_u32_u24 v2, v0, 14, 4
	s_and_b64 s[22:23], vcc, s[22:23]
	v_cmp_gt_u64_e32 vcc, s[8:9], v[2:3]
	v_cmp_ne_u16_sdwa s[24:25], v13, v10 src0_sel:WORD_1 src1_sel:DWORD
	v_mad_u32_u24 v2, v0, 14, 3
	v_mul_u32_u24_e32 v4, 14, v0
	s_and_b64 s[24:25], vcc, s[24:25]
	v_cmp_gt_u64_e32 vcc, s[8:9], v[2:3]
	v_cmp_ne_u16_sdwa s[26:27], v13, v13 src0_sel:DWORD src1_sel:WORD_1
	v_mad_u32_u24 v2, v0, 14, 2
	s_and_b64 s[26:27], vcc, s[26:27]
	v_cmp_gt_u64_e32 vcc, s[8:9], v[2:3]
	v_cmp_ne_u16_sdwa s[28:29], v12, v13 src0_sel:WORD_1 src1_sel:DWORD
	v_or_b32_e32 v2, 1, v4
	s_and_b64 s[28:29], vcc, s[28:29]
	v_cmp_gt_u64_e32 vcc, s[8:9], v[2:3]
	v_cmp_ne_u16_sdwa s[40:41], v12, v12 src0_sel:DWORD src1_sel:WORD_1
	v_lshlrev_b32_e32 v5, 1, v0
	s_and_b64 s[40:41], vcc, s[40:41]
	v_cmp_ne_u32_e32 vcc, 0, v0
	ds_write_b16 v5, v7
	s_waitcnt lgkmcnt(0)
	s_barrier
	s_and_saveexec_b64 s[42:43], vcc
	s_cbranch_execz .LBB806_48
; %bb.47:
	v_add_u32_e32 v2, -2, v5
	s_waitcnt vmcnt(0)
	ds_read_u16 v6, v2
.LBB806_48:
	s_or_b64 exec, exec, s[42:43]
	v_mov_b32_e32 v5, v3
	v_cndmask_b32_e64 v48, 0, 1, s[4:5]
	v_cmp_gt_u64_e32 vcc, s[8:9], v[4:5]
	s_waitcnt vmcnt(0) lgkmcnt(0)
	v_cmp_ne_u16_e64 s[4:5], v6, v12
	v_cndmask_b32_e64 v49, 0, 1, s[6:7]
	v_cndmask_b32_e64 v50, 0, 1, s[10:11]
	;; [unrolled: 1-line block ×12, first 2 shown]
	s_and_b64 s[4:5], vcc, s[4:5]
	s_mov_b64 s[10:11], -1
.LBB806_49:
                                        ; implicit-def: $sgpr3
	v_mov_b32_e32 v61, s3
	s_and_saveexec_b64 s[6:7], s[10:11]
	s_cbranch_execnz .LBB806_54
	s_branch .LBB806_55
.LBB806_50:
                                        ; implicit-def: $sgpr4_sgpr5
                                        ; implicit-def: $vgpr48
                                        ; implicit-def: $vgpr49
                                        ; implicit-def: $vgpr50
                                        ; implicit-def: $vgpr51
                                        ; implicit-def: $vgpr52
                                        ; implicit-def: $vgpr53
                                        ; implicit-def: $vgpr54
                                        ; implicit-def: $vgpr55
                                        ; implicit-def: $vgpr56
                                        ; implicit-def: $vgpr57
                                        ; implicit-def: $vgpr58
                                        ; implicit-def: $vgpr59
                                        ; implicit-def: $vgpr60
	s_cbranch_execz .LBB806_49
; %bb.51:
	v_lshrrev_b32_e32 v6, 16, v1
	v_mad_u32_u24 v4, v0, 14, 13
	v_mov_b32_e32 v5, 0
	v_cmp_gt_u64_e32 vcc, s[8:9], v[4:5]
	v_cmp_ne_u16_e64 s[4:5], v1, v6
	s_and_b64 s[4:5], vcc, s[4:5]
	v_mad_u32_u24 v4, v0, 14, 12
	v_cndmask_b32_e64 v48, 0, 1, s[4:5]
	v_cmp_gt_u64_e32 vcc, s[8:9], v[4:5]
	v_cmp_ne_u16_sdwa s[4:5], v9, v1 src0_sel:WORD_1 src1_sel:DWORD
	s_and_b64 s[4:5], vcc, s[4:5]
	v_mad_u32_u24 v4, v0, 14, 11
	v_cndmask_b32_e64 v49, 0, 1, s[4:5]
	v_cmp_gt_u64_e32 vcc, s[8:9], v[4:5]
	v_cmp_ne_u16_sdwa s[4:5], v9, v9 src0_sel:DWORD src1_sel:WORD_1
	s_and_b64 s[4:5], vcc, s[4:5]
	v_mad_u32_u24 v4, v0, 14, 10
	v_cndmask_b32_e64 v50, 0, 1, s[4:5]
	v_cmp_gt_u64_e32 vcc, s[8:9], v[4:5]
	v_cmp_ne_u16_sdwa s[4:5], v8, v9 src0_sel:WORD_1 src1_sel:DWORD
	s_and_b64 s[4:5], vcc, s[4:5]
	v_mad_u32_u24 v4, v0, 14, 9
	v_cndmask_b32_e64 v51, 0, 1, s[4:5]
	v_cmp_gt_u64_e32 vcc, s[8:9], v[4:5]
	v_cmp_ne_u16_sdwa s[4:5], v8, v8 src0_sel:DWORD src1_sel:WORD_1
	;; [unrolled: 10-line block ×5, first 2 shown]
	s_and_b64 s[4:5], vcc, s[4:5]
	v_mad_u32_u24 v4, v0, 14, 2
	v_mul_u32_u24_e32 v2, 14, v0
	v_cndmask_b32_e64 v58, 0, 1, s[4:5]
	v_cmp_gt_u64_e32 vcc, s[8:9], v[4:5]
	v_cmp_ne_u16_sdwa s[4:5], v12, v13 src0_sel:WORD_1 src1_sel:DWORD
	s_and_b64 s[4:5], vcc, s[4:5]
	v_or_b32_e32 v4, 1, v2
	v_cndmask_b32_e64 v59, 0, 1, s[4:5]
	v_cmp_gt_u64_e32 vcc, s[8:9], v[4:5]
	v_cmp_ne_u16_sdwa s[4:5], v12, v12 src0_sel:DWORD src1_sel:WORD_1
	s_and_b64 s[4:5], vcc, s[4:5]
	s_mov_b32 s3, 1
	v_lshlrev_b32_e32 v3, 1, v0
	v_cndmask_b32_e64 v60, 0, 1, s[4:5]
	v_cmp_ne_u32_e32 vcc, 0, v0
	ds_write_b16 v3, v6
	s_waitcnt lgkmcnt(0)
	s_barrier
	s_waitcnt lgkmcnt(0)
                                        ; implicit-def: $sgpr4_sgpr5
	s_and_saveexec_b64 s[6:7], vcc
	s_cbranch_execz .LBB806_148
; %bb.52:
	v_add_u32_e32 v3, -2, v3
	ds_read_u16 v4, v3
	v_mov_b32_e32 v3, v5
	v_cmp_gt_u64_e32 vcc, s[8:9], v[2:3]
	s_or_b64 s[10:11], s[10:11], exec
	s_waitcnt lgkmcnt(0)
	v_cmp_ne_u16_e64 s[4:5], v4, v12
	s_and_b64 s[4:5], vcc, s[4:5]
	s_and_b64 s[4:5], s[4:5], exec
	s_or_b64 exec, exec, s[6:7]
.LBB806_53:
	v_mov_b32_e32 v61, s3
	s_and_saveexec_b64 s[6:7], s[10:11]
.LBB806_54:
	v_cndmask_b32_e64 v61, 0, 1, s[4:5]
.LBB806_55:
	s_or_b64 exec, exec, s[6:7]
	s_load_dwordx4 s[40:43], s[0:1], 0x20
	s_load_dwordx2 s[46:47], s[0:1], 0x30
	s_cmp_eq_u64 s[38:39], 0
	v_add_u32_e32 v2, v60, v61
	s_cselect_b64 s[38:39], -1, 0
	s_cmp_lg_u32 s2, 0
	v_cmp_eq_u32_e64 s[22:23], 0, v60
	v_cmp_eq_u32_e64 s[20:21], 0, v59
	v_add3_u32 v63, v2, v59, v58
	v_cmp_eq_u32_e64 s[18:19], 0, v58
	v_cmp_eq_u32_e64 s[16:17], 0, v57
	;; [unrolled: 1-line block ×10, first 2 shown]
	v_cmp_eq_u32_e32 vcc, 0, v48
	v_mbcnt_lo_u32_b32 v62, -1, 0
	v_lshrrev_b32_e32 v46, 6, v0
	v_or_b32_e32 v47, 63, v0
	s_cbranch_scc0 .LBB806_86
; %bb.56:
	v_cndmask_b32_e64 v2, 0, v44, s[22:23]
	v_add_u32_e32 v2, v2, v44
	v_cndmask_b32_e64 v2, 0, v2, s[20:21]
	v_add_u32_e32 v2, v2, v44
	;; [unrolled: 2-line block ×10, first 2 shown]
	v_cndmask_b32_e64 v2, 0, v2, s[26:27]
	v_add3_u32 v3, v63, v57, v56
	v_add_u32_e32 v2, v2, v44
	v_add3_u32 v3, v3, v55, v54
	v_cndmask_b32_e64 v2, 0, v2, s[0:1]
	v_add3_u32 v3, v3, v53, v52
	v_add_u32_e32 v2, v2, v44
	v_add3_u32 v3, v3, v51, v50
	v_cndmask_b32_e32 v2, 0, v2, vcc
	v_add3_u32 v3, v3, v49, v48
	v_add_u32_e32 v2, v2, v45
	v_mbcnt_hi_u32_b32 v17, -1, v62
	v_and_b32_e32 v4, 15, v17
	v_mov_b32_dpp v6, v2 row_shr:1 row_mask:0xf bank_mask:0xf
	v_cmp_eq_u32_e32 vcc, 0, v3
	v_mov_b32_dpp v5, v3 row_shr:1 row_mask:0xf bank_mask:0xf
	v_cmp_lt_u32_e64 s[24:25], 1, v4
	v_cndmask_b32_e32 v6, 0, v6, vcc
	v_cmp_eq_u32_e32 vcc, 0, v4
	s_nop 1
	v_cndmask_b32_e64 v5, v5, 0, vcc
	v_add_u32_e32 v3, v5, v3
	v_cndmask_b32_e64 v5, v6, 0, vcc
	v_add_u32_e32 v2, v5, v2
	v_cmp_eq_u32_e32 vcc, 0, v3
	v_mov_b32_dpp v5, v3 row_shr:2 row_mask:0xf bank_mask:0xf
	v_mov_b32_dpp v6, v2 row_shr:2 row_mask:0xf bank_mask:0xf
	v_cndmask_b32_e64 v5, 0, v5, s[24:25]
	s_and_b64 vcc, s[24:25], vcc
	v_cndmask_b32_e32 v6, 0, v6, vcc
	v_add_u32_e32 v3, v3, v5
	v_add_u32_e32 v2, v6, v2
	v_cmp_eq_u32_e32 vcc, 0, v3
	v_mov_b32_dpp v5, v3 row_shr:4 row_mask:0xf bank_mask:0xf
	v_cmp_lt_u32_e64 s[24:25], 3, v4
	v_mov_b32_dpp v6, v2 row_shr:4 row_mask:0xf bank_mask:0xf
	s_and_b64 vcc, s[24:25], vcc
	v_cndmask_b32_e64 v5, 0, v5, s[24:25]
	v_cndmask_b32_e32 v6, 0, v6, vcc
	v_add_u32_e32 v3, v5, v3
	v_add_u32_e32 v2, v2, v6
	v_cmp_eq_u32_e32 vcc, 0, v3
	v_cmp_lt_u32_e64 s[24:25], 7, v4
	v_mov_b32_dpp v5, v3 row_shr:8 row_mask:0xf bank_mask:0xf
	v_mov_b32_dpp v6, v2 row_shr:8 row_mask:0xf bank_mask:0xf
	s_and_b64 vcc, s[24:25], vcc
	v_cndmask_b32_e64 v4, 0, v5, s[24:25]
	v_cndmask_b32_e32 v5, 0, v6, vcc
	v_add_u32_e32 v2, v5, v2
	v_add_u32_e32 v3, v4, v3
	v_bfe_i32 v6, v17, 4, 1
	v_mov_b32_dpp v5, v2 row_bcast:15 row_mask:0xf bank_mask:0xf
	v_mov_b32_dpp v4, v3 row_bcast:15 row_mask:0xf bank_mask:0xf
	v_cmp_eq_u32_e32 vcc, 0, v3
	v_and_b32_e32 v4, v6, v4
	v_add_u32_e32 v3, v4, v3
	v_cndmask_b32_e32 v5, 0, v5, vcc
	v_and_b32_e32 v4, v6, v5
	v_add_u32_e32 v4, v4, v2
	v_mov_b32_dpp v2, v3 row_bcast:31 row_mask:0xf bank_mask:0xf
	v_cmp_eq_u32_e32 vcc, 0, v3
	v_cmp_lt_u32_e64 s[24:25], 31, v17
	v_mov_b32_dpp v5, v4 row_bcast:31 row_mask:0xf bank_mask:0xf
	s_and_b64 vcc, s[24:25], vcc
	v_cndmask_b32_e64 v2, 0, v2, s[24:25]
	v_add_u32_e32 v2, v2, v3
	v_cndmask_b32_e32 v3, 0, v5, vcc
	v_add_u32_e32 v3, v3, v4
	v_cmp_eq_u32_e32 vcc, v47, v0
	v_lshlrev_b32_e32 v4, 3, v46
	s_and_saveexec_b64 s[24:25], vcc
	s_cbranch_execz .LBB806_58
; %bb.57:
	ds_write_b64 v4, v[2:3] offset:2064
.LBB806_58:
	s_or_b64 exec, exec, s[24:25]
	v_cmp_gt_u32_e32 vcc, 8, v0
	s_waitcnt lgkmcnt(0)
	s_barrier
	s_and_saveexec_b64 s[28:29], vcc
	s_cbranch_execz .LBB806_60
; %bb.59:
	v_lshlrev_b32_e32 v5, 3, v0
	ds_read_b64 v[6:7], v5 offset:2064
	v_and_b32_e32 v14, 7, v17
	v_cmp_lt_u32_e64 s[24:25], 1, v14
	s_waitcnt lgkmcnt(0)
	v_mov_b32_dpp v16, v7 row_shr:1 row_mask:0xf bank_mask:0xf
	v_cmp_eq_u32_e32 vcc, 0, v6
	v_mov_b32_dpp v15, v6 row_shr:1 row_mask:0xf bank_mask:0xf
	s_nop 0
	v_cndmask_b32_e32 v16, 0, v16, vcc
	v_cmp_eq_u32_e32 vcc, 0, v14
	s_nop 1
	v_cndmask_b32_e64 v15, v15, 0, vcc
	v_add_u32_e32 v6, v15, v6
	v_cndmask_b32_e64 v15, v16, 0, vcc
	v_add_u32_e32 v7, v15, v7
	v_cmp_eq_u32_e32 vcc, 0, v6
	v_mov_b32_dpp v15, v6 row_shr:2 row_mask:0xf bank_mask:0xf
	v_mov_b32_dpp v16, v7 row_shr:2 row_mask:0xf bank_mask:0xf
	v_cndmask_b32_e64 v15, 0, v15, s[24:25]
	s_and_b64 vcc, s[24:25], vcc
	v_cndmask_b32_e32 v16, 0, v16, vcc
	v_add_u32_e32 v6, v15, v6
	v_add_u32_e32 v7, v16, v7
	v_cmp_eq_u32_e32 vcc, 0, v6
	v_mov_b32_dpp v15, v6 row_shr:4 row_mask:0xf bank_mask:0xf
	v_cmp_lt_u32_e64 s[24:25], 3, v14
	v_mov_b32_dpp v16, v7 row_shr:4 row_mask:0xf bank_mask:0xf
	s_and_b64 vcc, s[24:25], vcc
	v_cndmask_b32_e64 v14, 0, v15, s[24:25]
	v_add_u32_e32 v6, v14, v6
	v_cndmask_b32_e32 v14, 0, v16, vcc
	v_add_u32_e32 v7, v14, v7
	ds_write_b64 v5, v[6:7] offset:2064
.LBB806_60:
	s_or_b64 exec, exec, s[28:29]
	v_cmp_gt_u32_e32 vcc, 64, v0
	v_cmp_lt_u32_e64 s[24:25], 63, v0
	v_mov_b32_e32 v14, 0
	v_mov_b32_e32 v15, 0
	s_waitcnt lgkmcnt(0)
	s_barrier
	s_and_saveexec_b64 s[28:29], s[24:25]
	s_cbranch_execz .LBB806_62
; %bb.61:
	ds_read_b64 v[14:15], v4 offset:2056
	v_cmp_eq_u32_e64 s[24:25], 0, v2
	s_waitcnt lgkmcnt(0)
	v_add_u32_e32 v4, v14, v2
	v_cndmask_b32_e64 v2, 0, v15, s[24:25]
	v_add_u32_e32 v3, v2, v3
	v_mov_b32_e32 v2, v4
.LBB806_62:
	s_or_b64 exec, exec, s[28:29]
	v_add_u32_e32 v4, -1, v17
	v_and_b32_e32 v5, 64, v17
	v_cmp_lt_i32_e64 s[24:25], v4, v5
	s_nop 1
	v_cndmask_b32_e64 v4, v4, v17, s[24:25]
	v_lshlrev_b32_e32 v4, 2, v4
	ds_bpermute_b32 v22, v4, v2
	ds_bpermute_b32 v23, v4, v3
	v_cmp_eq_u32_e64 s[24:25], 0, v17
	s_and_saveexec_b64 s[50:51], vcc
	s_cbranch_execz .LBB806_85
; %bb.63:
	v_mov_b32_e32 v7, 0
	ds_read_b64 v[2:3], v7 offset:2120
	s_waitcnt lgkmcnt(0)
	v_readfirstlane_b32 s3, v2
	v_readfirstlane_b32 s54, v3
	s_and_saveexec_b64 s[28:29], s[24:25]
	s_cbranch_execz .LBB806_65
; %bb.64:
	s_add_i32 s52, s2, 64
	s_mov_b32 s53, 0
	s_lshl_b64 s[56:57], s[52:53], 4
	s_add_u32 s56, s36, s56
	s_addc_u32 s57, s37, s57
	s_and_b32 s59, s54, 0xff000000
	s_mov_b32 s58, s53
	s_and_b32 s61, s54, 0xff0000
	s_mov_b32 s60, s53
	s_or_b64 s[58:59], s[60:61], s[58:59]
	s_and_b32 s61, s54, 0xff00
	s_or_b64 s[58:59], s[58:59], s[60:61]
	s_and_b32 s61, s54, 0xff
	s_or_b64 s[52:53], s[58:59], s[60:61]
	v_mov_b32_e32 v4, s3
	v_mov_b32_e32 v5, s53
	;; [unrolled: 1-line block ×3, first 2 shown]
	v_mov_b64_e32 v[2:3], s[56:57]
	;;#ASMSTART
	global_store_dwordx4 v[2:3], v[4:7] off sc1	
s_waitcnt vmcnt(0)
	;;#ASMEND
.LBB806_65:
	s_or_b64 exec, exec, s[28:29]
	v_xad_u32 v16, v17, -1, s2
	v_add_u32_e32 v6, 64, v16
	v_lshl_add_u64 v[18:19], v[6:7], 4, s[36:37]
	;;#ASMSTART
	global_load_dwordx4 v[2:5], v[18:19] off sc1	
s_waitcnt vmcnt(0)
	;;#ASMEND
	s_nop 0
	v_and_b32_e32 v5, 0xff, v3
	v_and_b32_e32 v6, 0xff00, v3
	v_or3_b32 v2, v2, 0, 0
	v_and_b32_e32 v20, 0xff000000, v3
	v_or3_b32 v5, 0, v5, v6
	;; [unrolled: 2-line block ×3, first 2 shown]
	v_or3_b32 v2, v2, 0, 0
	v_cmp_eq_u16_sdwa s[52:53], v4, v7 src0_sel:BYTE_0 src1_sel:DWORD
	s_and_saveexec_b64 s[28:29], s[52:53]
	s_cbranch_execz .LBB806_71
; %bb.66:
	s_mov_b32 s55, 1
	s_mov_b64 s[52:53], 0
	v_mov_b32_e32 v6, 0
.LBB806_67:                             ; =>This Loop Header: Depth=1
                                        ;     Child Loop BB806_68 Depth 2
	s_max_u32 s56, s55, 1
.LBB806_68:                             ;   Parent Loop BB806_67 Depth=1
                                        ; =>  This Inner Loop Header: Depth=2
	s_add_i32 s56, s56, -1
	s_cmp_eq_u32 s56, 0
	s_sleep 1
	s_cbranch_scc0 .LBB806_68
; %bb.69:                               ;   in Loop: Header=BB806_67 Depth=1
	s_cmp_lt_u32 s55, 32
	s_cselect_b64 s[56:57], -1, 0
	s_cmp_lg_u64 s[56:57], 0
	s_addc_u32 s55, s55, 0
	;;#ASMSTART
	global_load_dwordx4 v[2:5], v[18:19] off sc1	
s_waitcnt vmcnt(0)
	;;#ASMEND
	s_nop 0
	v_cmp_ne_u16_sdwa s[56:57], v4, v6 src0_sel:BYTE_0 src1_sel:DWORD
	s_or_b64 s[52:53], s[56:57], s[52:53]
	s_andn2_b64 exec, exec, s[52:53]
	s_cbranch_execnz .LBB806_67
; %bb.70:
	s_or_b64 exec, exec, s[52:53]
.LBB806_71:
	s_or_b64 exec, exec, s[28:29]
	v_mov_b32_e32 v24, 2
	v_cmp_eq_u16_sdwa s[28:29], v4, v24 src0_sel:BYTE_0 src1_sel:DWORD
	v_lshlrev_b64 v[18:19], v17, -1
	v_and_b32_e32 v25, 63, v17
	v_and_b32_e32 v5, s29, v19
	v_or_b32_e32 v5, 0x80000000, v5
	v_cmp_ne_u32_e32 vcc, 63, v25
	v_and_b32_e32 v6, s28, v18
	v_ffbl_b32_e32 v5, v5
	v_addc_co_u32_e32 v7, vcc, 0, v17, vcc
	v_add_u32_e32 v5, 32, v5
	v_ffbl_b32_e32 v6, v6
	v_lshlrev_b32_e32 v26, 2, v7
	v_min_u32_e32 v5, v6, v5
	ds_bpermute_b32 v6, v26, v3
	v_cmp_eq_u32_e32 vcc, 0, v2
	v_cmp_lt_u32_e64 s[28:29], v25, v5
	ds_bpermute_b32 v7, v26, v2
	s_and_b64 vcc, s[28:29], vcc
	s_waitcnt lgkmcnt(1)
	v_cndmask_b32_e32 v6, 0, v6, vcc
	v_cmp_gt_u32_e32 vcc, 62, v25
	v_add_u32_e32 v3, v6, v3
	s_waitcnt lgkmcnt(0)
	v_cndmask_b32_e64 v7, 0, v7, s[28:29]
	v_cndmask_b32_e64 v6, 0, 1, vcc
	v_lshlrev_b32_e32 v6, 1, v6
	v_add_lshl_u32 v27, v6, v17, 2
	ds_bpermute_b32 v6, v27, v3
	v_add_u32_e32 v2, v7, v2
	ds_bpermute_b32 v7, v27, v2
	v_add_u32_e32 v28, 2, v25
	v_cmp_eq_u32_e32 vcc, 0, v2
	v_add_u32_e32 v30, 4, v25
	v_add_u32_e32 v32, 8, v25
	s_waitcnt lgkmcnt(1)
	v_cndmask_b32_e32 v6, 0, v6, vcc
	v_cmp_gt_u32_e32 vcc, v28, v5
	v_add_u32_e32 v34, 16, v25
	v_add_u32_e32 v36, 32, v25
	v_cndmask_b32_e64 v6, v6, 0, vcc
	v_add_u32_e32 v3, v6, v3
	s_waitcnt lgkmcnt(0)
	v_cndmask_b32_e64 v6, v7, 0, vcc
	v_cmp_gt_u32_e32 vcc, 60, v25
	v_add_u32_e32 v2, v2, v6
	s_nop 0
	v_cndmask_b32_e64 v7, 0, 1, vcc
	v_lshlrev_b32_e32 v7, 2, v7
	v_add_lshl_u32 v29, v7, v17, 2
	ds_bpermute_b32 v7, v29, v3
	ds_bpermute_b32 v6, v29, v2
	v_cmp_eq_u32_e32 vcc, 0, v2
	s_waitcnt lgkmcnt(1)
	s_nop 0
	v_cndmask_b32_e32 v7, 0, v7, vcc
	v_cmp_gt_u32_e32 vcc, v30, v5
	s_nop 1
	v_cndmask_b32_e64 v7, v7, 0, vcc
	s_waitcnt lgkmcnt(0)
	v_cndmask_b32_e64 v6, v6, 0, vcc
	v_cmp_gt_u32_e32 vcc, 56, v25
	v_add_u32_e32 v3, v3, v7
	v_add_u32_e32 v2, v2, v6
	v_cndmask_b32_e64 v7, 0, 1, vcc
	v_lshlrev_b32_e32 v7, 3, v7
	v_add_lshl_u32 v31, v7, v17, 2
	ds_bpermute_b32 v7, v31, v3
	ds_bpermute_b32 v6, v31, v2
	v_cmp_eq_u32_e32 vcc, 0, v2
	s_waitcnt lgkmcnt(1)
	s_nop 0
	v_cndmask_b32_e32 v7, 0, v7, vcc
	v_cmp_gt_u32_e32 vcc, v32, v5
	s_nop 1
	v_cndmask_b32_e64 v7, v7, 0, vcc
	s_waitcnt lgkmcnt(0)
	v_cndmask_b32_e64 v6, v6, 0, vcc
	v_cmp_gt_u32_e32 vcc, 48, v25
	v_add_u32_e32 v3, v3, v7
	v_add_u32_e32 v2, v2, v6
	;; [unrolled: 17-line block ×3, first 2 shown]
	v_cndmask_b32_e64 v7, 0, 1, vcc
	v_lshlrev_b32_e32 v7, 5, v7
	v_add_lshl_u32 v35, v7, v17, 2
	ds_bpermute_b32 v7, v35, v3
	ds_bpermute_b32 v6, v35, v2
	v_cmp_eq_u32_e32 vcc, 0, v2
	v_mov_b32_e32 v17, 0
	s_waitcnt lgkmcnt(1)
	v_cndmask_b32_e32 v7, 0, v7, vcc
	v_cmp_gt_u32_e32 vcc, v36, v5
	s_nop 1
	v_cndmask_b32_e64 v5, v7, 0, vcc
	v_add_u32_e32 v3, v5, v3
	s_waitcnt lgkmcnt(0)
	v_cndmask_b32_e64 v5, v6, 0, vcc
	v_add_u32_e32 v2, v5, v2
	s_branch .LBB806_73
.LBB806_72:                             ;   in Loop: Header=BB806_73 Depth=1
	s_or_b64 exec, exec, s[28:29]
	v_cmp_eq_u16_sdwa s[28:29], v4, v24 src0_sel:BYTE_0 src1_sel:DWORD
	v_cmp_eq_u32_e32 vcc, 0, v2
	ds_bpermute_b32 v21, v26, v2
	v_and_b32_e32 v5, s29, v19
	v_or_b32_e32 v5, 0x80000000, v5
	v_and_b32_e32 v20, s28, v18
	v_ffbl_b32_e32 v5, v5
	v_add_u32_e32 v5, 32, v5
	v_ffbl_b32_e32 v20, v20
	v_min_u32_e32 v5, v20, v5
	ds_bpermute_b32 v20, v26, v3
	v_cmp_lt_u32_e64 s[28:29], v25, v5
	s_and_b64 vcc, s[28:29], vcc
	v_subrev_u32_e32 v16, 64, v16
	s_waitcnt lgkmcnt(1)
	v_cndmask_b32_e64 v21, 0, v21, s[28:29]
	s_waitcnt lgkmcnt(0)
	v_cndmask_b32_e32 v20, 0, v20, vcc
	v_add_u32_e32 v3, v20, v3
	ds_bpermute_b32 v20, v27, v3
	v_add_u32_e32 v2, v21, v2
	v_cmp_eq_u32_e32 vcc, 0, v2
	ds_bpermute_b32 v21, v27, v2
	s_waitcnt lgkmcnt(1)
	v_cndmask_b32_e32 v20, 0, v20, vcc
	v_cmp_gt_u32_e32 vcc, v28, v5
	s_nop 1
	v_cndmask_b32_e64 v20, v20, 0, vcc
	v_add_u32_e32 v3, v20, v3
	ds_bpermute_b32 v20, v29, v3
	s_waitcnt lgkmcnt(1)
	v_cndmask_b32_e64 v21, v21, 0, vcc
	v_add_u32_e32 v2, v2, v21
	v_cmp_eq_u32_e32 vcc, 0, v2
	ds_bpermute_b32 v21, v29, v2
	s_waitcnt lgkmcnt(1)
	v_cndmask_b32_e32 v20, 0, v20, vcc
	v_cmp_gt_u32_e32 vcc, v30, v5
	s_nop 1
	v_cndmask_b32_e64 v20, v20, 0, vcc
	v_add_u32_e32 v3, v3, v20
	ds_bpermute_b32 v20, v31, v3
	s_waitcnt lgkmcnt(1)
	v_cndmask_b32_e64 v21, v21, 0, vcc
	v_add_u32_e32 v2, v2, v21
	ds_bpermute_b32 v21, v31, v2
	v_cmp_eq_u32_e32 vcc, 0, v2
	s_waitcnt lgkmcnt(1)
	s_nop 0
	v_cndmask_b32_e32 v20, 0, v20, vcc
	v_cmp_gt_u32_e32 vcc, v32, v5
	s_nop 1
	v_cndmask_b32_e64 v20, v20, 0, vcc
	v_add_u32_e32 v3, v3, v20
	ds_bpermute_b32 v20, v33, v3
	s_waitcnt lgkmcnt(1)
	v_cndmask_b32_e64 v21, v21, 0, vcc
	v_add_u32_e32 v2, v2, v21
	ds_bpermute_b32 v21, v33, v2
	v_cmp_eq_u32_e32 vcc, 0, v2
	s_waitcnt lgkmcnt(1)
	s_nop 0
	;; [unrolled: 13-line block ×3, first 2 shown]
	v_cndmask_b32_e32 v20, 0, v20, vcc
	v_cmp_gt_u32_e32 vcc, v36, v5
	s_nop 1
	v_cndmask_b32_e64 v5, v20, 0, vcc
	v_add_u32_e32 v3, v5, v3
	s_waitcnt lgkmcnt(0)
	v_cndmask_b32_e64 v5, v21, 0, vcc
	v_cmp_eq_u32_e32 vcc, 0, v6
	v_add3_u32 v2, v2, v6, v5
	s_nop 0
	v_cndmask_b32_e32 v3, 0, v3, vcc
	v_add_u32_e32 v3, v3, v7
.LBB806_73:                             ; =>This Loop Header: Depth=1
                                        ;     Child Loop BB806_76 Depth 2
                                        ;       Child Loop BB806_77 Depth 3
	v_cmp_ne_u16_sdwa s[28:29], v4, v24 src0_sel:BYTE_0 src1_sel:DWORD
	v_mov_b32_e32 v7, v3
	v_mov_b32_e32 v6, v2
	v_cndmask_b32_e64 v3, 0, 1, s[28:29]
	;;#ASMSTART
	;;#ASMEND
	s_nop 0
	v_cmp_ne_u32_e32 vcc, 0, v3
	s_cmp_lg_u64 vcc, exec
	s_cbranch_scc1 .LBB806_80
; %bb.74:                               ;   in Loop: Header=BB806_73 Depth=1
	v_lshl_add_u64 v[20:21], v[16:17], 4, s[36:37]
	;;#ASMSTART
	global_load_dwordx4 v[2:5], v[20:21] off sc1	
s_waitcnt vmcnt(0)
	;;#ASMEND
	s_nop 0
	v_and_b32_e32 v5, 0xff, v3
	v_and_b32_e32 v37, 0xff00, v3
	v_or3_b32 v2, v2, 0, 0
	v_and_b32_e32 v38, 0xff000000, v3
	v_or3_b32 v5, 0, v5, v37
	;; [unrolled: 2-line block ×3, first 2 shown]
	v_or3_b32 v2, v2, 0, 0
	v_cmp_eq_u16_sdwa s[52:53], v4, v17 src0_sel:BYTE_0 src1_sel:DWORD
	s_and_saveexec_b64 s[28:29], s[52:53]
	s_cbranch_execz .LBB806_72
; %bb.75:                               ;   in Loop: Header=BB806_73 Depth=1
	s_mov_b32 s55, 1
	s_mov_b64 s[52:53], 0
.LBB806_76:                             ;   Parent Loop BB806_73 Depth=1
                                        ; =>  This Loop Header: Depth=2
                                        ;       Child Loop BB806_77 Depth 3
	s_max_u32 s56, s55, 1
.LBB806_77:                             ;   Parent Loop BB806_73 Depth=1
                                        ;     Parent Loop BB806_76 Depth=2
                                        ; =>    This Inner Loop Header: Depth=3
	s_add_i32 s56, s56, -1
	s_cmp_eq_u32 s56, 0
	s_sleep 1
	s_cbranch_scc0 .LBB806_77
; %bb.78:                               ;   in Loop: Header=BB806_76 Depth=2
	s_cmp_lt_u32 s55, 32
	s_cselect_b64 s[56:57], -1, 0
	s_cmp_lg_u64 s[56:57], 0
	s_addc_u32 s55, s55, 0
	;;#ASMSTART
	global_load_dwordx4 v[2:5], v[20:21] off sc1	
s_waitcnt vmcnt(0)
	;;#ASMEND
	s_nop 0
	v_cmp_ne_u16_sdwa s[56:57], v4, v17 src0_sel:BYTE_0 src1_sel:DWORD
	s_or_b64 s[52:53], s[56:57], s[52:53]
	s_andn2_b64 exec, exec, s[52:53]
	s_cbranch_execnz .LBB806_76
; %bb.79:                               ;   in Loop: Header=BB806_73 Depth=1
	s_or_b64 exec, exec, s[52:53]
	s_branch .LBB806_72
.LBB806_80:                             ;   in Loop: Header=BB806_73 Depth=1
                                        ; implicit-def: $vgpr3
                                        ; implicit-def: $vgpr2
                                        ; implicit-def: $vgpr4
	s_cbranch_execz .LBB806_73
; %bb.81:
	s_and_saveexec_b64 s[28:29], s[24:25]
	s_cbranch_execz .LBB806_83
; %bb.82:
	s_cmp_eq_u32 s3, 0
	s_cselect_b64 vcc, -1, 0
	s_mov_b32 s53, 0
	v_cndmask_b32_e32 v2, 0, v7, vcc
	s_add_i32 s52, s2, 64
	v_add_u32_e32 v2, s54, v2
	s_lshl_b64 s[52:53], s[52:53], 4
	s_add_u32 s52, s36, s52
	v_and_b32_e32 v3, 0xff000000, v2
	v_and_b32_e32 v4, 0xff0000, v2
	s_addc_u32 s53, s37, s53
	v_or_b32_e32 v3, v4, v3
	v_and_b32_e32 v4, 0xff00, v2
	v_and_b32_e32 v2, 0xff, v2
	v_add_u32_e32 v16, s3, v6
	v_mov_b32_e32 v19, 0
	v_or3_b32 v17, v3, v4, v2
	v_mov_b32_e32 v18, 2
	v_mov_b64_e32 v[2:3], s[52:53]
	;;#ASMSTART
	global_store_dwordx4 v[2:3], v[16:19] off sc1	
s_waitcnt vmcnt(0)
	;;#ASMEND
	v_mov_b32_e32 v4, s3
	v_mov_b32_e32 v5, s54
	ds_write_b128 v19, v[4:7] offset:2048
.LBB806_83:
	s_or_b64 exec, exec, s[28:29]
	v_cmp_eq_u32_e32 vcc, 0, v0
	s_and_b64 exec, exec, vcc
	s_cbranch_execz .LBB806_85
; %bb.84:
	v_mov_b32_e32 v2, 0
	ds_write_b64 v2, v[6:7] offset:2120
.LBB806_85:
	s_or_b64 exec, exec, s[50:51]
	v_mov_b32_e32 v4, 0
	s_waitcnt lgkmcnt(0)
	s_barrier
	ds_read_b64 v[2:3], v4 offset:2120
	v_cndmask_b32_e64 v6, v22, v14, s[24:25]
	v_cmp_eq_u32_e32 vcc, 0, v6
	v_cndmask_b32_e64 v5, v23, v15, s[24:25]
	s_waitcnt lgkmcnt(0)
	v_cndmask_b32_e32 v7, 0, v3, vcc
	v_add_u32_e32 v5, v7, v5
	v_cmp_eq_u32_e32 vcc, 0, v0
	s_barrier
	s_nop 0
	v_cndmask_b32_e32 v43, v5, v3, vcc
	v_cndmask_b32_e64 v3, v6, 0, vcc
	v_cmp_eq_u32_e32 vcc, 0, v61
	v_add_u32_e32 v42, v2, v3
	v_add_u32_e32 v40, v42, v61
	v_cndmask_b32_e32 v2, 0, v43, vcc
	v_add_u32_e32 v41, v2, v44
	v_cndmask_b32_e64 v2, 0, v41, s[22:23]
	v_add_u32_e32 v39, v2, v44
	v_cndmask_b32_e64 v2, 0, v39, s[20:21]
	;; [unrolled: 2-line block ×7, first 2 shown]
	v_add_u32_e32 v38, v40, v60
	v_add_u32_e32 v27, v2, v44
	;; [unrolled: 1-line block ×3, first 2 shown]
	v_cndmask_b32_e64 v2, 0, v27, s[8:9]
	v_add_u32_e32 v34, v36, v58
	v_add_u32_e32 v25, v2, v44
	;; [unrolled: 1-line block ×3, first 2 shown]
	v_cndmask_b32_e64 v2, 0, v25, s[6:7]
	v_add_u32_e32 v30, v32, v56
	v_add_u32_e32 v23, v2, v44
	ds_read_b128 v[4:7], v4 offset:2048
	v_add_u32_e32 v28, v30, v55
	v_cndmask_b32_e64 v2, 0, v23, s[4:5]
	v_add_u32_e32 v26, v28, v54
	v_add_u32_e32 v21, v2, v44
	;; [unrolled: 1-line block ×3, first 2 shown]
	v_cndmask_b32_e64 v2, 0, v21, s[26:27]
	v_add_u32_e32 v22, v24, v52
	v_add_u32_e32 v17, v2, v44
	;; [unrolled: 1-line block ×3, first 2 shown]
	v_cndmask_b32_e64 v2, 0, v17, s[0:1]
	s_waitcnt lgkmcnt(0)
	v_cmp_eq_u32_e32 vcc, 0, v4
	v_add_u32_e32 v16, v20, v50
	v_add_u32_e32 v19, v2, v44
	v_cndmask_b32_e32 v2, 0, v7, vcc
	v_add_u32_e32 v18, v16, v49
	v_add_u32_e32 v14, v2, v5
	s_branch .LBB806_98
.LBB806_86:
                                        ; implicit-def: $vgpr4
                                        ; implicit-def: $vgpr14
                                        ; implicit-def: $vgpr18_vgpr19
                                        ; implicit-def: $vgpr16_vgpr17
                                        ; implicit-def: $vgpr20_vgpr21
                                        ; implicit-def: $vgpr22_vgpr23
                                        ; implicit-def: $vgpr42_vgpr43
                                        ; implicit-def: $vgpr40_vgpr41
                                        ; implicit-def: $vgpr38_vgpr39
                                        ; implicit-def: $vgpr36_vgpr37
                                        ; implicit-def: $vgpr34_vgpr35
                                        ; implicit-def: $vgpr32_vgpr33
                                        ; implicit-def: $vgpr30_vgpr31
                                        ; implicit-def: $vgpr28_vgpr29
                                        ; implicit-def: $vgpr26_vgpr27
                                        ; implicit-def: $vgpr24_vgpr25
	s_cbranch_execz .LBB806_98
; %bb.87:
	s_and_b64 s[0:1], s[38:39], exec
	s_cselect_b32 s1, 0, s49
	s_cselect_b32 s0, 0, s48
	s_cmp_eq_u64 s[0:1], 0
	v_mov_b32_e32 v6, v44
	s_cbranch_scc1 .LBB806_89
; %bb.88:
	v_mov_b32_e32 v2, 0
	global_load_dword v6, v2, s[0:1]
.LBB806_89:
	v_cmp_eq_u32_e64 s[0:1], 0, v60
	v_cmp_eq_u32_e64 s[2:3], 0, v59
	v_cmp_eq_u32_e64 s[4:5], 0, v58
	v_cndmask_b32_e64 v2, 0, v44, s[0:1]
	v_add_u32_e32 v2, v2, v44
	v_cndmask_b32_e64 v2, 0, v2, s[2:3]
	v_add_u32_e32 v2, v2, v44
	v_cndmask_b32_e64 v2, 0, v2, s[4:5]
	v_add_u32_e32 v2, v2, v44
	v_cmp_eq_u32_e64 s[6:7], 0, v57
	v_cmp_eq_u32_e64 s[8:9], 0, v56
	v_cmp_eq_u32_e64 s[10:11], 0, v55
	v_cndmask_b32_e64 v2, 0, v2, s[6:7]
	v_add_u32_e32 v2, v2, v44
	v_cndmask_b32_e64 v2, 0, v2, s[8:9]
	v_add_u32_e32 v2, v2, v44
	v_cndmask_b32_e64 v2, 0, v2, s[10:11]
	v_add_u32_e32 v2, v2, v44
	;; [unrolled: 9-line block ×3, first 2 shown]
	v_cmp_eq_u32_e64 s[18:19], 0, v51
	v_cmp_eq_u32_e64 s[20:21], 0, v50
	v_add3_u32 v3, v63, v57, v56
	v_cndmask_b32_e64 v2, 0, v2, s[18:19]
	v_add_u32_e32 v2, v2, v44
	v_cndmask_b32_e64 v2, 0, v2, s[20:21]
	v_add_u32_e32 v2, v2, v44
	v_cmp_eq_u32_e32 vcc, 0, v49
	v_add3_u32 v3, v3, v55, v54
	v_add3_u32 v3, v3, v53, v52
	v_cndmask_b32_e32 v2, 0, v2, vcc
	v_add_u32_e32 v2, v2, v44
	v_cmp_eq_u32_e64 s[22:23], 0, v48
	v_add3_u32 v3, v3, v51, v50
	v_add3_u32 v3, v3, v49, v48
	v_cndmask_b32_e64 v2, 0, v2, s[22:23]
	v_add_u32_e32 v2, v2, v45
	v_mbcnt_hi_u32_b32 v7, -1, v62
	v_and_b32_e32 v4, 15, v7
	v_mov_b32_dpp v14, v2 row_shr:1 row_mask:0xf bank_mask:0xf
	v_cmp_eq_u32_e64 s[22:23], 0, v3
	v_mov_b32_dpp v5, v3 row_shr:1 row_mask:0xf bank_mask:0xf
	v_cmp_lt_u32_e64 s[24:25], 1, v4
	v_cndmask_b32_e64 v14, 0, v14, s[22:23]
	v_cmp_eq_u32_e64 s[22:23], 0, v4
	s_nop 1
	v_cndmask_b32_e64 v5, v5, 0, s[22:23]
	v_add_u32_e32 v3, v5, v3
	v_cndmask_b32_e64 v5, v14, 0, s[22:23]
	v_add_u32_e32 v2, v5, v2
	v_cmp_eq_u32_e64 s[22:23], 0, v3
	v_mov_b32_dpp v5, v3 row_shr:2 row_mask:0xf bank_mask:0xf
	v_mov_b32_dpp v14, v2 row_shr:2 row_mask:0xf bank_mask:0xf
	v_cndmask_b32_e64 v5, 0, v5, s[24:25]
	s_and_b64 s[22:23], s[24:25], s[22:23]
	v_cndmask_b32_e64 v14, 0, v14, s[22:23]
	v_add_u32_e32 v3, v3, v5
	v_add_u32_e32 v2, v14, v2
	v_cmp_eq_u32_e64 s[22:23], 0, v3
	v_mov_b32_dpp v5, v3 row_shr:4 row_mask:0xf bank_mask:0xf
	v_cmp_lt_u32_e64 s[24:25], 3, v4
	v_mov_b32_dpp v14, v2 row_shr:4 row_mask:0xf bank_mask:0xf
	s_and_b64 s[22:23], s[24:25], s[22:23]
	v_cndmask_b32_e64 v5, 0, v5, s[24:25]
	v_cndmask_b32_e64 v14, 0, v14, s[22:23]
	v_add_u32_e32 v3, v5, v3
	v_add_u32_e32 v2, v2, v14
	v_cmp_eq_u32_e64 s[22:23], 0, v3
	v_cmp_lt_u32_e64 s[24:25], 7, v4
	v_mov_b32_dpp v5, v3 row_shr:8 row_mask:0xf bank_mask:0xf
	v_mov_b32_dpp v14, v2 row_shr:8 row_mask:0xf bank_mask:0xf
	s_and_b64 s[22:23], s[24:25], s[22:23]
	v_cndmask_b32_e64 v4, 0, v5, s[24:25]
	v_cndmask_b32_e64 v5, 0, v14, s[22:23]
	v_add_u32_e32 v2, v5, v2
	v_add_u32_e32 v3, v4, v3
	v_bfe_i32 v14, v7, 4, 1
	v_mov_b32_dpp v5, v2 row_bcast:15 row_mask:0xf bank_mask:0xf
	v_mov_b32_dpp v4, v3 row_bcast:15 row_mask:0xf bank_mask:0xf
	v_cmp_eq_u32_e64 s[22:23], 0, v3
	v_and_b32_e32 v4, v14, v4
	v_add_u32_e32 v3, v4, v3
	v_cndmask_b32_e64 v5, 0, v5, s[22:23]
	v_and_b32_e32 v4, v14, v5
	v_add_u32_e32 v4, v4, v2
	v_mov_b32_dpp v2, v3 row_bcast:31 row_mask:0xf bank_mask:0xf
	v_cmp_eq_u32_e64 s[22:23], 0, v3
	v_cmp_lt_u32_e64 s[24:25], 31, v7
	v_mov_b32_dpp v5, v4 row_bcast:31 row_mask:0xf bank_mask:0xf
	s_and_b64 s[22:23], s[24:25], s[22:23]
	v_cndmask_b32_e64 v2, 0, v2, s[24:25]
	v_add_u32_e32 v2, v2, v3
	v_cndmask_b32_e64 v3, 0, v5, s[22:23]
	v_add_u32_e32 v3, v3, v4
	v_cmp_eq_u32_e64 s[22:23], v47, v0
	s_and_saveexec_b64 s[24:25], s[22:23]
	s_cbranch_execz .LBB806_91
; %bb.90:
	v_lshlrev_b32_e32 v4, 3, v46
	ds_write_b64 v4, v[2:3] offset:2064
.LBB806_91:
	s_or_b64 exec, exec, s[24:25]
	v_cmp_gt_u32_e64 s[22:23], 8, v0
	s_waitcnt lgkmcnt(0)
	s_barrier
	s_and_saveexec_b64 s[26:27], s[22:23]
	s_cbranch_execz .LBB806_93
; %bb.92:
	v_lshlrev_b32_e32 v14, 3, v0
	ds_read_b64 v[4:5], v14 offset:2064
	v_and_b32_e32 v15, 7, v7
	v_cmp_lt_u32_e64 s[24:25], 1, v15
	s_waitcnt lgkmcnt(0)
	v_mov_b32_dpp v17, v5 row_shr:1 row_mask:0xf bank_mask:0xf
	v_cmp_eq_u32_e64 s[22:23], 0, v4
	v_mov_b32_dpp v16, v4 row_shr:1 row_mask:0xf bank_mask:0xf
	s_nop 0
	v_cndmask_b32_e64 v17, 0, v17, s[22:23]
	v_cmp_eq_u32_e64 s[22:23], 0, v15
	s_nop 1
	v_cndmask_b32_e64 v16, v16, 0, s[22:23]
	v_add_u32_e32 v4, v16, v4
	v_cndmask_b32_e64 v16, v17, 0, s[22:23]
	v_add_u32_e32 v5, v16, v5
	v_cmp_eq_u32_e64 s[22:23], 0, v4
	v_mov_b32_dpp v16, v4 row_shr:2 row_mask:0xf bank_mask:0xf
	v_mov_b32_dpp v17, v5 row_shr:2 row_mask:0xf bank_mask:0xf
	v_cndmask_b32_e64 v16, 0, v16, s[24:25]
	s_and_b64 s[22:23], s[24:25], s[22:23]
	v_cndmask_b32_e64 v17, 0, v17, s[22:23]
	v_add_u32_e32 v4, v16, v4
	v_add_u32_e32 v5, v17, v5
	v_cmp_eq_u32_e64 s[22:23], 0, v4
	v_mov_b32_dpp v16, v4 row_shr:4 row_mask:0xf bank_mask:0xf
	v_cmp_lt_u32_e64 s[24:25], 3, v15
	v_mov_b32_dpp v17, v5 row_shr:4 row_mask:0xf bank_mask:0xf
	s_and_b64 s[22:23], s[24:25], s[22:23]
	v_cndmask_b32_e64 v15, 0, v16, s[24:25]
	v_add_u32_e32 v4, v15, v4
	v_cndmask_b32_e64 v15, 0, v17, s[22:23]
	v_add_u32_e32 v5, v15, v5
	ds_write_b64 v14, v[4:5] offset:2064
.LBB806_93:
	s_or_b64 exec, exec, s[26:27]
	v_cmp_lt_u32_e64 s[22:23], 63, v0
	v_mov_b32_e32 v14, 0
	v_mov_b32_e32 v4, 0
	s_waitcnt vmcnt(0)
	v_mov_b32_e32 v5, v6
	s_waitcnt lgkmcnt(0)
	s_barrier
	s_and_saveexec_b64 s[24:25], s[22:23]
	s_cbranch_execz .LBB806_95
; %bb.94:
	v_lshlrev_b32_e32 v4, 3, v46
	ds_read_b64 v[4:5], v4 offset:2056
	s_waitcnt lgkmcnt(0)
	v_cmp_eq_u32_e64 s[22:23], 0, v4
	s_nop 1
	v_cndmask_b32_e64 v15, 0, v6, s[22:23]
	v_add_u32_e32 v5, v15, v5
.LBB806_95:
	s_or_b64 exec, exec, s[24:25]
	v_cmp_eq_u32_e64 s[22:23], 0, v2
	v_add_u32_e32 v15, v4, v2
	v_and_b32_e32 v16, 64, v7
	v_cndmask_b32_e64 v2, 0, v5, s[22:23]
	v_add_u32_e32 v2, v2, v3
	v_add_u32_e32 v3, -1, v7
	v_cmp_lt_i32_e64 s[22:23], v3, v16
	v_cmp_eq_u32_e64 s[24:25], 0, v61
	s_nop 0
	v_cndmask_b32_e64 v3, v3, v7, s[22:23]
	v_lshlrev_b32_e32 v3, 2, v3
	ds_bpermute_b32 v15, v3, v15
	ds_bpermute_b32 v2, v3, v2
	v_cmp_eq_u32_e64 s[22:23], 0, v7
	s_waitcnt lgkmcnt(1)
	s_nop 0
	v_cndmask_b32_e64 v3, v15, v4, s[22:23]
	s_waitcnt lgkmcnt(0)
	v_cndmask_b32_e64 v2, v2, v5, s[22:23]
	v_cmp_eq_u32_e64 s[22:23], 0, v0
	ds_read_b64 v[4:5], v14 offset:2120
	s_nop 0
	v_cndmask_b32_e64 v43, v2, v6, s[22:23]
	v_cndmask_b32_e64 v2, 0, v43, s[24:25]
	v_add_u32_e32 v41, v2, v44
	v_cndmask_b32_e64 v2, 0, v41, s[0:1]
	v_add_u32_e32 v39, v2, v44
	;; [unrolled: 2-line block ×6, first 2 shown]
	v_cndmask_b32_e64 v2, 0, v31, s[10:11]
	v_cndmask_b32_e64 v42, v3, 0, s[22:23]
	v_add_u32_e32 v29, v2, v44
	v_add_u32_e32 v40, v42, v61
	v_cndmask_b32_e64 v2, 0, v29, s[12:13]
	v_add_u32_e32 v38, v40, v60
	v_add_u32_e32 v27, v2, v44
	v_add_u32_e32 v36, v38, v59
	v_cndmask_b32_e64 v2, 0, v27, s[14:15]
	v_add_u32_e32 v34, v36, v58
	;; [unrolled: 4-line block ×5, first 2 shown]
	v_add_u32_e32 v17, v2, v44
	v_add_u32_e32 v20, v22, v51
	v_cndmask_b32_e32 v2, 0, v17, vcc
	s_waitcnt lgkmcnt(0)
	v_cmp_eq_u32_e32 vcc, 0, v4
	v_add_u32_e32 v16, v20, v50
	v_add_u32_e32 v19, v2, v44
	v_cndmask_b32_e32 v2, 0, v6, vcc
	v_add_u32_e32 v18, v16, v49
	v_add_u32_e32 v14, v2, v5
	s_and_saveexec_b64 s[0:1], s[22:23]
	s_cbranch_execz .LBB806_97
; %bb.96:
	s_add_u32 s2, s36, 0x400
	v_and_b32_e32 v2, 0xff000000, v14
	v_and_b32_e32 v3, 0xff0000, v14
	s_addc_u32 s3, s37, 0
	v_or_b32_e32 v2, v3, v2
	v_and_b32_e32 v3, 0xff00, v14
	v_and_b32_e32 v5, 0xff, v14
	v_mov_b32_e32 v7, 0
	v_or3_b32 v5, v2, v3, v5
	v_mov_b32_e32 v6, 2
	v_mov_b64_e32 v[2:3], s[2:3]
	;;#ASMSTART
	global_store_dwordx4 v[2:3], v[4:7] off sc1	
s_waitcnt vmcnt(0)
	;;#ASMEND
.LBB806_97:
	s_or_b64 exec, exec, s[0:1]
	v_mov_b32_e32 v6, 0
.LBB806_98:
	s_and_b64 s[0:1], s[38:39], exec
	s_cselect_b32 s1, 0, s31
	s_cselect_b32 s0, 0, s30
	s_cmp_eq_u64 s[0:1], 0
	v_mov_b64_e32 v[44:45], 0
	s_waitcnt lgkmcnt(0)
	s_barrier
	s_cbranch_scc1 .LBB806_100
; %bb.99:
	v_mov_b32_e32 v2, 0
	global_load_dwordx2 v[44:45], v2, s[0:1]
.LBB806_100:
	s_waitcnt vmcnt(0)
	v_lshlrev_b64 v[2:3], 1, v[44:45]
	v_mov_b32_e32 v7, 0
	v_lshl_add_u64 v[2:3], s[40:41], 0, v[2:3]
	v_lshlrev_b64 v[46:47], 1, v[6:7]
	v_cmp_eq_u32_e32 vcc, 0, v61
	v_lshl_add_u64 v[46:47], v[2:3], 0, v[46:47]
	s_movk_i32 s28, 0x200
	v_cndmask_b32_e64 v2, 1, 2, vcc
	v_cmp_eq_u32_e32 vcc, 0, v60
	v_cmp_ne_u32_e64 s[26:27], 0, v61
	v_cmp_ne_u32_e64 s[24:25], 0, v60
	v_cndmask_b32_e64 v3, 1, 2, vcc
	v_cmp_eq_u32_e32 vcc, 0, v59
	v_and_b32_e32 v2, v3, v2
	v_cmp_ne_u32_e64 s[22:23], 0, v59
	v_cndmask_b32_e64 v3, 1, 2, vcc
	v_cmp_eq_u32_e32 vcc, 0, v58
	v_and_b32_e32 v2, v2, v3
	;; [unrolled: 4-line block ×12, first 2 shown]
	v_cmp_ne_u32_e64 s[0:1], 0, v48
	v_cndmask_b32_e64 v3, 1, 2, vcc
	v_and_b32_e32 v2, v2, v3
	v_cmp_gt_u32_e32 vcc, s28, v4
	s_mov_b64 s[30:31], -1
	v_cmp_gt_i16_e64 s[28:29], 2, v2
	s_cbranch_vccz .LBB806_107
; %bb.101:
	s_and_saveexec_b64 s[30:31], s[28:29]
	s_cbranch_execz .LBB806_106
; %bb.102:
	v_cmp_ne_u16_e32 vcc, 1, v2
	s_mov_b64 s[36:37], 0
	s_and_saveexec_b64 s[28:29], vcc
	s_xor_b64 s[28:29], exec, s[28:29]
	s_cbranch_execnz .LBB806_149
; %bb.103:
	s_andn2_saveexec_b64 s[28:29], s[28:29]
	s_cbranch_execnz .LBB806_164
.LBB806_104:
	s_or_b64 exec, exec, s[28:29]
	s_and_b64 exec, exec, s[36:37]
	s_cbranch_execz .LBB806_106
.LBB806_105:
	v_sub_u32_e32 v62, v18, v6
	v_mov_b32_e32 v63, 0
	v_lshl_add_u64 v[62:63], v[62:63], 1, v[46:47]
	global_store_short_d16_hi v[62:63], v1, off
.LBB806_106:
	s_or_b64 exec, exec, s[30:31]
	s_mov_b64 s[30:31], 0
.LBB806_107:
	s_and_b64 vcc, exec, s[30:31]
	s_cbranch_vccz .LBB806_127
; %bb.108:
	v_cmp_gt_i16_e32 vcc, 2, v2
	s_and_saveexec_b64 s[28:29], vcc
	s_cbranch_execz .LBB806_113
; %bb.109:
	v_cmp_ne_u16_e32 vcc, 1, v2
	s_mov_b64 s[36:37], 0
	s_and_saveexec_b64 s[30:31], vcc
	s_xor_b64 s[30:31], exec, s[30:31]
	s_cbranch_execnz .LBB806_165
; %bb.110:
	s_andn2_saveexec_b64 s[0:1], s[30:31]
	s_cbranch_execnz .LBB806_180
.LBB806_111:
	s_or_b64 exec, exec, s[0:1]
	s_and_b64 exec, exec, s[36:37]
	s_cbranch_execz .LBB806_113
.LBB806_112:
	v_sub_u32_e32 v2, v18, v6
	v_lshlrev_b32_e32 v2, 1, v2
	ds_write_b16_d16_hi v2, v1
.LBB806_113:
	s_or_b64 exec, exec, s[28:29]
	v_cmp_lt_u32_e32 vcc, v0, v4
	s_waitcnt lgkmcnt(0)
	s_barrier
	s_and_saveexec_b64 s[0:1], vcc
	s_cbranch_execz .LBB806_126
; %bb.114:
	v_xad_u32 v1, v0, -1, v4
	s_movk_i32 s2, 0x5ff
	v_cmp_lt_u32_e32 vcc, s2, v1
	s_mov_b64 s[4:5], -1
	v_mov_b32_e32 v2, v0
	s_and_saveexec_b64 s[2:3], vcc
	s_cbranch_execz .LBB806_123
; %bb.115:
	v_lshrrev_b32_e32 v5, 9, v1
	v_add_u32_e32 v8, -3, v5
	v_or_b32_e32 v3, 0x600, v0
	v_or_b32_e32 v2, 0x400, v0
	v_lshrrev_b32_e32 v9, 2, v8
	v_or_b32_e32 v1, 0x200, v0
	v_add_u32_e32 v62, 1, v9
	v_cmp_lt_u32_e32 vcc, 11, v8
	v_mov_b64_e32 v[10:11], v[2:3]
	v_mov_b32_e32 v65, 0
	v_lshlrev_b32_e32 v15, 1, v0
	v_mov_b64_e32 v[8:9], v[0:1]
	s_and_saveexec_b64 s[4:5], vcc
	s_cbranch_execz .LBB806_119
; %bb.116:
	v_mov_b64_e32 v[10:11], v[2:3]
	v_and_b32_e32 v63, 0x7ffffffc, v62
	s_mov_b32 s8, 0
	s_mov_b64 s[6:7], 0
	v_mov_b32_e32 v13, 0
	v_mov_b32_e32 v64, v15
	v_mov_b64_e32 v[8:9], v[0:1]
.LBB806_117:                            ; =>This Inner Loop Header: Depth=1
	v_mov_b32_e32 v12, v8
	ds_read_u16 v1, v64
	ds_read_u16 v90, v64 offset:1024
	ds_read_u16 v91, v64 offset:2048
	;; [unrolled: 1-line block ×7, first 2 shown]
	v_lshl_add_u64 v[82:83], v[12:13], 1, v[46:47]
	v_mov_b32_e32 v12, v9
	v_lshl_add_u64 v[84:85], v[12:13], 1, v[46:47]
	v_mov_b32_e32 v12, v10
	ds_read_u16 v97, v64 offset:8192
	ds_read_u16 v98, v64 offset:9216
	;; [unrolled: 1-line block ×8, first 2 shown]
	v_lshl_add_u64 v[86:87], v[12:13], 1, v[46:47]
	v_mov_b32_e32 v12, v11
	v_add_u32_e32 v2, 0x800, v11
	v_mov_b32_e32 v3, v13
	v_lshl_add_u64 v[88:89], v[12:13], 1, v[46:47]
	v_add_u32_e32 v12, 0x800, v8
	v_add_u32_e32 v66, 0x800, v10
	;; [unrolled: 1-line block ×3, first 2 shown]
	v_mov_b32_e32 v69, v13
	v_mov_b32_e32 v67, v13
	v_add_u32_e32 v63, -4, v63
	v_lshl_add_u64 v[2:3], v[2:3], 1, v[46:47]
	s_waitcnt lgkmcnt(14)
	global_store_short v[82:83], v1, off
	global_store_short v[84:85], v90, off
	s_waitcnt lgkmcnt(13)
	global_store_short v[86:87], v91, off
	s_waitcnt lgkmcnt(12)
	global_store_short v[88:89], v92, off
	v_lshl_add_u64 v[82:83], v[12:13], 1, v[46:47]
	v_add_u32_e32 v12, 0x1000, v8
	v_add_u32_e32 v70, 0x1000, v11
	;; [unrolled: 1-line block ×4, first 2 shown]
	v_mov_b32_e32 v75, v13
	v_mov_b32_e32 v73, v13
	;; [unrolled: 1-line block ×3, first 2 shown]
	s_add_i32 s8, s8, 16
	v_lshl_add_u64 v[68:69], v[68:69], 1, v[46:47]
	v_lshl_add_u64 v[66:67], v[66:67], 1, v[46:47]
	v_cmp_eq_u32_e32 vcc, 0, v63
	s_waitcnt lgkmcnt(11)
	global_store_short v[82:83], v93, off
	s_waitcnt lgkmcnt(10)
	global_store_short v[68:69], v94, off
	;; [unrolled: 2-line block ×4, first 2 shown]
	v_lshl_add_u64 v[2:3], v[12:13], 1, v[46:47]
	v_add_u32_e32 v12, 0x1800, v8
	v_add_u32_e32 v76, 0x1800, v11
	;; [unrolled: 1-line block ×4, first 2 shown]
	v_mov_b32_e32 v81, v13
	v_mov_b32_e32 v79, v13
	;; [unrolled: 1-line block ×3, first 2 shown]
	v_add_u32_e32 v64, 0x4000, v64
	v_lshl_add_u64 v[74:75], v[74:75], 1, v[46:47]
	v_lshl_add_u64 v[72:73], v[72:73], 1, v[46:47]
	;; [unrolled: 1-line block ×3, first 2 shown]
	v_add_u32_e32 v9, 0x2000, v9
	v_mov_b32_e32 v65, s8
	v_add_u32_e32 v10, 0x2000, v10
	s_or_b64 s[6:7], vcc, s[6:7]
	v_add_u32_e32 v11, 0x2000, v11
	v_add_u32_e32 v8, 0x2000, v8
	s_waitcnt lgkmcnt(7)
	global_store_short v[2:3], v97, off
	s_waitcnt lgkmcnt(6)
	global_store_short v[74:75], v98, off
	;; [unrolled: 2-line block ×4, first 2 shown]
	v_lshl_add_u64 v[2:3], v[12:13], 1, v[46:47]
	v_lshl_add_u64 v[80:81], v[80:81], 1, v[46:47]
	;; [unrolled: 1-line block ×4, first 2 shown]
	s_waitcnt lgkmcnt(3)
	global_store_short v[2:3], v101, off
	s_waitcnt lgkmcnt(2)
	global_store_short v[80:81], v102, off
	;; [unrolled: 2-line block ×4, first 2 shown]
	s_andn2_b64 exec, exec, s[6:7]
	s_cbranch_execnz .LBB806_117
; %bb.118:
	s_or_b64 exec, exec, s[6:7]
.LBB806_119:
	s_or_b64 exec, exec, s[4:5]
	v_and_b32_e32 v1, 3, v62
	v_cmp_ne_u32_e32 vcc, 0, v1
	s_and_saveexec_b64 s[4:5], vcc
	s_cbranch_execz .LBB806_122
; %bb.120:
	v_lshl_or_b32 v12, v65, 10, v15
	s_mov_b64 s[6:7], 0
	v_mov_b32_e32 v3, 0
.LBB806_121:                            ; =>This Inner Loop Header: Depth=1
	ds_read_u16 v13, v12
	ds_read_u16 v15, v12 offset:1024
	ds_read_u16 v70, v12 offset:2048
	;; [unrolled: 1-line block ×3, first 2 shown]
	v_mov_b32_e32 v2, v8
	v_add_u32_e32 v1, -1, v1
	v_lshl_add_u64 v[62:63], v[2:3], 1, v[46:47]
	v_mov_b32_e32 v2, v9
	v_cmp_eq_u32_e32 vcc, 0, v1
	v_lshl_add_u64 v[64:65], v[2:3], 1, v[46:47]
	v_mov_b32_e32 v2, v10
	v_add_u32_e32 v8, 0x800, v8
	v_add_u32_e32 v12, 0x1000, v12
	;; [unrolled: 1-line block ×4, first 2 shown]
	s_or_b64 s[6:7], vcc, s[6:7]
	v_lshl_add_u64 v[66:67], v[2:3], 1, v[46:47]
	v_mov_b32_e32 v2, v11
	v_add_u32_e32 v11, 0x800, v11
	v_lshl_add_u64 v[68:69], v[2:3], 1, v[46:47]
	s_waitcnt lgkmcnt(3)
	global_store_short v[62:63], v13, off
	s_waitcnt lgkmcnt(2)
	global_store_short v[64:65], v15, off
	;; [unrolled: 2-line block ×4, first 2 shown]
	s_andn2_b64 exec, exec, s[6:7]
	s_cbranch_execnz .LBB806_121
.LBB806_122:
	s_or_b64 exec, exec, s[4:5]
	v_add_u32_e32 v1, 1, v5
	v_and_b32_e32 v3, 0xfffffc, v1
	v_cmp_ne_u32_e32 vcc, v1, v3
	v_lshl_or_b32 v2, v3, 9, v0
	s_orn2_b64 s[4:5], vcc, exec
.LBB806_123:
	s_or_b64 exec, exec, s[2:3]
	s_and_b64 exec, exec, s[4:5]
	s_cbranch_execz .LBB806_126
; %bb.124:
	v_lshlrev_b32_e32 v1, 1, v2
	s_mov_b64 s[2:3], 0
	v_mov_b32_e32 v3, 0
.LBB806_125:                            ; =>This Inner Loop Header: Depth=1
	ds_read_u16 v5, v1
	v_lshl_add_u64 v[8:9], v[2:3], 1, v[46:47]
	v_add_u32_e32 v2, 0x200, v2
	v_cmp_ge_u32_e32 vcc, v2, v4
	v_add_u32_e32 v1, 0x400, v1
	s_or_b64 s[2:3], vcc, s[2:3]
	s_waitcnt lgkmcnt(0)
	global_store_short v[8:9], v5, off
	s_andn2_b64 exec, exec, s[2:3]
	s_cbranch_execnz .LBB806_125
.LBB806_126:
	s_or_b64 exec, exec, s[0:1]
.LBB806_127:
	s_cmpk_lg_i32 s33, 0x1c00
	s_cselect_b64 s[0:1], -1, 0
	v_cndmask_b32_e64 v46, 0, 1, s[44:45]
	s_and_b64 s[0:1], s[34:35], s[0:1]
	v_cmp_eq_u32_e32 vcc, 0, v0
	v_sub_u32_e32 v1, v4, v46
	v_cndmask_b32_e64 v2, 0, 1, s[0:1]
	s_and_b64 s[0:1], vcc, s[44:45]
	v_add_u32_e32 v1, v1, v2
	v_cndmask_b32_e64 v2, v61, 0, s[0:1]
	s_lshr_b32 s0, s33, 1
	s_mul_hi_u32 s0, s0, 0x92492493
	s_lshr_b32 s0, s0, 2
	v_mad_i32_i24 v3, v0, -14, s33
	v_cmp_eq_u32_e32 vcc, s0, v0
	v_cmp_ne_u32_e64 s[0:1], 0, v3
	s_and_b64 vcc, s[34:35], vcc
	s_mov_b32 s2, 0
	v_cndmask_b32_e64 v5, 1, v2, s[0:1]
	v_cmp_ne_u32_e64 s[0:1], 1, v3
	s_movk_i32 s28, 0x200
	s_mov_b64 s[30:31], -1
	v_cndmask_b32_e64 v8, 1, v60, s[0:1]
	v_cmp_ne_u32_e64 s[0:1], 2, v3
	s_barrier
	s_nop 0
	v_cndmask_b32_e64 v9, 1, v59, s[0:1]
	v_cmp_ne_u32_e64 s[0:1], 3, v3
	s_nop 1
	v_cndmask_b32_e64 v10, 1, v58, s[0:1]
	v_cmp_ne_u32_e64 s[0:1], 4, v3
	;; [unrolled: 3-line block ×6, first 2 shown]
	v_cndmask_b32_e32 v15, v54, v15, vcc
	v_cndmask_b32_e32 v54, v55, v13, vcc
	v_cndmask_b32_e64 v47, 1, v53, s[0:1]
	v_cmp_ne_u32_e64 s[0:1], 9, v3
	v_cndmask_b32_e32 v55, v56, v12, vcc
	v_cndmask_b32_e32 v56, v57, v11, vcc
	v_cndmask_b32_e64 v61, 1, v52, s[0:1]
	v_cmp_ne_u32_e64 s[0:1], 10, v3
	;; [unrolled: 4-line block ×5, first 2 shown]
	v_cndmask_b32_e32 v49, v49, v64, vcc
	v_cndmask_b32_e32 v52, v52, v61, vcc
	v_cndmask_b32_e64 v3, 1, v48, s[0:1]
	v_cndmask_b32_e32 v48, v48, v3, vcc
	v_cndmask_b32_e32 v53, v53, v47, vcc
	v_mov_b32_e32 v47, s2
	v_cmp_eq_u32_e32 vcc, 0, v60
	v_lshl_add_u64 v[12:13], v[46:47], 0, -1
	v_add_u32_e32 v5, v6, v46
	v_cndmask_b32_e64 v46, 1, 2, vcc
	v_cmp_eq_u32_e32 vcc, 0, v59
	v_cmp_ne_u32_e64 s[12:13], 0, v15
	v_lshlrev_b64 v[8:9], 3, v[44:45]
	v_cndmask_b32_e64 v47, 1, 2, vcc
	v_cmp_eq_u32_e32 vcc, 0, v58
	v_and_b32_e32 v46, v47, v46
	v_lshl_add_u64 v[2:3], s[42:43], 0, v[8:9]
	v_cndmask_b32_e64 v47, 1, 2, vcc
	v_cmp_eq_u32_e32 vcc, 0, v57
	v_and_b32_e32 v46, v46, v47
	v_lshlrev_b64 v[10:11], 3, v[6:7]
	v_cndmask_b32_e64 v47, 1, 2, vcc
	v_cmp_eq_u32_e32 vcc, 0, v56
	v_and_b32_e32 v46, v46, v47
	v_lshl_add_u64 v[2:3], v[2:3], 0, v[10:11]
	v_cndmask_b32_e64 v47, 1, 2, vcc
	v_cmp_eq_u32_e32 vcc, 0, v55
	v_and_b32_e32 v46, v46, v47
	v_cmp_ne_u32_e64 s[26:27], 0, v60
	v_cndmask_b32_e64 v47, 1, 2, vcc
	v_cmp_eq_u32_e32 vcc, 0, v54
	v_and_b32_e32 v46, v46, v47
	v_cmp_ne_u32_e64 s[24:25], 0, v59
	;; [unrolled: 4-line block ×9, first 2 shown]
	v_cndmask_b32_e64 v46, 1, 2, vcc
	v_and_b32_e32 v15, v15, v46
	v_cmp_gt_u32_e32 vcc, s28, v1
	v_cmp_ne_u32_e64 s[6:7], 0, v51
	v_cmp_ne_u32_e64 s[4:5], 0, v50
	v_cmp_ne_u32_e64 s[2:3], 0, v49
	v_cmp_ne_u32_e64 s[0:1], 0, v48
	v_cmp_gt_i16_e64 s[28:29], 2, v15
	s_cbranch_vccz .LBB806_134
; %bb.128:
	s_and_saveexec_b64 s[30:31], s[28:29]
	s_cbranch_execz .LBB806_133
; %bb.129:
	v_lshlrev_b64 v[46:47], 3, v[12:13]
	v_lshl_add_u64 v[46:47], v[2:3], 0, v[46:47]
	v_cmp_ne_u16_e32 vcc, 1, v15
	s_mov_b64 s[36:37], 0
	s_and_saveexec_b64 s[28:29], vcc
	s_xor_b64 s[28:29], exec, s[28:29]
	s_cbranch_execnz .LBB806_181
; %bb.130:
	s_andn2_saveexec_b64 s[28:29], s[28:29]
	s_cbranch_execnz .LBB806_196
.LBB806_131:
	s_or_b64 exec, exec, s[28:29]
	s_and_b64 exec, exec, s[36:37]
	s_cbranch_execz .LBB806_133
.LBB806_132:
	v_mov_b32_e32 v49, 0
	v_sub_u32_e32 v50, v18, v5
	v_mov_b32_e32 v51, v49
	v_mov_b32_e32 v48, v19
	v_lshl_add_u64 v[46:47], v[50:51], 3, v[46:47]
	global_store_dwordx2 v[46:47], v[48:49], off
.LBB806_133:
	s_or_b64 exec, exec, s[30:31]
	s_mov_b64 s[30:31], 0
.LBB806_134:
	s_and_b64 vcc, exec, s[30:31]
	s_cbranch_vccz .LBB806_144
; %bb.135:
	v_cmp_gt_i16_e32 vcc, 2, v15
	s_and_saveexec_b64 s[28:29], vcc
	s_cbranch_execz .LBB806_140
; %bb.136:
	v_cmp_ne_u16_e32 vcc, 1, v15
	s_mov_b64 s[36:37], 0
	s_and_saveexec_b64 s[30:31], vcc
	s_xor_b64 s[30:31], exec, s[30:31]
	s_cbranch_execnz .LBB806_197
; %bb.137:
	s_andn2_saveexec_b64 s[0:1], s[30:31]
	s_cbranch_execnz .LBB806_212
.LBB806_138:
	s_or_b64 exec, exec, s[0:1]
	s_and_b64 exec, exec, s[36:37]
	s_cbranch_execz .LBB806_140
.LBB806_139:
	v_sub_u32_e32 v5, v18, v5
	v_lshlrev_b32_e32 v5, 2, v5
	ds_write_b32 v5, v19
.LBB806_140:
	s_or_b64 exec, exec, s[28:29]
	v_cmp_lt_u32_e32 vcc, v0, v1
	s_waitcnt lgkmcnt(0)
	s_barrier
	s_and_saveexec_b64 s[0:1], vcc
	s_cbranch_execz .LBB806_143
; %bb.141:
	v_lshlrev_b64 v[12:13], 3, v[12:13]
	v_lshl_add_u64 v[8:9], v[8:9], 0, v[12:13]
	v_lshl_add_u64 v[10:11], v[8:9], 0, v[10:11]
	v_lshlrev_b32_e32 v8, 3, v0
	v_mov_b32_e32 v9, 0
	v_lshl_add_u64 v[10:11], s[42:43], 0, v[10:11]
	v_lshlrev_b32_e32 v5, 2, v0
	v_lshl_add_u64 v[10:11], v[10:11], 0, v[8:9]
	s_mov_b64 s[2:3], 0
	s_mov_b64 s[4:5], 0x1000
	v_mov_b32_e32 v12, v0
.LBB806_142:                            ; =>This Inner Loop Header: Depth=1
	ds_read_b32 v8, v5
	v_add_u32_e32 v12, 0x200, v12
	v_cmp_ge_u32_e32 vcc, v12, v1
	v_add_u32_e32 v5, 0x800, v5
	s_or_b64 s[2:3], vcc, s[2:3]
	s_waitcnt lgkmcnt(0)
	global_store_dwordx2 v[10:11], v[8:9], off
	v_lshl_add_u64 v[10:11], v[10:11], 0, s[4:5]
	s_andn2_b64 exec, exec, s[2:3]
	s_cbranch_execnz .LBB806_142
.LBB806_143:
	s_or_b64 exec, exec, s[0:1]
.LBB806_144:
	s_movk_i32 s0, 0x1ff
	v_cmp_eq_u32_e32 vcc, s0, v0
	s_and_b64 s[0:1], vcc, s[34:35]
	s_and_saveexec_b64 s[2:3], s[0:1]
	s_cbranch_execz .LBB806_147
; %bb.145:
	v_mov_b32_e32 v5, 0
	v_lshl_add_u64 v[0:1], v[4:5], 0, v[6:7]
	v_lshl_add_u64 v[0:1], v[0:1], 0, v[44:45]
	s_cmpk_lg_i32 s33, 0x1c00
	global_store_dwordx2 v5, v[0:1], s[46:47]
	s_cbranch_scc1 .LBB806_147
; %bb.146:
	v_lshlrev_b64 v[0:1], 3, v[4:5]
	v_mov_b32_e32 v15, v5
	v_lshl_add_u64 v[0:1], v[2:3], 0, v[0:1]
	global_store_dwordx2 v[0:1], v[14:15], off offset:-8
.LBB806_147:
	s_endpgm
.LBB806_148:
	s_or_b64 exec, exec, s[6:7]
	v_mov_b32_e32 v61, s3
	s_and_saveexec_b64 s[6:7], s[10:11]
	s_cbranch_execnz .LBB806_54
	s_branch .LBB806_55
.LBB806_149:
	s_and_saveexec_b64 s[36:37], s[26:27]
	s_cbranch_execnz .LBB806_213
; %bb.150:
	s_or_b64 exec, exec, s[36:37]
	s_and_saveexec_b64 s[36:37], s[24:25]
	s_cbranch_execnz .LBB806_214
.LBB806_151:
	s_or_b64 exec, exec, s[36:37]
	s_and_saveexec_b64 s[36:37], s[22:23]
	s_cbranch_execnz .LBB806_215
.LBB806_152:
	s_or_b64 exec, exec, s[36:37]
	s_and_saveexec_b64 s[36:37], s[20:21]
	s_cbranch_execnz .LBB806_216
.LBB806_153:
	s_or_b64 exec, exec, s[36:37]
	s_and_saveexec_b64 s[36:37], s[18:19]
	s_cbranch_execnz .LBB806_217
.LBB806_154:
	s_or_b64 exec, exec, s[36:37]
	s_and_saveexec_b64 s[36:37], s[16:17]
	s_cbranch_execnz .LBB806_218
.LBB806_155:
	s_or_b64 exec, exec, s[36:37]
	s_and_saveexec_b64 s[36:37], s[14:15]
	s_cbranch_execnz .LBB806_219
.LBB806_156:
	s_or_b64 exec, exec, s[36:37]
	s_and_saveexec_b64 s[36:37], s[12:13]
	s_cbranch_execnz .LBB806_220
.LBB806_157:
	s_or_b64 exec, exec, s[36:37]
	s_and_saveexec_b64 s[36:37], s[10:11]
	s_cbranch_execnz .LBB806_221
.LBB806_158:
	s_or_b64 exec, exec, s[36:37]
	s_and_saveexec_b64 s[36:37], s[8:9]
	s_cbranch_execnz .LBB806_222
.LBB806_159:
	s_or_b64 exec, exec, s[36:37]
	s_and_saveexec_b64 s[36:37], s[6:7]
	s_cbranch_execnz .LBB806_223
.LBB806_160:
	s_or_b64 exec, exec, s[36:37]
	s_and_saveexec_b64 s[36:37], s[4:5]
	s_cbranch_execnz .LBB806_224
.LBB806_161:
	s_or_b64 exec, exec, s[36:37]
	s_and_saveexec_b64 s[36:37], s[2:3]
	s_cbranch_execz .LBB806_163
.LBB806_162:
	v_sub_u32_e32 v62, v16, v6
	v_mov_b32_e32 v63, 0
	v_lshl_add_u64 v[62:63], v[62:63], 1, v[46:47]
	global_store_short v[62:63], v1, off
.LBB806_163:
	s_or_b64 exec, exec, s[36:37]
	s_and_b64 s[36:37], s[0:1], exec
	s_andn2_saveexec_b64 s[28:29], s[28:29]
	s_cbranch_execz .LBB806_104
.LBB806_164:
	v_sub_u32_e32 v62, v42, v6
	v_mov_b32_e32 v63, 0
	v_lshl_add_u64 v[64:65], v[62:63], 1, v[46:47]
	v_sub_u32_e32 v62, v40, v6
	global_store_short v[64:65], v12, off
	v_lshl_add_u64 v[64:65], v[62:63], 1, v[46:47]
	v_sub_u32_e32 v62, v38, v6
	global_store_short_d16_hi v[64:65], v12, off
	v_lshl_add_u64 v[64:65], v[62:63], 1, v[46:47]
	v_sub_u32_e32 v62, v36, v6
	global_store_short v[64:65], v13, off
	v_lshl_add_u64 v[64:65], v[62:63], 1, v[46:47]
	v_sub_u32_e32 v62, v34, v6
	global_store_short_d16_hi v[64:65], v13, off
	;; [unrolled: 6-line block ×5, first 2 shown]
	v_lshl_add_u64 v[64:65], v[62:63], 1, v[46:47]
	v_sub_u32_e32 v62, v20, v6
	global_store_short v[64:65], v9, off
	v_lshl_add_u64 v[64:65], v[62:63], 1, v[46:47]
	v_sub_u32_e32 v62, v16, v6
	v_lshl_add_u64 v[62:63], v[62:63], 1, v[46:47]
	s_or_b64 s[36:37], s[36:37], exec
	global_store_short_d16_hi v[64:65], v9, off
	global_store_short v[62:63], v1, off
	s_or_b64 exec, exec, s[28:29]
	s_and_b64 exec, exec, s[36:37]
	s_cbranch_execnz .LBB806_105
	s_branch .LBB806_106
.LBB806_165:
	s_and_saveexec_b64 s[36:37], s[26:27]
	s_cbranch_execnz .LBB806_225
; %bb.166:
	s_or_b64 exec, exec, s[36:37]
	s_and_saveexec_b64 s[26:27], s[24:25]
	s_cbranch_execnz .LBB806_226
.LBB806_167:
	s_or_b64 exec, exec, s[26:27]
	s_and_saveexec_b64 s[24:25], s[22:23]
	s_cbranch_execnz .LBB806_227
.LBB806_168:
	s_or_b64 exec, exec, s[24:25]
	s_and_saveexec_b64 s[22:23], s[20:21]
	s_cbranch_execnz .LBB806_228
.LBB806_169:
	s_or_b64 exec, exec, s[22:23]
	s_and_saveexec_b64 s[20:21], s[18:19]
	s_cbranch_execnz .LBB806_229
.LBB806_170:
	s_or_b64 exec, exec, s[20:21]
	s_and_saveexec_b64 s[18:19], s[16:17]
	s_cbranch_execnz .LBB806_230
.LBB806_171:
	s_or_b64 exec, exec, s[18:19]
	s_and_saveexec_b64 s[16:17], s[14:15]
	s_cbranch_execnz .LBB806_231
.LBB806_172:
	s_or_b64 exec, exec, s[16:17]
	s_and_saveexec_b64 s[14:15], s[12:13]
	s_cbranch_execnz .LBB806_232
.LBB806_173:
	s_or_b64 exec, exec, s[14:15]
	s_and_saveexec_b64 s[12:13], s[10:11]
	s_cbranch_execnz .LBB806_233
.LBB806_174:
	s_or_b64 exec, exec, s[12:13]
	s_and_saveexec_b64 s[10:11], s[8:9]
	s_cbranch_execnz .LBB806_234
.LBB806_175:
	s_or_b64 exec, exec, s[10:11]
	s_and_saveexec_b64 s[8:9], s[6:7]
	s_cbranch_execnz .LBB806_235
.LBB806_176:
	s_or_b64 exec, exec, s[8:9]
	s_and_saveexec_b64 s[6:7], s[4:5]
	s_cbranch_execnz .LBB806_236
.LBB806_177:
	s_or_b64 exec, exec, s[6:7]
	s_and_saveexec_b64 s[4:5], s[2:3]
	s_cbranch_execz .LBB806_179
.LBB806_178:
	v_sub_u32_e32 v2, v16, v6
	v_lshlrev_b32_e32 v2, 1, v2
	ds_write_b16 v2, v1
.LBB806_179:
	s_or_b64 exec, exec, s[4:5]
	s_and_b64 s[36:37], s[0:1], exec
                                        ; implicit-def: $vgpr12
                                        ; implicit-def: $vgpr10
                                        ; implicit-def: $vgpr8
	s_andn2_saveexec_b64 s[0:1], s[30:31]
	s_cbranch_execz .LBB806_111
.LBB806_180:
	v_sub_u32_e32 v2, v42, v6
	v_lshlrev_b32_e32 v2, 1, v2
	ds_write_b16 v2, v12
	v_sub_u32_e32 v2, v40, v6
	v_lshlrev_b32_e32 v2, 1, v2
	ds_write_b16_d16_hi v2, v12
	v_sub_u32_e32 v2, v38, v6
	v_lshlrev_b32_e32 v2, 1, v2
	ds_write_b16 v2, v13
	v_sub_u32_e32 v2, v36, v6
	v_lshlrev_b32_e32 v2, 1, v2
	ds_write_b16_d16_hi v2, v13
	v_sub_u32_e32 v2, v34, v6
	v_lshlrev_b32_e32 v2, 1, v2
	ds_write_b16 v2, v10
	v_sub_u32_e32 v2, v32, v6
	v_lshlrev_b32_e32 v2, 1, v2
	ds_write_b16_d16_hi v2, v10
	v_sub_u32_e32 v2, v30, v6
	v_lshlrev_b32_e32 v2, 1, v2
	ds_write_b16 v2, v11
	v_sub_u32_e32 v2, v28, v6
	v_lshlrev_b32_e32 v2, 1, v2
	ds_write_b16_d16_hi v2, v11
	v_sub_u32_e32 v2, v26, v6
	v_lshlrev_b32_e32 v2, 1, v2
	ds_write_b16 v2, v8
	v_sub_u32_e32 v2, v24, v6
	v_lshlrev_b32_e32 v2, 1, v2
	ds_write_b16_d16_hi v2, v8
	v_sub_u32_e32 v2, v22, v6
	v_lshlrev_b32_e32 v2, 1, v2
	ds_write_b16 v2, v9
	v_sub_u32_e32 v2, v20, v6
	v_lshlrev_b32_e32 v2, 1, v2
	ds_write_b16_d16_hi v2, v9
	v_sub_u32_e32 v2, v16, v6
	v_lshlrev_b32_e32 v2, 1, v2
	s_or_b64 s[36:37], s[36:37], exec
	ds_write_b16 v2, v1
	s_or_b64 exec, exec, s[0:1]
	s_and_b64 exec, exec, s[36:37]
	s_cbranch_execnz .LBB806_112
	s_branch .LBB806_113
.LBB806_181:
	s_and_saveexec_b64 s[36:37], s[26:27]
	s_cbranch_execnz .LBB806_237
; %bb.182:
	s_or_b64 exec, exec, s[36:37]
	s_and_saveexec_b64 s[36:37], s[24:25]
	s_cbranch_execnz .LBB806_238
.LBB806_183:
	s_or_b64 exec, exec, s[36:37]
	s_and_saveexec_b64 s[36:37], s[22:23]
	s_cbranch_execnz .LBB806_239
.LBB806_184:
	s_or_b64 exec, exec, s[36:37]
	s_and_saveexec_b64 s[36:37], s[20:21]
	s_cbranch_execnz .LBB806_240
.LBB806_185:
	s_or_b64 exec, exec, s[36:37]
	s_and_saveexec_b64 s[36:37], s[18:19]
	s_cbranch_execnz .LBB806_241
.LBB806_186:
	s_or_b64 exec, exec, s[36:37]
	s_and_saveexec_b64 s[36:37], s[16:17]
	s_cbranch_execnz .LBB806_242
.LBB806_187:
	s_or_b64 exec, exec, s[36:37]
	s_and_saveexec_b64 s[36:37], s[14:15]
	s_cbranch_execnz .LBB806_243
.LBB806_188:
	s_or_b64 exec, exec, s[36:37]
	s_and_saveexec_b64 s[36:37], s[12:13]
	s_cbranch_execnz .LBB806_244
.LBB806_189:
	s_or_b64 exec, exec, s[36:37]
	s_and_saveexec_b64 s[36:37], s[10:11]
	s_cbranch_execnz .LBB806_245
.LBB806_190:
	s_or_b64 exec, exec, s[36:37]
	s_and_saveexec_b64 s[36:37], s[8:9]
	s_cbranch_execnz .LBB806_246
.LBB806_191:
	s_or_b64 exec, exec, s[36:37]
	s_and_saveexec_b64 s[36:37], s[6:7]
	s_cbranch_execnz .LBB806_247
.LBB806_192:
	s_or_b64 exec, exec, s[36:37]
	s_and_saveexec_b64 s[36:37], s[4:5]
	s_cbranch_execnz .LBB806_248
.LBB806_193:
	s_or_b64 exec, exec, s[36:37]
	s_and_saveexec_b64 s[36:37], s[2:3]
	s_cbranch_execz .LBB806_195
.LBB806_194:
	v_sub_u32_e32 v48, v16, v5
	v_mov_b32_e32 v49, 0
	v_lshl_add_u64 v[50:51], v[48:49], 3, v[46:47]
	v_mov_b32_e32 v48, v17
	global_store_dwordx2 v[50:51], v[48:49], off
.LBB806_195:
	s_or_b64 exec, exec, s[36:37]
	s_and_b64 s[36:37], s[0:1], exec
	s_andn2_saveexec_b64 s[28:29], s[28:29]
	s_cbranch_execz .LBB806_131
.LBB806_196:
	v_mov_b32_e32 v49, 0
	v_sub_u32_e32 v50, v42, v5
	v_mov_b32_e32 v51, v49
	v_mov_b32_e32 v48, v43
	v_lshl_add_u64 v[50:51], v[50:51], 3, v[46:47]
	global_store_dwordx2 v[50:51], v[48:49], off
	v_sub_u32_e32 v50, v40, v5
	v_mov_b32_e32 v51, v49
	v_mov_b32_e32 v48, v41
	v_lshl_add_u64 v[50:51], v[50:51], 3, v[46:47]
	global_store_dwordx2 v[50:51], v[48:49], off
	;; [unrolled: 5-line block ×12, first 2 shown]
	v_sub_u32_e32 v50, v16, v5
	v_mov_b32_e32 v51, v49
	v_mov_b32_e32 v48, v17
	v_lshl_add_u64 v[50:51], v[50:51], 3, v[46:47]
	s_or_b64 s[36:37], s[36:37], exec
	global_store_dwordx2 v[50:51], v[48:49], off
	s_or_b64 exec, exec, s[28:29]
	s_and_b64 exec, exec, s[36:37]
	s_cbranch_execnz .LBB806_132
	s_branch .LBB806_133
.LBB806_197:
	s_and_saveexec_b64 s[36:37], s[26:27]
	s_cbranch_execnz .LBB806_249
; %bb.198:
	s_or_b64 exec, exec, s[36:37]
	s_and_saveexec_b64 s[26:27], s[24:25]
	s_cbranch_execnz .LBB806_250
.LBB806_199:
	s_or_b64 exec, exec, s[26:27]
	s_and_saveexec_b64 s[24:25], s[22:23]
	s_cbranch_execnz .LBB806_251
.LBB806_200:
	s_or_b64 exec, exec, s[24:25]
	s_and_saveexec_b64 s[22:23], s[20:21]
	s_cbranch_execnz .LBB806_252
.LBB806_201:
	s_or_b64 exec, exec, s[22:23]
	s_and_saveexec_b64 s[20:21], s[18:19]
	s_cbranch_execnz .LBB806_253
.LBB806_202:
	s_or_b64 exec, exec, s[20:21]
	s_and_saveexec_b64 s[18:19], s[16:17]
	s_cbranch_execnz .LBB806_254
.LBB806_203:
	s_or_b64 exec, exec, s[18:19]
	s_and_saveexec_b64 s[16:17], s[14:15]
	s_cbranch_execnz .LBB806_255
.LBB806_204:
	s_or_b64 exec, exec, s[16:17]
	s_and_saveexec_b64 s[14:15], s[12:13]
	s_cbranch_execnz .LBB806_256
.LBB806_205:
	s_or_b64 exec, exec, s[14:15]
	s_and_saveexec_b64 s[12:13], s[10:11]
	s_cbranch_execnz .LBB806_257
.LBB806_206:
	s_or_b64 exec, exec, s[12:13]
	s_and_saveexec_b64 s[10:11], s[8:9]
	s_cbranch_execnz .LBB806_258
.LBB806_207:
	s_or_b64 exec, exec, s[10:11]
	s_and_saveexec_b64 s[8:9], s[6:7]
	s_cbranch_execnz .LBB806_259
.LBB806_208:
	s_or_b64 exec, exec, s[8:9]
	s_and_saveexec_b64 s[6:7], s[4:5]
	s_cbranch_execnz .LBB806_260
.LBB806_209:
	s_or_b64 exec, exec, s[6:7]
	s_and_saveexec_b64 s[4:5], s[2:3]
	s_cbranch_execz .LBB806_211
.LBB806_210:
	v_sub_u32_e32 v15, v16, v5
	v_lshlrev_b32_e32 v15, 2, v15
	ds_write_b32 v15, v17
.LBB806_211:
	s_or_b64 exec, exec, s[4:5]
	s_and_b64 s[36:37], s[0:1], exec
                                        ; implicit-def: $vgpr16_vgpr17
                                        ; implicit-def: $vgpr20_vgpr21
                                        ; implicit-def: $vgpr22_vgpr23
                                        ; implicit-def: $vgpr42_vgpr43
                                        ; implicit-def: $vgpr40_vgpr41
                                        ; implicit-def: $vgpr38_vgpr39
                                        ; implicit-def: $vgpr36_vgpr37
                                        ; implicit-def: $vgpr34_vgpr35
                                        ; implicit-def: $vgpr32_vgpr33
                                        ; implicit-def: $vgpr30_vgpr31
                                        ; implicit-def: $vgpr28_vgpr29
                                        ; implicit-def: $vgpr26_vgpr27
                                        ; implicit-def: $vgpr24_vgpr25
	s_andn2_saveexec_b64 s[0:1], s[30:31]
	s_cbranch_execz .LBB806_138
.LBB806_212:
	v_sub_u32_e32 v15, v42, v5
	v_lshlrev_b32_e32 v15, 2, v15
	ds_write_b32 v15, v43
	v_sub_u32_e32 v15, v40, v5
	v_lshlrev_b32_e32 v15, 2, v15
	ds_write_b32 v15, v41
	;; [unrolled: 3-line block ×12, first 2 shown]
	v_sub_u32_e32 v15, v16, v5
	v_lshlrev_b32_e32 v15, 2, v15
	s_or_b64 s[36:37], s[36:37], exec
	ds_write_b32 v15, v17
	s_or_b64 exec, exec, s[0:1]
	s_and_b64 exec, exec, s[36:37]
	s_cbranch_execnz .LBB806_139
	s_branch .LBB806_140
.LBB806_213:
	v_sub_u32_e32 v62, v42, v6
	v_mov_b32_e32 v63, 0
	v_lshl_add_u64 v[62:63], v[62:63], 1, v[46:47]
	global_store_short v[62:63], v12, off
	s_or_b64 exec, exec, s[36:37]
	s_and_saveexec_b64 s[36:37], s[24:25]
	s_cbranch_execz .LBB806_151
.LBB806_214:
	v_sub_u32_e32 v62, v40, v6
	v_mov_b32_e32 v63, 0
	v_lshl_add_u64 v[62:63], v[62:63], 1, v[46:47]
	global_store_short_d16_hi v[62:63], v12, off
	s_or_b64 exec, exec, s[36:37]
	s_and_saveexec_b64 s[36:37], s[22:23]
	s_cbranch_execz .LBB806_152
.LBB806_215:
	v_sub_u32_e32 v62, v38, v6
	v_mov_b32_e32 v63, 0
	v_lshl_add_u64 v[62:63], v[62:63], 1, v[46:47]
	global_store_short v[62:63], v13, off
	s_or_b64 exec, exec, s[36:37]
	s_and_saveexec_b64 s[36:37], s[20:21]
	s_cbranch_execz .LBB806_153
.LBB806_216:
	v_sub_u32_e32 v62, v36, v6
	v_mov_b32_e32 v63, 0
	v_lshl_add_u64 v[62:63], v[62:63], 1, v[46:47]
	global_store_short_d16_hi v[62:63], v13, off
	s_or_b64 exec, exec, s[36:37]
	s_and_saveexec_b64 s[36:37], s[18:19]
	s_cbranch_execz .LBB806_154
.LBB806_217:
	v_sub_u32_e32 v62, v34, v6
	v_mov_b32_e32 v63, 0
	v_lshl_add_u64 v[62:63], v[62:63], 1, v[46:47]
	global_store_short v[62:63], v10, off
	s_or_b64 exec, exec, s[36:37]
	s_and_saveexec_b64 s[36:37], s[16:17]
	s_cbranch_execz .LBB806_155
.LBB806_218:
	v_sub_u32_e32 v62, v32, v6
	v_mov_b32_e32 v63, 0
	v_lshl_add_u64 v[62:63], v[62:63], 1, v[46:47]
	global_store_short_d16_hi v[62:63], v10, off
	s_or_b64 exec, exec, s[36:37]
	s_and_saveexec_b64 s[36:37], s[14:15]
	s_cbranch_execz .LBB806_156
.LBB806_219:
	v_sub_u32_e32 v62, v30, v6
	v_mov_b32_e32 v63, 0
	v_lshl_add_u64 v[62:63], v[62:63], 1, v[46:47]
	global_store_short v[62:63], v11, off
	s_or_b64 exec, exec, s[36:37]
	s_and_saveexec_b64 s[36:37], s[12:13]
	s_cbranch_execz .LBB806_157
.LBB806_220:
	v_sub_u32_e32 v62, v28, v6
	v_mov_b32_e32 v63, 0
	v_lshl_add_u64 v[62:63], v[62:63], 1, v[46:47]
	global_store_short_d16_hi v[62:63], v11, off
	s_or_b64 exec, exec, s[36:37]
	s_and_saveexec_b64 s[36:37], s[10:11]
	s_cbranch_execz .LBB806_158
.LBB806_221:
	v_sub_u32_e32 v62, v26, v6
	v_mov_b32_e32 v63, 0
	v_lshl_add_u64 v[62:63], v[62:63], 1, v[46:47]
	global_store_short v[62:63], v8, off
	s_or_b64 exec, exec, s[36:37]
	s_and_saveexec_b64 s[36:37], s[8:9]
	s_cbranch_execz .LBB806_159
.LBB806_222:
	v_sub_u32_e32 v62, v24, v6
	v_mov_b32_e32 v63, 0
	v_lshl_add_u64 v[62:63], v[62:63], 1, v[46:47]
	global_store_short_d16_hi v[62:63], v8, off
	s_or_b64 exec, exec, s[36:37]
	s_and_saveexec_b64 s[36:37], s[6:7]
	s_cbranch_execz .LBB806_160
.LBB806_223:
	v_sub_u32_e32 v62, v22, v6
	v_mov_b32_e32 v63, 0
	v_lshl_add_u64 v[62:63], v[62:63], 1, v[46:47]
	global_store_short v[62:63], v9, off
	s_or_b64 exec, exec, s[36:37]
	s_and_saveexec_b64 s[36:37], s[4:5]
	s_cbranch_execz .LBB806_161
.LBB806_224:
	v_sub_u32_e32 v62, v20, v6
	v_mov_b32_e32 v63, 0
	v_lshl_add_u64 v[62:63], v[62:63], 1, v[46:47]
	global_store_short_d16_hi v[62:63], v9, off
	s_or_b64 exec, exec, s[36:37]
	s_and_saveexec_b64 s[36:37], s[2:3]
	s_cbranch_execnz .LBB806_162
	s_branch .LBB806_163
.LBB806_225:
	v_sub_u32_e32 v2, v42, v6
	v_lshlrev_b32_e32 v2, 1, v2
	ds_write_b16 v2, v12
	s_or_b64 exec, exec, s[36:37]
	s_and_saveexec_b64 s[26:27], s[24:25]
	s_cbranch_execz .LBB806_167
.LBB806_226:
	v_sub_u32_e32 v2, v40, v6
	v_lshlrev_b32_e32 v2, 1, v2
	ds_write_b16_d16_hi v2, v12
	s_or_b64 exec, exec, s[26:27]
	s_and_saveexec_b64 s[24:25], s[22:23]
	s_cbranch_execz .LBB806_168
.LBB806_227:
	v_sub_u32_e32 v2, v38, v6
	v_lshlrev_b32_e32 v2, 1, v2
	ds_write_b16 v2, v13
	s_or_b64 exec, exec, s[24:25]
	s_and_saveexec_b64 s[22:23], s[20:21]
	s_cbranch_execz .LBB806_169
.LBB806_228:
	v_sub_u32_e32 v2, v36, v6
	v_lshlrev_b32_e32 v2, 1, v2
	ds_write_b16_d16_hi v2, v13
	s_or_b64 exec, exec, s[22:23]
	s_and_saveexec_b64 s[20:21], s[18:19]
	s_cbranch_execz .LBB806_170
.LBB806_229:
	v_sub_u32_e32 v2, v34, v6
	v_lshlrev_b32_e32 v2, 1, v2
	ds_write_b16 v2, v10
	s_or_b64 exec, exec, s[20:21]
	s_and_saveexec_b64 s[18:19], s[16:17]
	s_cbranch_execz .LBB806_171
.LBB806_230:
	v_sub_u32_e32 v2, v32, v6
	v_lshlrev_b32_e32 v2, 1, v2
	ds_write_b16_d16_hi v2, v10
	s_or_b64 exec, exec, s[18:19]
	s_and_saveexec_b64 s[16:17], s[14:15]
	s_cbranch_execz .LBB806_172
.LBB806_231:
	v_sub_u32_e32 v2, v30, v6
	v_lshlrev_b32_e32 v2, 1, v2
	ds_write_b16 v2, v11
	s_or_b64 exec, exec, s[16:17]
	s_and_saveexec_b64 s[14:15], s[12:13]
	s_cbranch_execz .LBB806_173
.LBB806_232:
	v_sub_u32_e32 v2, v28, v6
	v_lshlrev_b32_e32 v2, 1, v2
	ds_write_b16_d16_hi v2, v11
	s_or_b64 exec, exec, s[14:15]
	s_and_saveexec_b64 s[12:13], s[10:11]
	s_cbranch_execz .LBB806_174
.LBB806_233:
	v_sub_u32_e32 v2, v26, v6
	v_lshlrev_b32_e32 v2, 1, v2
	ds_write_b16 v2, v8
	s_or_b64 exec, exec, s[12:13]
	s_and_saveexec_b64 s[10:11], s[8:9]
	s_cbranch_execz .LBB806_175
.LBB806_234:
	v_sub_u32_e32 v2, v24, v6
	v_lshlrev_b32_e32 v2, 1, v2
	ds_write_b16_d16_hi v2, v8
	s_or_b64 exec, exec, s[10:11]
	s_and_saveexec_b64 s[8:9], s[6:7]
	s_cbranch_execz .LBB806_176
.LBB806_235:
	v_sub_u32_e32 v2, v22, v6
	v_lshlrev_b32_e32 v2, 1, v2
	ds_write_b16 v2, v9
	s_or_b64 exec, exec, s[8:9]
	s_and_saveexec_b64 s[6:7], s[4:5]
	s_cbranch_execz .LBB806_177
.LBB806_236:
	v_sub_u32_e32 v2, v20, v6
	v_lshlrev_b32_e32 v2, 1, v2
	ds_write_b16_d16_hi v2, v9
	s_or_b64 exec, exec, s[6:7]
	s_and_saveexec_b64 s[4:5], s[2:3]
	s_cbranch_execnz .LBB806_178
	s_branch .LBB806_179
.LBB806_237:
	v_sub_u32_e32 v48, v42, v5
	v_mov_b32_e32 v49, 0
	v_lshl_add_u64 v[50:51], v[48:49], 3, v[46:47]
	v_mov_b32_e32 v48, v43
	global_store_dwordx2 v[50:51], v[48:49], off
	s_or_b64 exec, exec, s[36:37]
	s_and_saveexec_b64 s[36:37], s[24:25]
	s_cbranch_execz .LBB806_183
.LBB806_238:
	v_sub_u32_e32 v48, v40, v5
	v_mov_b32_e32 v49, 0
	v_lshl_add_u64 v[50:51], v[48:49], 3, v[46:47]
	v_mov_b32_e32 v48, v41
	global_store_dwordx2 v[50:51], v[48:49], off
	s_or_b64 exec, exec, s[36:37]
	s_and_saveexec_b64 s[36:37], s[22:23]
	s_cbranch_execz .LBB806_184
.LBB806_239:
	v_sub_u32_e32 v48, v38, v5
	v_mov_b32_e32 v49, 0
	v_lshl_add_u64 v[50:51], v[48:49], 3, v[46:47]
	v_mov_b32_e32 v48, v39
	global_store_dwordx2 v[50:51], v[48:49], off
	s_or_b64 exec, exec, s[36:37]
	s_and_saveexec_b64 s[36:37], s[20:21]
	s_cbranch_execz .LBB806_185
.LBB806_240:
	v_sub_u32_e32 v48, v36, v5
	v_mov_b32_e32 v49, 0
	v_lshl_add_u64 v[50:51], v[48:49], 3, v[46:47]
	v_mov_b32_e32 v48, v37
	global_store_dwordx2 v[50:51], v[48:49], off
	s_or_b64 exec, exec, s[36:37]
	s_and_saveexec_b64 s[36:37], s[18:19]
	s_cbranch_execz .LBB806_186
.LBB806_241:
	v_sub_u32_e32 v48, v34, v5
	v_mov_b32_e32 v49, 0
	v_lshl_add_u64 v[50:51], v[48:49], 3, v[46:47]
	v_mov_b32_e32 v48, v35
	global_store_dwordx2 v[50:51], v[48:49], off
	s_or_b64 exec, exec, s[36:37]
	s_and_saveexec_b64 s[36:37], s[16:17]
	s_cbranch_execz .LBB806_187
.LBB806_242:
	v_sub_u32_e32 v48, v32, v5
	v_mov_b32_e32 v49, 0
	v_lshl_add_u64 v[50:51], v[48:49], 3, v[46:47]
	v_mov_b32_e32 v48, v33
	global_store_dwordx2 v[50:51], v[48:49], off
	s_or_b64 exec, exec, s[36:37]
	s_and_saveexec_b64 s[36:37], s[14:15]
	s_cbranch_execz .LBB806_188
.LBB806_243:
	v_sub_u32_e32 v48, v30, v5
	v_mov_b32_e32 v49, 0
	v_lshl_add_u64 v[50:51], v[48:49], 3, v[46:47]
	v_mov_b32_e32 v48, v31
	global_store_dwordx2 v[50:51], v[48:49], off
	s_or_b64 exec, exec, s[36:37]
	s_and_saveexec_b64 s[36:37], s[12:13]
	s_cbranch_execz .LBB806_189
.LBB806_244:
	v_sub_u32_e32 v48, v28, v5
	v_mov_b32_e32 v49, 0
	v_lshl_add_u64 v[50:51], v[48:49], 3, v[46:47]
	v_mov_b32_e32 v48, v29
	global_store_dwordx2 v[50:51], v[48:49], off
	s_or_b64 exec, exec, s[36:37]
	s_and_saveexec_b64 s[36:37], s[10:11]
	s_cbranch_execz .LBB806_190
.LBB806_245:
	v_sub_u32_e32 v48, v26, v5
	v_mov_b32_e32 v49, 0
	v_lshl_add_u64 v[50:51], v[48:49], 3, v[46:47]
	v_mov_b32_e32 v48, v27
	global_store_dwordx2 v[50:51], v[48:49], off
	s_or_b64 exec, exec, s[36:37]
	s_and_saveexec_b64 s[36:37], s[8:9]
	s_cbranch_execz .LBB806_191
.LBB806_246:
	v_sub_u32_e32 v48, v24, v5
	v_mov_b32_e32 v49, 0
	v_lshl_add_u64 v[50:51], v[48:49], 3, v[46:47]
	v_mov_b32_e32 v48, v25
	global_store_dwordx2 v[50:51], v[48:49], off
	s_or_b64 exec, exec, s[36:37]
	s_and_saveexec_b64 s[36:37], s[6:7]
	s_cbranch_execz .LBB806_192
.LBB806_247:
	v_sub_u32_e32 v48, v22, v5
	v_mov_b32_e32 v49, 0
	v_lshl_add_u64 v[50:51], v[48:49], 3, v[46:47]
	v_mov_b32_e32 v48, v23
	global_store_dwordx2 v[50:51], v[48:49], off
	s_or_b64 exec, exec, s[36:37]
	s_and_saveexec_b64 s[36:37], s[4:5]
	s_cbranch_execz .LBB806_193
.LBB806_248:
	v_sub_u32_e32 v48, v20, v5
	v_mov_b32_e32 v49, 0
	v_lshl_add_u64 v[50:51], v[48:49], 3, v[46:47]
	v_mov_b32_e32 v48, v21
	global_store_dwordx2 v[50:51], v[48:49], off
	s_or_b64 exec, exec, s[36:37]
	s_and_saveexec_b64 s[36:37], s[2:3]
	s_cbranch_execnz .LBB806_194
	s_branch .LBB806_195
.LBB806_249:
	v_sub_u32_e32 v15, v42, v5
	v_lshlrev_b32_e32 v15, 2, v15
	ds_write_b32 v15, v43
	s_or_b64 exec, exec, s[36:37]
	s_and_saveexec_b64 s[26:27], s[24:25]
	s_cbranch_execz .LBB806_199
.LBB806_250:
	v_sub_u32_e32 v15, v40, v5
	v_lshlrev_b32_e32 v15, 2, v15
	ds_write_b32 v15, v41
	s_or_b64 exec, exec, s[26:27]
	s_and_saveexec_b64 s[24:25], s[22:23]
	s_cbranch_execz .LBB806_200
.LBB806_251:
	v_sub_u32_e32 v15, v38, v5
	v_lshlrev_b32_e32 v15, 2, v15
	ds_write_b32 v15, v39
	s_or_b64 exec, exec, s[24:25]
	s_and_saveexec_b64 s[22:23], s[20:21]
	s_cbranch_execz .LBB806_201
.LBB806_252:
	v_sub_u32_e32 v15, v36, v5
	v_lshlrev_b32_e32 v15, 2, v15
	ds_write_b32 v15, v37
	s_or_b64 exec, exec, s[22:23]
	s_and_saveexec_b64 s[20:21], s[18:19]
	s_cbranch_execz .LBB806_202
.LBB806_253:
	v_sub_u32_e32 v15, v34, v5
	v_lshlrev_b32_e32 v15, 2, v15
	ds_write_b32 v15, v35
	s_or_b64 exec, exec, s[20:21]
	s_and_saveexec_b64 s[18:19], s[16:17]
	s_cbranch_execz .LBB806_203
.LBB806_254:
	v_sub_u32_e32 v15, v32, v5
	v_lshlrev_b32_e32 v15, 2, v15
	ds_write_b32 v15, v33
	s_or_b64 exec, exec, s[18:19]
	s_and_saveexec_b64 s[16:17], s[14:15]
	s_cbranch_execz .LBB806_204
.LBB806_255:
	v_sub_u32_e32 v15, v30, v5
	v_lshlrev_b32_e32 v15, 2, v15
	ds_write_b32 v15, v31
	s_or_b64 exec, exec, s[16:17]
	s_and_saveexec_b64 s[14:15], s[12:13]
	s_cbranch_execz .LBB806_205
.LBB806_256:
	v_sub_u32_e32 v15, v28, v5
	v_lshlrev_b32_e32 v15, 2, v15
	ds_write_b32 v15, v29
	s_or_b64 exec, exec, s[14:15]
	s_and_saveexec_b64 s[12:13], s[10:11]
	s_cbranch_execz .LBB806_206
.LBB806_257:
	v_sub_u32_e32 v15, v26, v5
	v_lshlrev_b32_e32 v15, 2, v15
	ds_write_b32 v15, v27
	s_or_b64 exec, exec, s[12:13]
	s_and_saveexec_b64 s[10:11], s[8:9]
	s_cbranch_execz .LBB806_207
.LBB806_258:
	v_sub_u32_e32 v15, v24, v5
	v_lshlrev_b32_e32 v15, 2, v15
	ds_write_b32 v15, v25
	s_or_b64 exec, exec, s[10:11]
	s_and_saveexec_b64 s[8:9], s[6:7]
	s_cbranch_execz .LBB806_208
.LBB806_259:
	v_sub_u32_e32 v15, v22, v5
	v_lshlrev_b32_e32 v15, 2, v15
	ds_write_b32 v15, v23
	s_or_b64 exec, exec, s[8:9]
	s_and_saveexec_b64 s[6:7], s[4:5]
	s_cbranch_execz .LBB806_209
.LBB806_260:
	v_sub_u32_e32 v15, v20, v5
	v_lshlrev_b32_e32 v15, 2, v15
	ds_write_b32 v15, v21
	s_or_b64 exec, exec, s[6:7]
	s_and_saveexec_b64 s[4:5], s[2:3]
	s_cbranch_execnz .LBB806_210
	s_branch .LBB806_211
	.section	.rodata,"a",@progbits
	.p2align	6, 0x0
	.amdhsa_kernel _ZN7rocprim17ROCPRIM_400000_NS6detail17trampoline_kernelINS0_14default_configENS1_33run_length_encode_config_selectorItjNS0_4plusIjEEEEZZNS1_33reduce_by_key_impl_wrapped_configILNS1_25lookback_scan_determinismE0ES3_S7_PKtNS0_17constant_iteratorIjlEEPtPlSF_S6_NS0_8equal_toItEEEE10hipError_tPvRmT2_T3_mT4_T5_T6_T7_T8_P12ihipStream_tbENKUlT_T0_E_clISt17integral_constantIbLb1EESY_IbLb0EEEEDaSU_SV_EUlSU_E_NS1_11comp_targetILNS1_3genE5ELNS1_11target_archE942ELNS1_3gpuE9ELNS1_3repE0EEENS1_30default_config_static_selectorELNS0_4arch9wavefront6targetE1EEEvT1_
		.amdhsa_group_segment_fixed_size 28672
		.amdhsa_private_segment_fixed_size 0
		.amdhsa_kernarg_size 128
		.amdhsa_user_sgpr_count 2
		.amdhsa_user_sgpr_dispatch_ptr 0
		.amdhsa_user_sgpr_queue_ptr 0
		.amdhsa_user_sgpr_kernarg_segment_ptr 1
		.amdhsa_user_sgpr_dispatch_id 0
		.amdhsa_user_sgpr_kernarg_preload_length 0
		.amdhsa_user_sgpr_kernarg_preload_offset 0
		.amdhsa_user_sgpr_private_segment_size 0
		.amdhsa_uses_dynamic_stack 0
		.amdhsa_enable_private_segment 0
		.amdhsa_system_sgpr_workgroup_id_x 1
		.amdhsa_system_sgpr_workgroup_id_y 0
		.amdhsa_system_sgpr_workgroup_id_z 0
		.amdhsa_system_sgpr_workgroup_info 0
		.amdhsa_system_vgpr_workitem_id 0
		.amdhsa_next_free_vgpr 105
		.amdhsa_next_free_sgpr 62
		.amdhsa_accum_offset 108
		.amdhsa_reserve_vcc 1
		.amdhsa_float_round_mode_32 0
		.amdhsa_float_round_mode_16_64 0
		.amdhsa_float_denorm_mode_32 3
		.amdhsa_float_denorm_mode_16_64 3
		.amdhsa_dx10_clamp 1
		.amdhsa_ieee_mode 1
		.amdhsa_fp16_overflow 0
		.amdhsa_tg_split 0
		.amdhsa_exception_fp_ieee_invalid_op 0
		.amdhsa_exception_fp_denorm_src 0
		.amdhsa_exception_fp_ieee_div_zero 0
		.amdhsa_exception_fp_ieee_overflow 0
		.amdhsa_exception_fp_ieee_underflow 0
		.amdhsa_exception_fp_ieee_inexact 0
		.amdhsa_exception_int_div_zero 0
	.end_amdhsa_kernel
	.section	.text._ZN7rocprim17ROCPRIM_400000_NS6detail17trampoline_kernelINS0_14default_configENS1_33run_length_encode_config_selectorItjNS0_4plusIjEEEEZZNS1_33reduce_by_key_impl_wrapped_configILNS1_25lookback_scan_determinismE0ES3_S7_PKtNS0_17constant_iteratorIjlEEPtPlSF_S6_NS0_8equal_toItEEEE10hipError_tPvRmT2_T3_mT4_T5_T6_T7_T8_P12ihipStream_tbENKUlT_T0_E_clISt17integral_constantIbLb1EESY_IbLb0EEEEDaSU_SV_EUlSU_E_NS1_11comp_targetILNS1_3genE5ELNS1_11target_archE942ELNS1_3gpuE9ELNS1_3repE0EEENS1_30default_config_static_selectorELNS0_4arch9wavefront6targetE1EEEvT1_,"axG",@progbits,_ZN7rocprim17ROCPRIM_400000_NS6detail17trampoline_kernelINS0_14default_configENS1_33run_length_encode_config_selectorItjNS0_4plusIjEEEEZZNS1_33reduce_by_key_impl_wrapped_configILNS1_25lookback_scan_determinismE0ES3_S7_PKtNS0_17constant_iteratorIjlEEPtPlSF_S6_NS0_8equal_toItEEEE10hipError_tPvRmT2_T3_mT4_T5_T6_T7_T8_P12ihipStream_tbENKUlT_T0_E_clISt17integral_constantIbLb1EESY_IbLb0EEEEDaSU_SV_EUlSU_E_NS1_11comp_targetILNS1_3genE5ELNS1_11target_archE942ELNS1_3gpuE9ELNS1_3repE0EEENS1_30default_config_static_selectorELNS0_4arch9wavefront6targetE1EEEvT1_,comdat
.Lfunc_end806:
	.size	_ZN7rocprim17ROCPRIM_400000_NS6detail17trampoline_kernelINS0_14default_configENS1_33run_length_encode_config_selectorItjNS0_4plusIjEEEEZZNS1_33reduce_by_key_impl_wrapped_configILNS1_25lookback_scan_determinismE0ES3_S7_PKtNS0_17constant_iteratorIjlEEPtPlSF_S6_NS0_8equal_toItEEEE10hipError_tPvRmT2_T3_mT4_T5_T6_T7_T8_P12ihipStream_tbENKUlT_T0_E_clISt17integral_constantIbLb1EESY_IbLb0EEEEDaSU_SV_EUlSU_E_NS1_11comp_targetILNS1_3genE5ELNS1_11target_archE942ELNS1_3gpuE9ELNS1_3repE0EEENS1_30default_config_static_selectorELNS0_4arch9wavefront6targetE1EEEvT1_, .Lfunc_end806-_ZN7rocprim17ROCPRIM_400000_NS6detail17trampoline_kernelINS0_14default_configENS1_33run_length_encode_config_selectorItjNS0_4plusIjEEEEZZNS1_33reduce_by_key_impl_wrapped_configILNS1_25lookback_scan_determinismE0ES3_S7_PKtNS0_17constant_iteratorIjlEEPtPlSF_S6_NS0_8equal_toItEEEE10hipError_tPvRmT2_T3_mT4_T5_T6_T7_T8_P12ihipStream_tbENKUlT_T0_E_clISt17integral_constantIbLb1EESY_IbLb0EEEEDaSU_SV_EUlSU_E_NS1_11comp_targetILNS1_3genE5ELNS1_11target_archE942ELNS1_3gpuE9ELNS1_3repE0EEENS1_30default_config_static_selectorELNS0_4arch9wavefront6targetE1EEEvT1_
                                        ; -- End function
	.section	.AMDGPU.csdata,"",@progbits
; Kernel info:
; codeLenInByte = 14304
; NumSgprs: 68
; NumVgprs: 105
; NumAgprs: 0
; TotalNumVgprs: 105
; ScratchSize: 0
; MemoryBound: 0
; FloatMode: 240
; IeeeMode: 1
; LDSByteSize: 28672 bytes/workgroup (compile time only)
; SGPRBlocks: 8
; VGPRBlocks: 13
; NumSGPRsForWavesPerEU: 68
; NumVGPRsForWavesPerEU: 105
; AccumOffset: 108
; Occupancy: 4
; WaveLimiterHint : 1
; COMPUTE_PGM_RSRC2:SCRATCH_EN: 0
; COMPUTE_PGM_RSRC2:USER_SGPR: 2
; COMPUTE_PGM_RSRC2:TRAP_HANDLER: 0
; COMPUTE_PGM_RSRC2:TGID_X_EN: 1
; COMPUTE_PGM_RSRC2:TGID_Y_EN: 0
; COMPUTE_PGM_RSRC2:TGID_Z_EN: 0
; COMPUTE_PGM_RSRC2:TIDIG_COMP_CNT: 0
; COMPUTE_PGM_RSRC3_GFX90A:ACCUM_OFFSET: 26
; COMPUTE_PGM_RSRC3_GFX90A:TG_SPLIT: 0
	.section	.text._ZN7rocprim17ROCPRIM_400000_NS6detail17trampoline_kernelINS0_14default_configENS1_33run_length_encode_config_selectorItjNS0_4plusIjEEEEZZNS1_33reduce_by_key_impl_wrapped_configILNS1_25lookback_scan_determinismE0ES3_S7_PKtNS0_17constant_iteratorIjlEEPtPlSF_S6_NS0_8equal_toItEEEE10hipError_tPvRmT2_T3_mT4_T5_T6_T7_T8_P12ihipStream_tbENKUlT_T0_E_clISt17integral_constantIbLb1EESY_IbLb0EEEEDaSU_SV_EUlSU_E_NS1_11comp_targetILNS1_3genE4ELNS1_11target_archE910ELNS1_3gpuE8ELNS1_3repE0EEENS1_30default_config_static_selectorELNS0_4arch9wavefront6targetE1EEEvT1_,"axG",@progbits,_ZN7rocprim17ROCPRIM_400000_NS6detail17trampoline_kernelINS0_14default_configENS1_33run_length_encode_config_selectorItjNS0_4plusIjEEEEZZNS1_33reduce_by_key_impl_wrapped_configILNS1_25lookback_scan_determinismE0ES3_S7_PKtNS0_17constant_iteratorIjlEEPtPlSF_S6_NS0_8equal_toItEEEE10hipError_tPvRmT2_T3_mT4_T5_T6_T7_T8_P12ihipStream_tbENKUlT_T0_E_clISt17integral_constantIbLb1EESY_IbLb0EEEEDaSU_SV_EUlSU_E_NS1_11comp_targetILNS1_3genE4ELNS1_11target_archE910ELNS1_3gpuE8ELNS1_3repE0EEENS1_30default_config_static_selectorELNS0_4arch9wavefront6targetE1EEEvT1_,comdat
	.protected	_ZN7rocprim17ROCPRIM_400000_NS6detail17trampoline_kernelINS0_14default_configENS1_33run_length_encode_config_selectorItjNS0_4plusIjEEEEZZNS1_33reduce_by_key_impl_wrapped_configILNS1_25lookback_scan_determinismE0ES3_S7_PKtNS0_17constant_iteratorIjlEEPtPlSF_S6_NS0_8equal_toItEEEE10hipError_tPvRmT2_T3_mT4_T5_T6_T7_T8_P12ihipStream_tbENKUlT_T0_E_clISt17integral_constantIbLb1EESY_IbLb0EEEEDaSU_SV_EUlSU_E_NS1_11comp_targetILNS1_3genE4ELNS1_11target_archE910ELNS1_3gpuE8ELNS1_3repE0EEENS1_30default_config_static_selectorELNS0_4arch9wavefront6targetE1EEEvT1_ ; -- Begin function _ZN7rocprim17ROCPRIM_400000_NS6detail17trampoline_kernelINS0_14default_configENS1_33run_length_encode_config_selectorItjNS0_4plusIjEEEEZZNS1_33reduce_by_key_impl_wrapped_configILNS1_25lookback_scan_determinismE0ES3_S7_PKtNS0_17constant_iteratorIjlEEPtPlSF_S6_NS0_8equal_toItEEEE10hipError_tPvRmT2_T3_mT4_T5_T6_T7_T8_P12ihipStream_tbENKUlT_T0_E_clISt17integral_constantIbLb1EESY_IbLb0EEEEDaSU_SV_EUlSU_E_NS1_11comp_targetILNS1_3genE4ELNS1_11target_archE910ELNS1_3gpuE8ELNS1_3repE0EEENS1_30default_config_static_selectorELNS0_4arch9wavefront6targetE1EEEvT1_
	.globl	_ZN7rocprim17ROCPRIM_400000_NS6detail17trampoline_kernelINS0_14default_configENS1_33run_length_encode_config_selectorItjNS0_4plusIjEEEEZZNS1_33reduce_by_key_impl_wrapped_configILNS1_25lookback_scan_determinismE0ES3_S7_PKtNS0_17constant_iteratorIjlEEPtPlSF_S6_NS0_8equal_toItEEEE10hipError_tPvRmT2_T3_mT4_T5_T6_T7_T8_P12ihipStream_tbENKUlT_T0_E_clISt17integral_constantIbLb1EESY_IbLb0EEEEDaSU_SV_EUlSU_E_NS1_11comp_targetILNS1_3genE4ELNS1_11target_archE910ELNS1_3gpuE8ELNS1_3repE0EEENS1_30default_config_static_selectorELNS0_4arch9wavefront6targetE1EEEvT1_
	.p2align	8
	.type	_ZN7rocprim17ROCPRIM_400000_NS6detail17trampoline_kernelINS0_14default_configENS1_33run_length_encode_config_selectorItjNS0_4plusIjEEEEZZNS1_33reduce_by_key_impl_wrapped_configILNS1_25lookback_scan_determinismE0ES3_S7_PKtNS0_17constant_iteratorIjlEEPtPlSF_S6_NS0_8equal_toItEEEE10hipError_tPvRmT2_T3_mT4_T5_T6_T7_T8_P12ihipStream_tbENKUlT_T0_E_clISt17integral_constantIbLb1EESY_IbLb0EEEEDaSU_SV_EUlSU_E_NS1_11comp_targetILNS1_3genE4ELNS1_11target_archE910ELNS1_3gpuE8ELNS1_3repE0EEENS1_30default_config_static_selectorELNS0_4arch9wavefront6targetE1EEEvT1_,@function
_ZN7rocprim17ROCPRIM_400000_NS6detail17trampoline_kernelINS0_14default_configENS1_33run_length_encode_config_selectorItjNS0_4plusIjEEEEZZNS1_33reduce_by_key_impl_wrapped_configILNS1_25lookback_scan_determinismE0ES3_S7_PKtNS0_17constant_iteratorIjlEEPtPlSF_S6_NS0_8equal_toItEEEE10hipError_tPvRmT2_T3_mT4_T5_T6_T7_T8_P12ihipStream_tbENKUlT_T0_E_clISt17integral_constantIbLb1EESY_IbLb0EEEEDaSU_SV_EUlSU_E_NS1_11comp_targetILNS1_3genE4ELNS1_11target_archE910ELNS1_3gpuE8ELNS1_3repE0EEENS1_30default_config_static_selectorELNS0_4arch9wavefront6targetE1EEEvT1_: ; @_ZN7rocprim17ROCPRIM_400000_NS6detail17trampoline_kernelINS0_14default_configENS1_33run_length_encode_config_selectorItjNS0_4plusIjEEEEZZNS1_33reduce_by_key_impl_wrapped_configILNS1_25lookback_scan_determinismE0ES3_S7_PKtNS0_17constant_iteratorIjlEEPtPlSF_S6_NS0_8equal_toItEEEE10hipError_tPvRmT2_T3_mT4_T5_T6_T7_T8_P12ihipStream_tbENKUlT_T0_E_clISt17integral_constantIbLb1EESY_IbLb0EEEEDaSU_SV_EUlSU_E_NS1_11comp_targetILNS1_3genE4ELNS1_11target_archE910ELNS1_3gpuE8ELNS1_3repE0EEENS1_30default_config_static_selectorELNS0_4arch9wavefront6targetE1EEEvT1_
; %bb.0:
	.section	.rodata,"a",@progbits
	.p2align	6, 0x0
	.amdhsa_kernel _ZN7rocprim17ROCPRIM_400000_NS6detail17trampoline_kernelINS0_14default_configENS1_33run_length_encode_config_selectorItjNS0_4plusIjEEEEZZNS1_33reduce_by_key_impl_wrapped_configILNS1_25lookback_scan_determinismE0ES3_S7_PKtNS0_17constant_iteratorIjlEEPtPlSF_S6_NS0_8equal_toItEEEE10hipError_tPvRmT2_T3_mT4_T5_T6_T7_T8_P12ihipStream_tbENKUlT_T0_E_clISt17integral_constantIbLb1EESY_IbLb0EEEEDaSU_SV_EUlSU_E_NS1_11comp_targetILNS1_3genE4ELNS1_11target_archE910ELNS1_3gpuE8ELNS1_3repE0EEENS1_30default_config_static_selectorELNS0_4arch9wavefront6targetE1EEEvT1_
		.amdhsa_group_segment_fixed_size 0
		.amdhsa_private_segment_fixed_size 0
		.amdhsa_kernarg_size 128
		.amdhsa_user_sgpr_count 2
		.amdhsa_user_sgpr_dispatch_ptr 0
		.amdhsa_user_sgpr_queue_ptr 0
		.amdhsa_user_sgpr_kernarg_segment_ptr 1
		.amdhsa_user_sgpr_dispatch_id 0
		.amdhsa_user_sgpr_kernarg_preload_length 0
		.amdhsa_user_sgpr_kernarg_preload_offset 0
		.amdhsa_user_sgpr_private_segment_size 0
		.amdhsa_uses_dynamic_stack 0
		.amdhsa_enable_private_segment 0
		.amdhsa_system_sgpr_workgroup_id_x 1
		.amdhsa_system_sgpr_workgroup_id_y 0
		.amdhsa_system_sgpr_workgroup_id_z 0
		.amdhsa_system_sgpr_workgroup_info 0
		.amdhsa_system_vgpr_workitem_id 0
		.amdhsa_next_free_vgpr 1
		.amdhsa_next_free_sgpr 0
		.amdhsa_accum_offset 4
		.amdhsa_reserve_vcc 0
		.amdhsa_float_round_mode_32 0
		.amdhsa_float_round_mode_16_64 0
		.amdhsa_float_denorm_mode_32 3
		.amdhsa_float_denorm_mode_16_64 3
		.amdhsa_dx10_clamp 1
		.amdhsa_ieee_mode 1
		.amdhsa_fp16_overflow 0
		.amdhsa_tg_split 0
		.amdhsa_exception_fp_ieee_invalid_op 0
		.amdhsa_exception_fp_denorm_src 0
		.amdhsa_exception_fp_ieee_div_zero 0
		.amdhsa_exception_fp_ieee_overflow 0
		.amdhsa_exception_fp_ieee_underflow 0
		.amdhsa_exception_fp_ieee_inexact 0
		.amdhsa_exception_int_div_zero 0
	.end_amdhsa_kernel
	.section	.text._ZN7rocprim17ROCPRIM_400000_NS6detail17trampoline_kernelINS0_14default_configENS1_33run_length_encode_config_selectorItjNS0_4plusIjEEEEZZNS1_33reduce_by_key_impl_wrapped_configILNS1_25lookback_scan_determinismE0ES3_S7_PKtNS0_17constant_iteratorIjlEEPtPlSF_S6_NS0_8equal_toItEEEE10hipError_tPvRmT2_T3_mT4_T5_T6_T7_T8_P12ihipStream_tbENKUlT_T0_E_clISt17integral_constantIbLb1EESY_IbLb0EEEEDaSU_SV_EUlSU_E_NS1_11comp_targetILNS1_3genE4ELNS1_11target_archE910ELNS1_3gpuE8ELNS1_3repE0EEENS1_30default_config_static_selectorELNS0_4arch9wavefront6targetE1EEEvT1_,"axG",@progbits,_ZN7rocprim17ROCPRIM_400000_NS6detail17trampoline_kernelINS0_14default_configENS1_33run_length_encode_config_selectorItjNS0_4plusIjEEEEZZNS1_33reduce_by_key_impl_wrapped_configILNS1_25lookback_scan_determinismE0ES3_S7_PKtNS0_17constant_iteratorIjlEEPtPlSF_S6_NS0_8equal_toItEEEE10hipError_tPvRmT2_T3_mT4_T5_T6_T7_T8_P12ihipStream_tbENKUlT_T0_E_clISt17integral_constantIbLb1EESY_IbLb0EEEEDaSU_SV_EUlSU_E_NS1_11comp_targetILNS1_3genE4ELNS1_11target_archE910ELNS1_3gpuE8ELNS1_3repE0EEENS1_30default_config_static_selectorELNS0_4arch9wavefront6targetE1EEEvT1_,comdat
.Lfunc_end807:
	.size	_ZN7rocprim17ROCPRIM_400000_NS6detail17trampoline_kernelINS0_14default_configENS1_33run_length_encode_config_selectorItjNS0_4plusIjEEEEZZNS1_33reduce_by_key_impl_wrapped_configILNS1_25lookback_scan_determinismE0ES3_S7_PKtNS0_17constant_iteratorIjlEEPtPlSF_S6_NS0_8equal_toItEEEE10hipError_tPvRmT2_T3_mT4_T5_T6_T7_T8_P12ihipStream_tbENKUlT_T0_E_clISt17integral_constantIbLb1EESY_IbLb0EEEEDaSU_SV_EUlSU_E_NS1_11comp_targetILNS1_3genE4ELNS1_11target_archE910ELNS1_3gpuE8ELNS1_3repE0EEENS1_30default_config_static_selectorELNS0_4arch9wavefront6targetE1EEEvT1_, .Lfunc_end807-_ZN7rocprim17ROCPRIM_400000_NS6detail17trampoline_kernelINS0_14default_configENS1_33run_length_encode_config_selectorItjNS0_4plusIjEEEEZZNS1_33reduce_by_key_impl_wrapped_configILNS1_25lookback_scan_determinismE0ES3_S7_PKtNS0_17constant_iteratorIjlEEPtPlSF_S6_NS0_8equal_toItEEEE10hipError_tPvRmT2_T3_mT4_T5_T6_T7_T8_P12ihipStream_tbENKUlT_T0_E_clISt17integral_constantIbLb1EESY_IbLb0EEEEDaSU_SV_EUlSU_E_NS1_11comp_targetILNS1_3genE4ELNS1_11target_archE910ELNS1_3gpuE8ELNS1_3repE0EEENS1_30default_config_static_selectorELNS0_4arch9wavefront6targetE1EEEvT1_
                                        ; -- End function
	.section	.AMDGPU.csdata,"",@progbits
; Kernel info:
; codeLenInByte = 0
; NumSgprs: 6
; NumVgprs: 0
; NumAgprs: 0
; TotalNumVgprs: 0
; ScratchSize: 0
; MemoryBound: 0
; FloatMode: 240
; IeeeMode: 1
; LDSByteSize: 0 bytes/workgroup (compile time only)
; SGPRBlocks: 0
; VGPRBlocks: 0
; NumSGPRsForWavesPerEU: 6
; NumVGPRsForWavesPerEU: 1
; AccumOffset: 4
; Occupancy: 8
; WaveLimiterHint : 0
; COMPUTE_PGM_RSRC2:SCRATCH_EN: 0
; COMPUTE_PGM_RSRC2:USER_SGPR: 2
; COMPUTE_PGM_RSRC2:TRAP_HANDLER: 0
; COMPUTE_PGM_RSRC2:TGID_X_EN: 1
; COMPUTE_PGM_RSRC2:TGID_Y_EN: 0
; COMPUTE_PGM_RSRC2:TGID_Z_EN: 0
; COMPUTE_PGM_RSRC2:TIDIG_COMP_CNT: 0
; COMPUTE_PGM_RSRC3_GFX90A:ACCUM_OFFSET: 0
; COMPUTE_PGM_RSRC3_GFX90A:TG_SPLIT: 0
	.section	.text._ZN7rocprim17ROCPRIM_400000_NS6detail17trampoline_kernelINS0_14default_configENS1_33run_length_encode_config_selectorItjNS0_4plusIjEEEEZZNS1_33reduce_by_key_impl_wrapped_configILNS1_25lookback_scan_determinismE0ES3_S7_PKtNS0_17constant_iteratorIjlEEPtPlSF_S6_NS0_8equal_toItEEEE10hipError_tPvRmT2_T3_mT4_T5_T6_T7_T8_P12ihipStream_tbENKUlT_T0_E_clISt17integral_constantIbLb1EESY_IbLb0EEEEDaSU_SV_EUlSU_E_NS1_11comp_targetILNS1_3genE3ELNS1_11target_archE908ELNS1_3gpuE7ELNS1_3repE0EEENS1_30default_config_static_selectorELNS0_4arch9wavefront6targetE1EEEvT1_,"axG",@progbits,_ZN7rocprim17ROCPRIM_400000_NS6detail17trampoline_kernelINS0_14default_configENS1_33run_length_encode_config_selectorItjNS0_4plusIjEEEEZZNS1_33reduce_by_key_impl_wrapped_configILNS1_25lookback_scan_determinismE0ES3_S7_PKtNS0_17constant_iteratorIjlEEPtPlSF_S6_NS0_8equal_toItEEEE10hipError_tPvRmT2_T3_mT4_T5_T6_T7_T8_P12ihipStream_tbENKUlT_T0_E_clISt17integral_constantIbLb1EESY_IbLb0EEEEDaSU_SV_EUlSU_E_NS1_11comp_targetILNS1_3genE3ELNS1_11target_archE908ELNS1_3gpuE7ELNS1_3repE0EEENS1_30default_config_static_selectorELNS0_4arch9wavefront6targetE1EEEvT1_,comdat
	.protected	_ZN7rocprim17ROCPRIM_400000_NS6detail17trampoline_kernelINS0_14default_configENS1_33run_length_encode_config_selectorItjNS0_4plusIjEEEEZZNS1_33reduce_by_key_impl_wrapped_configILNS1_25lookback_scan_determinismE0ES3_S7_PKtNS0_17constant_iteratorIjlEEPtPlSF_S6_NS0_8equal_toItEEEE10hipError_tPvRmT2_T3_mT4_T5_T6_T7_T8_P12ihipStream_tbENKUlT_T0_E_clISt17integral_constantIbLb1EESY_IbLb0EEEEDaSU_SV_EUlSU_E_NS1_11comp_targetILNS1_3genE3ELNS1_11target_archE908ELNS1_3gpuE7ELNS1_3repE0EEENS1_30default_config_static_selectorELNS0_4arch9wavefront6targetE1EEEvT1_ ; -- Begin function _ZN7rocprim17ROCPRIM_400000_NS6detail17trampoline_kernelINS0_14default_configENS1_33run_length_encode_config_selectorItjNS0_4plusIjEEEEZZNS1_33reduce_by_key_impl_wrapped_configILNS1_25lookback_scan_determinismE0ES3_S7_PKtNS0_17constant_iteratorIjlEEPtPlSF_S6_NS0_8equal_toItEEEE10hipError_tPvRmT2_T3_mT4_T5_T6_T7_T8_P12ihipStream_tbENKUlT_T0_E_clISt17integral_constantIbLb1EESY_IbLb0EEEEDaSU_SV_EUlSU_E_NS1_11comp_targetILNS1_3genE3ELNS1_11target_archE908ELNS1_3gpuE7ELNS1_3repE0EEENS1_30default_config_static_selectorELNS0_4arch9wavefront6targetE1EEEvT1_
	.globl	_ZN7rocprim17ROCPRIM_400000_NS6detail17trampoline_kernelINS0_14default_configENS1_33run_length_encode_config_selectorItjNS0_4plusIjEEEEZZNS1_33reduce_by_key_impl_wrapped_configILNS1_25lookback_scan_determinismE0ES3_S7_PKtNS0_17constant_iteratorIjlEEPtPlSF_S6_NS0_8equal_toItEEEE10hipError_tPvRmT2_T3_mT4_T5_T6_T7_T8_P12ihipStream_tbENKUlT_T0_E_clISt17integral_constantIbLb1EESY_IbLb0EEEEDaSU_SV_EUlSU_E_NS1_11comp_targetILNS1_3genE3ELNS1_11target_archE908ELNS1_3gpuE7ELNS1_3repE0EEENS1_30default_config_static_selectorELNS0_4arch9wavefront6targetE1EEEvT1_
	.p2align	8
	.type	_ZN7rocprim17ROCPRIM_400000_NS6detail17trampoline_kernelINS0_14default_configENS1_33run_length_encode_config_selectorItjNS0_4plusIjEEEEZZNS1_33reduce_by_key_impl_wrapped_configILNS1_25lookback_scan_determinismE0ES3_S7_PKtNS0_17constant_iteratorIjlEEPtPlSF_S6_NS0_8equal_toItEEEE10hipError_tPvRmT2_T3_mT4_T5_T6_T7_T8_P12ihipStream_tbENKUlT_T0_E_clISt17integral_constantIbLb1EESY_IbLb0EEEEDaSU_SV_EUlSU_E_NS1_11comp_targetILNS1_3genE3ELNS1_11target_archE908ELNS1_3gpuE7ELNS1_3repE0EEENS1_30default_config_static_selectorELNS0_4arch9wavefront6targetE1EEEvT1_,@function
_ZN7rocprim17ROCPRIM_400000_NS6detail17trampoline_kernelINS0_14default_configENS1_33run_length_encode_config_selectorItjNS0_4plusIjEEEEZZNS1_33reduce_by_key_impl_wrapped_configILNS1_25lookback_scan_determinismE0ES3_S7_PKtNS0_17constant_iteratorIjlEEPtPlSF_S6_NS0_8equal_toItEEEE10hipError_tPvRmT2_T3_mT4_T5_T6_T7_T8_P12ihipStream_tbENKUlT_T0_E_clISt17integral_constantIbLb1EESY_IbLb0EEEEDaSU_SV_EUlSU_E_NS1_11comp_targetILNS1_3genE3ELNS1_11target_archE908ELNS1_3gpuE7ELNS1_3repE0EEENS1_30default_config_static_selectorELNS0_4arch9wavefront6targetE1EEEvT1_: ; @_ZN7rocprim17ROCPRIM_400000_NS6detail17trampoline_kernelINS0_14default_configENS1_33run_length_encode_config_selectorItjNS0_4plusIjEEEEZZNS1_33reduce_by_key_impl_wrapped_configILNS1_25lookback_scan_determinismE0ES3_S7_PKtNS0_17constant_iteratorIjlEEPtPlSF_S6_NS0_8equal_toItEEEE10hipError_tPvRmT2_T3_mT4_T5_T6_T7_T8_P12ihipStream_tbENKUlT_T0_E_clISt17integral_constantIbLb1EESY_IbLb0EEEEDaSU_SV_EUlSU_E_NS1_11comp_targetILNS1_3genE3ELNS1_11target_archE908ELNS1_3gpuE7ELNS1_3repE0EEENS1_30default_config_static_selectorELNS0_4arch9wavefront6targetE1EEEvT1_
; %bb.0:
	.section	.rodata,"a",@progbits
	.p2align	6, 0x0
	.amdhsa_kernel _ZN7rocprim17ROCPRIM_400000_NS6detail17trampoline_kernelINS0_14default_configENS1_33run_length_encode_config_selectorItjNS0_4plusIjEEEEZZNS1_33reduce_by_key_impl_wrapped_configILNS1_25lookback_scan_determinismE0ES3_S7_PKtNS0_17constant_iteratorIjlEEPtPlSF_S6_NS0_8equal_toItEEEE10hipError_tPvRmT2_T3_mT4_T5_T6_T7_T8_P12ihipStream_tbENKUlT_T0_E_clISt17integral_constantIbLb1EESY_IbLb0EEEEDaSU_SV_EUlSU_E_NS1_11comp_targetILNS1_3genE3ELNS1_11target_archE908ELNS1_3gpuE7ELNS1_3repE0EEENS1_30default_config_static_selectorELNS0_4arch9wavefront6targetE1EEEvT1_
		.amdhsa_group_segment_fixed_size 0
		.amdhsa_private_segment_fixed_size 0
		.amdhsa_kernarg_size 128
		.amdhsa_user_sgpr_count 2
		.amdhsa_user_sgpr_dispatch_ptr 0
		.amdhsa_user_sgpr_queue_ptr 0
		.amdhsa_user_sgpr_kernarg_segment_ptr 1
		.amdhsa_user_sgpr_dispatch_id 0
		.amdhsa_user_sgpr_kernarg_preload_length 0
		.amdhsa_user_sgpr_kernarg_preload_offset 0
		.amdhsa_user_sgpr_private_segment_size 0
		.amdhsa_uses_dynamic_stack 0
		.amdhsa_enable_private_segment 0
		.amdhsa_system_sgpr_workgroup_id_x 1
		.amdhsa_system_sgpr_workgroup_id_y 0
		.amdhsa_system_sgpr_workgroup_id_z 0
		.amdhsa_system_sgpr_workgroup_info 0
		.amdhsa_system_vgpr_workitem_id 0
		.amdhsa_next_free_vgpr 1
		.amdhsa_next_free_sgpr 0
		.amdhsa_accum_offset 4
		.amdhsa_reserve_vcc 0
		.amdhsa_float_round_mode_32 0
		.amdhsa_float_round_mode_16_64 0
		.amdhsa_float_denorm_mode_32 3
		.amdhsa_float_denorm_mode_16_64 3
		.amdhsa_dx10_clamp 1
		.amdhsa_ieee_mode 1
		.amdhsa_fp16_overflow 0
		.amdhsa_tg_split 0
		.amdhsa_exception_fp_ieee_invalid_op 0
		.amdhsa_exception_fp_denorm_src 0
		.amdhsa_exception_fp_ieee_div_zero 0
		.amdhsa_exception_fp_ieee_overflow 0
		.amdhsa_exception_fp_ieee_underflow 0
		.amdhsa_exception_fp_ieee_inexact 0
		.amdhsa_exception_int_div_zero 0
	.end_amdhsa_kernel
	.section	.text._ZN7rocprim17ROCPRIM_400000_NS6detail17trampoline_kernelINS0_14default_configENS1_33run_length_encode_config_selectorItjNS0_4plusIjEEEEZZNS1_33reduce_by_key_impl_wrapped_configILNS1_25lookback_scan_determinismE0ES3_S7_PKtNS0_17constant_iteratorIjlEEPtPlSF_S6_NS0_8equal_toItEEEE10hipError_tPvRmT2_T3_mT4_T5_T6_T7_T8_P12ihipStream_tbENKUlT_T0_E_clISt17integral_constantIbLb1EESY_IbLb0EEEEDaSU_SV_EUlSU_E_NS1_11comp_targetILNS1_3genE3ELNS1_11target_archE908ELNS1_3gpuE7ELNS1_3repE0EEENS1_30default_config_static_selectorELNS0_4arch9wavefront6targetE1EEEvT1_,"axG",@progbits,_ZN7rocprim17ROCPRIM_400000_NS6detail17trampoline_kernelINS0_14default_configENS1_33run_length_encode_config_selectorItjNS0_4plusIjEEEEZZNS1_33reduce_by_key_impl_wrapped_configILNS1_25lookback_scan_determinismE0ES3_S7_PKtNS0_17constant_iteratorIjlEEPtPlSF_S6_NS0_8equal_toItEEEE10hipError_tPvRmT2_T3_mT4_T5_T6_T7_T8_P12ihipStream_tbENKUlT_T0_E_clISt17integral_constantIbLb1EESY_IbLb0EEEEDaSU_SV_EUlSU_E_NS1_11comp_targetILNS1_3genE3ELNS1_11target_archE908ELNS1_3gpuE7ELNS1_3repE0EEENS1_30default_config_static_selectorELNS0_4arch9wavefront6targetE1EEEvT1_,comdat
.Lfunc_end808:
	.size	_ZN7rocprim17ROCPRIM_400000_NS6detail17trampoline_kernelINS0_14default_configENS1_33run_length_encode_config_selectorItjNS0_4plusIjEEEEZZNS1_33reduce_by_key_impl_wrapped_configILNS1_25lookback_scan_determinismE0ES3_S7_PKtNS0_17constant_iteratorIjlEEPtPlSF_S6_NS0_8equal_toItEEEE10hipError_tPvRmT2_T3_mT4_T5_T6_T7_T8_P12ihipStream_tbENKUlT_T0_E_clISt17integral_constantIbLb1EESY_IbLb0EEEEDaSU_SV_EUlSU_E_NS1_11comp_targetILNS1_3genE3ELNS1_11target_archE908ELNS1_3gpuE7ELNS1_3repE0EEENS1_30default_config_static_selectorELNS0_4arch9wavefront6targetE1EEEvT1_, .Lfunc_end808-_ZN7rocprim17ROCPRIM_400000_NS6detail17trampoline_kernelINS0_14default_configENS1_33run_length_encode_config_selectorItjNS0_4plusIjEEEEZZNS1_33reduce_by_key_impl_wrapped_configILNS1_25lookback_scan_determinismE0ES3_S7_PKtNS0_17constant_iteratorIjlEEPtPlSF_S6_NS0_8equal_toItEEEE10hipError_tPvRmT2_T3_mT4_T5_T6_T7_T8_P12ihipStream_tbENKUlT_T0_E_clISt17integral_constantIbLb1EESY_IbLb0EEEEDaSU_SV_EUlSU_E_NS1_11comp_targetILNS1_3genE3ELNS1_11target_archE908ELNS1_3gpuE7ELNS1_3repE0EEENS1_30default_config_static_selectorELNS0_4arch9wavefront6targetE1EEEvT1_
                                        ; -- End function
	.section	.AMDGPU.csdata,"",@progbits
; Kernel info:
; codeLenInByte = 0
; NumSgprs: 6
; NumVgprs: 0
; NumAgprs: 0
; TotalNumVgprs: 0
; ScratchSize: 0
; MemoryBound: 0
; FloatMode: 240
; IeeeMode: 1
; LDSByteSize: 0 bytes/workgroup (compile time only)
; SGPRBlocks: 0
; VGPRBlocks: 0
; NumSGPRsForWavesPerEU: 6
; NumVGPRsForWavesPerEU: 1
; AccumOffset: 4
; Occupancy: 8
; WaveLimiterHint : 0
; COMPUTE_PGM_RSRC2:SCRATCH_EN: 0
; COMPUTE_PGM_RSRC2:USER_SGPR: 2
; COMPUTE_PGM_RSRC2:TRAP_HANDLER: 0
; COMPUTE_PGM_RSRC2:TGID_X_EN: 1
; COMPUTE_PGM_RSRC2:TGID_Y_EN: 0
; COMPUTE_PGM_RSRC2:TGID_Z_EN: 0
; COMPUTE_PGM_RSRC2:TIDIG_COMP_CNT: 0
; COMPUTE_PGM_RSRC3_GFX90A:ACCUM_OFFSET: 0
; COMPUTE_PGM_RSRC3_GFX90A:TG_SPLIT: 0
	.section	.text._ZN7rocprim17ROCPRIM_400000_NS6detail17trampoline_kernelINS0_14default_configENS1_33run_length_encode_config_selectorItjNS0_4plusIjEEEEZZNS1_33reduce_by_key_impl_wrapped_configILNS1_25lookback_scan_determinismE0ES3_S7_PKtNS0_17constant_iteratorIjlEEPtPlSF_S6_NS0_8equal_toItEEEE10hipError_tPvRmT2_T3_mT4_T5_T6_T7_T8_P12ihipStream_tbENKUlT_T0_E_clISt17integral_constantIbLb1EESY_IbLb0EEEEDaSU_SV_EUlSU_E_NS1_11comp_targetILNS1_3genE2ELNS1_11target_archE906ELNS1_3gpuE6ELNS1_3repE0EEENS1_30default_config_static_selectorELNS0_4arch9wavefront6targetE1EEEvT1_,"axG",@progbits,_ZN7rocprim17ROCPRIM_400000_NS6detail17trampoline_kernelINS0_14default_configENS1_33run_length_encode_config_selectorItjNS0_4plusIjEEEEZZNS1_33reduce_by_key_impl_wrapped_configILNS1_25lookback_scan_determinismE0ES3_S7_PKtNS0_17constant_iteratorIjlEEPtPlSF_S6_NS0_8equal_toItEEEE10hipError_tPvRmT2_T3_mT4_T5_T6_T7_T8_P12ihipStream_tbENKUlT_T0_E_clISt17integral_constantIbLb1EESY_IbLb0EEEEDaSU_SV_EUlSU_E_NS1_11comp_targetILNS1_3genE2ELNS1_11target_archE906ELNS1_3gpuE6ELNS1_3repE0EEENS1_30default_config_static_selectorELNS0_4arch9wavefront6targetE1EEEvT1_,comdat
	.protected	_ZN7rocprim17ROCPRIM_400000_NS6detail17trampoline_kernelINS0_14default_configENS1_33run_length_encode_config_selectorItjNS0_4plusIjEEEEZZNS1_33reduce_by_key_impl_wrapped_configILNS1_25lookback_scan_determinismE0ES3_S7_PKtNS0_17constant_iteratorIjlEEPtPlSF_S6_NS0_8equal_toItEEEE10hipError_tPvRmT2_T3_mT4_T5_T6_T7_T8_P12ihipStream_tbENKUlT_T0_E_clISt17integral_constantIbLb1EESY_IbLb0EEEEDaSU_SV_EUlSU_E_NS1_11comp_targetILNS1_3genE2ELNS1_11target_archE906ELNS1_3gpuE6ELNS1_3repE0EEENS1_30default_config_static_selectorELNS0_4arch9wavefront6targetE1EEEvT1_ ; -- Begin function _ZN7rocprim17ROCPRIM_400000_NS6detail17trampoline_kernelINS0_14default_configENS1_33run_length_encode_config_selectorItjNS0_4plusIjEEEEZZNS1_33reduce_by_key_impl_wrapped_configILNS1_25lookback_scan_determinismE0ES3_S7_PKtNS0_17constant_iteratorIjlEEPtPlSF_S6_NS0_8equal_toItEEEE10hipError_tPvRmT2_T3_mT4_T5_T6_T7_T8_P12ihipStream_tbENKUlT_T0_E_clISt17integral_constantIbLb1EESY_IbLb0EEEEDaSU_SV_EUlSU_E_NS1_11comp_targetILNS1_3genE2ELNS1_11target_archE906ELNS1_3gpuE6ELNS1_3repE0EEENS1_30default_config_static_selectorELNS0_4arch9wavefront6targetE1EEEvT1_
	.globl	_ZN7rocprim17ROCPRIM_400000_NS6detail17trampoline_kernelINS0_14default_configENS1_33run_length_encode_config_selectorItjNS0_4plusIjEEEEZZNS1_33reduce_by_key_impl_wrapped_configILNS1_25lookback_scan_determinismE0ES3_S7_PKtNS0_17constant_iteratorIjlEEPtPlSF_S6_NS0_8equal_toItEEEE10hipError_tPvRmT2_T3_mT4_T5_T6_T7_T8_P12ihipStream_tbENKUlT_T0_E_clISt17integral_constantIbLb1EESY_IbLb0EEEEDaSU_SV_EUlSU_E_NS1_11comp_targetILNS1_3genE2ELNS1_11target_archE906ELNS1_3gpuE6ELNS1_3repE0EEENS1_30default_config_static_selectorELNS0_4arch9wavefront6targetE1EEEvT1_
	.p2align	8
	.type	_ZN7rocprim17ROCPRIM_400000_NS6detail17trampoline_kernelINS0_14default_configENS1_33run_length_encode_config_selectorItjNS0_4plusIjEEEEZZNS1_33reduce_by_key_impl_wrapped_configILNS1_25lookback_scan_determinismE0ES3_S7_PKtNS0_17constant_iteratorIjlEEPtPlSF_S6_NS0_8equal_toItEEEE10hipError_tPvRmT2_T3_mT4_T5_T6_T7_T8_P12ihipStream_tbENKUlT_T0_E_clISt17integral_constantIbLb1EESY_IbLb0EEEEDaSU_SV_EUlSU_E_NS1_11comp_targetILNS1_3genE2ELNS1_11target_archE906ELNS1_3gpuE6ELNS1_3repE0EEENS1_30default_config_static_selectorELNS0_4arch9wavefront6targetE1EEEvT1_,@function
_ZN7rocprim17ROCPRIM_400000_NS6detail17trampoline_kernelINS0_14default_configENS1_33run_length_encode_config_selectorItjNS0_4plusIjEEEEZZNS1_33reduce_by_key_impl_wrapped_configILNS1_25lookback_scan_determinismE0ES3_S7_PKtNS0_17constant_iteratorIjlEEPtPlSF_S6_NS0_8equal_toItEEEE10hipError_tPvRmT2_T3_mT4_T5_T6_T7_T8_P12ihipStream_tbENKUlT_T0_E_clISt17integral_constantIbLb1EESY_IbLb0EEEEDaSU_SV_EUlSU_E_NS1_11comp_targetILNS1_3genE2ELNS1_11target_archE906ELNS1_3gpuE6ELNS1_3repE0EEENS1_30default_config_static_selectorELNS0_4arch9wavefront6targetE1EEEvT1_: ; @_ZN7rocprim17ROCPRIM_400000_NS6detail17trampoline_kernelINS0_14default_configENS1_33run_length_encode_config_selectorItjNS0_4plusIjEEEEZZNS1_33reduce_by_key_impl_wrapped_configILNS1_25lookback_scan_determinismE0ES3_S7_PKtNS0_17constant_iteratorIjlEEPtPlSF_S6_NS0_8equal_toItEEEE10hipError_tPvRmT2_T3_mT4_T5_T6_T7_T8_P12ihipStream_tbENKUlT_T0_E_clISt17integral_constantIbLb1EESY_IbLb0EEEEDaSU_SV_EUlSU_E_NS1_11comp_targetILNS1_3genE2ELNS1_11target_archE906ELNS1_3gpuE6ELNS1_3repE0EEENS1_30default_config_static_selectorELNS0_4arch9wavefront6targetE1EEEvT1_
; %bb.0:
	.section	.rodata,"a",@progbits
	.p2align	6, 0x0
	.amdhsa_kernel _ZN7rocprim17ROCPRIM_400000_NS6detail17trampoline_kernelINS0_14default_configENS1_33run_length_encode_config_selectorItjNS0_4plusIjEEEEZZNS1_33reduce_by_key_impl_wrapped_configILNS1_25lookback_scan_determinismE0ES3_S7_PKtNS0_17constant_iteratorIjlEEPtPlSF_S6_NS0_8equal_toItEEEE10hipError_tPvRmT2_T3_mT4_T5_T6_T7_T8_P12ihipStream_tbENKUlT_T0_E_clISt17integral_constantIbLb1EESY_IbLb0EEEEDaSU_SV_EUlSU_E_NS1_11comp_targetILNS1_3genE2ELNS1_11target_archE906ELNS1_3gpuE6ELNS1_3repE0EEENS1_30default_config_static_selectorELNS0_4arch9wavefront6targetE1EEEvT1_
		.amdhsa_group_segment_fixed_size 0
		.amdhsa_private_segment_fixed_size 0
		.amdhsa_kernarg_size 128
		.amdhsa_user_sgpr_count 2
		.amdhsa_user_sgpr_dispatch_ptr 0
		.amdhsa_user_sgpr_queue_ptr 0
		.amdhsa_user_sgpr_kernarg_segment_ptr 1
		.amdhsa_user_sgpr_dispatch_id 0
		.amdhsa_user_sgpr_kernarg_preload_length 0
		.amdhsa_user_sgpr_kernarg_preload_offset 0
		.amdhsa_user_sgpr_private_segment_size 0
		.amdhsa_uses_dynamic_stack 0
		.amdhsa_enable_private_segment 0
		.amdhsa_system_sgpr_workgroup_id_x 1
		.amdhsa_system_sgpr_workgroup_id_y 0
		.amdhsa_system_sgpr_workgroup_id_z 0
		.amdhsa_system_sgpr_workgroup_info 0
		.amdhsa_system_vgpr_workitem_id 0
		.amdhsa_next_free_vgpr 1
		.amdhsa_next_free_sgpr 0
		.amdhsa_accum_offset 4
		.amdhsa_reserve_vcc 0
		.amdhsa_float_round_mode_32 0
		.amdhsa_float_round_mode_16_64 0
		.amdhsa_float_denorm_mode_32 3
		.amdhsa_float_denorm_mode_16_64 3
		.amdhsa_dx10_clamp 1
		.amdhsa_ieee_mode 1
		.amdhsa_fp16_overflow 0
		.amdhsa_tg_split 0
		.amdhsa_exception_fp_ieee_invalid_op 0
		.amdhsa_exception_fp_denorm_src 0
		.amdhsa_exception_fp_ieee_div_zero 0
		.amdhsa_exception_fp_ieee_overflow 0
		.amdhsa_exception_fp_ieee_underflow 0
		.amdhsa_exception_fp_ieee_inexact 0
		.amdhsa_exception_int_div_zero 0
	.end_amdhsa_kernel
	.section	.text._ZN7rocprim17ROCPRIM_400000_NS6detail17trampoline_kernelINS0_14default_configENS1_33run_length_encode_config_selectorItjNS0_4plusIjEEEEZZNS1_33reduce_by_key_impl_wrapped_configILNS1_25lookback_scan_determinismE0ES3_S7_PKtNS0_17constant_iteratorIjlEEPtPlSF_S6_NS0_8equal_toItEEEE10hipError_tPvRmT2_T3_mT4_T5_T6_T7_T8_P12ihipStream_tbENKUlT_T0_E_clISt17integral_constantIbLb1EESY_IbLb0EEEEDaSU_SV_EUlSU_E_NS1_11comp_targetILNS1_3genE2ELNS1_11target_archE906ELNS1_3gpuE6ELNS1_3repE0EEENS1_30default_config_static_selectorELNS0_4arch9wavefront6targetE1EEEvT1_,"axG",@progbits,_ZN7rocprim17ROCPRIM_400000_NS6detail17trampoline_kernelINS0_14default_configENS1_33run_length_encode_config_selectorItjNS0_4plusIjEEEEZZNS1_33reduce_by_key_impl_wrapped_configILNS1_25lookback_scan_determinismE0ES3_S7_PKtNS0_17constant_iteratorIjlEEPtPlSF_S6_NS0_8equal_toItEEEE10hipError_tPvRmT2_T3_mT4_T5_T6_T7_T8_P12ihipStream_tbENKUlT_T0_E_clISt17integral_constantIbLb1EESY_IbLb0EEEEDaSU_SV_EUlSU_E_NS1_11comp_targetILNS1_3genE2ELNS1_11target_archE906ELNS1_3gpuE6ELNS1_3repE0EEENS1_30default_config_static_selectorELNS0_4arch9wavefront6targetE1EEEvT1_,comdat
.Lfunc_end809:
	.size	_ZN7rocprim17ROCPRIM_400000_NS6detail17trampoline_kernelINS0_14default_configENS1_33run_length_encode_config_selectorItjNS0_4plusIjEEEEZZNS1_33reduce_by_key_impl_wrapped_configILNS1_25lookback_scan_determinismE0ES3_S7_PKtNS0_17constant_iteratorIjlEEPtPlSF_S6_NS0_8equal_toItEEEE10hipError_tPvRmT2_T3_mT4_T5_T6_T7_T8_P12ihipStream_tbENKUlT_T0_E_clISt17integral_constantIbLb1EESY_IbLb0EEEEDaSU_SV_EUlSU_E_NS1_11comp_targetILNS1_3genE2ELNS1_11target_archE906ELNS1_3gpuE6ELNS1_3repE0EEENS1_30default_config_static_selectorELNS0_4arch9wavefront6targetE1EEEvT1_, .Lfunc_end809-_ZN7rocprim17ROCPRIM_400000_NS6detail17trampoline_kernelINS0_14default_configENS1_33run_length_encode_config_selectorItjNS0_4plusIjEEEEZZNS1_33reduce_by_key_impl_wrapped_configILNS1_25lookback_scan_determinismE0ES3_S7_PKtNS0_17constant_iteratorIjlEEPtPlSF_S6_NS0_8equal_toItEEEE10hipError_tPvRmT2_T3_mT4_T5_T6_T7_T8_P12ihipStream_tbENKUlT_T0_E_clISt17integral_constantIbLb1EESY_IbLb0EEEEDaSU_SV_EUlSU_E_NS1_11comp_targetILNS1_3genE2ELNS1_11target_archE906ELNS1_3gpuE6ELNS1_3repE0EEENS1_30default_config_static_selectorELNS0_4arch9wavefront6targetE1EEEvT1_
                                        ; -- End function
	.section	.AMDGPU.csdata,"",@progbits
; Kernel info:
; codeLenInByte = 0
; NumSgprs: 6
; NumVgprs: 0
; NumAgprs: 0
; TotalNumVgprs: 0
; ScratchSize: 0
; MemoryBound: 0
; FloatMode: 240
; IeeeMode: 1
; LDSByteSize: 0 bytes/workgroup (compile time only)
; SGPRBlocks: 0
; VGPRBlocks: 0
; NumSGPRsForWavesPerEU: 6
; NumVGPRsForWavesPerEU: 1
; AccumOffset: 4
; Occupancy: 8
; WaveLimiterHint : 0
; COMPUTE_PGM_RSRC2:SCRATCH_EN: 0
; COMPUTE_PGM_RSRC2:USER_SGPR: 2
; COMPUTE_PGM_RSRC2:TRAP_HANDLER: 0
; COMPUTE_PGM_RSRC2:TGID_X_EN: 1
; COMPUTE_PGM_RSRC2:TGID_Y_EN: 0
; COMPUTE_PGM_RSRC2:TGID_Z_EN: 0
; COMPUTE_PGM_RSRC2:TIDIG_COMP_CNT: 0
; COMPUTE_PGM_RSRC3_GFX90A:ACCUM_OFFSET: 0
; COMPUTE_PGM_RSRC3_GFX90A:TG_SPLIT: 0
	.section	.text._ZN7rocprim17ROCPRIM_400000_NS6detail17trampoline_kernelINS0_14default_configENS1_33run_length_encode_config_selectorItjNS0_4plusIjEEEEZZNS1_33reduce_by_key_impl_wrapped_configILNS1_25lookback_scan_determinismE0ES3_S7_PKtNS0_17constant_iteratorIjlEEPtPlSF_S6_NS0_8equal_toItEEEE10hipError_tPvRmT2_T3_mT4_T5_T6_T7_T8_P12ihipStream_tbENKUlT_T0_E_clISt17integral_constantIbLb1EESY_IbLb0EEEEDaSU_SV_EUlSU_E_NS1_11comp_targetILNS1_3genE10ELNS1_11target_archE1201ELNS1_3gpuE5ELNS1_3repE0EEENS1_30default_config_static_selectorELNS0_4arch9wavefront6targetE1EEEvT1_,"axG",@progbits,_ZN7rocprim17ROCPRIM_400000_NS6detail17trampoline_kernelINS0_14default_configENS1_33run_length_encode_config_selectorItjNS0_4plusIjEEEEZZNS1_33reduce_by_key_impl_wrapped_configILNS1_25lookback_scan_determinismE0ES3_S7_PKtNS0_17constant_iteratorIjlEEPtPlSF_S6_NS0_8equal_toItEEEE10hipError_tPvRmT2_T3_mT4_T5_T6_T7_T8_P12ihipStream_tbENKUlT_T0_E_clISt17integral_constantIbLb1EESY_IbLb0EEEEDaSU_SV_EUlSU_E_NS1_11comp_targetILNS1_3genE10ELNS1_11target_archE1201ELNS1_3gpuE5ELNS1_3repE0EEENS1_30default_config_static_selectorELNS0_4arch9wavefront6targetE1EEEvT1_,comdat
	.protected	_ZN7rocprim17ROCPRIM_400000_NS6detail17trampoline_kernelINS0_14default_configENS1_33run_length_encode_config_selectorItjNS0_4plusIjEEEEZZNS1_33reduce_by_key_impl_wrapped_configILNS1_25lookback_scan_determinismE0ES3_S7_PKtNS0_17constant_iteratorIjlEEPtPlSF_S6_NS0_8equal_toItEEEE10hipError_tPvRmT2_T3_mT4_T5_T6_T7_T8_P12ihipStream_tbENKUlT_T0_E_clISt17integral_constantIbLb1EESY_IbLb0EEEEDaSU_SV_EUlSU_E_NS1_11comp_targetILNS1_3genE10ELNS1_11target_archE1201ELNS1_3gpuE5ELNS1_3repE0EEENS1_30default_config_static_selectorELNS0_4arch9wavefront6targetE1EEEvT1_ ; -- Begin function _ZN7rocprim17ROCPRIM_400000_NS6detail17trampoline_kernelINS0_14default_configENS1_33run_length_encode_config_selectorItjNS0_4plusIjEEEEZZNS1_33reduce_by_key_impl_wrapped_configILNS1_25lookback_scan_determinismE0ES3_S7_PKtNS0_17constant_iteratorIjlEEPtPlSF_S6_NS0_8equal_toItEEEE10hipError_tPvRmT2_T3_mT4_T5_T6_T7_T8_P12ihipStream_tbENKUlT_T0_E_clISt17integral_constantIbLb1EESY_IbLb0EEEEDaSU_SV_EUlSU_E_NS1_11comp_targetILNS1_3genE10ELNS1_11target_archE1201ELNS1_3gpuE5ELNS1_3repE0EEENS1_30default_config_static_selectorELNS0_4arch9wavefront6targetE1EEEvT1_
	.globl	_ZN7rocprim17ROCPRIM_400000_NS6detail17trampoline_kernelINS0_14default_configENS1_33run_length_encode_config_selectorItjNS0_4plusIjEEEEZZNS1_33reduce_by_key_impl_wrapped_configILNS1_25lookback_scan_determinismE0ES3_S7_PKtNS0_17constant_iteratorIjlEEPtPlSF_S6_NS0_8equal_toItEEEE10hipError_tPvRmT2_T3_mT4_T5_T6_T7_T8_P12ihipStream_tbENKUlT_T0_E_clISt17integral_constantIbLb1EESY_IbLb0EEEEDaSU_SV_EUlSU_E_NS1_11comp_targetILNS1_3genE10ELNS1_11target_archE1201ELNS1_3gpuE5ELNS1_3repE0EEENS1_30default_config_static_selectorELNS0_4arch9wavefront6targetE1EEEvT1_
	.p2align	8
	.type	_ZN7rocprim17ROCPRIM_400000_NS6detail17trampoline_kernelINS0_14default_configENS1_33run_length_encode_config_selectorItjNS0_4plusIjEEEEZZNS1_33reduce_by_key_impl_wrapped_configILNS1_25lookback_scan_determinismE0ES3_S7_PKtNS0_17constant_iteratorIjlEEPtPlSF_S6_NS0_8equal_toItEEEE10hipError_tPvRmT2_T3_mT4_T5_T6_T7_T8_P12ihipStream_tbENKUlT_T0_E_clISt17integral_constantIbLb1EESY_IbLb0EEEEDaSU_SV_EUlSU_E_NS1_11comp_targetILNS1_3genE10ELNS1_11target_archE1201ELNS1_3gpuE5ELNS1_3repE0EEENS1_30default_config_static_selectorELNS0_4arch9wavefront6targetE1EEEvT1_,@function
_ZN7rocprim17ROCPRIM_400000_NS6detail17trampoline_kernelINS0_14default_configENS1_33run_length_encode_config_selectorItjNS0_4plusIjEEEEZZNS1_33reduce_by_key_impl_wrapped_configILNS1_25lookback_scan_determinismE0ES3_S7_PKtNS0_17constant_iteratorIjlEEPtPlSF_S6_NS0_8equal_toItEEEE10hipError_tPvRmT2_T3_mT4_T5_T6_T7_T8_P12ihipStream_tbENKUlT_T0_E_clISt17integral_constantIbLb1EESY_IbLb0EEEEDaSU_SV_EUlSU_E_NS1_11comp_targetILNS1_3genE10ELNS1_11target_archE1201ELNS1_3gpuE5ELNS1_3repE0EEENS1_30default_config_static_selectorELNS0_4arch9wavefront6targetE1EEEvT1_: ; @_ZN7rocprim17ROCPRIM_400000_NS6detail17trampoline_kernelINS0_14default_configENS1_33run_length_encode_config_selectorItjNS0_4plusIjEEEEZZNS1_33reduce_by_key_impl_wrapped_configILNS1_25lookback_scan_determinismE0ES3_S7_PKtNS0_17constant_iteratorIjlEEPtPlSF_S6_NS0_8equal_toItEEEE10hipError_tPvRmT2_T3_mT4_T5_T6_T7_T8_P12ihipStream_tbENKUlT_T0_E_clISt17integral_constantIbLb1EESY_IbLb0EEEEDaSU_SV_EUlSU_E_NS1_11comp_targetILNS1_3genE10ELNS1_11target_archE1201ELNS1_3gpuE5ELNS1_3repE0EEENS1_30default_config_static_selectorELNS0_4arch9wavefront6targetE1EEEvT1_
; %bb.0:
	.section	.rodata,"a",@progbits
	.p2align	6, 0x0
	.amdhsa_kernel _ZN7rocprim17ROCPRIM_400000_NS6detail17trampoline_kernelINS0_14default_configENS1_33run_length_encode_config_selectorItjNS0_4plusIjEEEEZZNS1_33reduce_by_key_impl_wrapped_configILNS1_25lookback_scan_determinismE0ES3_S7_PKtNS0_17constant_iteratorIjlEEPtPlSF_S6_NS0_8equal_toItEEEE10hipError_tPvRmT2_T3_mT4_T5_T6_T7_T8_P12ihipStream_tbENKUlT_T0_E_clISt17integral_constantIbLb1EESY_IbLb0EEEEDaSU_SV_EUlSU_E_NS1_11comp_targetILNS1_3genE10ELNS1_11target_archE1201ELNS1_3gpuE5ELNS1_3repE0EEENS1_30default_config_static_selectorELNS0_4arch9wavefront6targetE1EEEvT1_
		.amdhsa_group_segment_fixed_size 0
		.amdhsa_private_segment_fixed_size 0
		.amdhsa_kernarg_size 128
		.amdhsa_user_sgpr_count 2
		.amdhsa_user_sgpr_dispatch_ptr 0
		.amdhsa_user_sgpr_queue_ptr 0
		.amdhsa_user_sgpr_kernarg_segment_ptr 1
		.amdhsa_user_sgpr_dispatch_id 0
		.amdhsa_user_sgpr_kernarg_preload_length 0
		.amdhsa_user_sgpr_kernarg_preload_offset 0
		.amdhsa_user_sgpr_private_segment_size 0
		.amdhsa_uses_dynamic_stack 0
		.amdhsa_enable_private_segment 0
		.amdhsa_system_sgpr_workgroup_id_x 1
		.amdhsa_system_sgpr_workgroup_id_y 0
		.amdhsa_system_sgpr_workgroup_id_z 0
		.amdhsa_system_sgpr_workgroup_info 0
		.amdhsa_system_vgpr_workitem_id 0
		.amdhsa_next_free_vgpr 1
		.amdhsa_next_free_sgpr 0
		.amdhsa_accum_offset 4
		.amdhsa_reserve_vcc 0
		.amdhsa_float_round_mode_32 0
		.amdhsa_float_round_mode_16_64 0
		.amdhsa_float_denorm_mode_32 3
		.amdhsa_float_denorm_mode_16_64 3
		.amdhsa_dx10_clamp 1
		.amdhsa_ieee_mode 1
		.amdhsa_fp16_overflow 0
		.amdhsa_tg_split 0
		.amdhsa_exception_fp_ieee_invalid_op 0
		.amdhsa_exception_fp_denorm_src 0
		.amdhsa_exception_fp_ieee_div_zero 0
		.amdhsa_exception_fp_ieee_overflow 0
		.amdhsa_exception_fp_ieee_underflow 0
		.amdhsa_exception_fp_ieee_inexact 0
		.amdhsa_exception_int_div_zero 0
	.end_amdhsa_kernel
	.section	.text._ZN7rocprim17ROCPRIM_400000_NS6detail17trampoline_kernelINS0_14default_configENS1_33run_length_encode_config_selectorItjNS0_4plusIjEEEEZZNS1_33reduce_by_key_impl_wrapped_configILNS1_25lookback_scan_determinismE0ES3_S7_PKtNS0_17constant_iteratorIjlEEPtPlSF_S6_NS0_8equal_toItEEEE10hipError_tPvRmT2_T3_mT4_T5_T6_T7_T8_P12ihipStream_tbENKUlT_T0_E_clISt17integral_constantIbLb1EESY_IbLb0EEEEDaSU_SV_EUlSU_E_NS1_11comp_targetILNS1_3genE10ELNS1_11target_archE1201ELNS1_3gpuE5ELNS1_3repE0EEENS1_30default_config_static_selectorELNS0_4arch9wavefront6targetE1EEEvT1_,"axG",@progbits,_ZN7rocprim17ROCPRIM_400000_NS6detail17trampoline_kernelINS0_14default_configENS1_33run_length_encode_config_selectorItjNS0_4plusIjEEEEZZNS1_33reduce_by_key_impl_wrapped_configILNS1_25lookback_scan_determinismE0ES3_S7_PKtNS0_17constant_iteratorIjlEEPtPlSF_S6_NS0_8equal_toItEEEE10hipError_tPvRmT2_T3_mT4_T5_T6_T7_T8_P12ihipStream_tbENKUlT_T0_E_clISt17integral_constantIbLb1EESY_IbLb0EEEEDaSU_SV_EUlSU_E_NS1_11comp_targetILNS1_3genE10ELNS1_11target_archE1201ELNS1_3gpuE5ELNS1_3repE0EEENS1_30default_config_static_selectorELNS0_4arch9wavefront6targetE1EEEvT1_,comdat
.Lfunc_end810:
	.size	_ZN7rocprim17ROCPRIM_400000_NS6detail17trampoline_kernelINS0_14default_configENS1_33run_length_encode_config_selectorItjNS0_4plusIjEEEEZZNS1_33reduce_by_key_impl_wrapped_configILNS1_25lookback_scan_determinismE0ES3_S7_PKtNS0_17constant_iteratorIjlEEPtPlSF_S6_NS0_8equal_toItEEEE10hipError_tPvRmT2_T3_mT4_T5_T6_T7_T8_P12ihipStream_tbENKUlT_T0_E_clISt17integral_constantIbLb1EESY_IbLb0EEEEDaSU_SV_EUlSU_E_NS1_11comp_targetILNS1_3genE10ELNS1_11target_archE1201ELNS1_3gpuE5ELNS1_3repE0EEENS1_30default_config_static_selectorELNS0_4arch9wavefront6targetE1EEEvT1_, .Lfunc_end810-_ZN7rocprim17ROCPRIM_400000_NS6detail17trampoline_kernelINS0_14default_configENS1_33run_length_encode_config_selectorItjNS0_4plusIjEEEEZZNS1_33reduce_by_key_impl_wrapped_configILNS1_25lookback_scan_determinismE0ES3_S7_PKtNS0_17constant_iteratorIjlEEPtPlSF_S6_NS0_8equal_toItEEEE10hipError_tPvRmT2_T3_mT4_T5_T6_T7_T8_P12ihipStream_tbENKUlT_T0_E_clISt17integral_constantIbLb1EESY_IbLb0EEEEDaSU_SV_EUlSU_E_NS1_11comp_targetILNS1_3genE10ELNS1_11target_archE1201ELNS1_3gpuE5ELNS1_3repE0EEENS1_30default_config_static_selectorELNS0_4arch9wavefront6targetE1EEEvT1_
                                        ; -- End function
	.section	.AMDGPU.csdata,"",@progbits
; Kernel info:
; codeLenInByte = 0
; NumSgprs: 6
; NumVgprs: 0
; NumAgprs: 0
; TotalNumVgprs: 0
; ScratchSize: 0
; MemoryBound: 0
; FloatMode: 240
; IeeeMode: 1
; LDSByteSize: 0 bytes/workgroup (compile time only)
; SGPRBlocks: 0
; VGPRBlocks: 0
; NumSGPRsForWavesPerEU: 6
; NumVGPRsForWavesPerEU: 1
; AccumOffset: 4
; Occupancy: 8
; WaveLimiterHint : 0
; COMPUTE_PGM_RSRC2:SCRATCH_EN: 0
; COMPUTE_PGM_RSRC2:USER_SGPR: 2
; COMPUTE_PGM_RSRC2:TRAP_HANDLER: 0
; COMPUTE_PGM_RSRC2:TGID_X_EN: 1
; COMPUTE_PGM_RSRC2:TGID_Y_EN: 0
; COMPUTE_PGM_RSRC2:TGID_Z_EN: 0
; COMPUTE_PGM_RSRC2:TIDIG_COMP_CNT: 0
; COMPUTE_PGM_RSRC3_GFX90A:ACCUM_OFFSET: 0
; COMPUTE_PGM_RSRC3_GFX90A:TG_SPLIT: 0
	.section	.text._ZN7rocprim17ROCPRIM_400000_NS6detail17trampoline_kernelINS0_14default_configENS1_33run_length_encode_config_selectorItjNS0_4plusIjEEEEZZNS1_33reduce_by_key_impl_wrapped_configILNS1_25lookback_scan_determinismE0ES3_S7_PKtNS0_17constant_iteratorIjlEEPtPlSF_S6_NS0_8equal_toItEEEE10hipError_tPvRmT2_T3_mT4_T5_T6_T7_T8_P12ihipStream_tbENKUlT_T0_E_clISt17integral_constantIbLb1EESY_IbLb0EEEEDaSU_SV_EUlSU_E_NS1_11comp_targetILNS1_3genE10ELNS1_11target_archE1200ELNS1_3gpuE4ELNS1_3repE0EEENS1_30default_config_static_selectorELNS0_4arch9wavefront6targetE1EEEvT1_,"axG",@progbits,_ZN7rocprim17ROCPRIM_400000_NS6detail17trampoline_kernelINS0_14default_configENS1_33run_length_encode_config_selectorItjNS0_4plusIjEEEEZZNS1_33reduce_by_key_impl_wrapped_configILNS1_25lookback_scan_determinismE0ES3_S7_PKtNS0_17constant_iteratorIjlEEPtPlSF_S6_NS0_8equal_toItEEEE10hipError_tPvRmT2_T3_mT4_T5_T6_T7_T8_P12ihipStream_tbENKUlT_T0_E_clISt17integral_constantIbLb1EESY_IbLb0EEEEDaSU_SV_EUlSU_E_NS1_11comp_targetILNS1_3genE10ELNS1_11target_archE1200ELNS1_3gpuE4ELNS1_3repE0EEENS1_30default_config_static_selectorELNS0_4arch9wavefront6targetE1EEEvT1_,comdat
	.protected	_ZN7rocprim17ROCPRIM_400000_NS6detail17trampoline_kernelINS0_14default_configENS1_33run_length_encode_config_selectorItjNS0_4plusIjEEEEZZNS1_33reduce_by_key_impl_wrapped_configILNS1_25lookback_scan_determinismE0ES3_S7_PKtNS0_17constant_iteratorIjlEEPtPlSF_S6_NS0_8equal_toItEEEE10hipError_tPvRmT2_T3_mT4_T5_T6_T7_T8_P12ihipStream_tbENKUlT_T0_E_clISt17integral_constantIbLb1EESY_IbLb0EEEEDaSU_SV_EUlSU_E_NS1_11comp_targetILNS1_3genE10ELNS1_11target_archE1200ELNS1_3gpuE4ELNS1_3repE0EEENS1_30default_config_static_selectorELNS0_4arch9wavefront6targetE1EEEvT1_ ; -- Begin function _ZN7rocprim17ROCPRIM_400000_NS6detail17trampoline_kernelINS0_14default_configENS1_33run_length_encode_config_selectorItjNS0_4plusIjEEEEZZNS1_33reduce_by_key_impl_wrapped_configILNS1_25lookback_scan_determinismE0ES3_S7_PKtNS0_17constant_iteratorIjlEEPtPlSF_S6_NS0_8equal_toItEEEE10hipError_tPvRmT2_T3_mT4_T5_T6_T7_T8_P12ihipStream_tbENKUlT_T0_E_clISt17integral_constantIbLb1EESY_IbLb0EEEEDaSU_SV_EUlSU_E_NS1_11comp_targetILNS1_3genE10ELNS1_11target_archE1200ELNS1_3gpuE4ELNS1_3repE0EEENS1_30default_config_static_selectorELNS0_4arch9wavefront6targetE1EEEvT1_
	.globl	_ZN7rocprim17ROCPRIM_400000_NS6detail17trampoline_kernelINS0_14default_configENS1_33run_length_encode_config_selectorItjNS0_4plusIjEEEEZZNS1_33reduce_by_key_impl_wrapped_configILNS1_25lookback_scan_determinismE0ES3_S7_PKtNS0_17constant_iteratorIjlEEPtPlSF_S6_NS0_8equal_toItEEEE10hipError_tPvRmT2_T3_mT4_T5_T6_T7_T8_P12ihipStream_tbENKUlT_T0_E_clISt17integral_constantIbLb1EESY_IbLb0EEEEDaSU_SV_EUlSU_E_NS1_11comp_targetILNS1_3genE10ELNS1_11target_archE1200ELNS1_3gpuE4ELNS1_3repE0EEENS1_30default_config_static_selectorELNS0_4arch9wavefront6targetE1EEEvT1_
	.p2align	8
	.type	_ZN7rocprim17ROCPRIM_400000_NS6detail17trampoline_kernelINS0_14default_configENS1_33run_length_encode_config_selectorItjNS0_4plusIjEEEEZZNS1_33reduce_by_key_impl_wrapped_configILNS1_25lookback_scan_determinismE0ES3_S7_PKtNS0_17constant_iteratorIjlEEPtPlSF_S6_NS0_8equal_toItEEEE10hipError_tPvRmT2_T3_mT4_T5_T6_T7_T8_P12ihipStream_tbENKUlT_T0_E_clISt17integral_constantIbLb1EESY_IbLb0EEEEDaSU_SV_EUlSU_E_NS1_11comp_targetILNS1_3genE10ELNS1_11target_archE1200ELNS1_3gpuE4ELNS1_3repE0EEENS1_30default_config_static_selectorELNS0_4arch9wavefront6targetE1EEEvT1_,@function
_ZN7rocprim17ROCPRIM_400000_NS6detail17trampoline_kernelINS0_14default_configENS1_33run_length_encode_config_selectorItjNS0_4plusIjEEEEZZNS1_33reduce_by_key_impl_wrapped_configILNS1_25lookback_scan_determinismE0ES3_S7_PKtNS0_17constant_iteratorIjlEEPtPlSF_S6_NS0_8equal_toItEEEE10hipError_tPvRmT2_T3_mT4_T5_T6_T7_T8_P12ihipStream_tbENKUlT_T0_E_clISt17integral_constantIbLb1EESY_IbLb0EEEEDaSU_SV_EUlSU_E_NS1_11comp_targetILNS1_3genE10ELNS1_11target_archE1200ELNS1_3gpuE4ELNS1_3repE0EEENS1_30default_config_static_selectorELNS0_4arch9wavefront6targetE1EEEvT1_: ; @_ZN7rocprim17ROCPRIM_400000_NS6detail17trampoline_kernelINS0_14default_configENS1_33run_length_encode_config_selectorItjNS0_4plusIjEEEEZZNS1_33reduce_by_key_impl_wrapped_configILNS1_25lookback_scan_determinismE0ES3_S7_PKtNS0_17constant_iteratorIjlEEPtPlSF_S6_NS0_8equal_toItEEEE10hipError_tPvRmT2_T3_mT4_T5_T6_T7_T8_P12ihipStream_tbENKUlT_T0_E_clISt17integral_constantIbLb1EESY_IbLb0EEEEDaSU_SV_EUlSU_E_NS1_11comp_targetILNS1_3genE10ELNS1_11target_archE1200ELNS1_3gpuE4ELNS1_3repE0EEENS1_30default_config_static_selectorELNS0_4arch9wavefront6targetE1EEEvT1_
; %bb.0:
	.section	.rodata,"a",@progbits
	.p2align	6, 0x0
	.amdhsa_kernel _ZN7rocprim17ROCPRIM_400000_NS6detail17trampoline_kernelINS0_14default_configENS1_33run_length_encode_config_selectorItjNS0_4plusIjEEEEZZNS1_33reduce_by_key_impl_wrapped_configILNS1_25lookback_scan_determinismE0ES3_S7_PKtNS0_17constant_iteratorIjlEEPtPlSF_S6_NS0_8equal_toItEEEE10hipError_tPvRmT2_T3_mT4_T5_T6_T7_T8_P12ihipStream_tbENKUlT_T0_E_clISt17integral_constantIbLb1EESY_IbLb0EEEEDaSU_SV_EUlSU_E_NS1_11comp_targetILNS1_3genE10ELNS1_11target_archE1200ELNS1_3gpuE4ELNS1_3repE0EEENS1_30default_config_static_selectorELNS0_4arch9wavefront6targetE1EEEvT1_
		.amdhsa_group_segment_fixed_size 0
		.amdhsa_private_segment_fixed_size 0
		.amdhsa_kernarg_size 128
		.amdhsa_user_sgpr_count 2
		.amdhsa_user_sgpr_dispatch_ptr 0
		.amdhsa_user_sgpr_queue_ptr 0
		.amdhsa_user_sgpr_kernarg_segment_ptr 1
		.amdhsa_user_sgpr_dispatch_id 0
		.amdhsa_user_sgpr_kernarg_preload_length 0
		.amdhsa_user_sgpr_kernarg_preload_offset 0
		.amdhsa_user_sgpr_private_segment_size 0
		.amdhsa_uses_dynamic_stack 0
		.amdhsa_enable_private_segment 0
		.amdhsa_system_sgpr_workgroup_id_x 1
		.amdhsa_system_sgpr_workgroup_id_y 0
		.amdhsa_system_sgpr_workgroup_id_z 0
		.amdhsa_system_sgpr_workgroup_info 0
		.amdhsa_system_vgpr_workitem_id 0
		.amdhsa_next_free_vgpr 1
		.amdhsa_next_free_sgpr 0
		.amdhsa_accum_offset 4
		.amdhsa_reserve_vcc 0
		.amdhsa_float_round_mode_32 0
		.amdhsa_float_round_mode_16_64 0
		.amdhsa_float_denorm_mode_32 3
		.amdhsa_float_denorm_mode_16_64 3
		.amdhsa_dx10_clamp 1
		.amdhsa_ieee_mode 1
		.amdhsa_fp16_overflow 0
		.amdhsa_tg_split 0
		.amdhsa_exception_fp_ieee_invalid_op 0
		.amdhsa_exception_fp_denorm_src 0
		.amdhsa_exception_fp_ieee_div_zero 0
		.amdhsa_exception_fp_ieee_overflow 0
		.amdhsa_exception_fp_ieee_underflow 0
		.amdhsa_exception_fp_ieee_inexact 0
		.amdhsa_exception_int_div_zero 0
	.end_amdhsa_kernel
	.section	.text._ZN7rocprim17ROCPRIM_400000_NS6detail17trampoline_kernelINS0_14default_configENS1_33run_length_encode_config_selectorItjNS0_4plusIjEEEEZZNS1_33reduce_by_key_impl_wrapped_configILNS1_25lookback_scan_determinismE0ES3_S7_PKtNS0_17constant_iteratorIjlEEPtPlSF_S6_NS0_8equal_toItEEEE10hipError_tPvRmT2_T3_mT4_T5_T6_T7_T8_P12ihipStream_tbENKUlT_T0_E_clISt17integral_constantIbLb1EESY_IbLb0EEEEDaSU_SV_EUlSU_E_NS1_11comp_targetILNS1_3genE10ELNS1_11target_archE1200ELNS1_3gpuE4ELNS1_3repE0EEENS1_30default_config_static_selectorELNS0_4arch9wavefront6targetE1EEEvT1_,"axG",@progbits,_ZN7rocprim17ROCPRIM_400000_NS6detail17trampoline_kernelINS0_14default_configENS1_33run_length_encode_config_selectorItjNS0_4plusIjEEEEZZNS1_33reduce_by_key_impl_wrapped_configILNS1_25lookback_scan_determinismE0ES3_S7_PKtNS0_17constant_iteratorIjlEEPtPlSF_S6_NS0_8equal_toItEEEE10hipError_tPvRmT2_T3_mT4_T5_T6_T7_T8_P12ihipStream_tbENKUlT_T0_E_clISt17integral_constantIbLb1EESY_IbLb0EEEEDaSU_SV_EUlSU_E_NS1_11comp_targetILNS1_3genE10ELNS1_11target_archE1200ELNS1_3gpuE4ELNS1_3repE0EEENS1_30default_config_static_selectorELNS0_4arch9wavefront6targetE1EEEvT1_,comdat
.Lfunc_end811:
	.size	_ZN7rocprim17ROCPRIM_400000_NS6detail17trampoline_kernelINS0_14default_configENS1_33run_length_encode_config_selectorItjNS0_4plusIjEEEEZZNS1_33reduce_by_key_impl_wrapped_configILNS1_25lookback_scan_determinismE0ES3_S7_PKtNS0_17constant_iteratorIjlEEPtPlSF_S6_NS0_8equal_toItEEEE10hipError_tPvRmT2_T3_mT4_T5_T6_T7_T8_P12ihipStream_tbENKUlT_T0_E_clISt17integral_constantIbLb1EESY_IbLb0EEEEDaSU_SV_EUlSU_E_NS1_11comp_targetILNS1_3genE10ELNS1_11target_archE1200ELNS1_3gpuE4ELNS1_3repE0EEENS1_30default_config_static_selectorELNS0_4arch9wavefront6targetE1EEEvT1_, .Lfunc_end811-_ZN7rocprim17ROCPRIM_400000_NS6detail17trampoline_kernelINS0_14default_configENS1_33run_length_encode_config_selectorItjNS0_4plusIjEEEEZZNS1_33reduce_by_key_impl_wrapped_configILNS1_25lookback_scan_determinismE0ES3_S7_PKtNS0_17constant_iteratorIjlEEPtPlSF_S6_NS0_8equal_toItEEEE10hipError_tPvRmT2_T3_mT4_T5_T6_T7_T8_P12ihipStream_tbENKUlT_T0_E_clISt17integral_constantIbLb1EESY_IbLb0EEEEDaSU_SV_EUlSU_E_NS1_11comp_targetILNS1_3genE10ELNS1_11target_archE1200ELNS1_3gpuE4ELNS1_3repE0EEENS1_30default_config_static_selectorELNS0_4arch9wavefront6targetE1EEEvT1_
                                        ; -- End function
	.section	.AMDGPU.csdata,"",@progbits
; Kernel info:
; codeLenInByte = 0
; NumSgprs: 6
; NumVgprs: 0
; NumAgprs: 0
; TotalNumVgprs: 0
; ScratchSize: 0
; MemoryBound: 0
; FloatMode: 240
; IeeeMode: 1
; LDSByteSize: 0 bytes/workgroup (compile time only)
; SGPRBlocks: 0
; VGPRBlocks: 0
; NumSGPRsForWavesPerEU: 6
; NumVGPRsForWavesPerEU: 1
; AccumOffset: 4
; Occupancy: 8
; WaveLimiterHint : 0
; COMPUTE_PGM_RSRC2:SCRATCH_EN: 0
; COMPUTE_PGM_RSRC2:USER_SGPR: 2
; COMPUTE_PGM_RSRC2:TRAP_HANDLER: 0
; COMPUTE_PGM_RSRC2:TGID_X_EN: 1
; COMPUTE_PGM_RSRC2:TGID_Y_EN: 0
; COMPUTE_PGM_RSRC2:TGID_Z_EN: 0
; COMPUTE_PGM_RSRC2:TIDIG_COMP_CNT: 0
; COMPUTE_PGM_RSRC3_GFX90A:ACCUM_OFFSET: 0
; COMPUTE_PGM_RSRC3_GFX90A:TG_SPLIT: 0
	.section	.text._ZN7rocprim17ROCPRIM_400000_NS6detail17trampoline_kernelINS0_14default_configENS1_33run_length_encode_config_selectorItjNS0_4plusIjEEEEZZNS1_33reduce_by_key_impl_wrapped_configILNS1_25lookback_scan_determinismE0ES3_S7_PKtNS0_17constant_iteratorIjlEEPtPlSF_S6_NS0_8equal_toItEEEE10hipError_tPvRmT2_T3_mT4_T5_T6_T7_T8_P12ihipStream_tbENKUlT_T0_E_clISt17integral_constantIbLb1EESY_IbLb0EEEEDaSU_SV_EUlSU_E_NS1_11comp_targetILNS1_3genE9ELNS1_11target_archE1100ELNS1_3gpuE3ELNS1_3repE0EEENS1_30default_config_static_selectorELNS0_4arch9wavefront6targetE1EEEvT1_,"axG",@progbits,_ZN7rocprim17ROCPRIM_400000_NS6detail17trampoline_kernelINS0_14default_configENS1_33run_length_encode_config_selectorItjNS0_4plusIjEEEEZZNS1_33reduce_by_key_impl_wrapped_configILNS1_25lookback_scan_determinismE0ES3_S7_PKtNS0_17constant_iteratorIjlEEPtPlSF_S6_NS0_8equal_toItEEEE10hipError_tPvRmT2_T3_mT4_T5_T6_T7_T8_P12ihipStream_tbENKUlT_T0_E_clISt17integral_constantIbLb1EESY_IbLb0EEEEDaSU_SV_EUlSU_E_NS1_11comp_targetILNS1_3genE9ELNS1_11target_archE1100ELNS1_3gpuE3ELNS1_3repE0EEENS1_30default_config_static_selectorELNS0_4arch9wavefront6targetE1EEEvT1_,comdat
	.protected	_ZN7rocprim17ROCPRIM_400000_NS6detail17trampoline_kernelINS0_14default_configENS1_33run_length_encode_config_selectorItjNS0_4plusIjEEEEZZNS1_33reduce_by_key_impl_wrapped_configILNS1_25lookback_scan_determinismE0ES3_S7_PKtNS0_17constant_iteratorIjlEEPtPlSF_S6_NS0_8equal_toItEEEE10hipError_tPvRmT2_T3_mT4_T5_T6_T7_T8_P12ihipStream_tbENKUlT_T0_E_clISt17integral_constantIbLb1EESY_IbLb0EEEEDaSU_SV_EUlSU_E_NS1_11comp_targetILNS1_3genE9ELNS1_11target_archE1100ELNS1_3gpuE3ELNS1_3repE0EEENS1_30default_config_static_selectorELNS0_4arch9wavefront6targetE1EEEvT1_ ; -- Begin function _ZN7rocprim17ROCPRIM_400000_NS6detail17trampoline_kernelINS0_14default_configENS1_33run_length_encode_config_selectorItjNS0_4plusIjEEEEZZNS1_33reduce_by_key_impl_wrapped_configILNS1_25lookback_scan_determinismE0ES3_S7_PKtNS0_17constant_iteratorIjlEEPtPlSF_S6_NS0_8equal_toItEEEE10hipError_tPvRmT2_T3_mT4_T5_T6_T7_T8_P12ihipStream_tbENKUlT_T0_E_clISt17integral_constantIbLb1EESY_IbLb0EEEEDaSU_SV_EUlSU_E_NS1_11comp_targetILNS1_3genE9ELNS1_11target_archE1100ELNS1_3gpuE3ELNS1_3repE0EEENS1_30default_config_static_selectorELNS0_4arch9wavefront6targetE1EEEvT1_
	.globl	_ZN7rocprim17ROCPRIM_400000_NS6detail17trampoline_kernelINS0_14default_configENS1_33run_length_encode_config_selectorItjNS0_4plusIjEEEEZZNS1_33reduce_by_key_impl_wrapped_configILNS1_25lookback_scan_determinismE0ES3_S7_PKtNS0_17constant_iteratorIjlEEPtPlSF_S6_NS0_8equal_toItEEEE10hipError_tPvRmT2_T3_mT4_T5_T6_T7_T8_P12ihipStream_tbENKUlT_T0_E_clISt17integral_constantIbLb1EESY_IbLb0EEEEDaSU_SV_EUlSU_E_NS1_11comp_targetILNS1_3genE9ELNS1_11target_archE1100ELNS1_3gpuE3ELNS1_3repE0EEENS1_30default_config_static_selectorELNS0_4arch9wavefront6targetE1EEEvT1_
	.p2align	8
	.type	_ZN7rocprim17ROCPRIM_400000_NS6detail17trampoline_kernelINS0_14default_configENS1_33run_length_encode_config_selectorItjNS0_4plusIjEEEEZZNS1_33reduce_by_key_impl_wrapped_configILNS1_25lookback_scan_determinismE0ES3_S7_PKtNS0_17constant_iteratorIjlEEPtPlSF_S6_NS0_8equal_toItEEEE10hipError_tPvRmT2_T3_mT4_T5_T6_T7_T8_P12ihipStream_tbENKUlT_T0_E_clISt17integral_constantIbLb1EESY_IbLb0EEEEDaSU_SV_EUlSU_E_NS1_11comp_targetILNS1_3genE9ELNS1_11target_archE1100ELNS1_3gpuE3ELNS1_3repE0EEENS1_30default_config_static_selectorELNS0_4arch9wavefront6targetE1EEEvT1_,@function
_ZN7rocprim17ROCPRIM_400000_NS6detail17trampoline_kernelINS0_14default_configENS1_33run_length_encode_config_selectorItjNS0_4plusIjEEEEZZNS1_33reduce_by_key_impl_wrapped_configILNS1_25lookback_scan_determinismE0ES3_S7_PKtNS0_17constant_iteratorIjlEEPtPlSF_S6_NS0_8equal_toItEEEE10hipError_tPvRmT2_T3_mT4_T5_T6_T7_T8_P12ihipStream_tbENKUlT_T0_E_clISt17integral_constantIbLb1EESY_IbLb0EEEEDaSU_SV_EUlSU_E_NS1_11comp_targetILNS1_3genE9ELNS1_11target_archE1100ELNS1_3gpuE3ELNS1_3repE0EEENS1_30default_config_static_selectorELNS0_4arch9wavefront6targetE1EEEvT1_: ; @_ZN7rocprim17ROCPRIM_400000_NS6detail17trampoline_kernelINS0_14default_configENS1_33run_length_encode_config_selectorItjNS0_4plusIjEEEEZZNS1_33reduce_by_key_impl_wrapped_configILNS1_25lookback_scan_determinismE0ES3_S7_PKtNS0_17constant_iteratorIjlEEPtPlSF_S6_NS0_8equal_toItEEEE10hipError_tPvRmT2_T3_mT4_T5_T6_T7_T8_P12ihipStream_tbENKUlT_T0_E_clISt17integral_constantIbLb1EESY_IbLb0EEEEDaSU_SV_EUlSU_E_NS1_11comp_targetILNS1_3genE9ELNS1_11target_archE1100ELNS1_3gpuE3ELNS1_3repE0EEENS1_30default_config_static_selectorELNS0_4arch9wavefront6targetE1EEEvT1_
; %bb.0:
	.section	.rodata,"a",@progbits
	.p2align	6, 0x0
	.amdhsa_kernel _ZN7rocprim17ROCPRIM_400000_NS6detail17trampoline_kernelINS0_14default_configENS1_33run_length_encode_config_selectorItjNS0_4plusIjEEEEZZNS1_33reduce_by_key_impl_wrapped_configILNS1_25lookback_scan_determinismE0ES3_S7_PKtNS0_17constant_iteratorIjlEEPtPlSF_S6_NS0_8equal_toItEEEE10hipError_tPvRmT2_T3_mT4_T5_T6_T7_T8_P12ihipStream_tbENKUlT_T0_E_clISt17integral_constantIbLb1EESY_IbLb0EEEEDaSU_SV_EUlSU_E_NS1_11comp_targetILNS1_3genE9ELNS1_11target_archE1100ELNS1_3gpuE3ELNS1_3repE0EEENS1_30default_config_static_selectorELNS0_4arch9wavefront6targetE1EEEvT1_
		.amdhsa_group_segment_fixed_size 0
		.amdhsa_private_segment_fixed_size 0
		.amdhsa_kernarg_size 128
		.amdhsa_user_sgpr_count 2
		.amdhsa_user_sgpr_dispatch_ptr 0
		.amdhsa_user_sgpr_queue_ptr 0
		.amdhsa_user_sgpr_kernarg_segment_ptr 1
		.amdhsa_user_sgpr_dispatch_id 0
		.amdhsa_user_sgpr_kernarg_preload_length 0
		.amdhsa_user_sgpr_kernarg_preload_offset 0
		.amdhsa_user_sgpr_private_segment_size 0
		.amdhsa_uses_dynamic_stack 0
		.amdhsa_enable_private_segment 0
		.amdhsa_system_sgpr_workgroup_id_x 1
		.amdhsa_system_sgpr_workgroup_id_y 0
		.amdhsa_system_sgpr_workgroup_id_z 0
		.amdhsa_system_sgpr_workgroup_info 0
		.amdhsa_system_vgpr_workitem_id 0
		.amdhsa_next_free_vgpr 1
		.amdhsa_next_free_sgpr 0
		.amdhsa_accum_offset 4
		.amdhsa_reserve_vcc 0
		.amdhsa_float_round_mode_32 0
		.amdhsa_float_round_mode_16_64 0
		.amdhsa_float_denorm_mode_32 3
		.amdhsa_float_denorm_mode_16_64 3
		.amdhsa_dx10_clamp 1
		.amdhsa_ieee_mode 1
		.amdhsa_fp16_overflow 0
		.amdhsa_tg_split 0
		.amdhsa_exception_fp_ieee_invalid_op 0
		.amdhsa_exception_fp_denorm_src 0
		.amdhsa_exception_fp_ieee_div_zero 0
		.amdhsa_exception_fp_ieee_overflow 0
		.amdhsa_exception_fp_ieee_underflow 0
		.amdhsa_exception_fp_ieee_inexact 0
		.amdhsa_exception_int_div_zero 0
	.end_amdhsa_kernel
	.section	.text._ZN7rocprim17ROCPRIM_400000_NS6detail17trampoline_kernelINS0_14default_configENS1_33run_length_encode_config_selectorItjNS0_4plusIjEEEEZZNS1_33reduce_by_key_impl_wrapped_configILNS1_25lookback_scan_determinismE0ES3_S7_PKtNS0_17constant_iteratorIjlEEPtPlSF_S6_NS0_8equal_toItEEEE10hipError_tPvRmT2_T3_mT4_T5_T6_T7_T8_P12ihipStream_tbENKUlT_T0_E_clISt17integral_constantIbLb1EESY_IbLb0EEEEDaSU_SV_EUlSU_E_NS1_11comp_targetILNS1_3genE9ELNS1_11target_archE1100ELNS1_3gpuE3ELNS1_3repE0EEENS1_30default_config_static_selectorELNS0_4arch9wavefront6targetE1EEEvT1_,"axG",@progbits,_ZN7rocprim17ROCPRIM_400000_NS6detail17trampoline_kernelINS0_14default_configENS1_33run_length_encode_config_selectorItjNS0_4plusIjEEEEZZNS1_33reduce_by_key_impl_wrapped_configILNS1_25lookback_scan_determinismE0ES3_S7_PKtNS0_17constant_iteratorIjlEEPtPlSF_S6_NS0_8equal_toItEEEE10hipError_tPvRmT2_T3_mT4_T5_T6_T7_T8_P12ihipStream_tbENKUlT_T0_E_clISt17integral_constantIbLb1EESY_IbLb0EEEEDaSU_SV_EUlSU_E_NS1_11comp_targetILNS1_3genE9ELNS1_11target_archE1100ELNS1_3gpuE3ELNS1_3repE0EEENS1_30default_config_static_selectorELNS0_4arch9wavefront6targetE1EEEvT1_,comdat
.Lfunc_end812:
	.size	_ZN7rocprim17ROCPRIM_400000_NS6detail17trampoline_kernelINS0_14default_configENS1_33run_length_encode_config_selectorItjNS0_4plusIjEEEEZZNS1_33reduce_by_key_impl_wrapped_configILNS1_25lookback_scan_determinismE0ES3_S7_PKtNS0_17constant_iteratorIjlEEPtPlSF_S6_NS0_8equal_toItEEEE10hipError_tPvRmT2_T3_mT4_T5_T6_T7_T8_P12ihipStream_tbENKUlT_T0_E_clISt17integral_constantIbLb1EESY_IbLb0EEEEDaSU_SV_EUlSU_E_NS1_11comp_targetILNS1_3genE9ELNS1_11target_archE1100ELNS1_3gpuE3ELNS1_3repE0EEENS1_30default_config_static_selectorELNS0_4arch9wavefront6targetE1EEEvT1_, .Lfunc_end812-_ZN7rocprim17ROCPRIM_400000_NS6detail17trampoline_kernelINS0_14default_configENS1_33run_length_encode_config_selectorItjNS0_4plusIjEEEEZZNS1_33reduce_by_key_impl_wrapped_configILNS1_25lookback_scan_determinismE0ES3_S7_PKtNS0_17constant_iteratorIjlEEPtPlSF_S6_NS0_8equal_toItEEEE10hipError_tPvRmT2_T3_mT4_T5_T6_T7_T8_P12ihipStream_tbENKUlT_T0_E_clISt17integral_constantIbLb1EESY_IbLb0EEEEDaSU_SV_EUlSU_E_NS1_11comp_targetILNS1_3genE9ELNS1_11target_archE1100ELNS1_3gpuE3ELNS1_3repE0EEENS1_30default_config_static_selectorELNS0_4arch9wavefront6targetE1EEEvT1_
                                        ; -- End function
	.section	.AMDGPU.csdata,"",@progbits
; Kernel info:
; codeLenInByte = 0
; NumSgprs: 6
; NumVgprs: 0
; NumAgprs: 0
; TotalNumVgprs: 0
; ScratchSize: 0
; MemoryBound: 0
; FloatMode: 240
; IeeeMode: 1
; LDSByteSize: 0 bytes/workgroup (compile time only)
; SGPRBlocks: 0
; VGPRBlocks: 0
; NumSGPRsForWavesPerEU: 6
; NumVGPRsForWavesPerEU: 1
; AccumOffset: 4
; Occupancy: 8
; WaveLimiterHint : 0
; COMPUTE_PGM_RSRC2:SCRATCH_EN: 0
; COMPUTE_PGM_RSRC2:USER_SGPR: 2
; COMPUTE_PGM_RSRC2:TRAP_HANDLER: 0
; COMPUTE_PGM_RSRC2:TGID_X_EN: 1
; COMPUTE_PGM_RSRC2:TGID_Y_EN: 0
; COMPUTE_PGM_RSRC2:TGID_Z_EN: 0
; COMPUTE_PGM_RSRC2:TIDIG_COMP_CNT: 0
; COMPUTE_PGM_RSRC3_GFX90A:ACCUM_OFFSET: 0
; COMPUTE_PGM_RSRC3_GFX90A:TG_SPLIT: 0
	.section	.text._ZN7rocprim17ROCPRIM_400000_NS6detail17trampoline_kernelINS0_14default_configENS1_33run_length_encode_config_selectorItjNS0_4plusIjEEEEZZNS1_33reduce_by_key_impl_wrapped_configILNS1_25lookback_scan_determinismE0ES3_S7_PKtNS0_17constant_iteratorIjlEEPtPlSF_S6_NS0_8equal_toItEEEE10hipError_tPvRmT2_T3_mT4_T5_T6_T7_T8_P12ihipStream_tbENKUlT_T0_E_clISt17integral_constantIbLb1EESY_IbLb0EEEEDaSU_SV_EUlSU_E_NS1_11comp_targetILNS1_3genE8ELNS1_11target_archE1030ELNS1_3gpuE2ELNS1_3repE0EEENS1_30default_config_static_selectorELNS0_4arch9wavefront6targetE1EEEvT1_,"axG",@progbits,_ZN7rocprim17ROCPRIM_400000_NS6detail17trampoline_kernelINS0_14default_configENS1_33run_length_encode_config_selectorItjNS0_4plusIjEEEEZZNS1_33reduce_by_key_impl_wrapped_configILNS1_25lookback_scan_determinismE0ES3_S7_PKtNS0_17constant_iteratorIjlEEPtPlSF_S6_NS0_8equal_toItEEEE10hipError_tPvRmT2_T3_mT4_T5_T6_T7_T8_P12ihipStream_tbENKUlT_T0_E_clISt17integral_constantIbLb1EESY_IbLb0EEEEDaSU_SV_EUlSU_E_NS1_11comp_targetILNS1_3genE8ELNS1_11target_archE1030ELNS1_3gpuE2ELNS1_3repE0EEENS1_30default_config_static_selectorELNS0_4arch9wavefront6targetE1EEEvT1_,comdat
	.protected	_ZN7rocprim17ROCPRIM_400000_NS6detail17trampoline_kernelINS0_14default_configENS1_33run_length_encode_config_selectorItjNS0_4plusIjEEEEZZNS1_33reduce_by_key_impl_wrapped_configILNS1_25lookback_scan_determinismE0ES3_S7_PKtNS0_17constant_iteratorIjlEEPtPlSF_S6_NS0_8equal_toItEEEE10hipError_tPvRmT2_T3_mT4_T5_T6_T7_T8_P12ihipStream_tbENKUlT_T0_E_clISt17integral_constantIbLb1EESY_IbLb0EEEEDaSU_SV_EUlSU_E_NS1_11comp_targetILNS1_3genE8ELNS1_11target_archE1030ELNS1_3gpuE2ELNS1_3repE0EEENS1_30default_config_static_selectorELNS0_4arch9wavefront6targetE1EEEvT1_ ; -- Begin function _ZN7rocprim17ROCPRIM_400000_NS6detail17trampoline_kernelINS0_14default_configENS1_33run_length_encode_config_selectorItjNS0_4plusIjEEEEZZNS1_33reduce_by_key_impl_wrapped_configILNS1_25lookback_scan_determinismE0ES3_S7_PKtNS0_17constant_iteratorIjlEEPtPlSF_S6_NS0_8equal_toItEEEE10hipError_tPvRmT2_T3_mT4_T5_T6_T7_T8_P12ihipStream_tbENKUlT_T0_E_clISt17integral_constantIbLb1EESY_IbLb0EEEEDaSU_SV_EUlSU_E_NS1_11comp_targetILNS1_3genE8ELNS1_11target_archE1030ELNS1_3gpuE2ELNS1_3repE0EEENS1_30default_config_static_selectorELNS0_4arch9wavefront6targetE1EEEvT1_
	.globl	_ZN7rocprim17ROCPRIM_400000_NS6detail17trampoline_kernelINS0_14default_configENS1_33run_length_encode_config_selectorItjNS0_4plusIjEEEEZZNS1_33reduce_by_key_impl_wrapped_configILNS1_25lookback_scan_determinismE0ES3_S7_PKtNS0_17constant_iteratorIjlEEPtPlSF_S6_NS0_8equal_toItEEEE10hipError_tPvRmT2_T3_mT4_T5_T6_T7_T8_P12ihipStream_tbENKUlT_T0_E_clISt17integral_constantIbLb1EESY_IbLb0EEEEDaSU_SV_EUlSU_E_NS1_11comp_targetILNS1_3genE8ELNS1_11target_archE1030ELNS1_3gpuE2ELNS1_3repE0EEENS1_30default_config_static_selectorELNS0_4arch9wavefront6targetE1EEEvT1_
	.p2align	8
	.type	_ZN7rocprim17ROCPRIM_400000_NS6detail17trampoline_kernelINS0_14default_configENS1_33run_length_encode_config_selectorItjNS0_4plusIjEEEEZZNS1_33reduce_by_key_impl_wrapped_configILNS1_25lookback_scan_determinismE0ES3_S7_PKtNS0_17constant_iteratorIjlEEPtPlSF_S6_NS0_8equal_toItEEEE10hipError_tPvRmT2_T3_mT4_T5_T6_T7_T8_P12ihipStream_tbENKUlT_T0_E_clISt17integral_constantIbLb1EESY_IbLb0EEEEDaSU_SV_EUlSU_E_NS1_11comp_targetILNS1_3genE8ELNS1_11target_archE1030ELNS1_3gpuE2ELNS1_3repE0EEENS1_30default_config_static_selectorELNS0_4arch9wavefront6targetE1EEEvT1_,@function
_ZN7rocprim17ROCPRIM_400000_NS6detail17trampoline_kernelINS0_14default_configENS1_33run_length_encode_config_selectorItjNS0_4plusIjEEEEZZNS1_33reduce_by_key_impl_wrapped_configILNS1_25lookback_scan_determinismE0ES3_S7_PKtNS0_17constant_iteratorIjlEEPtPlSF_S6_NS0_8equal_toItEEEE10hipError_tPvRmT2_T3_mT4_T5_T6_T7_T8_P12ihipStream_tbENKUlT_T0_E_clISt17integral_constantIbLb1EESY_IbLb0EEEEDaSU_SV_EUlSU_E_NS1_11comp_targetILNS1_3genE8ELNS1_11target_archE1030ELNS1_3gpuE2ELNS1_3repE0EEENS1_30default_config_static_selectorELNS0_4arch9wavefront6targetE1EEEvT1_: ; @_ZN7rocprim17ROCPRIM_400000_NS6detail17trampoline_kernelINS0_14default_configENS1_33run_length_encode_config_selectorItjNS0_4plusIjEEEEZZNS1_33reduce_by_key_impl_wrapped_configILNS1_25lookback_scan_determinismE0ES3_S7_PKtNS0_17constant_iteratorIjlEEPtPlSF_S6_NS0_8equal_toItEEEE10hipError_tPvRmT2_T3_mT4_T5_T6_T7_T8_P12ihipStream_tbENKUlT_T0_E_clISt17integral_constantIbLb1EESY_IbLb0EEEEDaSU_SV_EUlSU_E_NS1_11comp_targetILNS1_3genE8ELNS1_11target_archE1030ELNS1_3gpuE2ELNS1_3repE0EEENS1_30default_config_static_selectorELNS0_4arch9wavefront6targetE1EEEvT1_
; %bb.0:
	.section	.rodata,"a",@progbits
	.p2align	6, 0x0
	.amdhsa_kernel _ZN7rocprim17ROCPRIM_400000_NS6detail17trampoline_kernelINS0_14default_configENS1_33run_length_encode_config_selectorItjNS0_4plusIjEEEEZZNS1_33reduce_by_key_impl_wrapped_configILNS1_25lookback_scan_determinismE0ES3_S7_PKtNS0_17constant_iteratorIjlEEPtPlSF_S6_NS0_8equal_toItEEEE10hipError_tPvRmT2_T3_mT4_T5_T6_T7_T8_P12ihipStream_tbENKUlT_T0_E_clISt17integral_constantIbLb1EESY_IbLb0EEEEDaSU_SV_EUlSU_E_NS1_11comp_targetILNS1_3genE8ELNS1_11target_archE1030ELNS1_3gpuE2ELNS1_3repE0EEENS1_30default_config_static_selectorELNS0_4arch9wavefront6targetE1EEEvT1_
		.amdhsa_group_segment_fixed_size 0
		.amdhsa_private_segment_fixed_size 0
		.amdhsa_kernarg_size 128
		.amdhsa_user_sgpr_count 2
		.amdhsa_user_sgpr_dispatch_ptr 0
		.amdhsa_user_sgpr_queue_ptr 0
		.amdhsa_user_sgpr_kernarg_segment_ptr 1
		.amdhsa_user_sgpr_dispatch_id 0
		.amdhsa_user_sgpr_kernarg_preload_length 0
		.amdhsa_user_sgpr_kernarg_preload_offset 0
		.amdhsa_user_sgpr_private_segment_size 0
		.amdhsa_uses_dynamic_stack 0
		.amdhsa_enable_private_segment 0
		.amdhsa_system_sgpr_workgroup_id_x 1
		.amdhsa_system_sgpr_workgroup_id_y 0
		.amdhsa_system_sgpr_workgroup_id_z 0
		.amdhsa_system_sgpr_workgroup_info 0
		.amdhsa_system_vgpr_workitem_id 0
		.amdhsa_next_free_vgpr 1
		.amdhsa_next_free_sgpr 0
		.amdhsa_accum_offset 4
		.amdhsa_reserve_vcc 0
		.amdhsa_float_round_mode_32 0
		.amdhsa_float_round_mode_16_64 0
		.amdhsa_float_denorm_mode_32 3
		.amdhsa_float_denorm_mode_16_64 3
		.amdhsa_dx10_clamp 1
		.amdhsa_ieee_mode 1
		.amdhsa_fp16_overflow 0
		.amdhsa_tg_split 0
		.amdhsa_exception_fp_ieee_invalid_op 0
		.amdhsa_exception_fp_denorm_src 0
		.amdhsa_exception_fp_ieee_div_zero 0
		.amdhsa_exception_fp_ieee_overflow 0
		.amdhsa_exception_fp_ieee_underflow 0
		.amdhsa_exception_fp_ieee_inexact 0
		.amdhsa_exception_int_div_zero 0
	.end_amdhsa_kernel
	.section	.text._ZN7rocprim17ROCPRIM_400000_NS6detail17trampoline_kernelINS0_14default_configENS1_33run_length_encode_config_selectorItjNS0_4plusIjEEEEZZNS1_33reduce_by_key_impl_wrapped_configILNS1_25lookback_scan_determinismE0ES3_S7_PKtNS0_17constant_iteratorIjlEEPtPlSF_S6_NS0_8equal_toItEEEE10hipError_tPvRmT2_T3_mT4_T5_T6_T7_T8_P12ihipStream_tbENKUlT_T0_E_clISt17integral_constantIbLb1EESY_IbLb0EEEEDaSU_SV_EUlSU_E_NS1_11comp_targetILNS1_3genE8ELNS1_11target_archE1030ELNS1_3gpuE2ELNS1_3repE0EEENS1_30default_config_static_selectorELNS0_4arch9wavefront6targetE1EEEvT1_,"axG",@progbits,_ZN7rocprim17ROCPRIM_400000_NS6detail17trampoline_kernelINS0_14default_configENS1_33run_length_encode_config_selectorItjNS0_4plusIjEEEEZZNS1_33reduce_by_key_impl_wrapped_configILNS1_25lookback_scan_determinismE0ES3_S7_PKtNS0_17constant_iteratorIjlEEPtPlSF_S6_NS0_8equal_toItEEEE10hipError_tPvRmT2_T3_mT4_T5_T6_T7_T8_P12ihipStream_tbENKUlT_T0_E_clISt17integral_constantIbLb1EESY_IbLb0EEEEDaSU_SV_EUlSU_E_NS1_11comp_targetILNS1_3genE8ELNS1_11target_archE1030ELNS1_3gpuE2ELNS1_3repE0EEENS1_30default_config_static_selectorELNS0_4arch9wavefront6targetE1EEEvT1_,comdat
.Lfunc_end813:
	.size	_ZN7rocprim17ROCPRIM_400000_NS6detail17trampoline_kernelINS0_14default_configENS1_33run_length_encode_config_selectorItjNS0_4plusIjEEEEZZNS1_33reduce_by_key_impl_wrapped_configILNS1_25lookback_scan_determinismE0ES3_S7_PKtNS0_17constant_iteratorIjlEEPtPlSF_S6_NS0_8equal_toItEEEE10hipError_tPvRmT2_T3_mT4_T5_T6_T7_T8_P12ihipStream_tbENKUlT_T0_E_clISt17integral_constantIbLb1EESY_IbLb0EEEEDaSU_SV_EUlSU_E_NS1_11comp_targetILNS1_3genE8ELNS1_11target_archE1030ELNS1_3gpuE2ELNS1_3repE0EEENS1_30default_config_static_selectorELNS0_4arch9wavefront6targetE1EEEvT1_, .Lfunc_end813-_ZN7rocprim17ROCPRIM_400000_NS6detail17trampoline_kernelINS0_14default_configENS1_33run_length_encode_config_selectorItjNS0_4plusIjEEEEZZNS1_33reduce_by_key_impl_wrapped_configILNS1_25lookback_scan_determinismE0ES3_S7_PKtNS0_17constant_iteratorIjlEEPtPlSF_S6_NS0_8equal_toItEEEE10hipError_tPvRmT2_T3_mT4_T5_T6_T7_T8_P12ihipStream_tbENKUlT_T0_E_clISt17integral_constantIbLb1EESY_IbLb0EEEEDaSU_SV_EUlSU_E_NS1_11comp_targetILNS1_3genE8ELNS1_11target_archE1030ELNS1_3gpuE2ELNS1_3repE0EEENS1_30default_config_static_selectorELNS0_4arch9wavefront6targetE1EEEvT1_
                                        ; -- End function
	.section	.AMDGPU.csdata,"",@progbits
; Kernel info:
; codeLenInByte = 0
; NumSgprs: 6
; NumVgprs: 0
; NumAgprs: 0
; TotalNumVgprs: 0
; ScratchSize: 0
; MemoryBound: 0
; FloatMode: 240
; IeeeMode: 1
; LDSByteSize: 0 bytes/workgroup (compile time only)
; SGPRBlocks: 0
; VGPRBlocks: 0
; NumSGPRsForWavesPerEU: 6
; NumVGPRsForWavesPerEU: 1
; AccumOffset: 4
; Occupancy: 8
; WaveLimiterHint : 0
; COMPUTE_PGM_RSRC2:SCRATCH_EN: 0
; COMPUTE_PGM_RSRC2:USER_SGPR: 2
; COMPUTE_PGM_RSRC2:TRAP_HANDLER: 0
; COMPUTE_PGM_RSRC2:TGID_X_EN: 1
; COMPUTE_PGM_RSRC2:TGID_Y_EN: 0
; COMPUTE_PGM_RSRC2:TGID_Z_EN: 0
; COMPUTE_PGM_RSRC2:TIDIG_COMP_CNT: 0
; COMPUTE_PGM_RSRC3_GFX90A:ACCUM_OFFSET: 0
; COMPUTE_PGM_RSRC3_GFX90A:TG_SPLIT: 0
	.section	.text._ZN7rocprim17ROCPRIM_400000_NS6detail17trampoline_kernelINS0_14default_configENS1_33run_length_encode_config_selectorItjNS0_4plusIjEEEEZZNS1_33reduce_by_key_impl_wrapped_configILNS1_25lookback_scan_determinismE0ES3_S7_PKtNS0_17constant_iteratorIjlEEPtPlSF_S6_NS0_8equal_toItEEEE10hipError_tPvRmT2_T3_mT4_T5_T6_T7_T8_P12ihipStream_tbENKUlT_T0_E_clISt17integral_constantIbLb0EESY_IbLb1EEEEDaSU_SV_EUlSU_E_NS1_11comp_targetILNS1_3genE0ELNS1_11target_archE4294967295ELNS1_3gpuE0ELNS1_3repE0EEENS1_30default_config_static_selectorELNS0_4arch9wavefront6targetE1EEEvT1_,"axG",@progbits,_ZN7rocprim17ROCPRIM_400000_NS6detail17trampoline_kernelINS0_14default_configENS1_33run_length_encode_config_selectorItjNS0_4plusIjEEEEZZNS1_33reduce_by_key_impl_wrapped_configILNS1_25lookback_scan_determinismE0ES3_S7_PKtNS0_17constant_iteratorIjlEEPtPlSF_S6_NS0_8equal_toItEEEE10hipError_tPvRmT2_T3_mT4_T5_T6_T7_T8_P12ihipStream_tbENKUlT_T0_E_clISt17integral_constantIbLb0EESY_IbLb1EEEEDaSU_SV_EUlSU_E_NS1_11comp_targetILNS1_3genE0ELNS1_11target_archE4294967295ELNS1_3gpuE0ELNS1_3repE0EEENS1_30default_config_static_selectorELNS0_4arch9wavefront6targetE1EEEvT1_,comdat
	.protected	_ZN7rocprim17ROCPRIM_400000_NS6detail17trampoline_kernelINS0_14default_configENS1_33run_length_encode_config_selectorItjNS0_4plusIjEEEEZZNS1_33reduce_by_key_impl_wrapped_configILNS1_25lookback_scan_determinismE0ES3_S7_PKtNS0_17constant_iteratorIjlEEPtPlSF_S6_NS0_8equal_toItEEEE10hipError_tPvRmT2_T3_mT4_T5_T6_T7_T8_P12ihipStream_tbENKUlT_T0_E_clISt17integral_constantIbLb0EESY_IbLb1EEEEDaSU_SV_EUlSU_E_NS1_11comp_targetILNS1_3genE0ELNS1_11target_archE4294967295ELNS1_3gpuE0ELNS1_3repE0EEENS1_30default_config_static_selectorELNS0_4arch9wavefront6targetE1EEEvT1_ ; -- Begin function _ZN7rocprim17ROCPRIM_400000_NS6detail17trampoline_kernelINS0_14default_configENS1_33run_length_encode_config_selectorItjNS0_4plusIjEEEEZZNS1_33reduce_by_key_impl_wrapped_configILNS1_25lookback_scan_determinismE0ES3_S7_PKtNS0_17constant_iteratorIjlEEPtPlSF_S6_NS0_8equal_toItEEEE10hipError_tPvRmT2_T3_mT4_T5_T6_T7_T8_P12ihipStream_tbENKUlT_T0_E_clISt17integral_constantIbLb0EESY_IbLb1EEEEDaSU_SV_EUlSU_E_NS1_11comp_targetILNS1_3genE0ELNS1_11target_archE4294967295ELNS1_3gpuE0ELNS1_3repE0EEENS1_30default_config_static_selectorELNS0_4arch9wavefront6targetE1EEEvT1_
	.globl	_ZN7rocprim17ROCPRIM_400000_NS6detail17trampoline_kernelINS0_14default_configENS1_33run_length_encode_config_selectorItjNS0_4plusIjEEEEZZNS1_33reduce_by_key_impl_wrapped_configILNS1_25lookback_scan_determinismE0ES3_S7_PKtNS0_17constant_iteratorIjlEEPtPlSF_S6_NS0_8equal_toItEEEE10hipError_tPvRmT2_T3_mT4_T5_T6_T7_T8_P12ihipStream_tbENKUlT_T0_E_clISt17integral_constantIbLb0EESY_IbLb1EEEEDaSU_SV_EUlSU_E_NS1_11comp_targetILNS1_3genE0ELNS1_11target_archE4294967295ELNS1_3gpuE0ELNS1_3repE0EEENS1_30default_config_static_selectorELNS0_4arch9wavefront6targetE1EEEvT1_
	.p2align	8
	.type	_ZN7rocprim17ROCPRIM_400000_NS6detail17trampoline_kernelINS0_14default_configENS1_33run_length_encode_config_selectorItjNS0_4plusIjEEEEZZNS1_33reduce_by_key_impl_wrapped_configILNS1_25lookback_scan_determinismE0ES3_S7_PKtNS0_17constant_iteratorIjlEEPtPlSF_S6_NS0_8equal_toItEEEE10hipError_tPvRmT2_T3_mT4_T5_T6_T7_T8_P12ihipStream_tbENKUlT_T0_E_clISt17integral_constantIbLb0EESY_IbLb1EEEEDaSU_SV_EUlSU_E_NS1_11comp_targetILNS1_3genE0ELNS1_11target_archE4294967295ELNS1_3gpuE0ELNS1_3repE0EEENS1_30default_config_static_selectorELNS0_4arch9wavefront6targetE1EEEvT1_,@function
_ZN7rocprim17ROCPRIM_400000_NS6detail17trampoline_kernelINS0_14default_configENS1_33run_length_encode_config_selectorItjNS0_4plusIjEEEEZZNS1_33reduce_by_key_impl_wrapped_configILNS1_25lookback_scan_determinismE0ES3_S7_PKtNS0_17constant_iteratorIjlEEPtPlSF_S6_NS0_8equal_toItEEEE10hipError_tPvRmT2_T3_mT4_T5_T6_T7_T8_P12ihipStream_tbENKUlT_T0_E_clISt17integral_constantIbLb0EESY_IbLb1EEEEDaSU_SV_EUlSU_E_NS1_11comp_targetILNS1_3genE0ELNS1_11target_archE4294967295ELNS1_3gpuE0ELNS1_3repE0EEENS1_30default_config_static_selectorELNS0_4arch9wavefront6targetE1EEEvT1_: ; @_ZN7rocprim17ROCPRIM_400000_NS6detail17trampoline_kernelINS0_14default_configENS1_33run_length_encode_config_selectorItjNS0_4plusIjEEEEZZNS1_33reduce_by_key_impl_wrapped_configILNS1_25lookback_scan_determinismE0ES3_S7_PKtNS0_17constant_iteratorIjlEEPtPlSF_S6_NS0_8equal_toItEEEE10hipError_tPvRmT2_T3_mT4_T5_T6_T7_T8_P12ihipStream_tbENKUlT_T0_E_clISt17integral_constantIbLb0EESY_IbLb1EEEEDaSU_SV_EUlSU_E_NS1_11comp_targetILNS1_3genE0ELNS1_11target_archE4294967295ELNS1_3gpuE0ELNS1_3repE0EEENS1_30default_config_static_selectorELNS0_4arch9wavefront6targetE1EEEvT1_
; %bb.0:
	.section	.rodata,"a",@progbits
	.p2align	6, 0x0
	.amdhsa_kernel _ZN7rocprim17ROCPRIM_400000_NS6detail17trampoline_kernelINS0_14default_configENS1_33run_length_encode_config_selectorItjNS0_4plusIjEEEEZZNS1_33reduce_by_key_impl_wrapped_configILNS1_25lookback_scan_determinismE0ES3_S7_PKtNS0_17constant_iteratorIjlEEPtPlSF_S6_NS0_8equal_toItEEEE10hipError_tPvRmT2_T3_mT4_T5_T6_T7_T8_P12ihipStream_tbENKUlT_T0_E_clISt17integral_constantIbLb0EESY_IbLb1EEEEDaSU_SV_EUlSU_E_NS1_11comp_targetILNS1_3genE0ELNS1_11target_archE4294967295ELNS1_3gpuE0ELNS1_3repE0EEENS1_30default_config_static_selectorELNS0_4arch9wavefront6targetE1EEEvT1_
		.amdhsa_group_segment_fixed_size 0
		.amdhsa_private_segment_fixed_size 0
		.amdhsa_kernarg_size 128
		.amdhsa_user_sgpr_count 2
		.amdhsa_user_sgpr_dispatch_ptr 0
		.amdhsa_user_sgpr_queue_ptr 0
		.amdhsa_user_sgpr_kernarg_segment_ptr 1
		.amdhsa_user_sgpr_dispatch_id 0
		.amdhsa_user_sgpr_kernarg_preload_length 0
		.amdhsa_user_sgpr_kernarg_preload_offset 0
		.amdhsa_user_sgpr_private_segment_size 0
		.amdhsa_uses_dynamic_stack 0
		.amdhsa_enable_private_segment 0
		.amdhsa_system_sgpr_workgroup_id_x 1
		.amdhsa_system_sgpr_workgroup_id_y 0
		.amdhsa_system_sgpr_workgroup_id_z 0
		.amdhsa_system_sgpr_workgroup_info 0
		.amdhsa_system_vgpr_workitem_id 0
		.amdhsa_next_free_vgpr 1
		.amdhsa_next_free_sgpr 0
		.amdhsa_accum_offset 4
		.amdhsa_reserve_vcc 0
		.amdhsa_float_round_mode_32 0
		.amdhsa_float_round_mode_16_64 0
		.amdhsa_float_denorm_mode_32 3
		.amdhsa_float_denorm_mode_16_64 3
		.amdhsa_dx10_clamp 1
		.amdhsa_ieee_mode 1
		.amdhsa_fp16_overflow 0
		.amdhsa_tg_split 0
		.amdhsa_exception_fp_ieee_invalid_op 0
		.amdhsa_exception_fp_denorm_src 0
		.amdhsa_exception_fp_ieee_div_zero 0
		.amdhsa_exception_fp_ieee_overflow 0
		.amdhsa_exception_fp_ieee_underflow 0
		.amdhsa_exception_fp_ieee_inexact 0
		.amdhsa_exception_int_div_zero 0
	.end_amdhsa_kernel
	.section	.text._ZN7rocprim17ROCPRIM_400000_NS6detail17trampoline_kernelINS0_14default_configENS1_33run_length_encode_config_selectorItjNS0_4plusIjEEEEZZNS1_33reduce_by_key_impl_wrapped_configILNS1_25lookback_scan_determinismE0ES3_S7_PKtNS0_17constant_iteratorIjlEEPtPlSF_S6_NS0_8equal_toItEEEE10hipError_tPvRmT2_T3_mT4_T5_T6_T7_T8_P12ihipStream_tbENKUlT_T0_E_clISt17integral_constantIbLb0EESY_IbLb1EEEEDaSU_SV_EUlSU_E_NS1_11comp_targetILNS1_3genE0ELNS1_11target_archE4294967295ELNS1_3gpuE0ELNS1_3repE0EEENS1_30default_config_static_selectorELNS0_4arch9wavefront6targetE1EEEvT1_,"axG",@progbits,_ZN7rocprim17ROCPRIM_400000_NS6detail17trampoline_kernelINS0_14default_configENS1_33run_length_encode_config_selectorItjNS0_4plusIjEEEEZZNS1_33reduce_by_key_impl_wrapped_configILNS1_25lookback_scan_determinismE0ES3_S7_PKtNS0_17constant_iteratorIjlEEPtPlSF_S6_NS0_8equal_toItEEEE10hipError_tPvRmT2_T3_mT4_T5_T6_T7_T8_P12ihipStream_tbENKUlT_T0_E_clISt17integral_constantIbLb0EESY_IbLb1EEEEDaSU_SV_EUlSU_E_NS1_11comp_targetILNS1_3genE0ELNS1_11target_archE4294967295ELNS1_3gpuE0ELNS1_3repE0EEENS1_30default_config_static_selectorELNS0_4arch9wavefront6targetE1EEEvT1_,comdat
.Lfunc_end814:
	.size	_ZN7rocprim17ROCPRIM_400000_NS6detail17trampoline_kernelINS0_14default_configENS1_33run_length_encode_config_selectorItjNS0_4plusIjEEEEZZNS1_33reduce_by_key_impl_wrapped_configILNS1_25lookback_scan_determinismE0ES3_S7_PKtNS0_17constant_iteratorIjlEEPtPlSF_S6_NS0_8equal_toItEEEE10hipError_tPvRmT2_T3_mT4_T5_T6_T7_T8_P12ihipStream_tbENKUlT_T0_E_clISt17integral_constantIbLb0EESY_IbLb1EEEEDaSU_SV_EUlSU_E_NS1_11comp_targetILNS1_3genE0ELNS1_11target_archE4294967295ELNS1_3gpuE0ELNS1_3repE0EEENS1_30default_config_static_selectorELNS0_4arch9wavefront6targetE1EEEvT1_, .Lfunc_end814-_ZN7rocprim17ROCPRIM_400000_NS6detail17trampoline_kernelINS0_14default_configENS1_33run_length_encode_config_selectorItjNS0_4plusIjEEEEZZNS1_33reduce_by_key_impl_wrapped_configILNS1_25lookback_scan_determinismE0ES3_S7_PKtNS0_17constant_iteratorIjlEEPtPlSF_S6_NS0_8equal_toItEEEE10hipError_tPvRmT2_T3_mT4_T5_T6_T7_T8_P12ihipStream_tbENKUlT_T0_E_clISt17integral_constantIbLb0EESY_IbLb1EEEEDaSU_SV_EUlSU_E_NS1_11comp_targetILNS1_3genE0ELNS1_11target_archE4294967295ELNS1_3gpuE0ELNS1_3repE0EEENS1_30default_config_static_selectorELNS0_4arch9wavefront6targetE1EEEvT1_
                                        ; -- End function
	.section	.AMDGPU.csdata,"",@progbits
; Kernel info:
; codeLenInByte = 0
; NumSgprs: 6
; NumVgprs: 0
; NumAgprs: 0
; TotalNumVgprs: 0
; ScratchSize: 0
; MemoryBound: 0
; FloatMode: 240
; IeeeMode: 1
; LDSByteSize: 0 bytes/workgroup (compile time only)
; SGPRBlocks: 0
; VGPRBlocks: 0
; NumSGPRsForWavesPerEU: 6
; NumVGPRsForWavesPerEU: 1
; AccumOffset: 4
; Occupancy: 8
; WaveLimiterHint : 0
; COMPUTE_PGM_RSRC2:SCRATCH_EN: 0
; COMPUTE_PGM_RSRC2:USER_SGPR: 2
; COMPUTE_PGM_RSRC2:TRAP_HANDLER: 0
; COMPUTE_PGM_RSRC2:TGID_X_EN: 1
; COMPUTE_PGM_RSRC2:TGID_Y_EN: 0
; COMPUTE_PGM_RSRC2:TGID_Z_EN: 0
; COMPUTE_PGM_RSRC2:TIDIG_COMP_CNT: 0
; COMPUTE_PGM_RSRC3_GFX90A:ACCUM_OFFSET: 0
; COMPUTE_PGM_RSRC3_GFX90A:TG_SPLIT: 0
	.section	.text._ZN7rocprim17ROCPRIM_400000_NS6detail17trampoline_kernelINS0_14default_configENS1_33run_length_encode_config_selectorItjNS0_4plusIjEEEEZZNS1_33reduce_by_key_impl_wrapped_configILNS1_25lookback_scan_determinismE0ES3_S7_PKtNS0_17constant_iteratorIjlEEPtPlSF_S6_NS0_8equal_toItEEEE10hipError_tPvRmT2_T3_mT4_T5_T6_T7_T8_P12ihipStream_tbENKUlT_T0_E_clISt17integral_constantIbLb0EESY_IbLb1EEEEDaSU_SV_EUlSU_E_NS1_11comp_targetILNS1_3genE5ELNS1_11target_archE942ELNS1_3gpuE9ELNS1_3repE0EEENS1_30default_config_static_selectorELNS0_4arch9wavefront6targetE1EEEvT1_,"axG",@progbits,_ZN7rocprim17ROCPRIM_400000_NS6detail17trampoline_kernelINS0_14default_configENS1_33run_length_encode_config_selectorItjNS0_4plusIjEEEEZZNS1_33reduce_by_key_impl_wrapped_configILNS1_25lookback_scan_determinismE0ES3_S7_PKtNS0_17constant_iteratorIjlEEPtPlSF_S6_NS0_8equal_toItEEEE10hipError_tPvRmT2_T3_mT4_T5_T6_T7_T8_P12ihipStream_tbENKUlT_T0_E_clISt17integral_constantIbLb0EESY_IbLb1EEEEDaSU_SV_EUlSU_E_NS1_11comp_targetILNS1_3genE5ELNS1_11target_archE942ELNS1_3gpuE9ELNS1_3repE0EEENS1_30default_config_static_selectorELNS0_4arch9wavefront6targetE1EEEvT1_,comdat
	.protected	_ZN7rocprim17ROCPRIM_400000_NS6detail17trampoline_kernelINS0_14default_configENS1_33run_length_encode_config_selectorItjNS0_4plusIjEEEEZZNS1_33reduce_by_key_impl_wrapped_configILNS1_25lookback_scan_determinismE0ES3_S7_PKtNS0_17constant_iteratorIjlEEPtPlSF_S6_NS0_8equal_toItEEEE10hipError_tPvRmT2_T3_mT4_T5_T6_T7_T8_P12ihipStream_tbENKUlT_T0_E_clISt17integral_constantIbLb0EESY_IbLb1EEEEDaSU_SV_EUlSU_E_NS1_11comp_targetILNS1_3genE5ELNS1_11target_archE942ELNS1_3gpuE9ELNS1_3repE0EEENS1_30default_config_static_selectorELNS0_4arch9wavefront6targetE1EEEvT1_ ; -- Begin function _ZN7rocprim17ROCPRIM_400000_NS6detail17trampoline_kernelINS0_14default_configENS1_33run_length_encode_config_selectorItjNS0_4plusIjEEEEZZNS1_33reduce_by_key_impl_wrapped_configILNS1_25lookback_scan_determinismE0ES3_S7_PKtNS0_17constant_iteratorIjlEEPtPlSF_S6_NS0_8equal_toItEEEE10hipError_tPvRmT2_T3_mT4_T5_T6_T7_T8_P12ihipStream_tbENKUlT_T0_E_clISt17integral_constantIbLb0EESY_IbLb1EEEEDaSU_SV_EUlSU_E_NS1_11comp_targetILNS1_3genE5ELNS1_11target_archE942ELNS1_3gpuE9ELNS1_3repE0EEENS1_30default_config_static_selectorELNS0_4arch9wavefront6targetE1EEEvT1_
	.globl	_ZN7rocprim17ROCPRIM_400000_NS6detail17trampoline_kernelINS0_14default_configENS1_33run_length_encode_config_selectorItjNS0_4plusIjEEEEZZNS1_33reduce_by_key_impl_wrapped_configILNS1_25lookback_scan_determinismE0ES3_S7_PKtNS0_17constant_iteratorIjlEEPtPlSF_S6_NS0_8equal_toItEEEE10hipError_tPvRmT2_T3_mT4_T5_T6_T7_T8_P12ihipStream_tbENKUlT_T0_E_clISt17integral_constantIbLb0EESY_IbLb1EEEEDaSU_SV_EUlSU_E_NS1_11comp_targetILNS1_3genE5ELNS1_11target_archE942ELNS1_3gpuE9ELNS1_3repE0EEENS1_30default_config_static_selectorELNS0_4arch9wavefront6targetE1EEEvT1_
	.p2align	8
	.type	_ZN7rocprim17ROCPRIM_400000_NS6detail17trampoline_kernelINS0_14default_configENS1_33run_length_encode_config_selectorItjNS0_4plusIjEEEEZZNS1_33reduce_by_key_impl_wrapped_configILNS1_25lookback_scan_determinismE0ES3_S7_PKtNS0_17constant_iteratorIjlEEPtPlSF_S6_NS0_8equal_toItEEEE10hipError_tPvRmT2_T3_mT4_T5_T6_T7_T8_P12ihipStream_tbENKUlT_T0_E_clISt17integral_constantIbLb0EESY_IbLb1EEEEDaSU_SV_EUlSU_E_NS1_11comp_targetILNS1_3genE5ELNS1_11target_archE942ELNS1_3gpuE9ELNS1_3repE0EEENS1_30default_config_static_selectorELNS0_4arch9wavefront6targetE1EEEvT1_,@function
_ZN7rocprim17ROCPRIM_400000_NS6detail17trampoline_kernelINS0_14default_configENS1_33run_length_encode_config_selectorItjNS0_4plusIjEEEEZZNS1_33reduce_by_key_impl_wrapped_configILNS1_25lookback_scan_determinismE0ES3_S7_PKtNS0_17constant_iteratorIjlEEPtPlSF_S6_NS0_8equal_toItEEEE10hipError_tPvRmT2_T3_mT4_T5_T6_T7_T8_P12ihipStream_tbENKUlT_T0_E_clISt17integral_constantIbLb0EESY_IbLb1EEEEDaSU_SV_EUlSU_E_NS1_11comp_targetILNS1_3genE5ELNS1_11target_archE942ELNS1_3gpuE9ELNS1_3repE0EEENS1_30default_config_static_selectorELNS0_4arch9wavefront6targetE1EEEvT1_: ; @_ZN7rocprim17ROCPRIM_400000_NS6detail17trampoline_kernelINS0_14default_configENS1_33run_length_encode_config_selectorItjNS0_4plusIjEEEEZZNS1_33reduce_by_key_impl_wrapped_configILNS1_25lookback_scan_determinismE0ES3_S7_PKtNS0_17constant_iteratorIjlEEPtPlSF_S6_NS0_8equal_toItEEEE10hipError_tPvRmT2_T3_mT4_T5_T6_T7_T8_P12ihipStream_tbENKUlT_T0_E_clISt17integral_constantIbLb0EESY_IbLb1EEEEDaSU_SV_EUlSU_E_NS1_11comp_targetILNS1_3genE5ELNS1_11target_archE942ELNS1_3gpuE9ELNS1_3repE0EEENS1_30default_config_static_selectorELNS0_4arch9wavefront6targetE1EEEvT1_
; %bb.0:
	s_load_dword s10, s[0:1], 0x10
	s_load_dwordx4 s[44:47], s[0:1], 0x20
	s_load_dwordx2 s[34:35], s[0:1], 0x30
	s_load_dwordx2 s[28:29], s[0:1], 0x70
	s_load_dwordx4 s[48:51], s[0:1], 0x60
	s_load_dwordx8 s[36:43], s[0:1], 0x40
	v_cmp_ne_u32_e64 s[2:3], 0, v0
	v_cmp_eq_u32_e64 s[30:31], 0, v0
	s_and_saveexec_b64 s[4:5], s[30:31]
	s_cbranch_execz .LBB815_4
; %bb.1:
	s_mov_b64 s[8:9], exec
	v_mbcnt_lo_u32_b32 v1, s8, 0
	v_mbcnt_hi_u32_b32 v1, s9, v1
	v_cmp_eq_u32_e32 vcc, 0, v1
                                        ; implicit-def: $vgpr2
	s_and_saveexec_b64 s[6:7], vcc
	s_cbranch_execz .LBB815_3
; %bb.2:
	s_load_dwordx2 s[12:13], s[0:1], 0x78
	s_bcnt1_i32_b64 s8, s[8:9]
	v_mov_b32_e32 v2, 0
	v_mov_b32_e32 v3, s8
	s_waitcnt lgkmcnt(0)
	global_atomic_add v2, v2, v3, s[12:13] sc0
.LBB815_3:
	s_or_b64 exec, exec, s[6:7]
	s_waitcnt vmcnt(0)
	v_readfirstlane_b32 s6, v2
	v_mov_b32_e32 v2, 0
	s_nop 0
	v_add_u32_e32 v1, s6, v1
	ds_write_b32 v2, v1
.LBB815_4:
	s_or_b64 exec, exec, s[4:5]
	s_load_dwordx4 s[4:7], s[0:1], 0x0
	v_mov_b32_e32 v5, 0
	s_waitcnt lgkmcnt(0)
	s_barrier
	ds_read_b32 v1, v5
	s_mul_i32 s0, s40, s39
	s_mul_hi_u32 s1, s40, s38
	s_add_i32 s0, s1, s0
	s_mul_i32 s1, s41, s38
	s_add_i32 s8, s0, s1
	s_lshl_b64 s[0:1], s[6:7], 1
	s_add_u32 s0, s4, s0
	s_movk_i32 s4, 0x1c00
	s_waitcnt lgkmcnt(0)
	v_mul_lo_u32 v4, v1, s4
	s_mul_i32 s9, s40, s38
	s_addc_u32 s1, s5, s1
	v_readfirstlane_b32 s56, v1
	v_lshlrev_b64 v[2:3], 1, v[4:5]
	v_lshl_add_u64 v[2:3], s[0:1], 0, v[2:3]
	s_add_u32 s0, s9, s56
	s_addc_u32 s1, s8, 0
	s_add_u32 s4, s42, -1
	s_addc_u32 s5, s43, -1
	s_cmp_eq_u64 s[0:1], s[4:5]
	s_cselect_b64 s[40:41], -1, 0
	s_cmp_lg_u64 s[0:1], s[4:5]
	s_mov_b64 s[8:9], -1
	s_cselect_b64 s[6:7], -1, 0
	s_mul_i32 s33, s4, 0xffffe400
	s_and_b64 vcc, exec, s[40:41]
	s_barrier
	s_cbranch_vccnz .LBB815_6
; %bb.5:
	v_lshlrev_b32_e32 v4, 1, v0
	v_lshl_add_u64 v[6:7], v[2:3], 0, v[4:5]
	v_add_co_u32_e32 v8, vcc, 0x1000, v6
	v_readfirstlane_b32 s4, v2
	s_nop 0
	v_addc_co_u32_e32 v9, vcc, 0, v7, vcc
	v_add_co_u32_e32 v10, vcc, 0x2000, v6
	v_readfirstlane_b32 s5, v3
	s_nop 0
	v_addc_co_u32_e32 v11, vcc, 0, v7, vcc
	v_add_co_u32_e32 v6, vcc, 0x3000, v6
	s_nop 1
	global_load_ushort v1, v4, s[4:5]
	global_load_ushort v5, v4, s[4:5] offset:1024
	global_load_ushort v12, v4, s[4:5] offset:2048
	;; [unrolled: 1-line block ×3, first 2 shown]
	v_addc_co_u32_e32 v7, vcc, 0, v7, vcc
	global_load_ushort v14, v[8:9], off
	global_load_ushort v15, v[8:9], off offset:1024
	global_load_ushort v16, v[8:9], off offset:2048
	;; [unrolled: 1-line block ×3, first 2 shown]
	global_load_ushort v18, v[10:11], off
	global_load_ushort v19, v[10:11], off offset:1024
	global_load_ushort v20, v[10:11], off offset:2048
	global_load_ushort v21, v[10:11], off offset:3072
	s_nop 0
	global_load_ushort v8, v[6:7], off
	global_load_ushort v9, v[6:7], off offset:1024
	v_mad_u32_u24 v6, v0, 26, v4
	s_mov_b64 s[4:5], -1
	s_waitcnt vmcnt(13)
	ds_write_b16 v4, v1
	s_waitcnt vmcnt(12)
	ds_write_b16 v4, v5 offset:1024
	s_waitcnt vmcnt(11)
	ds_write_b16 v4, v12 offset:2048
	;; [unrolled: 2-line block ×13, first 2 shown]
	s_waitcnt lgkmcnt(0)
	s_barrier
	ds_read2_b32 v[12:13], v6 offset1:1
	ds_read2_b32 v[10:11], v6 offset0:2 offset1:3
	ds_read2_b32 v[8:9], v6 offset0:4 offset1:5
	ds_read_b32 v1, v6 offset:24
	s_add_i32 s33, s33, s48
	s_cbranch_execz .LBB815_7
	s_branch .LBB815_36
.LBB815_6:
	s_mov_b64 s[4:5], 0
                                        ; implicit-def: $vgpr12
                                        ; implicit-def: $vgpr10
                                        ; implicit-def: $vgpr8
                                        ; implicit-def: $vgpr1
	s_add_i32 s33, s33, s48
	s_andn2_b64 vcc, exec, s[8:9]
	s_cbranch_vccnz .LBB815_36
.LBB815_7:
	v_cmp_gt_u32_e32 vcc, s33, v0
                                        ; implicit-def: $vgpr1
	s_and_saveexec_b64 s[4:5], vcc
	s_cbranch_execz .LBB815_9
; %bb.8:
	s_waitcnt lgkmcnt(0)
	v_lshlrev_b32_e32 v1, 1, v0
	v_readfirstlane_b32 s8, v2
	v_readfirstlane_b32 s9, v3
	s_nop 4
	global_load_ushort v1, v1, s[8:9]
.LBB815_9:
	s_or_b64 exec, exec, s[4:5]
	v_or_b32_e32 v4, 0x200, v0
	v_cmp_gt_u32_e32 vcc, s33, v4
                                        ; implicit-def: $vgpr4
	s_and_saveexec_b64 s[4:5], vcc
	s_cbranch_execz .LBB815_11
; %bb.10:
	v_lshlrev_b32_e32 v4, 1, v0
	v_readfirstlane_b32 s8, v2
	v_readfirstlane_b32 s9, v3
	s_nop 4
	global_load_ushort v4, v4, s[8:9] offset:1024
.LBB815_11:
	s_or_b64 exec, exec, s[4:5]
	v_or_b32_e32 v5, 0x400, v0
	v_cmp_gt_u32_e32 vcc, s33, v5
                                        ; implicit-def: $vgpr5
	s_and_saveexec_b64 s[4:5], vcc
	s_cbranch_execz .LBB815_13
; %bb.12:
	v_lshlrev_b32_e32 v5, 1, v0
	v_readfirstlane_b32 s8, v2
	v_readfirstlane_b32 s9, v3
	s_nop 4
	global_load_ushort v5, v5, s[8:9] offset:2048
.LBB815_13:
	s_or_b64 exec, exec, s[4:5]
	v_or_b32_e32 v6, 0x600, v0
	v_cmp_gt_u32_e32 vcc, s33, v6
                                        ; implicit-def: $vgpr6
	s_and_saveexec_b64 s[4:5], vcc
	s_cbranch_execz .LBB815_15
; %bb.14:
	v_lshlrev_b32_e32 v6, 1, v0
	v_readfirstlane_b32 s8, v2
	v_readfirstlane_b32 s9, v3
	s_nop 4
	global_load_ushort v6, v6, s[8:9] offset:3072
.LBB815_15:
	s_or_b64 exec, exec, s[4:5]
	s_waitcnt lgkmcnt(1)
	v_or_b32_e32 v8, 0x800, v0
	v_cmp_gt_u32_e32 vcc, s33, v8
                                        ; implicit-def: $vgpr7
	s_and_saveexec_b64 s[4:5], vcc
	s_cbranch_execz .LBB815_17
; %bb.16:
	v_lshlrev_b32_e32 v7, 1, v8
	v_readfirstlane_b32 s8, v2
	v_readfirstlane_b32 s9, v3
	s_nop 4
	global_load_ushort v7, v7, s[8:9]
.LBB815_17:
	s_or_b64 exec, exec, s[4:5]
	v_or_b32_e32 v9, 0xa00, v0
	v_cmp_gt_u32_e32 vcc, s33, v9
                                        ; implicit-def: $vgpr8
	s_and_saveexec_b64 s[4:5], vcc
	s_cbranch_execz .LBB815_19
; %bb.18:
	v_lshlrev_b32_e32 v8, 1, v9
	v_readfirstlane_b32 s8, v2
	v_readfirstlane_b32 s9, v3
	s_nop 4
	global_load_ushort v8, v8, s[8:9]
.LBB815_19:
	s_or_b64 exec, exec, s[4:5]
	v_or_b32_e32 v10, 0xc00, v0
	v_cmp_gt_u32_e32 vcc, s33, v10
                                        ; implicit-def: $vgpr9
	s_and_saveexec_b64 s[4:5], vcc
	s_cbranch_execz .LBB815_21
; %bb.20:
	v_lshlrev_b32_e32 v9, 1, v10
	v_readfirstlane_b32 s8, v2
	v_readfirstlane_b32 s9, v3
	s_nop 4
	global_load_ushort v9, v9, s[8:9]
.LBB815_21:
	s_or_b64 exec, exec, s[4:5]
	v_or_b32_e32 v11, 0xe00, v0
	v_cmp_gt_u32_e32 vcc, s33, v11
                                        ; implicit-def: $vgpr10
	s_and_saveexec_b64 s[4:5], vcc
	s_cbranch_execz .LBB815_23
; %bb.22:
	v_lshlrev_b32_e32 v10, 1, v11
	v_readfirstlane_b32 s8, v2
	v_readfirstlane_b32 s9, v3
	s_nop 4
	global_load_ushort v10, v10, s[8:9]
.LBB815_23:
	s_or_b64 exec, exec, s[4:5]
	v_or_b32_e32 v12, 0x1000, v0
	v_cmp_gt_u32_e32 vcc, s33, v12
                                        ; implicit-def: $vgpr11
	s_and_saveexec_b64 s[4:5], vcc
	s_cbranch_execz .LBB815_25
; %bb.24:
	v_lshlrev_b32_e32 v11, 1, v12
	v_readfirstlane_b32 s8, v2
	v_readfirstlane_b32 s9, v3
	s_nop 4
	global_load_ushort v11, v11, s[8:9]
.LBB815_25:
	s_or_b64 exec, exec, s[4:5]
	v_or_b32_e32 v13, 0x1200, v0
	v_cmp_gt_u32_e32 vcc, s33, v13
                                        ; implicit-def: $vgpr12
	s_and_saveexec_b64 s[4:5], vcc
	s_cbranch_execz .LBB815_27
; %bb.26:
	v_lshlrev_b32_e32 v12, 1, v13
	v_readfirstlane_b32 s8, v2
	v_readfirstlane_b32 s9, v3
	s_nop 4
	global_load_ushort v12, v12, s[8:9]
.LBB815_27:
	s_or_b64 exec, exec, s[4:5]
	v_or_b32_e32 v14, 0x1400, v0
	v_cmp_gt_u32_e32 vcc, s33, v14
                                        ; implicit-def: $vgpr13
	s_and_saveexec_b64 s[4:5], vcc
	s_cbranch_execz .LBB815_29
; %bb.28:
	v_lshlrev_b32_e32 v13, 1, v14
	v_readfirstlane_b32 s8, v2
	v_readfirstlane_b32 s9, v3
	s_nop 4
	global_load_ushort v13, v13, s[8:9]
.LBB815_29:
	s_or_b64 exec, exec, s[4:5]
	v_or_b32_e32 v15, 0x1600, v0
	v_cmp_gt_u32_e32 vcc, s33, v15
                                        ; implicit-def: $vgpr14
	s_and_saveexec_b64 s[4:5], vcc
	s_cbranch_execz .LBB815_31
; %bb.30:
	v_lshlrev_b32_e32 v14, 1, v15
	v_readfirstlane_b32 s8, v2
	v_readfirstlane_b32 s9, v3
	s_nop 4
	global_load_ushort v14, v14, s[8:9]
.LBB815_31:
	s_or_b64 exec, exec, s[4:5]
	v_or_b32_e32 v16, 0x1800, v0
	v_cmp_gt_u32_e32 vcc, s33, v16
                                        ; implicit-def: $vgpr15
	s_and_saveexec_b64 s[4:5], vcc
	s_cbranch_execz .LBB815_33
; %bb.32:
	v_lshlrev_b32_e32 v15, 1, v16
	v_readfirstlane_b32 s8, v2
	v_readfirstlane_b32 s9, v3
	s_nop 4
	global_load_ushort v15, v15, s[8:9]
.LBB815_33:
	s_or_b64 exec, exec, s[4:5]
	v_or_b32_e32 v17, 0x1a00, v0
	v_cmp_gt_u32_e32 vcc, s33, v17
                                        ; implicit-def: $vgpr16
	s_and_saveexec_b64 s[4:5], vcc
	s_cbranch_execz .LBB815_35
; %bb.34:
	v_lshlrev_b32_e32 v16, 1, v17
	v_readfirstlane_b32 s8, v2
	v_readfirstlane_b32 s9, v3
	s_nop 4
	global_load_ushort v16, v16, s[8:9]
.LBB815_35:
	s_or_b64 exec, exec, s[4:5]
	v_lshlrev_b32_e32 v17, 1, v0
	s_waitcnt vmcnt(0) lgkmcnt(0)
	ds_write_b16 v17, v1
	ds_write_b16 v17, v4 offset:1024
	ds_write_b16 v17, v5 offset:2048
	;; [unrolled: 1-line block ×13, first 2 shown]
	v_mad_u32_u24 v1, v0, 26, v17
	s_waitcnt lgkmcnt(0)
	s_barrier
	ds_read2_b32 v[12:13], v1 offset1:1
	ds_read2_b32 v[10:11], v1 offset0:2 offset1:3
	ds_read2_b32 v[8:9], v1 offset0:4 offset1:5
	ds_read_b32 v1, v1 offset:24
	v_mad_u32_u24 v4, v0, 14, 13
	v_cmp_gt_u32_e64 s[4:5], s33, v4
.LBB815_36:
	v_mov_b32_e32 v44, s10
                                        ; implicit-def: $vgpr45
	s_and_saveexec_b64 s[8:9], s[4:5]
; %bb.37:
	v_mov_b32_e32 v45, s10
; %bb.38:
	s_or_b64 exec, exec, s[8:9]
	s_cmp_eq_u64 s[0:1], 0
	s_cselect_b64 s[42:43], -1, 0
	s_cmp_lg_u64 s[0:1], 0
	s_mov_b64 s[4:5], 0
	s_cselect_b64 s[8:9], -1, 0
	s_and_b64 vcc, exec, s[6:7]
	s_waitcnt lgkmcnt(0)
	s_barrier
	s_cbranch_vccz .LBB815_44
; %bb.39:
	s_and_b64 vcc, exec, s[8:9]
	s_cbranch_vccz .LBB815_45
; %bb.40:
	global_load_ushort v4, v[2:3], off offset:-2
	v_lshrrev_b32_e32 v6, 16, v1
	v_lshlrev_b32_e32 v5, 1, v0
	v_cmp_ne_u16_e32 vcc, v1, v6
	v_cmp_ne_u16_sdwa s[4:5], v9, v1 src0_sel:WORD_1 src1_sel:DWORD
	v_cmp_ne_u16_sdwa s[6:7], v9, v9 src0_sel:DWORD src1_sel:WORD_1
	v_cmp_ne_u16_sdwa s[10:11], v8, v9 src0_sel:WORD_1 src1_sel:DWORD
	v_cmp_ne_u16_sdwa s[12:13], v8, v8 src0_sel:DWORD src1_sel:WORD_1
	;; [unrolled: 2-line block ×6, first 2 shown]
	ds_write_b16 v5, v6
	s_waitcnt lgkmcnt(0)
	s_barrier
	s_and_saveexec_b64 s[54:55], s[2:3]
	s_cbranch_execz .LBB815_42
; %bb.41:
	s_waitcnt vmcnt(0)
	v_add_u32_e32 v4, -2, v5
	ds_read_u16 v4, v4
.LBB815_42:
	s_or_b64 exec, exec, s[54:55]
	v_cndmask_b32_e64 v48, 0, 1, vcc
	v_cndmask_b32_e64 v49, 0, 1, s[4:5]
	v_cndmask_b32_e64 v50, 0, 1, s[6:7]
	;; [unrolled: 1-line block ×12, first 2 shown]
	s_waitcnt vmcnt(0) lgkmcnt(0)
	v_cmp_ne_u16_e64 s[6:7], v4, v12
	s_mov_b64 s[4:5], -1
.LBB815_43:
                                        ; implicit-def: $sgpr12
	s_branch .LBB815_57
.LBB815_44:
                                        ; implicit-def: $sgpr6_sgpr7
                                        ; implicit-def: $vgpr48
                                        ; implicit-def: $vgpr49
                                        ; implicit-def: $vgpr50
                                        ; implicit-def: $vgpr51
                                        ; implicit-def: $vgpr52
                                        ; implicit-def: $vgpr53
                                        ; implicit-def: $vgpr54
                                        ; implicit-def: $vgpr55
                                        ; implicit-def: $vgpr56
                                        ; implicit-def: $vgpr57
                                        ; implicit-def: $vgpr58
                                        ; implicit-def: $vgpr59
                                        ; implicit-def: $vgpr60
                                        ; implicit-def: $sgpr12
	s_cbranch_execnz .LBB815_49
	s_branch .LBB815_57
.LBB815_45:
                                        ; implicit-def: $sgpr6_sgpr7
                                        ; implicit-def: $vgpr48
                                        ; implicit-def: $vgpr49
                                        ; implicit-def: $vgpr50
                                        ; implicit-def: $vgpr51
                                        ; implicit-def: $vgpr52
                                        ; implicit-def: $vgpr53
                                        ; implicit-def: $vgpr54
                                        ; implicit-def: $vgpr55
                                        ; implicit-def: $vgpr56
                                        ; implicit-def: $vgpr57
                                        ; implicit-def: $vgpr58
                                        ; implicit-def: $vgpr59
                                        ; implicit-def: $vgpr60
	s_cbranch_execz .LBB815_43
; %bb.46:
	v_cmp_ne_u16_sdwa s[6:7], v9, v1 src0_sel:WORD_1 src1_sel:DWORD
	v_lshrrev_b32_e32 v5, 16, v1
	v_cmp_ne_u16_e32 vcc, v1, v5
	v_cndmask_b32_e64 v49, 0, 1, s[6:7]
	v_cmp_ne_u16_sdwa s[6:7], v9, v9 src0_sel:DWORD src1_sel:WORD_1
	s_mov_b32 s12, 1
	v_lshlrev_b32_e32 v4, 1, v0
	v_cndmask_b32_e64 v50, 0, 1, s[6:7]
	v_cmp_ne_u16_sdwa s[6:7], v8, v9 src0_sel:WORD_1 src1_sel:DWORD
	v_cndmask_b32_e64 v48, 0, 1, vcc
	ds_write_b16 v4, v5
	v_cndmask_b32_e64 v51, 0, 1, s[6:7]
	v_cmp_ne_u16_sdwa s[6:7], v8, v8 src0_sel:DWORD src1_sel:WORD_1
	s_waitcnt lgkmcnt(0)
	s_barrier
	v_cndmask_b32_e64 v52, 0, 1, s[6:7]
	v_cmp_ne_u16_sdwa s[6:7], v11, v8 src0_sel:WORD_1 src1_sel:DWORD
	s_nop 1
	v_cndmask_b32_e64 v53, 0, 1, s[6:7]
	v_cmp_ne_u16_sdwa s[6:7], v11, v11 src0_sel:DWORD src1_sel:WORD_1
	s_nop 1
	v_cndmask_b32_e64 v54, 0, 1, s[6:7]
	v_cmp_ne_u16_sdwa s[6:7], v10, v11 src0_sel:WORD_1 src1_sel:DWORD
	s_nop 1
	v_cndmask_b32_e64 v55, 0, 1, s[6:7]
	v_cmp_ne_u16_sdwa s[6:7], v10, v10 src0_sel:DWORD src1_sel:WORD_1
	s_nop 1
	v_cndmask_b32_e64 v56, 0, 1, s[6:7]
	v_cmp_ne_u16_sdwa s[6:7], v13, v10 src0_sel:WORD_1 src1_sel:DWORD
	s_nop 1
	v_cndmask_b32_e64 v57, 0, 1, s[6:7]
	v_cmp_ne_u16_sdwa s[6:7], v13, v13 src0_sel:DWORD src1_sel:WORD_1
	s_nop 1
	v_cndmask_b32_e64 v58, 0, 1, s[6:7]
	v_cmp_ne_u16_sdwa s[6:7], v12, v13 src0_sel:WORD_1 src1_sel:DWORD
	s_nop 1
	v_cndmask_b32_e64 v59, 0, 1, s[6:7]
	v_cmp_ne_u16_sdwa s[6:7], v12, v12 src0_sel:DWORD src1_sel:WORD_1
	s_nop 1
	v_cndmask_b32_e64 v60, 0, 1, s[6:7]
                                        ; implicit-def: $sgpr6_sgpr7
	s_and_saveexec_b64 s[10:11], s[2:3]
	s_xor_b64 s[10:11], exec, s[10:11]
	s_cbranch_execz .LBB815_48
; %bb.47:
	v_add_u32_e32 v4, -2, v4
	ds_read_u16 v4, v4
	s_or_b64 s[4:5], s[4:5], exec
	s_waitcnt lgkmcnt(0)
	v_cmp_ne_u16_e32 vcc, v4, v12
	s_and_b64 s[6:7], vcc, exec
.LBB815_48:
	s_or_b64 exec, exec, s[10:11]
	s_branch .LBB815_57
.LBB815_49:
	s_mul_hi_u32 s6, s0, 0xffffe400
	s_mulk_i32 s1, 0xe400
	s_sub_i32 s6, s6, s0
	s_add_i32 s6, s6, s1
	s_mulk_i32 s0, 0xe400
	s_add_u32 s10, s0, s48
	s_addc_u32 s11, s6, s49
	s_and_b64 vcc, exec, s[8:9]
	v_lshrrev_b32_e32 v36, 16, v1
	v_mul_u32_u24_e32 v4, 14, v0
	v_mad_u32_u24 v6, v0, 14, 13
	v_mad_u32_u24 v34, v0, 14, 12
	v_cmp_ne_u16_sdwa s[52:53], v9, v1 src0_sel:WORD_1 src1_sel:DWORD
	v_mad_u32_u24 v32, v0, 14, 11
	v_cmp_ne_u16_sdwa s[6:7], v9, v9 src0_sel:DWORD src1_sel:WORD_1
	v_mad_u32_u24 v30, v0, 14, 10
	v_cmp_ne_u16_sdwa s[12:13], v8, v9 src0_sel:WORD_1 src1_sel:DWORD
	v_mad_u32_u24 v28, v0, 14, 9
	v_cmp_ne_u16_sdwa s[16:17], v8, v8 src0_sel:DWORD src1_sel:WORD_1
	;; [unrolled: 4-line block ×5, first 2 shown]
	v_mad_u32_u24 v14, v0, 14, 2
	v_cmp_ne_u16_sdwa s[14:15], v12, v13 src0_sel:WORD_1 src1_sel:DWORD
	v_cmp_ne_u16_sdwa s[8:9], v12, v12 src0_sel:DWORD src1_sel:WORD_1
	s_cbranch_vccz .LBB815_54
; %bb.50:
	global_load_ushort v2, v[2:3], off offset:-2
	v_mov_b32_e32 v7, 0
	v_cmp_gt_u64_e32 vcc, s[10:11], v[6:7]
	v_cmp_ne_u16_e64 s[0:1], v1, v36
	v_mov_b32_e32 v35, v7
	s_and_b64 s[0:1], vcc, s[0:1]
	v_cmp_gt_u64_e32 vcc, s[10:11], v[34:35]
	v_mov_b32_e32 v33, v7
	s_and_b64 s[4:5], vcc, s[52:53]
	v_cmp_gt_u64_e32 vcc, s[10:11], v[32:33]
	;; [unrolled: 3-line block ×11, first 2 shown]
	v_or_b32_e32 v38, 1, v4
	v_mov_b32_e32 v39, v7
	s_and_b64 s[14:15], vcc, s[14:15]
	v_cmp_gt_u64_e32 vcc, s[10:11], v[38:39]
	v_lshlrev_b32_e32 v3, 1, v0
	s_and_b64 s[8:9], vcc, s[8:9]
	ds_write_b16 v3, v36
	s_waitcnt lgkmcnt(0)
	s_barrier
	s_and_saveexec_b64 s[52:53], s[2:3]
	s_cbranch_execz .LBB815_52
; %bb.51:
	s_waitcnt vmcnt(0)
	v_add_u32_e32 v2, -2, v3
	ds_read_u16 v2, v2
.LBB815_52:
	s_or_b64 exec, exec, s[52:53]
	v_mov_b32_e32 v5, v7
	v_cndmask_b32_e64 v48, 0, 1, s[0:1]
	v_cmp_gt_u64_e32 vcc, s[10:11], v[4:5]
	s_waitcnt vmcnt(0) lgkmcnt(0)
	v_cmp_ne_u16_e64 s[0:1], v2, v12
	v_cndmask_b32_e64 v49, 0, 1, s[4:5]
	v_cndmask_b32_e64 v50, 0, 1, s[6:7]
	;; [unrolled: 1-line block ×12, first 2 shown]
	s_and_b64 s[6:7], vcc, s[0:1]
	s_mov_b64 s[4:5], -1
.LBB815_53:
                                        ; implicit-def: $sgpr12
	v_mov_b32_e32 v61, s12
	s_and_saveexec_b64 s[0:1], s[4:5]
	s_cbranch_execnz .LBB815_58
	s_branch .LBB815_59
.LBB815_54:
                                        ; implicit-def: $sgpr6_sgpr7
                                        ; implicit-def: $vgpr48
                                        ; implicit-def: $vgpr49
                                        ; implicit-def: $vgpr50
                                        ; implicit-def: $vgpr51
                                        ; implicit-def: $vgpr52
                                        ; implicit-def: $vgpr53
                                        ; implicit-def: $vgpr54
                                        ; implicit-def: $vgpr55
                                        ; implicit-def: $vgpr56
                                        ; implicit-def: $vgpr57
                                        ; implicit-def: $vgpr58
                                        ; implicit-def: $vgpr59
                                        ; implicit-def: $vgpr60
	s_cbranch_execz .LBB815_53
; %bb.55:
	v_mov_b32_e32 v7, 0
	v_cmp_gt_u64_e32 vcc, s[10:11], v[6:7]
	v_cmp_ne_u16_e64 s[0:1], v1, v36
	s_and_b64 s[0:1], vcc, s[0:1]
	v_mov_b32_e32 v35, v7
	v_cndmask_b32_e64 v48, 0, 1, s[0:1]
	v_cmp_gt_u64_e32 vcc, s[10:11], v[34:35]
	v_cmp_ne_u16_sdwa s[0:1], v9, v1 src0_sel:WORD_1 src1_sel:DWORD
	s_and_b64 s[0:1], vcc, s[0:1]
	v_mov_b32_e32 v33, v7
	v_cndmask_b32_e64 v49, 0, 1, s[0:1]
	v_cmp_gt_u64_e32 vcc, s[10:11], v[32:33]
	v_cmp_ne_u16_sdwa s[0:1], v9, v9 src0_sel:DWORD src1_sel:WORD_1
	s_and_b64 s[0:1], vcc, s[0:1]
	v_mov_b32_e32 v31, v7
	v_cndmask_b32_e64 v50, 0, 1, s[0:1]
	v_cmp_gt_u64_e32 vcc, s[10:11], v[30:31]
	v_cmp_ne_u16_sdwa s[0:1], v8, v9 src0_sel:WORD_1 src1_sel:DWORD
	s_and_b64 s[0:1], vcc, s[0:1]
	v_mov_b32_e32 v29, v7
	v_cndmask_b32_e64 v51, 0, 1, s[0:1]
	v_cmp_gt_u64_e32 vcc, s[10:11], v[28:29]
	v_cmp_ne_u16_sdwa s[0:1], v8, v8 src0_sel:DWORD src1_sel:WORD_1
	;; [unrolled: 10-line block ×5, first 2 shown]
	s_and_b64 s[0:1], vcc, s[0:1]
	v_mov_b32_e32 v15, v7
	v_cndmask_b32_e64 v58, 0, 1, s[0:1]
	v_cmp_gt_u64_e32 vcc, s[10:11], v[14:15]
	v_cmp_ne_u16_sdwa s[0:1], v12, v13 src0_sel:WORD_1 src1_sel:DWORD
	s_and_b64 s[0:1], vcc, s[0:1]
	v_or_b32_e32 v6, 1, v4
	v_cndmask_b32_e64 v59, 0, 1, s[0:1]
	v_cmp_gt_u64_e32 vcc, s[10:11], v[6:7]
	v_cmp_ne_u16_sdwa s[0:1], v12, v12 src0_sel:DWORD src1_sel:WORD_1
	s_and_b64 s[0:1], vcc, s[0:1]
	s_mov_b32 s12, 1
	v_lshlrev_b32_e32 v2, 1, v0
	v_cndmask_b32_e64 v60, 0, 1, s[0:1]
	ds_write_b16 v2, v36
	s_waitcnt lgkmcnt(0)
	s_barrier
	s_waitcnt lgkmcnt(0)
                                        ; implicit-def: $sgpr6_sgpr7
	s_and_saveexec_b64 s[8:9], s[2:3]
	s_cbranch_execz .LBB815_148
; %bb.56:
	v_add_u32_e32 v2, -2, v2
	ds_read_u16 v2, v2
	v_mov_b32_e32 v5, v7
	v_cmp_gt_u64_e32 vcc, s[10:11], v[4:5]
	s_or_b64 s[4:5], s[4:5], exec
	s_waitcnt lgkmcnt(0)
	v_cmp_ne_u16_e64 s[0:1], v2, v12
	s_and_b64 s[0:1], vcc, s[0:1]
	s_and_b64 s[6:7], s[0:1], exec
	s_or_b64 exec, exec, s[8:9]
.LBB815_57:
	v_mov_b32_e32 v61, s12
	s_and_saveexec_b64 s[0:1], s[4:5]
.LBB815_58:
	v_cndmask_b32_e64 v61, 0, 1, s[6:7]
.LBB815_59:
	s_or_b64 exec, exec, s[0:1]
	s_cmp_eq_u64 s[38:39], 0
	v_add_u32_e32 v2, v60, v61
	s_cselect_b64 s[38:39], -1, 0
	s_cmp_lg_u32 s56, 0
	v_cmp_eq_u32_e64 s[24:25], 0, v60
	v_cmp_eq_u32_e64 s[22:23], 0, v59
	v_add3_u32 v63, v2, v59, v58
	v_cmp_eq_u32_e64 s[20:21], 0, v58
	v_cmp_eq_u32_e64 s[18:19], 0, v57
	;; [unrolled: 1-line block ×10, first 2 shown]
	v_cmp_eq_u32_e32 vcc, 0, v48
	v_mbcnt_lo_u32_b32 v62, -1, 0
	v_lshrrev_b32_e32 v46, 6, v0
	v_or_b32_e32 v47, 63, v0
	s_cbranch_scc0 .LBB815_86
; %bb.60:
	v_cndmask_b32_e64 v2, 0, v44, s[24:25]
	v_add_u32_e32 v2, v2, v44
	v_cndmask_b32_e64 v2, 0, v2, s[22:23]
	v_add_u32_e32 v2, v2, v44
	;; [unrolled: 2-line block ×10, first 2 shown]
	v_cndmask_b32_e64 v2, 0, v2, s[4:5]
	v_add3_u32 v3, v63, v57, v56
	v_add_u32_e32 v2, v2, v44
	v_add3_u32 v3, v3, v55, v54
	v_cndmask_b32_e64 v2, 0, v2, s[2:3]
	v_add3_u32 v3, v3, v53, v52
	v_add_u32_e32 v2, v2, v44
	v_add3_u32 v3, v3, v51, v50
	v_cndmask_b32_e32 v2, 0, v2, vcc
	v_add3_u32 v3, v3, v49, v48
	v_add_u32_e32 v2, v2, v45
	v_mbcnt_hi_u32_b32 v17, -1, v62
	v_and_b32_e32 v4, 15, v17
	v_mov_b32_dpp v6, v2 row_shr:1 row_mask:0xf bank_mask:0xf
	v_cmp_eq_u32_e32 vcc, 0, v3
	v_mov_b32_dpp v5, v3 row_shr:1 row_mask:0xf bank_mask:0xf
	v_cmp_lt_u32_e64 s[0:1], 1, v4
	v_cndmask_b32_e32 v6, 0, v6, vcc
	v_cmp_eq_u32_e32 vcc, 0, v4
	s_nop 1
	v_cndmask_b32_e64 v5, v5, 0, vcc
	v_add_u32_e32 v3, v5, v3
	v_cndmask_b32_e64 v5, v6, 0, vcc
	v_add_u32_e32 v2, v5, v2
	v_cmp_eq_u32_e32 vcc, 0, v3
	v_mov_b32_dpp v5, v3 row_shr:2 row_mask:0xf bank_mask:0xf
	v_mov_b32_dpp v6, v2 row_shr:2 row_mask:0xf bank_mask:0xf
	v_cndmask_b32_e64 v5, 0, v5, s[0:1]
	s_and_b64 vcc, s[0:1], vcc
	v_cndmask_b32_e32 v6, 0, v6, vcc
	v_add_u32_e32 v3, v3, v5
	v_add_u32_e32 v2, v6, v2
	v_cmp_eq_u32_e32 vcc, 0, v3
	v_mov_b32_dpp v5, v3 row_shr:4 row_mask:0xf bank_mask:0xf
	v_cmp_lt_u32_e64 s[0:1], 3, v4
	v_mov_b32_dpp v6, v2 row_shr:4 row_mask:0xf bank_mask:0xf
	s_and_b64 vcc, s[0:1], vcc
	v_cndmask_b32_e64 v5, 0, v5, s[0:1]
	v_cndmask_b32_e32 v6, 0, v6, vcc
	v_add_u32_e32 v3, v5, v3
	v_add_u32_e32 v2, v2, v6
	v_cmp_eq_u32_e32 vcc, 0, v3
	v_cmp_lt_u32_e64 s[0:1], 7, v4
	v_mov_b32_dpp v5, v3 row_shr:8 row_mask:0xf bank_mask:0xf
	v_mov_b32_dpp v6, v2 row_shr:8 row_mask:0xf bank_mask:0xf
	s_and_b64 vcc, s[0:1], vcc
	v_cndmask_b32_e64 v4, 0, v5, s[0:1]
	v_cndmask_b32_e32 v5, 0, v6, vcc
	v_add_u32_e32 v2, v5, v2
	v_add_u32_e32 v3, v4, v3
	v_bfe_i32 v6, v17, 4, 1
	v_mov_b32_dpp v5, v2 row_bcast:15 row_mask:0xf bank_mask:0xf
	v_mov_b32_dpp v4, v3 row_bcast:15 row_mask:0xf bank_mask:0xf
	v_cmp_eq_u32_e32 vcc, 0, v3
	v_and_b32_e32 v4, v6, v4
	v_add_u32_e32 v3, v4, v3
	v_cndmask_b32_e32 v5, 0, v5, vcc
	v_and_b32_e32 v4, v6, v5
	v_add_u32_e32 v4, v4, v2
	v_mov_b32_dpp v2, v3 row_bcast:31 row_mask:0xf bank_mask:0xf
	v_cmp_eq_u32_e32 vcc, 0, v3
	v_cmp_lt_u32_e64 s[0:1], 31, v17
	v_mov_b32_dpp v5, v4 row_bcast:31 row_mask:0xf bank_mask:0xf
	s_and_b64 vcc, s[0:1], vcc
	v_cndmask_b32_e64 v2, 0, v2, s[0:1]
	v_add_u32_e32 v2, v2, v3
	v_cndmask_b32_e32 v3, 0, v5, vcc
	v_add_u32_e32 v3, v3, v4
	v_cmp_eq_u32_e32 vcc, v47, v0
	v_lshlrev_b32_e32 v4, 3, v46
	s_and_saveexec_b64 s[0:1], vcc
	s_cbranch_execz .LBB815_62
; %bb.61:
	ds_write_b64 v4, v[2:3] offset:2064
.LBB815_62:
	s_or_b64 exec, exec, s[0:1]
	v_cmp_gt_u32_e32 vcc, 8, v0
	s_waitcnt lgkmcnt(0)
	s_barrier
	s_and_saveexec_b64 s[26:27], vcc
	s_cbranch_execz .LBB815_64
; %bb.63:
	v_lshlrev_b32_e32 v5, 3, v0
	ds_read_b64 v[6:7], v5 offset:2064
	v_and_b32_e32 v14, 7, v17
	v_cmp_lt_u32_e64 s[0:1], 1, v14
	s_waitcnt lgkmcnt(0)
	v_mov_b32_dpp v16, v7 row_shr:1 row_mask:0xf bank_mask:0xf
	v_cmp_eq_u32_e32 vcc, 0, v6
	v_mov_b32_dpp v15, v6 row_shr:1 row_mask:0xf bank_mask:0xf
	s_nop 0
	v_cndmask_b32_e32 v16, 0, v16, vcc
	v_cmp_eq_u32_e32 vcc, 0, v14
	s_nop 1
	v_cndmask_b32_e64 v15, v15, 0, vcc
	v_add_u32_e32 v6, v15, v6
	v_cndmask_b32_e64 v15, v16, 0, vcc
	v_add_u32_e32 v7, v15, v7
	v_cmp_eq_u32_e32 vcc, 0, v6
	v_mov_b32_dpp v15, v6 row_shr:2 row_mask:0xf bank_mask:0xf
	v_mov_b32_dpp v16, v7 row_shr:2 row_mask:0xf bank_mask:0xf
	v_cndmask_b32_e64 v15, 0, v15, s[0:1]
	s_and_b64 vcc, s[0:1], vcc
	v_cndmask_b32_e32 v16, 0, v16, vcc
	v_add_u32_e32 v6, v15, v6
	v_add_u32_e32 v7, v16, v7
	v_cmp_eq_u32_e32 vcc, 0, v6
	v_mov_b32_dpp v15, v6 row_shr:4 row_mask:0xf bank_mask:0xf
	v_cmp_lt_u32_e64 s[0:1], 3, v14
	v_mov_b32_dpp v16, v7 row_shr:4 row_mask:0xf bank_mask:0xf
	s_and_b64 vcc, s[0:1], vcc
	v_cndmask_b32_e64 v14, 0, v15, s[0:1]
	v_add_u32_e32 v6, v14, v6
	v_cndmask_b32_e32 v14, 0, v16, vcc
	v_add_u32_e32 v7, v14, v7
	ds_write_b64 v5, v[6:7] offset:2064
.LBB815_64:
	s_or_b64 exec, exec, s[26:27]
	v_cmp_gt_u32_e32 vcc, 64, v0
	v_cmp_lt_u32_e64 s[0:1], 63, v0
	v_mov_b32_e32 v14, 0
	v_mov_b32_e32 v15, 0
	s_waitcnt lgkmcnt(0)
	s_barrier
	s_and_saveexec_b64 s[26:27], s[0:1]
	s_cbranch_execz .LBB815_66
; %bb.65:
	ds_read_b64 v[14:15], v4 offset:2056
	v_cmp_eq_u32_e64 s[0:1], 0, v2
	s_waitcnt lgkmcnt(0)
	v_add_u32_e32 v4, v14, v2
	v_cndmask_b32_e64 v2, 0, v15, s[0:1]
	v_add_u32_e32 v3, v2, v3
	v_mov_b32_e32 v2, v4
.LBB815_66:
	s_or_b64 exec, exec, s[26:27]
	v_add_u32_e32 v4, -1, v17
	v_and_b32_e32 v5, 64, v17
	v_cmp_lt_i32_e64 s[0:1], v4, v5
	v_cmp_eq_u32_e64 s[26:27], 0, v17
	s_nop 0
	v_cndmask_b32_e64 v4, v4, v17, s[0:1]
	v_lshlrev_b32_e32 v4, 2, v4
	ds_bpermute_b32 v22, v4, v2
	ds_bpermute_b32 v23, v4, v3
	s_and_saveexec_b64 s[48:49], vcc
	s_cbranch_execz .LBB815_85
; %bb.67:
	v_mov_b32_e32 v7, 0
	ds_read_b64 v[2:3], v7 offset:2120
	s_waitcnt lgkmcnt(0)
	v_readfirstlane_b32 s54, v2
	v_readfirstlane_b32 s55, v3
	s_and_saveexec_b64 s[0:1], s[26:27]
	s_cbranch_execz .LBB815_69
; %bb.68:
	s_add_i32 s52, s56, 64
	s_mov_b32 s53, 0
	s_lshl_b64 s[58:59], s[52:53], 4
	s_add_u32 s58, s36, s58
	s_addc_u32 s59, s37, s59
	s_and_b32 s61, s55, 0xff000000
	s_mov_b32 s60, s53
	s_and_b32 s63, s55, 0xff0000
	s_mov_b32 s62, s53
	s_or_b64 s[60:61], s[62:63], s[60:61]
	s_and_b32 s63, s55, 0xff00
	s_or_b64 s[60:61], s[60:61], s[62:63]
	s_and_b32 s63, s55, 0xff
	s_or_b64 s[52:53], s[60:61], s[62:63]
	v_mov_b32_e32 v4, s54
	v_mov_b32_e32 v5, s53
	;; [unrolled: 1-line block ×3, first 2 shown]
	v_mov_b64_e32 v[2:3], s[58:59]
	;;#ASMSTART
	global_store_dwordx4 v[2:3], v[4:7] off sc1	
s_waitcnt vmcnt(0)
	;;#ASMEND
.LBB815_69:
	s_or_b64 exec, exec, s[0:1]
	v_xad_u32 v16, v17, -1, s56
	v_add_u32_e32 v6, 64, v16
	v_lshl_add_u64 v[18:19], v[6:7], 4, s[36:37]
	;;#ASMSTART
	global_load_dwordx4 v[2:5], v[18:19] off sc1	
s_waitcnt vmcnt(0)
	;;#ASMEND
	s_nop 0
	v_and_b32_e32 v5, 0xff, v3
	v_and_b32_e32 v6, 0xff00, v3
	v_or3_b32 v2, v2, 0, 0
	v_and_b32_e32 v20, 0xff000000, v3
	v_or3_b32 v5, 0, v5, v6
	;; [unrolled: 2-line block ×3, first 2 shown]
	v_or3_b32 v2, v2, 0, 0
	v_cmp_eq_u16_sdwa s[52:53], v4, v7 src0_sel:BYTE_0 src1_sel:DWORD
	s_and_saveexec_b64 s[0:1], s[52:53]
	s_cbranch_execz .LBB815_73
; %bb.70:
	s_mov_b64 s[52:53], 0
	v_mov_b32_e32 v6, 0
.LBB815_71:                             ; =>This Inner Loop Header: Depth=1
	;;#ASMSTART
	global_load_dwordx4 v[2:5], v[18:19] off sc1	
s_waitcnt vmcnt(0)
	;;#ASMEND
	s_nop 0
	v_cmp_ne_u16_sdwa s[58:59], v4, v6 src0_sel:BYTE_0 src1_sel:DWORD
	s_or_b64 s[52:53], s[58:59], s[52:53]
	s_andn2_b64 exec, exec, s[52:53]
	s_cbranch_execnz .LBB815_71
; %bb.72:
	s_or_b64 exec, exec, s[52:53]
.LBB815_73:
	s_or_b64 exec, exec, s[0:1]
	v_mov_b32_e32 v24, 2
	v_cmp_eq_u16_sdwa s[0:1], v4, v24 src0_sel:BYTE_0 src1_sel:DWORD
	v_lshlrev_b64 v[18:19], v17, -1
	v_and_b32_e32 v25, 63, v17
	v_and_b32_e32 v5, s1, v19
	v_or_b32_e32 v5, 0x80000000, v5
	v_cmp_ne_u32_e32 vcc, 63, v25
	v_and_b32_e32 v6, s0, v18
	v_ffbl_b32_e32 v5, v5
	v_addc_co_u32_e32 v7, vcc, 0, v17, vcc
	v_add_u32_e32 v5, 32, v5
	v_ffbl_b32_e32 v6, v6
	v_lshlrev_b32_e32 v26, 2, v7
	v_min_u32_e32 v5, v6, v5
	ds_bpermute_b32 v6, v26, v3
	v_cmp_eq_u32_e32 vcc, 0, v2
	v_cmp_lt_u32_e64 s[0:1], v25, v5
	ds_bpermute_b32 v7, v26, v2
	s_and_b64 vcc, s[0:1], vcc
	s_waitcnt lgkmcnt(1)
	v_cndmask_b32_e32 v6, 0, v6, vcc
	v_cmp_gt_u32_e32 vcc, 62, v25
	v_add_u32_e32 v3, v6, v3
	s_waitcnt lgkmcnt(0)
	v_cndmask_b32_e64 v7, 0, v7, s[0:1]
	v_cndmask_b32_e64 v6, 0, 1, vcc
	v_lshlrev_b32_e32 v6, 1, v6
	v_add_lshl_u32 v27, v6, v17, 2
	ds_bpermute_b32 v6, v27, v3
	v_add_u32_e32 v2, v7, v2
	ds_bpermute_b32 v7, v27, v2
	v_add_u32_e32 v28, 2, v25
	v_cmp_eq_u32_e32 vcc, 0, v2
	v_add_u32_e32 v30, 4, v25
	v_add_u32_e32 v32, 8, v25
	s_waitcnt lgkmcnt(1)
	v_cndmask_b32_e32 v6, 0, v6, vcc
	v_cmp_gt_u32_e32 vcc, v28, v5
	v_add_u32_e32 v34, 16, v25
	v_add_u32_e32 v36, 32, v25
	v_cndmask_b32_e64 v6, v6, 0, vcc
	v_add_u32_e32 v3, v6, v3
	s_waitcnt lgkmcnt(0)
	v_cndmask_b32_e64 v6, v7, 0, vcc
	v_cmp_gt_u32_e32 vcc, 60, v25
	v_add_u32_e32 v2, v2, v6
	s_nop 0
	v_cndmask_b32_e64 v7, 0, 1, vcc
	v_lshlrev_b32_e32 v7, 2, v7
	v_add_lshl_u32 v29, v7, v17, 2
	ds_bpermute_b32 v7, v29, v3
	ds_bpermute_b32 v6, v29, v2
	v_cmp_eq_u32_e32 vcc, 0, v2
	s_waitcnt lgkmcnt(1)
	s_nop 0
	v_cndmask_b32_e32 v7, 0, v7, vcc
	v_cmp_gt_u32_e32 vcc, v30, v5
	s_nop 1
	v_cndmask_b32_e64 v7, v7, 0, vcc
	s_waitcnt lgkmcnt(0)
	v_cndmask_b32_e64 v6, v6, 0, vcc
	v_cmp_gt_u32_e32 vcc, 56, v25
	v_add_u32_e32 v3, v3, v7
	v_add_u32_e32 v2, v2, v6
	v_cndmask_b32_e64 v7, 0, 1, vcc
	v_lshlrev_b32_e32 v7, 3, v7
	v_add_lshl_u32 v31, v7, v17, 2
	ds_bpermute_b32 v7, v31, v3
	ds_bpermute_b32 v6, v31, v2
	v_cmp_eq_u32_e32 vcc, 0, v2
	s_waitcnt lgkmcnt(1)
	s_nop 0
	v_cndmask_b32_e32 v7, 0, v7, vcc
	v_cmp_gt_u32_e32 vcc, v32, v5
	s_nop 1
	v_cndmask_b32_e64 v7, v7, 0, vcc
	s_waitcnt lgkmcnt(0)
	v_cndmask_b32_e64 v6, v6, 0, vcc
	v_cmp_gt_u32_e32 vcc, 48, v25
	v_add_u32_e32 v3, v3, v7
	v_add_u32_e32 v2, v2, v6
	;; [unrolled: 17-line block ×3, first 2 shown]
	v_cndmask_b32_e64 v7, 0, 1, vcc
	v_lshlrev_b32_e32 v7, 5, v7
	v_add_lshl_u32 v35, v7, v17, 2
	ds_bpermute_b32 v7, v35, v3
	ds_bpermute_b32 v6, v35, v2
	v_cmp_eq_u32_e32 vcc, 0, v2
	v_mov_b32_e32 v17, 0
	s_waitcnt lgkmcnt(1)
	v_cndmask_b32_e32 v7, 0, v7, vcc
	v_cmp_gt_u32_e32 vcc, v36, v5
	s_nop 1
	v_cndmask_b32_e64 v5, v7, 0, vcc
	v_add_u32_e32 v3, v5, v3
	s_waitcnt lgkmcnt(0)
	v_cndmask_b32_e64 v5, v6, 0, vcc
	v_add_u32_e32 v2, v5, v2
	s_branch .LBB815_75
.LBB815_74:                             ;   in Loop: Header=BB815_75 Depth=1
	s_or_b64 exec, exec, s[0:1]
	v_cmp_eq_u16_sdwa s[0:1], v4, v24 src0_sel:BYTE_0 src1_sel:DWORD
	v_cmp_eq_u32_e32 vcc, 0, v2
	ds_bpermute_b32 v21, v26, v2
	v_and_b32_e32 v5, s1, v19
	v_or_b32_e32 v5, 0x80000000, v5
	v_and_b32_e32 v20, s0, v18
	v_ffbl_b32_e32 v5, v5
	v_add_u32_e32 v5, 32, v5
	v_ffbl_b32_e32 v20, v20
	v_min_u32_e32 v5, v20, v5
	ds_bpermute_b32 v20, v26, v3
	v_cmp_lt_u32_e64 s[0:1], v25, v5
	s_and_b64 vcc, s[0:1], vcc
	v_subrev_u32_e32 v16, 64, v16
	s_waitcnt lgkmcnt(1)
	v_cndmask_b32_e64 v21, 0, v21, s[0:1]
	s_waitcnt lgkmcnt(0)
	v_cndmask_b32_e32 v20, 0, v20, vcc
	v_add_u32_e32 v3, v20, v3
	ds_bpermute_b32 v20, v27, v3
	v_add_u32_e32 v2, v21, v2
	v_cmp_eq_u32_e32 vcc, 0, v2
	ds_bpermute_b32 v21, v27, v2
	s_waitcnt lgkmcnt(1)
	v_cndmask_b32_e32 v20, 0, v20, vcc
	v_cmp_gt_u32_e32 vcc, v28, v5
	s_nop 1
	v_cndmask_b32_e64 v20, v20, 0, vcc
	v_add_u32_e32 v3, v20, v3
	ds_bpermute_b32 v20, v29, v3
	s_waitcnt lgkmcnt(1)
	v_cndmask_b32_e64 v21, v21, 0, vcc
	v_add_u32_e32 v2, v2, v21
	v_cmp_eq_u32_e32 vcc, 0, v2
	ds_bpermute_b32 v21, v29, v2
	s_waitcnt lgkmcnt(1)
	v_cndmask_b32_e32 v20, 0, v20, vcc
	v_cmp_gt_u32_e32 vcc, v30, v5
	s_nop 1
	v_cndmask_b32_e64 v20, v20, 0, vcc
	v_add_u32_e32 v3, v3, v20
	ds_bpermute_b32 v20, v31, v3
	s_waitcnt lgkmcnt(1)
	v_cndmask_b32_e64 v21, v21, 0, vcc
	v_add_u32_e32 v2, v2, v21
	ds_bpermute_b32 v21, v31, v2
	v_cmp_eq_u32_e32 vcc, 0, v2
	s_waitcnt lgkmcnt(1)
	s_nop 0
	v_cndmask_b32_e32 v20, 0, v20, vcc
	v_cmp_gt_u32_e32 vcc, v32, v5
	s_nop 1
	v_cndmask_b32_e64 v20, v20, 0, vcc
	v_add_u32_e32 v3, v3, v20
	ds_bpermute_b32 v20, v33, v3
	s_waitcnt lgkmcnt(1)
	v_cndmask_b32_e64 v21, v21, 0, vcc
	v_add_u32_e32 v2, v2, v21
	ds_bpermute_b32 v21, v33, v2
	v_cmp_eq_u32_e32 vcc, 0, v2
	s_waitcnt lgkmcnt(1)
	s_nop 0
	;; [unrolled: 13-line block ×3, first 2 shown]
	v_cndmask_b32_e32 v20, 0, v20, vcc
	v_cmp_gt_u32_e32 vcc, v36, v5
	s_nop 1
	v_cndmask_b32_e64 v5, v20, 0, vcc
	v_add_u32_e32 v3, v5, v3
	s_waitcnt lgkmcnt(0)
	v_cndmask_b32_e64 v5, v21, 0, vcc
	v_cmp_eq_u32_e32 vcc, 0, v6
	v_add3_u32 v2, v2, v6, v5
	s_nop 0
	v_cndmask_b32_e32 v3, 0, v3, vcc
	v_add_u32_e32 v3, v3, v7
.LBB815_75:                             ; =>This Loop Header: Depth=1
                                        ;     Child Loop BB815_78 Depth 2
	v_cmp_ne_u16_sdwa s[0:1], v4, v24 src0_sel:BYTE_0 src1_sel:DWORD
	v_mov_b32_e32 v7, v3
	v_mov_b32_e32 v6, v2
	v_cndmask_b32_e64 v3, 0, 1, s[0:1]
	;;#ASMSTART
	;;#ASMEND
	s_nop 0
	v_cmp_ne_u32_e32 vcc, 0, v3
	s_cmp_lg_u64 vcc, exec
	s_cbranch_scc1 .LBB815_80
; %bb.76:                               ;   in Loop: Header=BB815_75 Depth=1
	v_lshl_add_u64 v[20:21], v[16:17], 4, s[36:37]
	;;#ASMSTART
	global_load_dwordx4 v[2:5], v[20:21] off sc1	
s_waitcnt vmcnt(0)
	;;#ASMEND
	s_nop 0
	v_and_b32_e32 v5, 0xff, v3
	v_and_b32_e32 v37, 0xff00, v3
	v_or3_b32 v2, v2, 0, 0
	v_and_b32_e32 v38, 0xff000000, v3
	v_or3_b32 v5, 0, v5, v37
	;; [unrolled: 2-line block ×3, first 2 shown]
	v_or3_b32 v2, v2, 0, 0
	v_cmp_eq_u16_sdwa s[52:53], v4, v17 src0_sel:BYTE_0 src1_sel:DWORD
	s_and_saveexec_b64 s[0:1], s[52:53]
	s_cbranch_execz .LBB815_74
; %bb.77:                               ;   in Loop: Header=BB815_75 Depth=1
	s_mov_b64 s[52:53], 0
.LBB815_78:                             ;   Parent Loop BB815_75 Depth=1
                                        ; =>  This Inner Loop Header: Depth=2
	;;#ASMSTART
	global_load_dwordx4 v[2:5], v[20:21] off sc1	
s_waitcnt vmcnt(0)
	;;#ASMEND
	s_nop 0
	v_cmp_ne_u16_sdwa s[58:59], v4, v17 src0_sel:BYTE_0 src1_sel:DWORD
	s_or_b64 s[52:53], s[58:59], s[52:53]
	s_andn2_b64 exec, exec, s[52:53]
	s_cbranch_execnz .LBB815_78
; %bb.79:                               ;   in Loop: Header=BB815_75 Depth=1
	s_or_b64 exec, exec, s[52:53]
	s_branch .LBB815_74
.LBB815_80:                             ;   in Loop: Header=BB815_75 Depth=1
                                        ; implicit-def: $vgpr3
                                        ; implicit-def: $vgpr2
                                        ; implicit-def: $vgpr4
	s_cbranch_execz .LBB815_75
; %bb.81:
	s_and_saveexec_b64 s[0:1], s[26:27]
	s_cbranch_execz .LBB815_83
; %bb.82:
	s_cmp_eq_u32 s54, 0
	s_cselect_b64 vcc, -1, 0
	s_mov_b32 s53, 0
	v_cndmask_b32_e32 v2, 0, v7, vcc
	s_add_i32 s52, s56, 64
	v_add_u32_e32 v2, s55, v2
	s_lshl_b64 s[52:53], s[52:53], 4
	s_add_u32 s52, s36, s52
	v_and_b32_e32 v3, 0xff000000, v2
	v_and_b32_e32 v4, 0xff0000, v2
	s_addc_u32 s53, s37, s53
	v_or_b32_e32 v3, v4, v3
	v_and_b32_e32 v4, 0xff00, v2
	v_and_b32_e32 v2, 0xff, v2
	v_add_u32_e32 v16, s54, v6
	v_mov_b32_e32 v19, 0
	v_or3_b32 v17, v3, v4, v2
	v_mov_b32_e32 v18, 2
	v_mov_b64_e32 v[2:3], s[52:53]
	;;#ASMSTART
	global_store_dwordx4 v[2:3], v[16:19] off sc1	
s_waitcnt vmcnt(0)
	;;#ASMEND
	v_mov_b32_e32 v4, s54
	v_mov_b32_e32 v5, s55
	ds_write_b128 v19, v[4:7] offset:2048
.LBB815_83:
	s_or_b64 exec, exec, s[0:1]
	s_and_b64 exec, exec, s[30:31]
	s_cbranch_execz .LBB815_85
; %bb.84:
	v_mov_b32_e32 v2, 0
	ds_write_b64 v2, v[6:7] offset:2120
.LBB815_85:
	s_or_b64 exec, exec, s[48:49]
	v_mov_b32_e32 v4, 0
	s_waitcnt lgkmcnt(0)
	s_barrier
	ds_read_b64 v[2:3], v4 offset:2120
	v_cndmask_b32_e64 v6, v22, v14, s[26:27]
	v_cmp_eq_u32_e32 vcc, 0, v6
	v_cndmask_b32_e64 v5, v23, v15, s[26:27]
	s_waitcnt lgkmcnt(0)
	v_cndmask_b32_e32 v7, 0, v3, vcc
	v_add_u32_e32 v5, v7, v5
	v_cndmask_b32_e64 v43, v5, v3, s[30:31]
	v_cndmask_b32_e64 v3, v6, 0, s[30:31]
	v_cmp_eq_u32_e32 vcc, 0, v61
	v_add_u32_e32 v42, v2, v3
	v_add_u32_e32 v40, v42, v61
	v_cndmask_b32_e32 v2, 0, v43, vcc
	v_add_u32_e32 v41, v2, v44
	v_cndmask_b32_e64 v2, 0, v41, s[24:25]
	v_add_u32_e32 v39, v2, v44
	v_cndmask_b32_e64 v2, 0, v39, s[22:23]
	;; [unrolled: 2-line block ×7, first 2 shown]
	v_add_u32_e32 v38, v40, v60
	v_add_u32_e32 v27, v2, v44
	;; [unrolled: 1-line block ×3, first 2 shown]
	v_cndmask_b32_e64 v2, 0, v27, s[10:11]
	v_add_u32_e32 v34, v36, v58
	v_add_u32_e32 v25, v2, v44
	;; [unrolled: 1-line block ×3, first 2 shown]
	v_cndmask_b32_e64 v2, 0, v25, s[8:9]
	v_add_u32_e32 v30, v32, v56
	v_add_u32_e32 v23, v2, v44
	s_barrier
	ds_read_b128 v[4:7], v4 offset:2048
	v_add_u32_e32 v28, v30, v55
	v_cndmask_b32_e64 v2, 0, v23, s[6:7]
	v_add_u32_e32 v26, v28, v54
	v_add_u32_e32 v21, v2, v44
	;; [unrolled: 1-line block ×3, first 2 shown]
	v_cndmask_b32_e64 v2, 0, v21, s[4:5]
	v_add_u32_e32 v22, v24, v52
	v_add_u32_e32 v17, v2, v44
	;; [unrolled: 1-line block ×3, first 2 shown]
	v_cndmask_b32_e64 v2, 0, v17, s[2:3]
	s_waitcnt lgkmcnt(0)
	v_cmp_eq_u32_e32 vcc, 0, v4
	v_add_u32_e32 v16, v20, v50
	v_add_u32_e32 v19, v2, v44
	v_cndmask_b32_e32 v2, 0, v7, vcc
	v_add_u32_e32 v18, v16, v49
	v_add_u32_e32 v14, v2, v5
	s_branch .LBB815_98
.LBB815_86:
                                        ; implicit-def: $vgpr4
                                        ; implicit-def: $vgpr14
                                        ; implicit-def: $vgpr18_vgpr19
                                        ; implicit-def: $vgpr16_vgpr17
                                        ; implicit-def: $vgpr20_vgpr21
                                        ; implicit-def: $vgpr22_vgpr23
                                        ; implicit-def: $vgpr42_vgpr43
                                        ; implicit-def: $vgpr40_vgpr41
                                        ; implicit-def: $vgpr38_vgpr39
                                        ; implicit-def: $vgpr36_vgpr37
                                        ; implicit-def: $vgpr34_vgpr35
                                        ; implicit-def: $vgpr32_vgpr33
                                        ; implicit-def: $vgpr30_vgpr31
                                        ; implicit-def: $vgpr28_vgpr29
                                        ; implicit-def: $vgpr26_vgpr27
                                        ; implicit-def: $vgpr24_vgpr25
	s_cbranch_execz .LBB815_98
; %bb.87:
	s_and_b64 s[0:1], s[38:39], exec
	s_cselect_b32 s1, 0, s29
	s_cselect_b32 s0, 0, s28
	s_cmp_eq_u64 s[0:1], 0
	v_mov_b32_e32 v6, v44
	s_cbranch_scc1 .LBB815_89
; %bb.88:
	v_mov_b32_e32 v2, 0
	global_load_dword v6, v2, s[0:1]
.LBB815_89:
	v_cmp_eq_u32_e64 s[2:3], 0, v60
	v_cmp_eq_u32_e64 s[4:5], 0, v59
	v_cmp_eq_u32_e64 s[6:7], 0, v58
	v_cndmask_b32_e64 v2, 0, v44, s[2:3]
	v_add_u32_e32 v2, v2, v44
	v_cndmask_b32_e64 v2, 0, v2, s[4:5]
	v_add_u32_e32 v2, v2, v44
	v_cndmask_b32_e64 v2, 0, v2, s[6:7]
	v_add_u32_e32 v2, v2, v44
	v_cmp_eq_u32_e64 s[8:9], 0, v57
	v_cmp_eq_u32_e64 s[10:11], 0, v56
	v_cmp_eq_u32_e64 s[12:13], 0, v55
	v_cndmask_b32_e64 v2, 0, v2, s[8:9]
	v_add_u32_e32 v2, v2, v44
	v_cndmask_b32_e64 v2, 0, v2, s[10:11]
	v_add_u32_e32 v2, v2, v44
	v_cndmask_b32_e64 v2, 0, v2, s[12:13]
	v_add_u32_e32 v2, v2, v44
	;; [unrolled: 9-line block ×3, first 2 shown]
	v_cmp_eq_u32_e64 s[20:21], 0, v51
	v_cmp_eq_u32_e64 s[22:23], 0, v50
	v_add3_u32 v3, v63, v57, v56
	v_cndmask_b32_e64 v2, 0, v2, s[20:21]
	v_add_u32_e32 v2, v2, v44
	v_cndmask_b32_e64 v2, 0, v2, s[22:23]
	v_add_u32_e32 v2, v2, v44
	v_cmp_eq_u32_e32 vcc, 0, v49
	v_add3_u32 v3, v3, v55, v54
	v_add3_u32 v3, v3, v53, v52
	v_cndmask_b32_e32 v2, 0, v2, vcc
	v_add_u32_e32 v2, v2, v44
	v_cmp_eq_u32_e64 s[0:1], 0, v48
	v_add3_u32 v3, v3, v51, v50
	v_add3_u32 v3, v3, v49, v48
	v_cndmask_b32_e64 v2, 0, v2, s[0:1]
	v_add_u32_e32 v2, v2, v45
	v_mbcnt_hi_u32_b32 v7, -1, v62
	v_and_b32_e32 v4, 15, v7
	v_mov_b32_dpp v14, v2 row_shr:1 row_mask:0xf bank_mask:0xf
	v_cmp_eq_u32_e64 s[0:1], 0, v3
	v_mov_b32_dpp v5, v3 row_shr:1 row_mask:0xf bank_mask:0xf
	v_cmp_lt_u32_e64 s[24:25], 1, v4
	v_cndmask_b32_e64 v14, 0, v14, s[0:1]
	v_cmp_eq_u32_e64 s[0:1], 0, v4
	s_nop 1
	v_cndmask_b32_e64 v5, v5, 0, s[0:1]
	v_add_u32_e32 v3, v5, v3
	v_cndmask_b32_e64 v5, v14, 0, s[0:1]
	v_add_u32_e32 v2, v5, v2
	v_cmp_eq_u32_e64 s[0:1], 0, v3
	v_mov_b32_dpp v5, v3 row_shr:2 row_mask:0xf bank_mask:0xf
	v_mov_b32_dpp v14, v2 row_shr:2 row_mask:0xf bank_mask:0xf
	v_cndmask_b32_e64 v5, 0, v5, s[24:25]
	s_and_b64 s[0:1], s[24:25], s[0:1]
	v_cndmask_b32_e64 v14, 0, v14, s[0:1]
	v_add_u32_e32 v3, v3, v5
	v_add_u32_e32 v2, v14, v2
	v_cmp_eq_u32_e64 s[0:1], 0, v3
	v_mov_b32_dpp v5, v3 row_shr:4 row_mask:0xf bank_mask:0xf
	v_cmp_lt_u32_e64 s[24:25], 3, v4
	v_mov_b32_dpp v14, v2 row_shr:4 row_mask:0xf bank_mask:0xf
	s_and_b64 s[0:1], s[24:25], s[0:1]
	v_cndmask_b32_e64 v5, 0, v5, s[24:25]
	v_cndmask_b32_e64 v14, 0, v14, s[0:1]
	v_add_u32_e32 v3, v5, v3
	v_add_u32_e32 v2, v2, v14
	v_cmp_eq_u32_e64 s[0:1], 0, v3
	v_cmp_lt_u32_e64 s[24:25], 7, v4
	v_mov_b32_dpp v5, v3 row_shr:8 row_mask:0xf bank_mask:0xf
	v_mov_b32_dpp v14, v2 row_shr:8 row_mask:0xf bank_mask:0xf
	s_and_b64 s[0:1], s[24:25], s[0:1]
	v_cndmask_b32_e64 v4, 0, v5, s[24:25]
	v_cndmask_b32_e64 v5, 0, v14, s[0:1]
	v_add_u32_e32 v2, v5, v2
	v_add_u32_e32 v3, v4, v3
	v_bfe_i32 v14, v7, 4, 1
	v_mov_b32_dpp v5, v2 row_bcast:15 row_mask:0xf bank_mask:0xf
	v_mov_b32_dpp v4, v3 row_bcast:15 row_mask:0xf bank_mask:0xf
	v_cmp_eq_u32_e64 s[0:1], 0, v3
	v_and_b32_e32 v4, v14, v4
	v_add_u32_e32 v3, v4, v3
	v_cndmask_b32_e64 v5, 0, v5, s[0:1]
	v_and_b32_e32 v4, v14, v5
	v_add_u32_e32 v4, v4, v2
	v_mov_b32_dpp v2, v3 row_bcast:31 row_mask:0xf bank_mask:0xf
	v_cmp_eq_u32_e64 s[0:1], 0, v3
	v_cmp_lt_u32_e64 s[24:25], 31, v7
	v_mov_b32_dpp v5, v4 row_bcast:31 row_mask:0xf bank_mask:0xf
	s_and_b64 s[0:1], s[24:25], s[0:1]
	v_cndmask_b32_e64 v2, 0, v2, s[24:25]
	v_add_u32_e32 v2, v2, v3
	v_cndmask_b32_e64 v3, 0, v5, s[0:1]
	v_add_u32_e32 v3, v3, v4
	v_cmp_eq_u32_e64 s[0:1], v47, v0
	v_lshlrev_b32_e32 v5, 3, v46
	s_and_saveexec_b64 s[24:25], s[0:1]
	s_cbranch_execz .LBB815_91
; %bb.90:
	ds_write_b64 v5, v[2:3] offset:2064
.LBB815_91:
	s_or_b64 exec, exec, s[24:25]
	v_cmp_gt_u32_e64 s[0:1], 8, v0
	s_waitcnt lgkmcnt(0)
	s_barrier
	s_and_saveexec_b64 s[26:27], s[0:1]
	s_cbranch_execz .LBB815_93
; %bb.92:
	v_lshlrev_b32_e32 v4, 3, v0
	ds_read_b64 v[14:15], v4 offset:2064
	v_and_b32_e32 v16, 7, v7
	v_cmp_lt_u32_e64 s[24:25], 1, v16
	s_waitcnt lgkmcnt(0)
	v_mov_b32_dpp v18, v15 row_shr:1 row_mask:0xf bank_mask:0xf
	v_cmp_eq_u32_e64 s[0:1], 0, v14
	v_mov_b32_dpp v17, v14 row_shr:1 row_mask:0xf bank_mask:0xf
	s_nop 0
	v_cndmask_b32_e64 v18, 0, v18, s[0:1]
	v_cmp_eq_u32_e64 s[0:1], 0, v16
	s_nop 1
	v_cndmask_b32_e64 v17, v17, 0, s[0:1]
	v_add_u32_e32 v14, v17, v14
	v_cndmask_b32_e64 v17, v18, 0, s[0:1]
	v_add_u32_e32 v15, v17, v15
	v_cmp_eq_u32_e64 s[0:1], 0, v14
	v_mov_b32_dpp v17, v14 row_shr:2 row_mask:0xf bank_mask:0xf
	v_mov_b32_dpp v18, v15 row_shr:2 row_mask:0xf bank_mask:0xf
	v_cndmask_b32_e64 v17, 0, v17, s[24:25]
	s_and_b64 s[0:1], s[24:25], s[0:1]
	v_cndmask_b32_e64 v18, 0, v18, s[0:1]
	v_add_u32_e32 v14, v17, v14
	v_add_u32_e32 v15, v18, v15
	v_cmp_eq_u32_e64 s[0:1], 0, v14
	v_mov_b32_dpp v17, v14 row_shr:4 row_mask:0xf bank_mask:0xf
	v_cmp_lt_u32_e64 s[24:25], 3, v16
	v_mov_b32_dpp v18, v15 row_shr:4 row_mask:0xf bank_mask:0xf
	s_and_b64 s[0:1], s[24:25], s[0:1]
	v_cndmask_b32_e64 v16, 0, v17, s[24:25]
	v_add_u32_e32 v14, v16, v14
	v_cndmask_b32_e64 v16, 0, v18, s[0:1]
	v_add_u32_e32 v15, v16, v15
	ds_write_b64 v4, v[14:15] offset:2064
.LBB815_93:
	s_or_b64 exec, exec, s[26:27]
	v_cmp_lt_u32_e64 s[0:1], 63, v0
	v_mov_b32_e32 v14, 0
	v_mov_b32_e32 v4, 0
	s_waitcnt vmcnt(0)
	v_mov_b32_e32 v15, v6
	s_waitcnt lgkmcnt(0)
	s_barrier
	s_and_saveexec_b64 s[24:25], s[0:1]
	s_cbranch_execz .LBB815_95
; %bb.94:
	ds_read_b64 v[4:5], v5 offset:2056
	s_waitcnt lgkmcnt(0)
	v_cmp_eq_u32_e64 s[0:1], 0, v4
	s_nop 1
	v_cndmask_b32_e64 v15, 0, v6, s[0:1]
	v_add_u32_e32 v15, v15, v5
.LBB815_95:
	s_or_b64 exec, exec, s[24:25]
	v_cmp_eq_u32_e64 s[0:1], 0, v2
	v_add_u32_e32 v5, v4, v2
	v_and_b32_e32 v16, 64, v7
	v_cndmask_b32_e64 v2, 0, v15, s[0:1]
	v_add_u32_e32 v2, v2, v3
	v_add_u32_e32 v3, -1, v7
	v_cmp_lt_i32_e64 s[0:1], v3, v16
	s_nop 1
	v_cndmask_b32_e64 v3, v3, v7, s[0:1]
	v_lshlrev_b32_e32 v3, 2, v3
	ds_bpermute_b32 v2, v3, v2
	ds_bpermute_b32 v5, v3, v5
	v_cmp_eq_u32_e64 s[0:1], 0, v7
	s_waitcnt lgkmcnt(1)
	s_nop 0
	v_cndmask_b32_e64 v2, v2, v15, s[0:1]
	s_waitcnt lgkmcnt(0)
	v_cndmask_b32_e64 v3, v5, v4, s[0:1]
	v_cndmask_b32_e64 v43, v2, v6, s[30:31]
	v_cmp_eq_u32_e64 s[0:1], 0, v61
	v_cndmask_b32_e64 v42, v3, 0, s[30:31]
	v_add_u32_e32 v40, v42, v61
	v_cndmask_b32_e64 v2, 0, v43, s[0:1]
	v_add_u32_e32 v41, v2, v44
	;; [unrolled: 2-line block ×9, first 2 shown]
	v_add_u32_e32 v27, v2, v44
	v_add_u32_e32 v36, v38, v59
	v_cndmask_b32_e64 v2, 0, v27, s[16:17]
	v_add_u32_e32 v34, v36, v58
	v_add_u32_e32 v25, v2, v44
	;; [unrolled: 1-line block ×3, first 2 shown]
	v_cndmask_b32_e64 v2, 0, v25, s[18:19]
	v_add_u32_e32 v30, v32, v56
	v_add_u32_e32 v23, v2, v44
	ds_read_b64 v[4:5], v14 offset:2120
	v_add_u32_e32 v28, v30, v55
	v_cndmask_b32_e64 v2, 0, v23, s[20:21]
	v_add_u32_e32 v26, v28, v54
	v_add_u32_e32 v21, v2, v44
	v_add_u32_e32 v24, v26, v53
	v_cndmask_b32_e64 v2, 0, v21, s[22:23]
	v_add_u32_e32 v22, v24, v52
	v_add_u32_e32 v17, v2, v44
	;; [unrolled: 1-line block ×3, first 2 shown]
	v_cndmask_b32_e32 v2, 0, v17, vcc
	s_waitcnt lgkmcnt(0)
	v_cmp_eq_u32_e32 vcc, 0, v4
	v_add_u32_e32 v16, v20, v50
	v_add_u32_e32 v19, v2, v44
	v_cndmask_b32_e32 v2, 0, v6, vcc
	v_add_u32_e32 v18, v16, v49
	v_add_u32_e32 v14, v2, v5
	s_and_saveexec_b64 s[0:1], s[30:31]
	s_cbranch_execz .LBB815_97
; %bb.96:
	s_add_u32 s2, s36, 0x400
	v_and_b32_e32 v2, 0xff000000, v14
	v_and_b32_e32 v3, 0xff0000, v14
	s_addc_u32 s3, s37, 0
	v_or_b32_e32 v2, v3, v2
	v_and_b32_e32 v3, 0xff00, v14
	v_and_b32_e32 v5, 0xff, v14
	v_mov_b32_e32 v7, 0
	v_or3_b32 v5, v2, v3, v5
	v_mov_b32_e32 v6, 2
	v_mov_b64_e32 v[2:3], s[2:3]
	;;#ASMSTART
	global_store_dwordx4 v[2:3], v[4:7] off sc1	
s_waitcnt vmcnt(0)
	;;#ASMEND
.LBB815_97:
	s_or_b64 exec, exec, s[0:1]
	v_mov_b32_e32 v6, 0
.LBB815_98:
	s_and_b64 s[0:1], s[38:39], exec
	s_cselect_b32 s1, 0, s51
	s_cselect_b32 s0, 0, s50
	s_cmp_eq_u64 s[0:1], 0
	v_mov_b64_e32 v[44:45], 0
	s_barrier
	s_cbranch_scc1 .LBB815_100
; %bb.99:
	v_mov_b32_e32 v2, 0
	global_load_dwordx2 v[44:45], v2, s[0:1]
.LBB815_100:
	s_waitcnt vmcnt(0)
	v_lshlrev_b64 v[2:3], 1, v[44:45]
	v_mov_b32_e32 v7, 0
	v_lshl_add_u64 v[2:3], s[44:45], 0, v[2:3]
	v_lshlrev_b64 v[46:47], 1, v[6:7]
	v_cmp_eq_u32_e32 vcc, 0, v61
	v_lshl_add_u64 v[46:47], v[2:3], 0, v[46:47]
	s_movk_i32 s0, 0x200
	v_cndmask_b32_e64 v2, 1, 2, vcc
	v_cmp_eq_u32_e32 vcc, 0, v60
	v_cmp_ne_u32_e64 s[28:29], 0, v61
	v_cmp_ne_u32_e64 s[26:27], 0, v60
	v_cndmask_b32_e64 v3, 1, 2, vcc
	v_cmp_eq_u32_e32 vcc, 0, v59
	v_and_b32_e32 v2, v3, v2
	v_cmp_ne_u32_e64 s[24:25], 0, v59
	v_cndmask_b32_e64 v3, 1, 2, vcc
	v_cmp_eq_u32_e32 vcc, 0, v58
	v_and_b32_e32 v2, v2, v3
	;; [unrolled: 4-line block ×12, first 2 shown]
	v_cmp_ne_u32_e64 s[2:3], 0, v48
	v_cndmask_b32_e64 v3, 1, 2, vcc
	v_and_b32_e32 v2, v2, v3
	v_cmp_gt_u32_e32 vcc, s0, v4
	s_mov_b64 s[36:37], -1
	v_cmp_gt_i16_e64 s[0:1], 2, v2
	s_cbranch_vccz .LBB815_107
; %bb.101:
	s_and_saveexec_b64 s[36:37], s[0:1]
	s_cbranch_execz .LBB815_106
; %bb.102:
	v_cmp_ne_u16_e32 vcc, 1, v2
	s_mov_b64 s[38:39], 0
	s_and_saveexec_b64 s[0:1], vcc
	s_xor_b64 s[0:1], exec, s[0:1]
	s_cbranch_execnz .LBB815_149
; %bb.103:
	s_andn2_saveexec_b64 s[0:1], s[0:1]
	s_cbranch_execnz .LBB815_164
.LBB815_104:
	s_or_b64 exec, exec, s[0:1]
	s_and_b64 exec, exec, s[38:39]
	s_cbranch_execz .LBB815_106
.LBB815_105:
	v_sub_u32_e32 v62, v18, v6
	v_mov_b32_e32 v63, 0
	v_lshl_add_u64 v[62:63], v[62:63], 1, v[46:47]
	global_store_short_d16_hi v[62:63], v1, off
.LBB815_106:
	s_or_b64 exec, exec, s[36:37]
	s_mov_b64 s[36:37], 0
.LBB815_107:
	s_and_b64 vcc, exec, s[36:37]
	s_cbranch_vccz .LBB815_127
; %bb.108:
	v_cmp_gt_i16_e32 vcc, 2, v2
	s_and_saveexec_b64 s[0:1], vcc
	s_cbranch_execz .LBB815_113
; %bb.109:
	v_cmp_ne_u16_e32 vcc, 1, v2
	s_mov_b64 s[38:39], 0
	s_and_saveexec_b64 s[36:37], vcc
	s_xor_b64 s[36:37], exec, s[36:37]
	s_cbranch_execnz .LBB815_165
; %bb.110:
	s_andn2_saveexec_b64 s[2:3], s[36:37]
	s_cbranch_execnz .LBB815_180
.LBB815_111:
	s_or_b64 exec, exec, s[2:3]
	s_and_b64 exec, exec, s[38:39]
	s_cbranch_execz .LBB815_113
.LBB815_112:
	v_sub_u32_e32 v2, v18, v6
	v_lshlrev_b32_e32 v2, 1, v2
	ds_write_b16_d16_hi v2, v1
.LBB815_113:
	s_or_b64 exec, exec, s[0:1]
	v_cmp_lt_u32_e32 vcc, v0, v4
	s_waitcnt lgkmcnt(0)
	s_barrier
	s_and_saveexec_b64 s[0:1], vcc
	s_cbranch_execz .LBB815_126
; %bb.114:
	v_xad_u32 v1, v0, -1, v4
	s_movk_i32 s2, 0x5ff
	v_cmp_lt_u32_e32 vcc, s2, v1
	s_mov_b64 s[4:5], -1
	v_mov_b32_e32 v2, v0
	s_and_saveexec_b64 s[2:3], vcc
	s_cbranch_execz .LBB815_123
; %bb.115:
	v_lshrrev_b32_e32 v5, 9, v1
	v_add_u32_e32 v8, -3, v5
	v_or_b32_e32 v3, 0x600, v0
	v_or_b32_e32 v2, 0x400, v0
	v_lshrrev_b32_e32 v9, 2, v8
	v_or_b32_e32 v1, 0x200, v0
	v_add_u32_e32 v15, 1, v9
	v_cmp_lt_u32_e32 vcc, 11, v8
	v_mov_b64_e32 v[10:11], v[2:3]
	v_mov_b32_e32 v64, 0
	v_mov_b64_e32 v[8:9], v[0:1]
	s_and_saveexec_b64 s[4:5], vcc
	s_cbranch_execz .LBB815_119
; %bb.116:
	v_mov_b64_e32 v[10:11], v[2:3]
	v_and_b32_e32 v62, 0x7ffffffc, v15
	v_lshlrev_b32_e32 v63, 1, v0
	s_mov_b32 s8, 0
	s_mov_b64 s[6:7], 0
	v_mov_b32_e32 v13, 0
	v_mov_b64_e32 v[8:9], v[0:1]
.LBB815_117:                            ; =>This Inner Loop Header: Depth=1
	v_mov_b32_e32 v12, v8
	ds_read_u16 v1, v63
	ds_read_u16 v90, v63 offset:1024
	ds_read_u16 v91, v63 offset:2048
	;; [unrolled: 1-line block ×7, first 2 shown]
	v_lshl_add_u64 v[80:81], v[12:13], 1, v[46:47]
	v_mov_b32_e32 v12, v9
	v_lshl_add_u64 v[84:85], v[12:13], 1, v[46:47]
	v_mov_b32_e32 v12, v10
	ds_read_u16 v97, v63 offset:8192
	ds_read_u16 v98, v63 offset:9216
	;; [unrolled: 1-line block ×8, first 2 shown]
	v_lshl_add_u64 v[86:87], v[12:13], 1, v[46:47]
	v_mov_b32_e32 v12, v11
	v_add_u32_e32 v2, 0x800, v11
	v_mov_b32_e32 v3, v13
	v_lshl_add_u64 v[88:89], v[12:13], 1, v[46:47]
	v_add_u32_e32 v12, 0x800, v8
	v_add_u32_e32 v64, 0x800, v10
	;; [unrolled: 1-line block ×3, first 2 shown]
	v_mov_b32_e32 v67, v13
	v_mov_b32_e32 v65, v13
	v_add_u32_e32 v62, -4, v62
	v_lshl_add_u64 v[2:3], v[2:3], 1, v[46:47]
	s_waitcnt lgkmcnt(14)
	global_store_short v[80:81], v1, off
	global_store_short v[84:85], v90, off
	s_waitcnt lgkmcnt(13)
	global_store_short v[86:87], v91, off
	s_waitcnt lgkmcnt(12)
	global_store_short v[88:89], v92, off
	v_lshl_add_u64 v[80:81], v[12:13], 1, v[46:47]
	v_add_u32_e32 v12, 0x1000, v8
	v_add_u32_e32 v68, 0x1000, v11
	;; [unrolled: 1-line block ×4, first 2 shown]
	v_mov_b32_e32 v73, v13
	v_mov_b32_e32 v71, v13
	;; [unrolled: 1-line block ×3, first 2 shown]
	s_add_i32 s8, s8, 16
	v_lshl_add_u64 v[66:67], v[66:67], 1, v[46:47]
	v_lshl_add_u64 v[82:83], v[64:65], 1, v[46:47]
	v_cmp_eq_u32_e32 vcc, 0, v62
	s_waitcnt lgkmcnt(11)
	global_store_short v[80:81], v93, off
	s_waitcnt lgkmcnt(10)
	global_store_short v[66:67], v94, off
	s_waitcnt lgkmcnt(9)
	global_store_short v[82:83], v95, off
	s_waitcnt lgkmcnt(8)
	global_store_short v[2:3], v96, off
	v_lshl_add_u64 v[2:3], v[12:13], 1, v[46:47]
	v_add_u32_e32 v12, 0x1800, v8
	v_add_u32_e32 v74, 0x1800, v11
	v_add_u32_e32 v76, 0x1800, v10
	v_add_u32_e32 v78, 0x1800, v9
	v_mov_b32_e32 v79, v13
	v_mov_b32_e32 v77, v13
	;; [unrolled: 1-line block ×3, first 2 shown]
	v_add_u32_e32 v63, 0x4000, v63
	v_lshl_add_u64 v[72:73], v[72:73], 1, v[46:47]
	v_lshl_add_u64 v[70:71], v[70:71], 1, v[46:47]
	v_lshl_add_u64 v[68:69], v[68:69], 1, v[46:47]
	v_add_u32_e32 v9, 0x2000, v9
	v_mov_b32_e32 v64, s8
	v_add_u32_e32 v10, 0x2000, v10
	s_or_b64 s[6:7], vcc, s[6:7]
	v_add_u32_e32 v11, 0x2000, v11
	v_add_u32_e32 v8, 0x2000, v8
	s_waitcnt lgkmcnt(7)
	global_store_short v[2:3], v97, off
	s_waitcnt lgkmcnt(6)
	global_store_short v[72:73], v98, off
	;; [unrolled: 2-line block ×4, first 2 shown]
	v_lshl_add_u64 v[2:3], v[12:13], 1, v[46:47]
	v_lshl_add_u64 v[78:79], v[78:79], 1, v[46:47]
	;; [unrolled: 1-line block ×4, first 2 shown]
	s_waitcnt lgkmcnt(3)
	global_store_short v[2:3], v101, off
	s_waitcnt lgkmcnt(2)
	global_store_short v[78:79], v102, off
	;; [unrolled: 2-line block ×4, first 2 shown]
	s_andn2_b64 exec, exec, s[6:7]
	s_cbranch_execnz .LBB815_117
; %bb.118:
	s_or_b64 exec, exec, s[6:7]
.LBB815_119:
	s_or_b64 exec, exec, s[4:5]
	v_and_b32_e32 v1, 3, v15
	v_cmp_ne_u32_e32 vcc, 0, v1
	s_and_saveexec_b64 s[4:5], vcc
	s_cbranch_execz .LBB815_122
; %bb.120:
	v_lshlrev_b32_e32 v2, 1, v0
	v_lshl_or_b32 v12, v64, 10, v2
	s_mov_b64 s[6:7], 0
	v_mov_b32_e32 v3, 0
.LBB815_121:                            ; =>This Inner Loop Header: Depth=1
	ds_read_u16 v13, v12
	ds_read_u16 v15, v12 offset:1024
	ds_read_u16 v70, v12 offset:2048
	;; [unrolled: 1-line block ×3, first 2 shown]
	v_mov_b32_e32 v2, v8
	v_add_u32_e32 v1, -1, v1
	v_lshl_add_u64 v[62:63], v[2:3], 1, v[46:47]
	v_mov_b32_e32 v2, v9
	v_cmp_eq_u32_e32 vcc, 0, v1
	v_lshl_add_u64 v[64:65], v[2:3], 1, v[46:47]
	v_mov_b32_e32 v2, v10
	v_add_u32_e32 v8, 0x800, v8
	v_add_u32_e32 v12, 0x1000, v12
	;; [unrolled: 1-line block ×4, first 2 shown]
	s_or_b64 s[6:7], vcc, s[6:7]
	v_lshl_add_u64 v[66:67], v[2:3], 1, v[46:47]
	v_mov_b32_e32 v2, v11
	v_add_u32_e32 v11, 0x800, v11
	v_lshl_add_u64 v[68:69], v[2:3], 1, v[46:47]
	s_waitcnt lgkmcnt(3)
	global_store_short v[62:63], v13, off
	s_waitcnt lgkmcnt(2)
	global_store_short v[64:65], v15, off
	;; [unrolled: 2-line block ×4, first 2 shown]
	s_andn2_b64 exec, exec, s[6:7]
	s_cbranch_execnz .LBB815_121
.LBB815_122:
	s_or_b64 exec, exec, s[4:5]
	v_add_u32_e32 v1, 1, v5
	v_and_b32_e32 v3, 0xfffffc, v1
	v_cmp_ne_u32_e32 vcc, v1, v3
	v_lshl_or_b32 v2, v3, 9, v0
	s_orn2_b64 s[4:5], vcc, exec
.LBB815_123:
	s_or_b64 exec, exec, s[2:3]
	s_and_b64 exec, exec, s[4:5]
	s_cbranch_execz .LBB815_126
; %bb.124:
	v_lshlrev_b32_e32 v1, 1, v2
	s_mov_b64 s[2:3], 0
	v_mov_b32_e32 v3, 0
.LBB815_125:                            ; =>This Inner Loop Header: Depth=1
	ds_read_u16 v5, v1
	v_lshl_add_u64 v[8:9], v[2:3], 1, v[46:47]
	v_add_u32_e32 v2, 0x200, v2
	v_cmp_ge_u32_e32 vcc, v2, v4
	v_add_u32_e32 v1, 0x400, v1
	s_or_b64 s[2:3], vcc, s[2:3]
	s_waitcnt lgkmcnt(0)
	global_store_short v[8:9], v5, off
	s_andn2_b64 exec, exec, s[2:3]
	s_cbranch_execnz .LBB815_125
.LBB815_126:
	s_or_b64 exec, exec, s[0:1]
.LBB815_127:
	s_cmpk_lg_i32 s33, 0x1c00
	s_cselect_b64 s[0:1], -1, 0
	v_cndmask_b32_e64 v46, 0, 1, s[42:43]
	s_and_b64 s[0:1], s[0:1], s[40:41]
	v_sub_u32_e32 v1, v4, v46
	v_cndmask_b32_e64 v2, 0, 1, s[0:1]
	s_and_b64 s[0:1], s[30:31], s[42:43]
	v_add_u32_e32 v1, v1, v2
	v_cndmask_b32_e64 v2, v61, 0, s[0:1]
	s_lshr_b32 s0, s33, 1
	s_mul_hi_u32 s0, s0, 0x92492493
	s_lshr_b32 s0, s0, 2
	v_mad_i32_i24 v3, v0, -14, s33
	v_cmp_eq_u32_e32 vcc, s0, v0
	v_cmp_ne_u32_e64 s[0:1], 0, v3
	s_and_b64 vcc, vcc, s[40:41]
	s_mov_b32 s2, 0
	v_cndmask_b32_e64 v5, 1, v2, s[0:1]
	v_cmp_ne_u32_e64 s[0:1], 1, v3
	s_movk_i32 s28, 0x200
	s_mov_b64 s[30:31], -1
	v_cndmask_b32_e64 v8, 1, v60, s[0:1]
	v_cmp_ne_u32_e64 s[0:1], 2, v3
	s_barrier
	s_nop 0
	v_cndmask_b32_e64 v9, 1, v59, s[0:1]
	v_cmp_ne_u32_e64 s[0:1], 3, v3
	s_nop 1
	v_cndmask_b32_e64 v10, 1, v58, s[0:1]
	v_cmp_ne_u32_e64 s[0:1], 4, v3
	;; [unrolled: 3-line block ×6, first 2 shown]
	v_cndmask_b32_e32 v15, v54, v15, vcc
	v_cndmask_b32_e32 v54, v55, v13, vcc
	v_cndmask_b32_e64 v47, 1, v53, s[0:1]
	v_cmp_ne_u32_e64 s[0:1], 9, v3
	v_cndmask_b32_e32 v55, v56, v12, vcc
	v_cndmask_b32_e32 v56, v57, v11, vcc
	v_cndmask_b32_e64 v61, 1, v52, s[0:1]
	v_cmp_ne_u32_e64 s[0:1], 10, v3
	;; [unrolled: 4-line block ×5, first 2 shown]
	v_cndmask_b32_e32 v49, v49, v64, vcc
	v_cndmask_b32_e32 v52, v52, v61, vcc
	v_cndmask_b32_e64 v3, 1, v48, s[0:1]
	v_cndmask_b32_e32 v48, v48, v3, vcc
	v_cndmask_b32_e32 v53, v53, v47, vcc
	v_mov_b32_e32 v47, s2
	v_cmp_eq_u32_e32 vcc, 0, v60
	v_lshl_add_u64 v[12:13], v[46:47], 0, -1
	v_add_u32_e32 v5, v6, v46
	v_cndmask_b32_e64 v46, 1, 2, vcc
	v_cmp_eq_u32_e32 vcc, 0, v59
	v_cmp_ne_u32_e64 s[12:13], 0, v15
	v_lshlrev_b64 v[8:9], 3, v[44:45]
	v_cndmask_b32_e64 v47, 1, 2, vcc
	v_cmp_eq_u32_e32 vcc, 0, v58
	v_and_b32_e32 v46, v47, v46
	v_lshl_add_u64 v[2:3], s[46:47], 0, v[8:9]
	v_cndmask_b32_e64 v47, 1, 2, vcc
	v_cmp_eq_u32_e32 vcc, 0, v57
	v_and_b32_e32 v46, v46, v47
	v_lshlrev_b64 v[10:11], 3, v[6:7]
	v_cndmask_b32_e64 v47, 1, 2, vcc
	v_cmp_eq_u32_e32 vcc, 0, v56
	v_and_b32_e32 v46, v46, v47
	v_lshl_add_u64 v[2:3], v[2:3], 0, v[10:11]
	v_cndmask_b32_e64 v47, 1, 2, vcc
	v_cmp_eq_u32_e32 vcc, 0, v55
	v_and_b32_e32 v46, v46, v47
	v_cmp_ne_u32_e64 s[26:27], 0, v60
	v_cndmask_b32_e64 v47, 1, 2, vcc
	v_cmp_eq_u32_e32 vcc, 0, v54
	v_and_b32_e32 v46, v46, v47
	v_cmp_ne_u32_e64 s[24:25], 0, v59
	;; [unrolled: 4-line block ×9, first 2 shown]
	v_cndmask_b32_e64 v46, 1, 2, vcc
	v_and_b32_e32 v15, v15, v46
	v_cmp_gt_u32_e32 vcc, s28, v1
	v_cmp_ne_u32_e64 s[6:7], 0, v51
	v_cmp_ne_u32_e64 s[4:5], 0, v50
	;; [unrolled: 1-line block ×4, first 2 shown]
	v_cmp_gt_i16_e64 s[28:29], 2, v15
	s_cbranch_vccz .LBB815_134
; %bb.128:
	s_and_saveexec_b64 s[30:31], s[28:29]
	s_cbranch_execz .LBB815_133
; %bb.129:
	v_lshlrev_b64 v[46:47], 3, v[12:13]
	v_lshl_add_u64 v[46:47], v[2:3], 0, v[46:47]
	v_cmp_ne_u16_e32 vcc, 1, v15
	s_mov_b64 s[36:37], 0
	s_and_saveexec_b64 s[28:29], vcc
	s_xor_b64 s[28:29], exec, s[28:29]
	s_cbranch_execnz .LBB815_181
; %bb.130:
	s_andn2_saveexec_b64 s[28:29], s[28:29]
	s_cbranch_execnz .LBB815_196
.LBB815_131:
	s_or_b64 exec, exec, s[28:29]
	s_and_b64 exec, exec, s[36:37]
	s_cbranch_execz .LBB815_133
.LBB815_132:
	v_mov_b32_e32 v49, 0
	v_sub_u32_e32 v50, v18, v5
	v_mov_b32_e32 v51, v49
	v_mov_b32_e32 v48, v19
	v_lshl_add_u64 v[46:47], v[50:51], 3, v[46:47]
	global_store_dwordx2 v[46:47], v[48:49], off
.LBB815_133:
	s_or_b64 exec, exec, s[30:31]
	s_mov_b64 s[30:31], 0
.LBB815_134:
	s_and_b64 vcc, exec, s[30:31]
	s_cbranch_vccz .LBB815_144
; %bb.135:
	v_cmp_gt_i16_e32 vcc, 2, v15
	s_and_saveexec_b64 s[28:29], vcc
	s_cbranch_execz .LBB815_140
; %bb.136:
	v_cmp_ne_u16_e32 vcc, 1, v15
	s_mov_b64 s[36:37], 0
	s_and_saveexec_b64 s[30:31], vcc
	s_xor_b64 s[30:31], exec, s[30:31]
	s_cbranch_execnz .LBB815_197
; %bb.137:
	s_andn2_saveexec_b64 s[0:1], s[30:31]
	s_cbranch_execnz .LBB815_212
.LBB815_138:
	s_or_b64 exec, exec, s[0:1]
	s_and_b64 exec, exec, s[36:37]
	s_cbranch_execz .LBB815_140
.LBB815_139:
	v_sub_u32_e32 v5, v18, v5
	v_lshlrev_b32_e32 v5, 2, v5
	ds_write_b32 v5, v19
.LBB815_140:
	s_or_b64 exec, exec, s[28:29]
	v_cmp_lt_u32_e32 vcc, v0, v1
	s_waitcnt lgkmcnt(0)
	s_barrier
	s_and_saveexec_b64 s[0:1], vcc
	s_cbranch_execz .LBB815_143
; %bb.141:
	v_lshlrev_b64 v[12:13], 3, v[12:13]
	v_lshl_add_u64 v[8:9], v[8:9], 0, v[12:13]
	v_lshl_add_u64 v[10:11], v[8:9], 0, v[10:11]
	v_lshlrev_b32_e32 v8, 3, v0
	v_mov_b32_e32 v9, 0
	v_lshl_add_u64 v[10:11], s[46:47], 0, v[10:11]
	v_lshlrev_b32_e32 v5, 2, v0
	v_lshl_add_u64 v[10:11], v[10:11], 0, v[8:9]
	s_mov_b64 s[2:3], 0
	s_mov_b64 s[4:5], 0x1000
	v_mov_b32_e32 v12, v0
.LBB815_142:                            ; =>This Inner Loop Header: Depth=1
	ds_read_b32 v8, v5
	v_add_u32_e32 v12, 0x200, v12
	v_cmp_ge_u32_e32 vcc, v12, v1
	v_add_u32_e32 v5, 0x800, v5
	s_or_b64 s[2:3], vcc, s[2:3]
	s_waitcnt lgkmcnt(0)
	global_store_dwordx2 v[10:11], v[8:9], off
	v_lshl_add_u64 v[10:11], v[10:11], 0, s[4:5]
	s_andn2_b64 exec, exec, s[2:3]
	s_cbranch_execnz .LBB815_142
.LBB815_143:
	s_or_b64 exec, exec, s[0:1]
.LBB815_144:
	s_movk_i32 s0, 0x1ff
	v_cmp_eq_u32_e32 vcc, s0, v0
	s_and_b64 s[0:1], vcc, s[40:41]
	s_and_saveexec_b64 s[2:3], s[0:1]
	s_cbranch_execz .LBB815_147
; %bb.145:
	v_mov_b32_e32 v5, 0
	v_lshl_add_u64 v[0:1], v[4:5], 0, v[6:7]
	v_lshl_add_u64 v[0:1], v[0:1], 0, v[44:45]
	s_cmpk_lg_i32 s33, 0x1c00
	global_store_dwordx2 v5, v[0:1], s[34:35]
	s_cbranch_scc1 .LBB815_147
; %bb.146:
	v_lshlrev_b64 v[0:1], 3, v[4:5]
	v_mov_b32_e32 v15, v5
	v_lshl_add_u64 v[0:1], v[2:3], 0, v[0:1]
	global_store_dwordx2 v[0:1], v[14:15], off offset:-8
.LBB815_147:
	s_endpgm
.LBB815_148:
	s_or_b64 exec, exec, s[8:9]
	v_mov_b32_e32 v61, s12
	s_and_saveexec_b64 s[0:1], s[4:5]
	s_cbranch_execnz .LBB815_58
	s_branch .LBB815_59
.LBB815_149:
	s_and_saveexec_b64 s[38:39], s[28:29]
	s_cbranch_execnz .LBB815_213
; %bb.150:
	s_or_b64 exec, exec, s[38:39]
	s_and_saveexec_b64 s[38:39], s[26:27]
	s_cbranch_execnz .LBB815_214
.LBB815_151:
	s_or_b64 exec, exec, s[38:39]
	s_and_saveexec_b64 s[38:39], s[24:25]
	s_cbranch_execnz .LBB815_215
.LBB815_152:
	s_or_b64 exec, exec, s[38:39]
	s_and_saveexec_b64 s[38:39], s[22:23]
	s_cbranch_execnz .LBB815_216
.LBB815_153:
	s_or_b64 exec, exec, s[38:39]
	s_and_saveexec_b64 s[38:39], s[20:21]
	s_cbranch_execnz .LBB815_217
.LBB815_154:
	s_or_b64 exec, exec, s[38:39]
	s_and_saveexec_b64 s[38:39], s[18:19]
	s_cbranch_execnz .LBB815_218
.LBB815_155:
	s_or_b64 exec, exec, s[38:39]
	s_and_saveexec_b64 s[38:39], s[16:17]
	s_cbranch_execnz .LBB815_219
.LBB815_156:
	s_or_b64 exec, exec, s[38:39]
	s_and_saveexec_b64 s[38:39], s[14:15]
	s_cbranch_execnz .LBB815_220
.LBB815_157:
	s_or_b64 exec, exec, s[38:39]
	s_and_saveexec_b64 s[38:39], s[12:13]
	s_cbranch_execnz .LBB815_221
.LBB815_158:
	s_or_b64 exec, exec, s[38:39]
	s_and_saveexec_b64 s[38:39], s[10:11]
	s_cbranch_execnz .LBB815_222
.LBB815_159:
	s_or_b64 exec, exec, s[38:39]
	s_and_saveexec_b64 s[38:39], s[8:9]
	s_cbranch_execnz .LBB815_223
.LBB815_160:
	s_or_b64 exec, exec, s[38:39]
	s_and_saveexec_b64 s[38:39], s[6:7]
	s_cbranch_execnz .LBB815_224
.LBB815_161:
	s_or_b64 exec, exec, s[38:39]
	s_and_saveexec_b64 s[38:39], s[4:5]
	s_cbranch_execz .LBB815_163
.LBB815_162:
	v_sub_u32_e32 v62, v16, v6
	v_mov_b32_e32 v63, 0
	v_lshl_add_u64 v[62:63], v[62:63], 1, v[46:47]
	global_store_short v[62:63], v1, off
.LBB815_163:
	s_or_b64 exec, exec, s[38:39]
	s_and_b64 s[38:39], s[2:3], exec
	s_andn2_saveexec_b64 s[0:1], s[0:1]
	s_cbranch_execz .LBB815_104
.LBB815_164:
	v_sub_u32_e32 v62, v42, v6
	v_mov_b32_e32 v63, 0
	v_lshl_add_u64 v[64:65], v[62:63], 1, v[46:47]
	v_sub_u32_e32 v62, v40, v6
	global_store_short v[64:65], v12, off
	v_lshl_add_u64 v[64:65], v[62:63], 1, v[46:47]
	v_sub_u32_e32 v62, v38, v6
	global_store_short_d16_hi v[64:65], v12, off
	v_lshl_add_u64 v[64:65], v[62:63], 1, v[46:47]
	v_sub_u32_e32 v62, v36, v6
	global_store_short v[64:65], v13, off
	v_lshl_add_u64 v[64:65], v[62:63], 1, v[46:47]
	v_sub_u32_e32 v62, v34, v6
	global_store_short_d16_hi v[64:65], v13, off
	;; [unrolled: 6-line block ×5, first 2 shown]
	v_lshl_add_u64 v[64:65], v[62:63], 1, v[46:47]
	v_sub_u32_e32 v62, v20, v6
	global_store_short v[64:65], v9, off
	v_lshl_add_u64 v[64:65], v[62:63], 1, v[46:47]
	v_sub_u32_e32 v62, v16, v6
	v_lshl_add_u64 v[62:63], v[62:63], 1, v[46:47]
	s_or_b64 s[38:39], s[38:39], exec
	global_store_short_d16_hi v[64:65], v9, off
	global_store_short v[62:63], v1, off
	s_or_b64 exec, exec, s[0:1]
	s_and_b64 exec, exec, s[38:39]
	s_cbranch_execnz .LBB815_105
	s_branch .LBB815_106
.LBB815_165:
	s_and_saveexec_b64 s[38:39], s[28:29]
	s_cbranch_execnz .LBB815_225
; %bb.166:
	s_or_b64 exec, exec, s[38:39]
	s_and_saveexec_b64 s[28:29], s[26:27]
	s_cbranch_execnz .LBB815_226
.LBB815_167:
	s_or_b64 exec, exec, s[28:29]
	s_and_saveexec_b64 s[26:27], s[24:25]
	s_cbranch_execnz .LBB815_227
.LBB815_168:
	s_or_b64 exec, exec, s[26:27]
	s_and_saveexec_b64 s[24:25], s[22:23]
	s_cbranch_execnz .LBB815_228
.LBB815_169:
	s_or_b64 exec, exec, s[24:25]
	s_and_saveexec_b64 s[22:23], s[20:21]
	s_cbranch_execnz .LBB815_229
.LBB815_170:
	s_or_b64 exec, exec, s[22:23]
	s_and_saveexec_b64 s[20:21], s[18:19]
	s_cbranch_execnz .LBB815_230
.LBB815_171:
	s_or_b64 exec, exec, s[20:21]
	s_and_saveexec_b64 s[18:19], s[16:17]
	s_cbranch_execnz .LBB815_231
.LBB815_172:
	s_or_b64 exec, exec, s[18:19]
	s_and_saveexec_b64 s[16:17], s[14:15]
	s_cbranch_execnz .LBB815_232
.LBB815_173:
	s_or_b64 exec, exec, s[16:17]
	s_and_saveexec_b64 s[14:15], s[12:13]
	s_cbranch_execnz .LBB815_233
.LBB815_174:
	s_or_b64 exec, exec, s[14:15]
	s_and_saveexec_b64 s[12:13], s[10:11]
	s_cbranch_execnz .LBB815_234
.LBB815_175:
	s_or_b64 exec, exec, s[12:13]
	s_and_saveexec_b64 s[10:11], s[8:9]
	s_cbranch_execnz .LBB815_235
.LBB815_176:
	s_or_b64 exec, exec, s[10:11]
	s_and_saveexec_b64 s[8:9], s[6:7]
	s_cbranch_execnz .LBB815_236
.LBB815_177:
	s_or_b64 exec, exec, s[8:9]
	s_and_saveexec_b64 s[6:7], s[4:5]
	s_cbranch_execz .LBB815_179
.LBB815_178:
	v_sub_u32_e32 v2, v16, v6
	v_lshlrev_b32_e32 v2, 1, v2
	ds_write_b16 v2, v1
.LBB815_179:
	s_or_b64 exec, exec, s[6:7]
	s_and_b64 s[38:39], s[2:3], exec
                                        ; implicit-def: $vgpr12
                                        ; implicit-def: $vgpr10
                                        ; implicit-def: $vgpr8
	s_andn2_saveexec_b64 s[2:3], s[36:37]
	s_cbranch_execz .LBB815_111
.LBB815_180:
	v_sub_u32_e32 v2, v42, v6
	v_lshlrev_b32_e32 v2, 1, v2
	ds_write_b16 v2, v12
	v_sub_u32_e32 v2, v40, v6
	v_lshlrev_b32_e32 v2, 1, v2
	ds_write_b16_d16_hi v2, v12
	v_sub_u32_e32 v2, v38, v6
	v_lshlrev_b32_e32 v2, 1, v2
	ds_write_b16 v2, v13
	v_sub_u32_e32 v2, v36, v6
	v_lshlrev_b32_e32 v2, 1, v2
	ds_write_b16_d16_hi v2, v13
	;; [unrolled: 6-line block ×6, first 2 shown]
	v_sub_u32_e32 v2, v16, v6
	v_lshlrev_b32_e32 v2, 1, v2
	s_or_b64 s[38:39], s[38:39], exec
	ds_write_b16 v2, v1
	s_or_b64 exec, exec, s[2:3]
	s_and_b64 exec, exec, s[38:39]
	s_cbranch_execnz .LBB815_112
	s_branch .LBB815_113
.LBB815_181:
	s_and_saveexec_b64 s[36:37], s[26:27]
	s_cbranch_execnz .LBB815_237
; %bb.182:
	s_or_b64 exec, exec, s[36:37]
	s_and_saveexec_b64 s[36:37], s[24:25]
	s_cbranch_execnz .LBB815_238
.LBB815_183:
	s_or_b64 exec, exec, s[36:37]
	s_and_saveexec_b64 s[36:37], s[22:23]
	s_cbranch_execnz .LBB815_239
.LBB815_184:
	s_or_b64 exec, exec, s[36:37]
	s_and_saveexec_b64 s[36:37], s[20:21]
	s_cbranch_execnz .LBB815_240
.LBB815_185:
	s_or_b64 exec, exec, s[36:37]
	s_and_saveexec_b64 s[36:37], s[18:19]
	s_cbranch_execnz .LBB815_241
.LBB815_186:
	s_or_b64 exec, exec, s[36:37]
	s_and_saveexec_b64 s[36:37], s[16:17]
	s_cbranch_execnz .LBB815_242
.LBB815_187:
	s_or_b64 exec, exec, s[36:37]
	s_and_saveexec_b64 s[36:37], s[14:15]
	s_cbranch_execnz .LBB815_243
.LBB815_188:
	s_or_b64 exec, exec, s[36:37]
	s_and_saveexec_b64 s[36:37], s[12:13]
	s_cbranch_execnz .LBB815_244
.LBB815_189:
	s_or_b64 exec, exec, s[36:37]
	s_and_saveexec_b64 s[36:37], s[10:11]
	s_cbranch_execnz .LBB815_245
.LBB815_190:
	s_or_b64 exec, exec, s[36:37]
	s_and_saveexec_b64 s[36:37], s[8:9]
	s_cbranch_execnz .LBB815_246
.LBB815_191:
	s_or_b64 exec, exec, s[36:37]
	s_and_saveexec_b64 s[36:37], s[6:7]
	s_cbranch_execnz .LBB815_247
.LBB815_192:
	s_or_b64 exec, exec, s[36:37]
	s_and_saveexec_b64 s[36:37], s[4:5]
	s_cbranch_execnz .LBB815_248
.LBB815_193:
	s_or_b64 exec, exec, s[36:37]
	s_and_saveexec_b64 s[36:37], s[2:3]
	s_cbranch_execz .LBB815_195
.LBB815_194:
	v_sub_u32_e32 v48, v16, v5
	v_mov_b32_e32 v49, 0
	v_lshl_add_u64 v[50:51], v[48:49], 3, v[46:47]
	v_mov_b32_e32 v48, v17
	global_store_dwordx2 v[50:51], v[48:49], off
.LBB815_195:
	s_or_b64 exec, exec, s[36:37]
	s_and_b64 s[36:37], s[0:1], exec
	s_andn2_saveexec_b64 s[28:29], s[28:29]
	s_cbranch_execz .LBB815_131
.LBB815_196:
	v_mov_b32_e32 v49, 0
	v_sub_u32_e32 v50, v42, v5
	v_mov_b32_e32 v51, v49
	v_mov_b32_e32 v48, v43
	v_lshl_add_u64 v[50:51], v[50:51], 3, v[46:47]
	global_store_dwordx2 v[50:51], v[48:49], off
	v_sub_u32_e32 v50, v40, v5
	v_mov_b32_e32 v51, v49
	v_mov_b32_e32 v48, v41
	v_lshl_add_u64 v[50:51], v[50:51], 3, v[46:47]
	global_store_dwordx2 v[50:51], v[48:49], off
	;; [unrolled: 5-line block ×12, first 2 shown]
	v_sub_u32_e32 v50, v16, v5
	v_mov_b32_e32 v51, v49
	v_mov_b32_e32 v48, v17
	v_lshl_add_u64 v[50:51], v[50:51], 3, v[46:47]
	s_or_b64 s[36:37], s[36:37], exec
	global_store_dwordx2 v[50:51], v[48:49], off
	s_or_b64 exec, exec, s[28:29]
	s_and_b64 exec, exec, s[36:37]
	s_cbranch_execnz .LBB815_132
	s_branch .LBB815_133
.LBB815_197:
	s_and_saveexec_b64 s[36:37], s[26:27]
	s_cbranch_execnz .LBB815_249
; %bb.198:
	s_or_b64 exec, exec, s[36:37]
	s_and_saveexec_b64 s[26:27], s[24:25]
	s_cbranch_execnz .LBB815_250
.LBB815_199:
	s_or_b64 exec, exec, s[26:27]
	s_and_saveexec_b64 s[24:25], s[22:23]
	s_cbranch_execnz .LBB815_251
.LBB815_200:
	s_or_b64 exec, exec, s[24:25]
	s_and_saveexec_b64 s[22:23], s[20:21]
	s_cbranch_execnz .LBB815_252
.LBB815_201:
	s_or_b64 exec, exec, s[22:23]
	s_and_saveexec_b64 s[20:21], s[18:19]
	s_cbranch_execnz .LBB815_253
.LBB815_202:
	s_or_b64 exec, exec, s[20:21]
	s_and_saveexec_b64 s[18:19], s[16:17]
	s_cbranch_execnz .LBB815_254
.LBB815_203:
	s_or_b64 exec, exec, s[18:19]
	s_and_saveexec_b64 s[16:17], s[14:15]
	s_cbranch_execnz .LBB815_255
.LBB815_204:
	s_or_b64 exec, exec, s[16:17]
	s_and_saveexec_b64 s[14:15], s[12:13]
	s_cbranch_execnz .LBB815_256
.LBB815_205:
	s_or_b64 exec, exec, s[14:15]
	s_and_saveexec_b64 s[12:13], s[10:11]
	s_cbranch_execnz .LBB815_257
.LBB815_206:
	s_or_b64 exec, exec, s[12:13]
	s_and_saveexec_b64 s[10:11], s[8:9]
	s_cbranch_execnz .LBB815_258
.LBB815_207:
	s_or_b64 exec, exec, s[10:11]
	s_and_saveexec_b64 s[8:9], s[6:7]
	s_cbranch_execnz .LBB815_259
.LBB815_208:
	s_or_b64 exec, exec, s[8:9]
	s_and_saveexec_b64 s[6:7], s[4:5]
	s_cbranch_execnz .LBB815_260
.LBB815_209:
	s_or_b64 exec, exec, s[6:7]
	s_and_saveexec_b64 s[4:5], s[2:3]
	s_cbranch_execz .LBB815_211
.LBB815_210:
	v_sub_u32_e32 v15, v16, v5
	v_lshlrev_b32_e32 v15, 2, v15
	ds_write_b32 v15, v17
.LBB815_211:
	s_or_b64 exec, exec, s[4:5]
	s_and_b64 s[36:37], s[0:1], exec
                                        ; implicit-def: $vgpr16_vgpr17
                                        ; implicit-def: $vgpr20_vgpr21
                                        ; implicit-def: $vgpr22_vgpr23
                                        ; implicit-def: $vgpr42_vgpr43
                                        ; implicit-def: $vgpr40_vgpr41
                                        ; implicit-def: $vgpr38_vgpr39
                                        ; implicit-def: $vgpr36_vgpr37
                                        ; implicit-def: $vgpr34_vgpr35
                                        ; implicit-def: $vgpr32_vgpr33
                                        ; implicit-def: $vgpr30_vgpr31
                                        ; implicit-def: $vgpr28_vgpr29
                                        ; implicit-def: $vgpr26_vgpr27
                                        ; implicit-def: $vgpr24_vgpr25
	s_andn2_saveexec_b64 s[0:1], s[30:31]
	s_cbranch_execz .LBB815_138
.LBB815_212:
	v_sub_u32_e32 v15, v42, v5
	v_lshlrev_b32_e32 v15, 2, v15
	ds_write_b32 v15, v43
	v_sub_u32_e32 v15, v40, v5
	v_lshlrev_b32_e32 v15, 2, v15
	ds_write_b32 v15, v41
	;; [unrolled: 3-line block ×12, first 2 shown]
	v_sub_u32_e32 v15, v16, v5
	v_lshlrev_b32_e32 v15, 2, v15
	s_or_b64 s[36:37], s[36:37], exec
	ds_write_b32 v15, v17
	s_or_b64 exec, exec, s[0:1]
	s_and_b64 exec, exec, s[36:37]
	s_cbranch_execnz .LBB815_139
	s_branch .LBB815_140
.LBB815_213:
	v_sub_u32_e32 v62, v42, v6
	v_mov_b32_e32 v63, 0
	v_lshl_add_u64 v[62:63], v[62:63], 1, v[46:47]
	global_store_short v[62:63], v12, off
	s_or_b64 exec, exec, s[38:39]
	s_and_saveexec_b64 s[38:39], s[26:27]
	s_cbranch_execz .LBB815_151
.LBB815_214:
	v_sub_u32_e32 v62, v40, v6
	v_mov_b32_e32 v63, 0
	v_lshl_add_u64 v[62:63], v[62:63], 1, v[46:47]
	global_store_short_d16_hi v[62:63], v12, off
	s_or_b64 exec, exec, s[38:39]
	s_and_saveexec_b64 s[38:39], s[24:25]
	s_cbranch_execz .LBB815_152
.LBB815_215:
	v_sub_u32_e32 v62, v38, v6
	v_mov_b32_e32 v63, 0
	v_lshl_add_u64 v[62:63], v[62:63], 1, v[46:47]
	global_store_short v[62:63], v13, off
	s_or_b64 exec, exec, s[38:39]
	s_and_saveexec_b64 s[38:39], s[22:23]
	s_cbranch_execz .LBB815_153
.LBB815_216:
	v_sub_u32_e32 v62, v36, v6
	v_mov_b32_e32 v63, 0
	v_lshl_add_u64 v[62:63], v[62:63], 1, v[46:47]
	global_store_short_d16_hi v[62:63], v13, off
	s_or_b64 exec, exec, s[38:39]
	s_and_saveexec_b64 s[38:39], s[20:21]
	s_cbranch_execz .LBB815_154
.LBB815_217:
	v_sub_u32_e32 v62, v34, v6
	v_mov_b32_e32 v63, 0
	v_lshl_add_u64 v[62:63], v[62:63], 1, v[46:47]
	global_store_short v[62:63], v10, off
	s_or_b64 exec, exec, s[38:39]
	s_and_saveexec_b64 s[38:39], s[18:19]
	s_cbranch_execz .LBB815_155
.LBB815_218:
	v_sub_u32_e32 v62, v32, v6
	v_mov_b32_e32 v63, 0
	v_lshl_add_u64 v[62:63], v[62:63], 1, v[46:47]
	global_store_short_d16_hi v[62:63], v10, off
	s_or_b64 exec, exec, s[38:39]
	s_and_saveexec_b64 s[38:39], s[16:17]
	s_cbranch_execz .LBB815_156
.LBB815_219:
	v_sub_u32_e32 v62, v30, v6
	v_mov_b32_e32 v63, 0
	v_lshl_add_u64 v[62:63], v[62:63], 1, v[46:47]
	global_store_short v[62:63], v11, off
	s_or_b64 exec, exec, s[38:39]
	s_and_saveexec_b64 s[38:39], s[14:15]
	s_cbranch_execz .LBB815_157
.LBB815_220:
	v_sub_u32_e32 v62, v28, v6
	v_mov_b32_e32 v63, 0
	v_lshl_add_u64 v[62:63], v[62:63], 1, v[46:47]
	global_store_short_d16_hi v[62:63], v11, off
	s_or_b64 exec, exec, s[38:39]
	s_and_saveexec_b64 s[38:39], s[12:13]
	s_cbranch_execz .LBB815_158
.LBB815_221:
	v_sub_u32_e32 v62, v26, v6
	v_mov_b32_e32 v63, 0
	v_lshl_add_u64 v[62:63], v[62:63], 1, v[46:47]
	global_store_short v[62:63], v8, off
	s_or_b64 exec, exec, s[38:39]
	s_and_saveexec_b64 s[38:39], s[10:11]
	s_cbranch_execz .LBB815_159
.LBB815_222:
	v_sub_u32_e32 v62, v24, v6
	v_mov_b32_e32 v63, 0
	v_lshl_add_u64 v[62:63], v[62:63], 1, v[46:47]
	global_store_short_d16_hi v[62:63], v8, off
	s_or_b64 exec, exec, s[38:39]
	s_and_saveexec_b64 s[38:39], s[8:9]
	s_cbranch_execz .LBB815_160
.LBB815_223:
	v_sub_u32_e32 v62, v22, v6
	v_mov_b32_e32 v63, 0
	v_lshl_add_u64 v[62:63], v[62:63], 1, v[46:47]
	global_store_short v[62:63], v9, off
	s_or_b64 exec, exec, s[38:39]
	s_and_saveexec_b64 s[38:39], s[6:7]
	s_cbranch_execz .LBB815_161
.LBB815_224:
	v_sub_u32_e32 v62, v20, v6
	v_mov_b32_e32 v63, 0
	v_lshl_add_u64 v[62:63], v[62:63], 1, v[46:47]
	global_store_short_d16_hi v[62:63], v9, off
	s_or_b64 exec, exec, s[38:39]
	s_and_saveexec_b64 s[38:39], s[4:5]
	s_cbranch_execnz .LBB815_162
	s_branch .LBB815_163
.LBB815_225:
	v_sub_u32_e32 v2, v42, v6
	v_lshlrev_b32_e32 v2, 1, v2
	ds_write_b16 v2, v12
	s_or_b64 exec, exec, s[38:39]
	s_and_saveexec_b64 s[28:29], s[26:27]
	s_cbranch_execz .LBB815_167
.LBB815_226:
	v_sub_u32_e32 v2, v40, v6
	v_lshlrev_b32_e32 v2, 1, v2
	ds_write_b16_d16_hi v2, v12
	s_or_b64 exec, exec, s[28:29]
	s_and_saveexec_b64 s[26:27], s[24:25]
	s_cbranch_execz .LBB815_168
.LBB815_227:
	v_sub_u32_e32 v2, v38, v6
	v_lshlrev_b32_e32 v2, 1, v2
	ds_write_b16 v2, v13
	s_or_b64 exec, exec, s[26:27]
	s_and_saveexec_b64 s[24:25], s[22:23]
	s_cbranch_execz .LBB815_169
.LBB815_228:
	v_sub_u32_e32 v2, v36, v6
	v_lshlrev_b32_e32 v2, 1, v2
	ds_write_b16_d16_hi v2, v13
	s_or_b64 exec, exec, s[24:25]
	s_and_saveexec_b64 s[22:23], s[20:21]
	s_cbranch_execz .LBB815_170
.LBB815_229:
	v_sub_u32_e32 v2, v34, v6
	v_lshlrev_b32_e32 v2, 1, v2
	ds_write_b16 v2, v10
	s_or_b64 exec, exec, s[22:23]
	s_and_saveexec_b64 s[20:21], s[18:19]
	s_cbranch_execz .LBB815_171
.LBB815_230:
	v_sub_u32_e32 v2, v32, v6
	v_lshlrev_b32_e32 v2, 1, v2
	ds_write_b16_d16_hi v2, v10
	s_or_b64 exec, exec, s[20:21]
	s_and_saveexec_b64 s[18:19], s[16:17]
	s_cbranch_execz .LBB815_172
.LBB815_231:
	v_sub_u32_e32 v2, v30, v6
	v_lshlrev_b32_e32 v2, 1, v2
	ds_write_b16 v2, v11
	s_or_b64 exec, exec, s[18:19]
	s_and_saveexec_b64 s[16:17], s[14:15]
	s_cbranch_execz .LBB815_173
.LBB815_232:
	v_sub_u32_e32 v2, v28, v6
	v_lshlrev_b32_e32 v2, 1, v2
	ds_write_b16_d16_hi v2, v11
	s_or_b64 exec, exec, s[16:17]
	s_and_saveexec_b64 s[14:15], s[12:13]
	s_cbranch_execz .LBB815_174
.LBB815_233:
	v_sub_u32_e32 v2, v26, v6
	v_lshlrev_b32_e32 v2, 1, v2
	ds_write_b16 v2, v8
	s_or_b64 exec, exec, s[14:15]
	s_and_saveexec_b64 s[12:13], s[10:11]
	s_cbranch_execz .LBB815_175
.LBB815_234:
	v_sub_u32_e32 v2, v24, v6
	v_lshlrev_b32_e32 v2, 1, v2
	ds_write_b16_d16_hi v2, v8
	s_or_b64 exec, exec, s[12:13]
	s_and_saveexec_b64 s[10:11], s[8:9]
	s_cbranch_execz .LBB815_176
.LBB815_235:
	v_sub_u32_e32 v2, v22, v6
	v_lshlrev_b32_e32 v2, 1, v2
	ds_write_b16 v2, v9
	s_or_b64 exec, exec, s[10:11]
	s_and_saveexec_b64 s[8:9], s[6:7]
	s_cbranch_execz .LBB815_177
.LBB815_236:
	v_sub_u32_e32 v2, v20, v6
	v_lshlrev_b32_e32 v2, 1, v2
	ds_write_b16_d16_hi v2, v9
	s_or_b64 exec, exec, s[8:9]
	s_and_saveexec_b64 s[6:7], s[4:5]
	s_cbranch_execnz .LBB815_178
	s_branch .LBB815_179
.LBB815_237:
	v_sub_u32_e32 v48, v42, v5
	v_mov_b32_e32 v49, 0
	v_lshl_add_u64 v[50:51], v[48:49], 3, v[46:47]
	v_mov_b32_e32 v48, v43
	global_store_dwordx2 v[50:51], v[48:49], off
	s_or_b64 exec, exec, s[36:37]
	s_and_saveexec_b64 s[36:37], s[24:25]
	s_cbranch_execz .LBB815_183
.LBB815_238:
	v_sub_u32_e32 v48, v40, v5
	v_mov_b32_e32 v49, 0
	v_lshl_add_u64 v[50:51], v[48:49], 3, v[46:47]
	v_mov_b32_e32 v48, v41
	global_store_dwordx2 v[50:51], v[48:49], off
	s_or_b64 exec, exec, s[36:37]
	s_and_saveexec_b64 s[36:37], s[22:23]
	s_cbranch_execz .LBB815_184
.LBB815_239:
	v_sub_u32_e32 v48, v38, v5
	v_mov_b32_e32 v49, 0
	v_lshl_add_u64 v[50:51], v[48:49], 3, v[46:47]
	v_mov_b32_e32 v48, v39
	global_store_dwordx2 v[50:51], v[48:49], off
	s_or_b64 exec, exec, s[36:37]
	s_and_saveexec_b64 s[36:37], s[20:21]
	s_cbranch_execz .LBB815_185
.LBB815_240:
	v_sub_u32_e32 v48, v36, v5
	v_mov_b32_e32 v49, 0
	v_lshl_add_u64 v[50:51], v[48:49], 3, v[46:47]
	v_mov_b32_e32 v48, v37
	global_store_dwordx2 v[50:51], v[48:49], off
	s_or_b64 exec, exec, s[36:37]
	s_and_saveexec_b64 s[36:37], s[18:19]
	s_cbranch_execz .LBB815_186
.LBB815_241:
	v_sub_u32_e32 v48, v34, v5
	v_mov_b32_e32 v49, 0
	v_lshl_add_u64 v[50:51], v[48:49], 3, v[46:47]
	v_mov_b32_e32 v48, v35
	global_store_dwordx2 v[50:51], v[48:49], off
	s_or_b64 exec, exec, s[36:37]
	s_and_saveexec_b64 s[36:37], s[16:17]
	s_cbranch_execz .LBB815_187
.LBB815_242:
	v_sub_u32_e32 v48, v32, v5
	v_mov_b32_e32 v49, 0
	v_lshl_add_u64 v[50:51], v[48:49], 3, v[46:47]
	v_mov_b32_e32 v48, v33
	global_store_dwordx2 v[50:51], v[48:49], off
	s_or_b64 exec, exec, s[36:37]
	s_and_saveexec_b64 s[36:37], s[14:15]
	s_cbranch_execz .LBB815_188
.LBB815_243:
	v_sub_u32_e32 v48, v30, v5
	v_mov_b32_e32 v49, 0
	v_lshl_add_u64 v[50:51], v[48:49], 3, v[46:47]
	v_mov_b32_e32 v48, v31
	global_store_dwordx2 v[50:51], v[48:49], off
	s_or_b64 exec, exec, s[36:37]
	s_and_saveexec_b64 s[36:37], s[12:13]
	s_cbranch_execz .LBB815_189
.LBB815_244:
	v_sub_u32_e32 v48, v28, v5
	v_mov_b32_e32 v49, 0
	v_lshl_add_u64 v[50:51], v[48:49], 3, v[46:47]
	v_mov_b32_e32 v48, v29
	global_store_dwordx2 v[50:51], v[48:49], off
	s_or_b64 exec, exec, s[36:37]
	s_and_saveexec_b64 s[36:37], s[10:11]
	s_cbranch_execz .LBB815_190
.LBB815_245:
	v_sub_u32_e32 v48, v26, v5
	v_mov_b32_e32 v49, 0
	v_lshl_add_u64 v[50:51], v[48:49], 3, v[46:47]
	v_mov_b32_e32 v48, v27
	global_store_dwordx2 v[50:51], v[48:49], off
	s_or_b64 exec, exec, s[36:37]
	s_and_saveexec_b64 s[36:37], s[8:9]
	s_cbranch_execz .LBB815_191
.LBB815_246:
	v_sub_u32_e32 v48, v24, v5
	v_mov_b32_e32 v49, 0
	v_lshl_add_u64 v[50:51], v[48:49], 3, v[46:47]
	v_mov_b32_e32 v48, v25
	global_store_dwordx2 v[50:51], v[48:49], off
	s_or_b64 exec, exec, s[36:37]
	s_and_saveexec_b64 s[36:37], s[6:7]
	s_cbranch_execz .LBB815_192
.LBB815_247:
	v_sub_u32_e32 v48, v22, v5
	v_mov_b32_e32 v49, 0
	v_lshl_add_u64 v[50:51], v[48:49], 3, v[46:47]
	v_mov_b32_e32 v48, v23
	global_store_dwordx2 v[50:51], v[48:49], off
	s_or_b64 exec, exec, s[36:37]
	s_and_saveexec_b64 s[36:37], s[4:5]
	s_cbranch_execz .LBB815_193
.LBB815_248:
	v_sub_u32_e32 v48, v20, v5
	v_mov_b32_e32 v49, 0
	v_lshl_add_u64 v[50:51], v[48:49], 3, v[46:47]
	v_mov_b32_e32 v48, v21
	global_store_dwordx2 v[50:51], v[48:49], off
	s_or_b64 exec, exec, s[36:37]
	s_and_saveexec_b64 s[36:37], s[2:3]
	s_cbranch_execnz .LBB815_194
	s_branch .LBB815_195
.LBB815_249:
	v_sub_u32_e32 v15, v42, v5
	v_lshlrev_b32_e32 v15, 2, v15
	ds_write_b32 v15, v43
	s_or_b64 exec, exec, s[36:37]
	s_and_saveexec_b64 s[26:27], s[24:25]
	s_cbranch_execz .LBB815_199
.LBB815_250:
	v_sub_u32_e32 v15, v40, v5
	v_lshlrev_b32_e32 v15, 2, v15
	ds_write_b32 v15, v41
	s_or_b64 exec, exec, s[26:27]
	s_and_saveexec_b64 s[24:25], s[22:23]
	s_cbranch_execz .LBB815_200
.LBB815_251:
	v_sub_u32_e32 v15, v38, v5
	v_lshlrev_b32_e32 v15, 2, v15
	ds_write_b32 v15, v39
	s_or_b64 exec, exec, s[24:25]
	s_and_saveexec_b64 s[22:23], s[20:21]
	s_cbranch_execz .LBB815_201
.LBB815_252:
	v_sub_u32_e32 v15, v36, v5
	v_lshlrev_b32_e32 v15, 2, v15
	ds_write_b32 v15, v37
	s_or_b64 exec, exec, s[22:23]
	s_and_saveexec_b64 s[20:21], s[18:19]
	s_cbranch_execz .LBB815_202
.LBB815_253:
	v_sub_u32_e32 v15, v34, v5
	v_lshlrev_b32_e32 v15, 2, v15
	ds_write_b32 v15, v35
	s_or_b64 exec, exec, s[20:21]
	s_and_saveexec_b64 s[18:19], s[16:17]
	s_cbranch_execz .LBB815_203
.LBB815_254:
	v_sub_u32_e32 v15, v32, v5
	v_lshlrev_b32_e32 v15, 2, v15
	ds_write_b32 v15, v33
	s_or_b64 exec, exec, s[18:19]
	s_and_saveexec_b64 s[16:17], s[14:15]
	s_cbranch_execz .LBB815_204
.LBB815_255:
	v_sub_u32_e32 v15, v30, v5
	v_lshlrev_b32_e32 v15, 2, v15
	ds_write_b32 v15, v31
	s_or_b64 exec, exec, s[16:17]
	s_and_saveexec_b64 s[14:15], s[12:13]
	s_cbranch_execz .LBB815_205
.LBB815_256:
	v_sub_u32_e32 v15, v28, v5
	v_lshlrev_b32_e32 v15, 2, v15
	ds_write_b32 v15, v29
	s_or_b64 exec, exec, s[14:15]
	s_and_saveexec_b64 s[12:13], s[10:11]
	s_cbranch_execz .LBB815_206
.LBB815_257:
	v_sub_u32_e32 v15, v26, v5
	v_lshlrev_b32_e32 v15, 2, v15
	ds_write_b32 v15, v27
	s_or_b64 exec, exec, s[12:13]
	s_and_saveexec_b64 s[10:11], s[8:9]
	s_cbranch_execz .LBB815_207
.LBB815_258:
	v_sub_u32_e32 v15, v24, v5
	v_lshlrev_b32_e32 v15, 2, v15
	ds_write_b32 v15, v25
	s_or_b64 exec, exec, s[10:11]
	s_and_saveexec_b64 s[8:9], s[6:7]
	s_cbranch_execz .LBB815_208
.LBB815_259:
	v_sub_u32_e32 v15, v22, v5
	v_lshlrev_b32_e32 v15, 2, v15
	ds_write_b32 v15, v23
	s_or_b64 exec, exec, s[8:9]
	s_and_saveexec_b64 s[6:7], s[4:5]
	s_cbranch_execz .LBB815_209
.LBB815_260:
	v_sub_u32_e32 v15, v20, v5
	v_lshlrev_b32_e32 v15, 2, v15
	ds_write_b32 v15, v21
	s_or_b64 exec, exec, s[6:7]
	s_and_saveexec_b64 s[4:5], s[2:3]
	s_cbranch_execnz .LBB815_210
	s_branch .LBB815_211
	.section	.rodata,"a",@progbits
	.p2align	6, 0x0
	.amdhsa_kernel _ZN7rocprim17ROCPRIM_400000_NS6detail17trampoline_kernelINS0_14default_configENS1_33run_length_encode_config_selectorItjNS0_4plusIjEEEEZZNS1_33reduce_by_key_impl_wrapped_configILNS1_25lookback_scan_determinismE0ES3_S7_PKtNS0_17constant_iteratorIjlEEPtPlSF_S6_NS0_8equal_toItEEEE10hipError_tPvRmT2_T3_mT4_T5_T6_T7_T8_P12ihipStream_tbENKUlT_T0_E_clISt17integral_constantIbLb0EESY_IbLb1EEEEDaSU_SV_EUlSU_E_NS1_11comp_targetILNS1_3genE5ELNS1_11target_archE942ELNS1_3gpuE9ELNS1_3repE0EEENS1_30default_config_static_selectorELNS0_4arch9wavefront6targetE1EEEvT1_
		.amdhsa_group_segment_fixed_size 28672
		.amdhsa_private_segment_fixed_size 0
		.amdhsa_kernarg_size 128
		.amdhsa_user_sgpr_count 2
		.amdhsa_user_sgpr_dispatch_ptr 0
		.amdhsa_user_sgpr_queue_ptr 0
		.amdhsa_user_sgpr_kernarg_segment_ptr 1
		.amdhsa_user_sgpr_dispatch_id 0
		.amdhsa_user_sgpr_kernarg_preload_length 0
		.amdhsa_user_sgpr_kernarg_preload_offset 0
		.amdhsa_user_sgpr_private_segment_size 0
		.amdhsa_uses_dynamic_stack 0
		.amdhsa_enable_private_segment 0
		.amdhsa_system_sgpr_workgroup_id_x 1
		.amdhsa_system_sgpr_workgroup_id_y 0
		.amdhsa_system_sgpr_workgroup_id_z 0
		.amdhsa_system_sgpr_workgroup_info 0
		.amdhsa_system_vgpr_workitem_id 0
		.amdhsa_next_free_vgpr 105
		.amdhsa_next_free_sgpr 64
		.amdhsa_accum_offset 108
		.amdhsa_reserve_vcc 1
		.amdhsa_float_round_mode_32 0
		.amdhsa_float_round_mode_16_64 0
		.amdhsa_float_denorm_mode_32 3
		.amdhsa_float_denorm_mode_16_64 3
		.amdhsa_dx10_clamp 1
		.amdhsa_ieee_mode 1
		.amdhsa_fp16_overflow 0
		.amdhsa_tg_split 0
		.amdhsa_exception_fp_ieee_invalid_op 0
		.amdhsa_exception_fp_denorm_src 0
		.amdhsa_exception_fp_ieee_div_zero 0
		.amdhsa_exception_fp_ieee_overflow 0
		.amdhsa_exception_fp_ieee_underflow 0
		.amdhsa_exception_fp_ieee_inexact 0
		.amdhsa_exception_int_div_zero 0
	.end_amdhsa_kernel
	.section	.text._ZN7rocprim17ROCPRIM_400000_NS6detail17trampoline_kernelINS0_14default_configENS1_33run_length_encode_config_selectorItjNS0_4plusIjEEEEZZNS1_33reduce_by_key_impl_wrapped_configILNS1_25lookback_scan_determinismE0ES3_S7_PKtNS0_17constant_iteratorIjlEEPtPlSF_S6_NS0_8equal_toItEEEE10hipError_tPvRmT2_T3_mT4_T5_T6_T7_T8_P12ihipStream_tbENKUlT_T0_E_clISt17integral_constantIbLb0EESY_IbLb1EEEEDaSU_SV_EUlSU_E_NS1_11comp_targetILNS1_3genE5ELNS1_11target_archE942ELNS1_3gpuE9ELNS1_3repE0EEENS1_30default_config_static_selectorELNS0_4arch9wavefront6targetE1EEEvT1_,"axG",@progbits,_ZN7rocprim17ROCPRIM_400000_NS6detail17trampoline_kernelINS0_14default_configENS1_33run_length_encode_config_selectorItjNS0_4plusIjEEEEZZNS1_33reduce_by_key_impl_wrapped_configILNS1_25lookback_scan_determinismE0ES3_S7_PKtNS0_17constant_iteratorIjlEEPtPlSF_S6_NS0_8equal_toItEEEE10hipError_tPvRmT2_T3_mT4_T5_T6_T7_T8_P12ihipStream_tbENKUlT_T0_E_clISt17integral_constantIbLb0EESY_IbLb1EEEEDaSU_SV_EUlSU_E_NS1_11comp_targetILNS1_3genE5ELNS1_11target_archE942ELNS1_3gpuE9ELNS1_3repE0EEENS1_30default_config_static_selectorELNS0_4arch9wavefront6targetE1EEEvT1_,comdat
.Lfunc_end815:
	.size	_ZN7rocprim17ROCPRIM_400000_NS6detail17trampoline_kernelINS0_14default_configENS1_33run_length_encode_config_selectorItjNS0_4plusIjEEEEZZNS1_33reduce_by_key_impl_wrapped_configILNS1_25lookback_scan_determinismE0ES3_S7_PKtNS0_17constant_iteratorIjlEEPtPlSF_S6_NS0_8equal_toItEEEE10hipError_tPvRmT2_T3_mT4_T5_T6_T7_T8_P12ihipStream_tbENKUlT_T0_E_clISt17integral_constantIbLb0EESY_IbLb1EEEEDaSU_SV_EUlSU_E_NS1_11comp_targetILNS1_3genE5ELNS1_11target_archE942ELNS1_3gpuE9ELNS1_3repE0EEENS1_30default_config_static_selectorELNS0_4arch9wavefront6targetE1EEEvT1_, .Lfunc_end815-_ZN7rocprim17ROCPRIM_400000_NS6detail17trampoline_kernelINS0_14default_configENS1_33run_length_encode_config_selectorItjNS0_4plusIjEEEEZZNS1_33reduce_by_key_impl_wrapped_configILNS1_25lookback_scan_determinismE0ES3_S7_PKtNS0_17constant_iteratorIjlEEPtPlSF_S6_NS0_8equal_toItEEEE10hipError_tPvRmT2_T3_mT4_T5_T6_T7_T8_P12ihipStream_tbENKUlT_T0_E_clISt17integral_constantIbLb0EESY_IbLb1EEEEDaSU_SV_EUlSU_E_NS1_11comp_targetILNS1_3genE5ELNS1_11target_archE942ELNS1_3gpuE9ELNS1_3repE0EEENS1_30default_config_static_selectorELNS0_4arch9wavefront6targetE1EEEvT1_
                                        ; -- End function
	.section	.AMDGPU.csdata,"",@progbits
; Kernel info:
; codeLenInByte = 14488
; NumSgprs: 70
; NumVgprs: 105
; NumAgprs: 0
; TotalNumVgprs: 105
; ScratchSize: 0
; MemoryBound: 0
; FloatMode: 240
; IeeeMode: 1
; LDSByteSize: 28672 bytes/workgroup (compile time only)
; SGPRBlocks: 8
; VGPRBlocks: 13
; NumSGPRsForWavesPerEU: 70
; NumVGPRsForWavesPerEU: 105
; AccumOffset: 108
; Occupancy: 4
; WaveLimiterHint : 1
; COMPUTE_PGM_RSRC2:SCRATCH_EN: 0
; COMPUTE_PGM_RSRC2:USER_SGPR: 2
; COMPUTE_PGM_RSRC2:TRAP_HANDLER: 0
; COMPUTE_PGM_RSRC2:TGID_X_EN: 1
; COMPUTE_PGM_RSRC2:TGID_Y_EN: 0
; COMPUTE_PGM_RSRC2:TGID_Z_EN: 0
; COMPUTE_PGM_RSRC2:TIDIG_COMP_CNT: 0
; COMPUTE_PGM_RSRC3_GFX90A:ACCUM_OFFSET: 26
; COMPUTE_PGM_RSRC3_GFX90A:TG_SPLIT: 0
	.section	.text._ZN7rocprim17ROCPRIM_400000_NS6detail17trampoline_kernelINS0_14default_configENS1_33run_length_encode_config_selectorItjNS0_4plusIjEEEEZZNS1_33reduce_by_key_impl_wrapped_configILNS1_25lookback_scan_determinismE0ES3_S7_PKtNS0_17constant_iteratorIjlEEPtPlSF_S6_NS0_8equal_toItEEEE10hipError_tPvRmT2_T3_mT4_T5_T6_T7_T8_P12ihipStream_tbENKUlT_T0_E_clISt17integral_constantIbLb0EESY_IbLb1EEEEDaSU_SV_EUlSU_E_NS1_11comp_targetILNS1_3genE4ELNS1_11target_archE910ELNS1_3gpuE8ELNS1_3repE0EEENS1_30default_config_static_selectorELNS0_4arch9wavefront6targetE1EEEvT1_,"axG",@progbits,_ZN7rocprim17ROCPRIM_400000_NS6detail17trampoline_kernelINS0_14default_configENS1_33run_length_encode_config_selectorItjNS0_4plusIjEEEEZZNS1_33reduce_by_key_impl_wrapped_configILNS1_25lookback_scan_determinismE0ES3_S7_PKtNS0_17constant_iteratorIjlEEPtPlSF_S6_NS0_8equal_toItEEEE10hipError_tPvRmT2_T3_mT4_T5_T6_T7_T8_P12ihipStream_tbENKUlT_T0_E_clISt17integral_constantIbLb0EESY_IbLb1EEEEDaSU_SV_EUlSU_E_NS1_11comp_targetILNS1_3genE4ELNS1_11target_archE910ELNS1_3gpuE8ELNS1_3repE0EEENS1_30default_config_static_selectorELNS0_4arch9wavefront6targetE1EEEvT1_,comdat
	.protected	_ZN7rocprim17ROCPRIM_400000_NS6detail17trampoline_kernelINS0_14default_configENS1_33run_length_encode_config_selectorItjNS0_4plusIjEEEEZZNS1_33reduce_by_key_impl_wrapped_configILNS1_25lookback_scan_determinismE0ES3_S7_PKtNS0_17constant_iteratorIjlEEPtPlSF_S6_NS0_8equal_toItEEEE10hipError_tPvRmT2_T3_mT4_T5_T6_T7_T8_P12ihipStream_tbENKUlT_T0_E_clISt17integral_constantIbLb0EESY_IbLb1EEEEDaSU_SV_EUlSU_E_NS1_11comp_targetILNS1_3genE4ELNS1_11target_archE910ELNS1_3gpuE8ELNS1_3repE0EEENS1_30default_config_static_selectorELNS0_4arch9wavefront6targetE1EEEvT1_ ; -- Begin function _ZN7rocprim17ROCPRIM_400000_NS6detail17trampoline_kernelINS0_14default_configENS1_33run_length_encode_config_selectorItjNS0_4plusIjEEEEZZNS1_33reduce_by_key_impl_wrapped_configILNS1_25lookback_scan_determinismE0ES3_S7_PKtNS0_17constant_iteratorIjlEEPtPlSF_S6_NS0_8equal_toItEEEE10hipError_tPvRmT2_T3_mT4_T5_T6_T7_T8_P12ihipStream_tbENKUlT_T0_E_clISt17integral_constantIbLb0EESY_IbLb1EEEEDaSU_SV_EUlSU_E_NS1_11comp_targetILNS1_3genE4ELNS1_11target_archE910ELNS1_3gpuE8ELNS1_3repE0EEENS1_30default_config_static_selectorELNS0_4arch9wavefront6targetE1EEEvT1_
	.globl	_ZN7rocprim17ROCPRIM_400000_NS6detail17trampoline_kernelINS0_14default_configENS1_33run_length_encode_config_selectorItjNS0_4plusIjEEEEZZNS1_33reduce_by_key_impl_wrapped_configILNS1_25lookback_scan_determinismE0ES3_S7_PKtNS0_17constant_iteratorIjlEEPtPlSF_S6_NS0_8equal_toItEEEE10hipError_tPvRmT2_T3_mT4_T5_T6_T7_T8_P12ihipStream_tbENKUlT_T0_E_clISt17integral_constantIbLb0EESY_IbLb1EEEEDaSU_SV_EUlSU_E_NS1_11comp_targetILNS1_3genE4ELNS1_11target_archE910ELNS1_3gpuE8ELNS1_3repE0EEENS1_30default_config_static_selectorELNS0_4arch9wavefront6targetE1EEEvT1_
	.p2align	8
	.type	_ZN7rocprim17ROCPRIM_400000_NS6detail17trampoline_kernelINS0_14default_configENS1_33run_length_encode_config_selectorItjNS0_4plusIjEEEEZZNS1_33reduce_by_key_impl_wrapped_configILNS1_25lookback_scan_determinismE0ES3_S7_PKtNS0_17constant_iteratorIjlEEPtPlSF_S6_NS0_8equal_toItEEEE10hipError_tPvRmT2_T3_mT4_T5_T6_T7_T8_P12ihipStream_tbENKUlT_T0_E_clISt17integral_constantIbLb0EESY_IbLb1EEEEDaSU_SV_EUlSU_E_NS1_11comp_targetILNS1_3genE4ELNS1_11target_archE910ELNS1_3gpuE8ELNS1_3repE0EEENS1_30default_config_static_selectorELNS0_4arch9wavefront6targetE1EEEvT1_,@function
_ZN7rocprim17ROCPRIM_400000_NS6detail17trampoline_kernelINS0_14default_configENS1_33run_length_encode_config_selectorItjNS0_4plusIjEEEEZZNS1_33reduce_by_key_impl_wrapped_configILNS1_25lookback_scan_determinismE0ES3_S7_PKtNS0_17constant_iteratorIjlEEPtPlSF_S6_NS0_8equal_toItEEEE10hipError_tPvRmT2_T3_mT4_T5_T6_T7_T8_P12ihipStream_tbENKUlT_T0_E_clISt17integral_constantIbLb0EESY_IbLb1EEEEDaSU_SV_EUlSU_E_NS1_11comp_targetILNS1_3genE4ELNS1_11target_archE910ELNS1_3gpuE8ELNS1_3repE0EEENS1_30default_config_static_selectorELNS0_4arch9wavefront6targetE1EEEvT1_: ; @_ZN7rocprim17ROCPRIM_400000_NS6detail17trampoline_kernelINS0_14default_configENS1_33run_length_encode_config_selectorItjNS0_4plusIjEEEEZZNS1_33reduce_by_key_impl_wrapped_configILNS1_25lookback_scan_determinismE0ES3_S7_PKtNS0_17constant_iteratorIjlEEPtPlSF_S6_NS0_8equal_toItEEEE10hipError_tPvRmT2_T3_mT4_T5_T6_T7_T8_P12ihipStream_tbENKUlT_T0_E_clISt17integral_constantIbLb0EESY_IbLb1EEEEDaSU_SV_EUlSU_E_NS1_11comp_targetILNS1_3genE4ELNS1_11target_archE910ELNS1_3gpuE8ELNS1_3repE0EEENS1_30default_config_static_selectorELNS0_4arch9wavefront6targetE1EEEvT1_
; %bb.0:
	.section	.rodata,"a",@progbits
	.p2align	6, 0x0
	.amdhsa_kernel _ZN7rocprim17ROCPRIM_400000_NS6detail17trampoline_kernelINS0_14default_configENS1_33run_length_encode_config_selectorItjNS0_4plusIjEEEEZZNS1_33reduce_by_key_impl_wrapped_configILNS1_25lookback_scan_determinismE0ES3_S7_PKtNS0_17constant_iteratorIjlEEPtPlSF_S6_NS0_8equal_toItEEEE10hipError_tPvRmT2_T3_mT4_T5_T6_T7_T8_P12ihipStream_tbENKUlT_T0_E_clISt17integral_constantIbLb0EESY_IbLb1EEEEDaSU_SV_EUlSU_E_NS1_11comp_targetILNS1_3genE4ELNS1_11target_archE910ELNS1_3gpuE8ELNS1_3repE0EEENS1_30default_config_static_selectorELNS0_4arch9wavefront6targetE1EEEvT1_
		.amdhsa_group_segment_fixed_size 0
		.amdhsa_private_segment_fixed_size 0
		.amdhsa_kernarg_size 128
		.amdhsa_user_sgpr_count 2
		.amdhsa_user_sgpr_dispatch_ptr 0
		.amdhsa_user_sgpr_queue_ptr 0
		.amdhsa_user_sgpr_kernarg_segment_ptr 1
		.amdhsa_user_sgpr_dispatch_id 0
		.amdhsa_user_sgpr_kernarg_preload_length 0
		.amdhsa_user_sgpr_kernarg_preload_offset 0
		.amdhsa_user_sgpr_private_segment_size 0
		.amdhsa_uses_dynamic_stack 0
		.amdhsa_enable_private_segment 0
		.amdhsa_system_sgpr_workgroup_id_x 1
		.amdhsa_system_sgpr_workgroup_id_y 0
		.amdhsa_system_sgpr_workgroup_id_z 0
		.amdhsa_system_sgpr_workgroup_info 0
		.amdhsa_system_vgpr_workitem_id 0
		.amdhsa_next_free_vgpr 1
		.amdhsa_next_free_sgpr 0
		.amdhsa_accum_offset 4
		.amdhsa_reserve_vcc 0
		.amdhsa_float_round_mode_32 0
		.amdhsa_float_round_mode_16_64 0
		.amdhsa_float_denorm_mode_32 3
		.amdhsa_float_denorm_mode_16_64 3
		.amdhsa_dx10_clamp 1
		.amdhsa_ieee_mode 1
		.amdhsa_fp16_overflow 0
		.amdhsa_tg_split 0
		.amdhsa_exception_fp_ieee_invalid_op 0
		.amdhsa_exception_fp_denorm_src 0
		.amdhsa_exception_fp_ieee_div_zero 0
		.amdhsa_exception_fp_ieee_overflow 0
		.amdhsa_exception_fp_ieee_underflow 0
		.amdhsa_exception_fp_ieee_inexact 0
		.amdhsa_exception_int_div_zero 0
	.end_amdhsa_kernel
	.section	.text._ZN7rocprim17ROCPRIM_400000_NS6detail17trampoline_kernelINS0_14default_configENS1_33run_length_encode_config_selectorItjNS0_4plusIjEEEEZZNS1_33reduce_by_key_impl_wrapped_configILNS1_25lookback_scan_determinismE0ES3_S7_PKtNS0_17constant_iteratorIjlEEPtPlSF_S6_NS0_8equal_toItEEEE10hipError_tPvRmT2_T3_mT4_T5_T6_T7_T8_P12ihipStream_tbENKUlT_T0_E_clISt17integral_constantIbLb0EESY_IbLb1EEEEDaSU_SV_EUlSU_E_NS1_11comp_targetILNS1_3genE4ELNS1_11target_archE910ELNS1_3gpuE8ELNS1_3repE0EEENS1_30default_config_static_selectorELNS0_4arch9wavefront6targetE1EEEvT1_,"axG",@progbits,_ZN7rocprim17ROCPRIM_400000_NS6detail17trampoline_kernelINS0_14default_configENS1_33run_length_encode_config_selectorItjNS0_4plusIjEEEEZZNS1_33reduce_by_key_impl_wrapped_configILNS1_25lookback_scan_determinismE0ES3_S7_PKtNS0_17constant_iteratorIjlEEPtPlSF_S6_NS0_8equal_toItEEEE10hipError_tPvRmT2_T3_mT4_T5_T6_T7_T8_P12ihipStream_tbENKUlT_T0_E_clISt17integral_constantIbLb0EESY_IbLb1EEEEDaSU_SV_EUlSU_E_NS1_11comp_targetILNS1_3genE4ELNS1_11target_archE910ELNS1_3gpuE8ELNS1_3repE0EEENS1_30default_config_static_selectorELNS0_4arch9wavefront6targetE1EEEvT1_,comdat
.Lfunc_end816:
	.size	_ZN7rocprim17ROCPRIM_400000_NS6detail17trampoline_kernelINS0_14default_configENS1_33run_length_encode_config_selectorItjNS0_4plusIjEEEEZZNS1_33reduce_by_key_impl_wrapped_configILNS1_25lookback_scan_determinismE0ES3_S7_PKtNS0_17constant_iteratorIjlEEPtPlSF_S6_NS0_8equal_toItEEEE10hipError_tPvRmT2_T3_mT4_T5_T6_T7_T8_P12ihipStream_tbENKUlT_T0_E_clISt17integral_constantIbLb0EESY_IbLb1EEEEDaSU_SV_EUlSU_E_NS1_11comp_targetILNS1_3genE4ELNS1_11target_archE910ELNS1_3gpuE8ELNS1_3repE0EEENS1_30default_config_static_selectorELNS0_4arch9wavefront6targetE1EEEvT1_, .Lfunc_end816-_ZN7rocprim17ROCPRIM_400000_NS6detail17trampoline_kernelINS0_14default_configENS1_33run_length_encode_config_selectorItjNS0_4plusIjEEEEZZNS1_33reduce_by_key_impl_wrapped_configILNS1_25lookback_scan_determinismE0ES3_S7_PKtNS0_17constant_iteratorIjlEEPtPlSF_S6_NS0_8equal_toItEEEE10hipError_tPvRmT2_T3_mT4_T5_T6_T7_T8_P12ihipStream_tbENKUlT_T0_E_clISt17integral_constantIbLb0EESY_IbLb1EEEEDaSU_SV_EUlSU_E_NS1_11comp_targetILNS1_3genE4ELNS1_11target_archE910ELNS1_3gpuE8ELNS1_3repE0EEENS1_30default_config_static_selectorELNS0_4arch9wavefront6targetE1EEEvT1_
                                        ; -- End function
	.section	.AMDGPU.csdata,"",@progbits
; Kernel info:
; codeLenInByte = 0
; NumSgprs: 6
; NumVgprs: 0
; NumAgprs: 0
; TotalNumVgprs: 0
; ScratchSize: 0
; MemoryBound: 0
; FloatMode: 240
; IeeeMode: 1
; LDSByteSize: 0 bytes/workgroup (compile time only)
; SGPRBlocks: 0
; VGPRBlocks: 0
; NumSGPRsForWavesPerEU: 6
; NumVGPRsForWavesPerEU: 1
; AccumOffset: 4
; Occupancy: 8
; WaveLimiterHint : 0
; COMPUTE_PGM_RSRC2:SCRATCH_EN: 0
; COMPUTE_PGM_RSRC2:USER_SGPR: 2
; COMPUTE_PGM_RSRC2:TRAP_HANDLER: 0
; COMPUTE_PGM_RSRC2:TGID_X_EN: 1
; COMPUTE_PGM_RSRC2:TGID_Y_EN: 0
; COMPUTE_PGM_RSRC2:TGID_Z_EN: 0
; COMPUTE_PGM_RSRC2:TIDIG_COMP_CNT: 0
; COMPUTE_PGM_RSRC3_GFX90A:ACCUM_OFFSET: 0
; COMPUTE_PGM_RSRC3_GFX90A:TG_SPLIT: 0
	.section	.text._ZN7rocprim17ROCPRIM_400000_NS6detail17trampoline_kernelINS0_14default_configENS1_33run_length_encode_config_selectorItjNS0_4plusIjEEEEZZNS1_33reduce_by_key_impl_wrapped_configILNS1_25lookback_scan_determinismE0ES3_S7_PKtNS0_17constant_iteratorIjlEEPtPlSF_S6_NS0_8equal_toItEEEE10hipError_tPvRmT2_T3_mT4_T5_T6_T7_T8_P12ihipStream_tbENKUlT_T0_E_clISt17integral_constantIbLb0EESY_IbLb1EEEEDaSU_SV_EUlSU_E_NS1_11comp_targetILNS1_3genE3ELNS1_11target_archE908ELNS1_3gpuE7ELNS1_3repE0EEENS1_30default_config_static_selectorELNS0_4arch9wavefront6targetE1EEEvT1_,"axG",@progbits,_ZN7rocprim17ROCPRIM_400000_NS6detail17trampoline_kernelINS0_14default_configENS1_33run_length_encode_config_selectorItjNS0_4plusIjEEEEZZNS1_33reduce_by_key_impl_wrapped_configILNS1_25lookback_scan_determinismE0ES3_S7_PKtNS0_17constant_iteratorIjlEEPtPlSF_S6_NS0_8equal_toItEEEE10hipError_tPvRmT2_T3_mT4_T5_T6_T7_T8_P12ihipStream_tbENKUlT_T0_E_clISt17integral_constantIbLb0EESY_IbLb1EEEEDaSU_SV_EUlSU_E_NS1_11comp_targetILNS1_3genE3ELNS1_11target_archE908ELNS1_3gpuE7ELNS1_3repE0EEENS1_30default_config_static_selectorELNS0_4arch9wavefront6targetE1EEEvT1_,comdat
	.protected	_ZN7rocprim17ROCPRIM_400000_NS6detail17trampoline_kernelINS0_14default_configENS1_33run_length_encode_config_selectorItjNS0_4plusIjEEEEZZNS1_33reduce_by_key_impl_wrapped_configILNS1_25lookback_scan_determinismE0ES3_S7_PKtNS0_17constant_iteratorIjlEEPtPlSF_S6_NS0_8equal_toItEEEE10hipError_tPvRmT2_T3_mT4_T5_T6_T7_T8_P12ihipStream_tbENKUlT_T0_E_clISt17integral_constantIbLb0EESY_IbLb1EEEEDaSU_SV_EUlSU_E_NS1_11comp_targetILNS1_3genE3ELNS1_11target_archE908ELNS1_3gpuE7ELNS1_3repE0EEENS1_30default_config_static_selectorELNS0_4arch9wavefront6targetE1EEEvT1_ ; -- Begin function _ZN7rocprim17ROCPRIM_400000_NS6detail17trampoline_kernelINS0_14default_configENS1_33run_length_encode_config_selectorItjNS0_4plusIjEEEEZZNS1_33reduce_by_key_impl_wrapped_configILNS1_25lookback_scan_determinismE0ES3_S7_PKtNS0_17constant_iteratorIjlEEPtPlSF_S6_NS0_8equal_toItEEEE10hipError_tPvRmT2_T3_mT4_T5_T6_T7_T8_P12ihipStream_tbENKUlT_T0_E_clISt17integral_constantIbLb0EESY_IbLb1EEEEDaSU_SV_EUlSU_E_NS1_11comp_targetILNS1_3genE3ELNS1_11target_archE908ELNS1_3gpuE7ELNS1_3repE0EEENS1_30default_config_static_selectorELNS0_4arch9wavefront6targetE1EEEvT1_
	.globl	_ZN7rocprim17ROCPRIM_400000_NS6detail17trampoline_kernelINS0_14default_configENS1_33run_length_encode_config_selectorItjNS0_4plusIjEEEEZZNS1_33reduce_by_key_impl_wrapped_configILNS1_25lookback_scan_determinismE0ES3_S7_PKtNS0_17constant_iteratorIjlEEPtPlSF_S6_NS0_8equal_toItEEEE10hipError_tPvRmT2_T3_mT4_T5_T6_T7_T8_P12ihipStream_tbENKUlT_T0_E_clISt17integral_constantIbLb0EESY_IbLb1EEEEDaSU_SV_EUlSU_E_NS1_11comp_targetILNS1_3genE3ELNS1_11target_archE908ELNS1_3gpuE7ELNS1_3repE0EEENS1_30default_config_static_selectorELNS0_4arch9wavefront6targetE1EEEvT1_
	.p2align	8
	.type	_ZN7rocprim17ROCPRIM_400000_NS6detail17trampoline_kernelINS0_14default_configENS1_33run_length_encode_config_selectorItjNS0_4plusIjEEEEZZNS1_33reduce_by_key_impl_wrapped_configILNS1_25lookback_scan_determinismE0ES3_S7_PKtNS0_17constant_iteratorIjlEEPtPlSF_S6_NS0_8equal_toItEEEE10hipError_tPvRmT2_T3_mT4_T5_T6_T7_T8_P12ihipStream_tbENKUlT_T0_E_clISt17integral_constantIbLb0EESY_IbLb1EEEEDaSU_SV_EUlSU_E_NS1_11comp_targetILNS1_3genE3ELNS1_11target_archE908ELNS1_3gpuE7ELNS1_3repE0EEENS1_30default_config_static_selectorELNS0_4arch9wavefront6targetE1EEEvT1_,@function
_ZN7rocprim17ROCPRIM_400000_NS6detail17trampoline_kernelINS0_14default_configENS1_33run_length_encode_config_selectorItjNS0_4plusIjEEEEZZNS1_33reduce_by_key_impl_wrapped_configILNS1_25lookback_scan_determinismE0ES3_S7_PKtNS0_17constant_iteratorIjlEEPtPlSF_S6_NS0_8equal_toItEEEE10hipError_tPvRmT2_T3_mT4_T5_T6_T7_T8_P12ihipStream_tbENKUlT_T0_E_clISt17integral_constantIbLb0EESY_IbLb1EEEEDaSU_SV_EUlSU_E_NS1_11comp_targetILNS1_3genE3ELNS1_11target_archE908ELNS1_3gpuE7ELNS1_3repE0EEENS1_30default_config_static_selectorELNS0_4arch9wavefront6targetE1EEEvT1_: ; @_ZN7rocprim17ROCPRIM_400000_NS6detail17trampoline_kernelINS0_14default_configENS1_33run_length_encode_config_selectorItjNS0_4plusIjEEEEZZNS1_33reduce_by_key_impl_wrapped_configILNS1_25lookback_scan_determinismE0ES3_S7_PKtNS0_17constant_iteratorIjlEEPtPlSF_S6_NS0_8equal_toItEEEE10hipError_tPvRmT2_T3_mT4_T5_T6_T7_T8_P12ihipStream_tbENKUlT_T0_E_clISt17integral_constantIbLb0EESY_IbLb1EEEEDaSU_SV_EUlSU_E_NS1_11comp_targetILNS1_3genE3ELNS1_11target_archE908ELNS1_3gpuE7ELNS1_3repE0EEENS1_30default_config_static_selectorELNS0_4arch9wavefront6targetE1EEEvT1_
; %bb.0:
	.section	.rodata,"a",@progbits
	.p2align	6, 0x0
	.amdhsa_kernel _ZN7rocprim17ROCPRIM_400000_NS6detail17trampoline_kernelINS0_14default_configENS1_33run_length_encode_config_selectorItjNS0_4plusIjEEEEZZNS1_33reduce_by_key_impl_wrapped_configILNS1_25lookback_scan_determinismE0ES3_S7_PKtNS0_17constant_iteratorIjlEEPtPlSF_S6_NS0_8equal_toItEEEE10hipError_tPvRmT2_T3_mT4_T5_T6_T7_T8_P12ihipStream_tbENKUlT_T0_E_clISt17integral_constantIbLb0EESY_IbLb1EEEEDaSU_SV_EUlSU_E_NS1_11comp_targetILNS1_3genE3ELNS1_11target_archE908ELNS1_3gpuE7ELNS1_3repE0EEENS1_30default_config_static_selectorELNS0_4arch9wavefront6targetE1EEEvT1_
		.amdhsa_group_segment_fixed_size 0
		.amdhsa_private_segment_fixed_size 0
		.amdhsa_kernarg_size 128
		.amdhsa_user_sgpr_count 2
		.amdhsa_user_sgpr_dispatch_ptr 0
		.amdhsa_user_sgpr_queue_ptr 0
		.amdhsa_user_sgpr_kernarg_segment_ptr 1
		.amdhsa_user_sgpr_dispatch_id 0
		.amdhsa_user_sgpr_kernarg_preload_length 0
		.amdhsa_user_sgpr_kernarg_preload_offset 0
		.amdhsa_user_sgpr_private_segment_size 0
		.amdhsa_uses_dynamic_stack 0
		.amdhsa_enable_private_segment 0
		.amdhsa_system_sgpr_workgroup_id_x 1
		.amdhsa_system_sgpr_workgroup_id_y 0
		.amdhsa_system_sgpr_workgroup_id_z 0
		.amdhsa_system_sgpr_workgroup_info 0
		.amdhsa_system_vgpr_workitem_id 0
		.amdhsa_next_free_vgpr 1
		.amdhsa_next_free_sgpr 0
		.amdhsa_accum_offset 4
		.amdhsa_reserve_vcc 0
		.amdhsa_float_round_mode_32 0
		.amdhsa_float_round_mode_16_64 0
		.amdhsa_float_denorm_mode_32 3
		.amdhsa_float_denorm_mode_16_64 3
		.amdhsa_dx10_clamp 1
		.amdhsa_ieee_mode 1
		.amdhsa_fp16_overflow 0
		.amdhsa_tg_split 0
		.amdhsa_exception_fp_ieee_invalid_op 0
		.amdhsa_exception_fp_denorm_src 0
		.amdhsa_exception_fp_ieee_div_zero 0
		.amdhsa_exception_fp_ieee_overflow 0
		.amdhsa_exception_fp_ieee_underflow 0
		.amdhsa_exception_fp_ieee_inexact 0
		.amdhsa_exception_int_div_zero 0
	.end_amdhsa_kernel
	.section	.text._ZN7rocprim17ROCPRIM_400000_NS6detail17trampoline_kernelINS0_14default_configENS1_33run_length_encode_config_selectorItjNS0_4plusIjEEEEZZNS1_33reduce_by_key_impl_wrapped_configILNS1_25lookback_scan_determinismE0ES3_S7_PKtNS0_17constant_iteratorIjlEEPtPlSF_S6_NS0_8equal_toItEEEE10hipError_tPvRmT2_T3_mT4_T5_T6_T7_T8_P12ihipStream_tbENKUlT_T0_E_clISt17integral_constantIbLb0EESY_IbLb1EEEEDaSU_SV_EUlSU_E_NS1_11comp_targetILNS1_3genE3ELNS1_11target_archE908ELNS1_3gpuE7ELNS1_3repE0EEENS1_30default_config_static_selectorELNS0_4arch9wavefront6targetE1EEEvT1_,"axG",@progbits,_ZN7rocprim17ROCPRIM_400000_NS6detail17trampoline_kernelINS0_14default_configENS1_33run_length_encode_config_selectorItjNS0_4plusIjEEEEZZNS1_33reduce_by_key_impl_wrapped_configILNS1_25lookback_scan_determinismE0ES3_S7_PKtNS0_17constant_iteratorIjlEEPtPlSF_S6_NS0_8equal_toItEEEE10hipError_tPvRmT2_T3_mT4_T5_T6_T7_T8_P12ihipStream_tbENKUlT_T0_E_clISt17integral_constantIbLb0EESY_IbLb1EEEEDaSU_SV_EUlSU_E_NS1_11comp_targetILNS1_3genE3ELNS1_11target_archE908ELNS1_3gpuE7ELNS1_3repE0EEENS1_30default_config_static_selectorELNS0_4arch9wavefront6targetE1EEEvT1_,comdat
.Lfunc_end817:
	.size	_ZN7rocprim17ROCPRIM_400000_NS6detail17trampoline_kernelINS0_14default_configENS1_33run_length_encode_config_selectorItjNS0_4plusIjEEEEZZNS1_33reduce_by_key_impl_wrapped_configILNS1_25lookback_scan_determinismE0ES3_S7_PKtNS0_17constant_iteratorIjlEEPtPlSF_S6_NS0_8equal_toItEEEE10hipError_tPvRmT2_T3_mT4_T5_T6_T7_T8_P12ihipStream_tbENKUlT_T0_E_clISt17integral_constantIbLb0EESY_IbLb1EEEEDaSU_SV_EUlSU_E_NS1_11comp_targetILNS1_3genE3ELNS1_11target_archE908ELNS1_3gpuE7ELNS1_3repE0EEENS1_30default_config_static_selectorELNS0_4arch9wavefront6targetE1EEEvT1_, .Lfunc_end817-_ZN7rocprim17ROCPRIM_400000_NS6detail17trampoline_kernelINS0_14default_configENS1_33run_length_encode_config_selectorItjNS0_4plusIjEEEEZZNS1_33reduce_by_key_impl_wrapped_configILNS1_25lookback_scan_determinismE0ES3_S7_PKtNS0_17constant_iteratorIjlEEPtPlSF_S6_NS0_8equal_toItEEEE10hipError_tPvRmT2_T3_mT4_T5_T6_T7_T8_P12ihipStream_tbENKUlT_T0_E_clISt17integral_constantIbLb0EESY_IbLb1EEEEDaSU_SV_EUlSU_E_NS1_11comp_targetILNS1_3genE3ELNS1_11target_archE908ELNS1_3gpuE7ELNS1_3repE0EEENS1_30default_config_static_selectorELNS0_4arch9wavefront6targetE1EEEvT1_
                                        ; -- End function
	.section	.AMDGPU.csdata,"",@progbits
; Kernel info:
; codeLenInByte = 0
; NumSgprs: 6
; NumVgprs: 0
; NumAgprs: 0
; TotalNumVgprs: 0
; ScratchSize: 0
; MemoryBound: 0
; FloatMode: 240
; IeeeMode: 1
; LDSByteSize: 0 bytes/workgroup (compile time only)
; SGPRBlocks: 0
; VGPRBlocks: 0
; NumSGPRsForWavesPerEU: 6
; NumVGPRsForWavesPerEU: 1
; AccumOffset: 4
; Occupancy: 8
; WaveLimiterHint : 0
; COMPUTE_PGM_RSRC2:SCRATCH_EN: 0
; COMPUTE_PGM_RSRC2:USER_SGPR: 2
; COMPUTE_PGM_RSRC2:TRAP_HANDLER: 0
; COMPUTE_PGM_RSRC2:TGID_X_EN: 1
; COMPUTE_PGM_RSRC2:TGID_Y_EN: 0
; COMPUTE_PGM_RSRC2:TGID_Z_EN: 0
; COMPUTE_PGM_RSRC2:TIDIG_COMP_CNT: 0
; COMPUTE_PGM_RSRC3_GFX90A:ACCUM_OFFSET: 0
; COMPUTE_PGM_RSRC3_GFX90A:TG_SPLIT: 0
	.section	.text._ZN7rocprim17ROCPRIM_400000_NS6detail17trampoline_kernelINS0_14default_configENS1_33run_length_encode_config_selectorItjNS0_4plusIjEEEEZZNS1_33reduce_by_key_impl_wrapped_configILNS1_25lookback_scan_determinismE0ES3_S7_PKtNS0_17constant_iteratorIjlEEPtPlSF_S6_NS0_8equal_toItEEEE10hipError_tPvRmT2_T3_mT4_T5_T6_T7_T8_P12ihipStream_tbENKUlT_T0_E_clISt17integral_constantIbLb0EESY_IbLb1EEEEDaSU_SV_EUlSU_E_NS1_11comp_targetILNS1_3genE2ELNS1_11target_archE906ELNS1_3gpuE6ELNS1_3repE0EEENS1_30default_config_static_selectorELNS0_4arch9wavefront6targetE1EEEvT1_,"axG",@progbits,_ZN7rocprim17ROCPRIM_400000_NS6detail17trampoline_kernelINS0_14default_configENS1_33run_length_encode_config_selectorItjNS0_4plusIjEEEEZZNS1_33reduce_by_key_impl_wrapped_configILNS1_25lookback_scan_determinismE0ES3_S7_PKtNS0_17constant_iteratorIjlEEPtPlSF_S6_NS0_8equal_toItEEEE10hipError_tPvRmT2_T3_mT4_T5_T6_T7_T8_P12ihipStream_tbENKUlT_T0_E_clISt17integral_constantIbLb0EESY_IbLb1EEEEDaSU_SV_EUlSU_E_NS1_11comp_targetILNS1_3genE2ELNS1_11target_archE906ELNS1_3gpuE6ELNS1_3repE0EEENS1_30default_config_static_selectorELNS0_4arch9wavefront6targetE1EEEvT1_,comdat
	.protected	_ZN7rocprim17ROCPRIM_400000_NS6detail17trampoline_kernelINS0_14default_configENS1_33run_length_encode_config_selectorItjNS0_4plusIjEEEEZZNS1_33reduce_by_key_impl_wrapped_configILNS1_25lookback_scan_determinismE0ES3_S7_PKtNS0_17constant_iteratorIjlEEPtPlSF_S6_NS0_8equal_toItEEEE10hipError_tPvRmT2_T3_mT4_T5_T6_T7_T8_P12ihipStream_tbENKUlT_T0_E_clISt17integral_constantIbLb0EESY_IbLb1EEEEDaSU_SV_EUlSU_E_NS1_11comp_targetILNS1_3genE2ELNS1_11target_archE906ELNS1_3gpuE6ELNS1_3repE0EEENS1_30default_config_static_selectorELNS0_4arch9wavefront6targetE1EEEvT1_ ; -- Begin function _ZN7rocprim17ROCPRIM_400000_NS6detail17trampoline_kernelINS0_14default_configENS1_33run_length_encode_config_selectorItjNS0_4plusIjEEEEZZNS1_33reduce_by_key_impl_wrapped_configILNS1_25lookback_scan_determinismE0ES3_S7_PKtNS0_17constant_iteratorIjlEEPtPlSF_S6_NS0_8equal_toItEEEE10hipError_tPvRmT2_T3_mT4_T5_T6_T7_T8_P12ihipStream_tbENKUlT_T0_E_clISt17integral_constantIbLb0EESY_IbLb1EEEEDaSU_SV_EUlSU_E_NS1_11comp_targetILNS1_3genE2ELNS1_11target_archE906ELNS1_3gpuE6ELNS1_3repE0EEENS1_30default_config_static_selectorELNS0_4arch9wavefront6targetE1EEEvT1_
	.globl	_ZN7rocprim17ROCPRIM_400000_NS6detail17trampoline_kernelINS0_14default_configENS1_33run_length_encode_config_selectorItjNS0_4plusIjEEEEZZNS1_33reduce_by_key_impl_wrapped_configILNS1_25lookback_scan_determinismE0ES3_S7_PKtNS0_17constant_iteratorIjlEEPtPlSF_S6_NS0_8equal_toItEEEE10hipError_tPvRmT2_T3_mT4_T5_T6_T7_T8_P12ihipStream_tbENKUlT_T0_E_clISt17integral_constantIbLb0EESY_IbLb1EEEEDaSU_SV_EUlSU_E_NS1_11comp_targetILNS1_3genE2ELNS1_11target_archE906ELNS1_3gpuE6ELNS1_3repE0EEENS1_30default_config_static_selectorELNS0_4arch9wavefront6targetE1EEEvT1_
	.p2align	8
	.type	_ZN7rocprim17ROCPRIM_400000_NS6detail17trampoline_kernelINS0_14default_configENS1_33run_length_encode_config_selectorItjNS0_4plusIjEEEEZZNS1_33reduce_by_key_impl_wrapped_configILNS1_25lookback_scan_determinismE0ES3_S7_PKtNS0_17constant_iteratorIjlEEPtPlSF_S6_NS0_8equal_toItEEEE10hipError_tPvRmT2_T3_mT4_T5_T6_T7_T8_P12ihipStream_tbENKUlT_T0_E_clISt17integral_constantIbLb0EESY_IbLb1EEEEDaSU_SV_EUlSU_E_NS1_11comp_targetILNS1_3genE2ELNS1_11target_archE906ELNS1_3gpuE6ELNS1_3repE0EEENS1_30default_config_static_selectorELNS0_4arch9wavefront6targetE1EEEvT1_,@function
_ZN7rocprim17ROCPRIM_400000_NS6detail17trampoline_kernelINS0_14default_configENS1_33run_length_encode_config_selectorItjNS0_4plusIjEEEEZZNS1_33reduce_by_key_impl_wrapped_configILNS1_25lookback_scan_determinismE0ES3_S7_PKtNS0_17constant_iteratorIjlEEPtPlSF_S6_NS0_8equal_toItEEEE10hipError_tPvRmT2_T3_mT4_T5_T6_T7_T8_P12ihipStream_tbENKUlT_T0_E_clISt17integral_constantIbLb0EESY_IbLb1EEEEDaSU_SV_EUlSU_E_NS1_11comp_targetILNS1_3genE2ELNS1_11target_archE906ELNS1_3gpuE6ELNS1_3repE0EEENS1_30default_config_static_selectorELNS0_4arch9wavefront6targetE1EEEvT1_: ; @_ZN7rocprim17ROCPRIM_400000_NS6detail17trampoline_kernelINS0_14default_configENS1_33run_length_encode_config_selectorItjNS0_4plusIjEEEEZZNS1_33reduce_by_key_impl_wrapped_configILNS1_25lookback_scan_determinismE0ES3_S7_PKtNS0_17constant_iteratorIjlEEPtPlSF_S6_NS0_8equal_toItEEEE10hipError_tPvRmT2_T3_mT4_T5_T6_T7_T8_P12ihipStream_tbENKUlT_T0_E_clISt17integral_constantIbLb0EESY_IbLb1EEEEDaSU_SV_EUlSU_E_NS1_11comp_targetILNS1_3genE2ELNS1_11target_archE906ELNS1_3gpuE6ELNS1_3repE0EEENS1_30default_config_static_selectorELNS0_4arch9wavefront6targetE1EEEvT1_
; %bb.0:
	.section	.rodata,"a",@progbits
	.p2align	6, 0x0
	.amdhsa_kernel _ZN7rocprim17ROCPRIM_400000_NS6detail17trampoline_kernelINS0_14default_configENS1_33run_length_encode_config_selectorItjNS0_4plusIjEEEEZZNS1_33reduce_by_key_impl_wrapped_configILNS1_25lookback_scan_determinismE0ES3_S7_PKtNS0_17constant_iteratorIjlEEPtPlSF_S6_NS0_8equal_toItEEEE10hipError_tPvRmT2_T3_mT4_T5_T6_T7_T8_P12ihipStream_tbENKUlT_T0_E_clISt17integral_constantIbLb0EESY_IbLb1EEEEDaSU_SV_EUlSU_E_NS1_11comp_targetILNS1_3genE2ELNS1_11target_archE906ELNS1_3gpuE6ELNS1_3repE0EEENS1_30default_config_static_selectorELNS0_4arch9wavefront6targetE1EEEvT1_
		.amdhsa_group_segment_fixed_size 0
		.amdhsa_private_segment_fixed_size 0
		.amdhsa_kernarg_size 128
		.amdhsa_user_sgpr_count 2
		.amdhsa_user_sgpr_dispatch_ptr 0
		.amdhsa_user_sgpr_queue_ptr 0
		.amdhsa_user_sgpr_kernarg_segment_ptr 1
		.amdhsa_user_sgpr_dispatch_id 0
		.amdhsa_user_sgpr_kernarg_preload_length 0
		.amdhsa_user_sgpr_kernarg_preload_offset 0
		.amdhsa_user_sgpr_private_segment_size 0
		.amdhsa_uses_dynamic_stack 0
		.amdhsa_enable_private_segment 0
		.amdhsa_system_sgpr_workgroup_id_x 1
		.amdhsa_system_sgpr_workgroup_id_y 0
		.amdhsa_system_sgpr_workgroup_id_z 0
		.amdhsa_system_sgpr_workgroup_info 0
		.amdhsa_system_vgpr_workitem_id 0
		.amdhsa_next_free_vgpr 1
		.amdhsa_next_free_sgpr 0
		.amdhsa_accum_offset 4
		.amdhsa_reserve_vcc 0
		.amdhsa_float_round_mode_32 0
		.amdhsa_float_round_mode_16_64 0
		.amdhsa_float_denorm_mode_32 3
		.amdhsa_float_denorm_mode_16_64 3
		.amdhsa_dx10_clamp 1
		.amdhsa_ieee_mode 1
		.amdhsa_fp16_overflow 0
		.amdhsa_tg_split 0
		.amdhsa_exception_fp_ieee_invalid_op 0
		.amdhsa_exception_fp_denorm_src 0
		.amdhsa_exception_fp_ieee_div_zero 0
		.amdhsa_exception_fp_ieee_overflow 0
		.amdhsa_exception_fp_ieee_underflow 0
		.amdhsa_exception_fp_ieee_inexact 0
		.amdhsa_exception_int_div_zero 0
	.end_amdhsa_kernel
	.section	.text._ZN7rocprim17ROCPRIM_400000_NS6detail17trampoline_kernelINS0_14default_configENS1_33run_length_encode_config_selectorItjNS0_4plusIjEEEEZZNS1_33reduce_by_key_impl_wrapped_configILNS1_25lookback_scan_determinismE0ES3_S7_PKtNS0_17constant_iteratorIjlEEPtPlSF_S6_NS0_8equal_toItEEEE10hipError_tPvRmT2_T3_mT4_T5_T6_T7_T8_P12ihipStream_tbENKUlT_T0_E_clISt17integral_constantIbLb0EESY_IbLb1EEEEDaSU_SV_EUlSU_E_NS1_11comp_targetILNS1_3genE2ELNS1_11target_archE906ELNS1_3gpuE6ELNS1_3repE0EEENS1_30default_config_static_selectorELNS0_4arch9wavefront6targetE1EEEvT1_,"axG",@progbits,_ZN7rocprim17ROCPRIM_400000_NS6detail17trampoline_kernelINS0_14default_configENS1_33run_length_encode_config_selectorItjNS0_4plusIjEEEEZZNS1_33reduce_by_key_impl_wrapped_configILNS1_25lookback_scan_determinismE0ES3_S7_PKtNS0_17constant_iteratorIjlEEPtPlSF_S6_NS0_8equal_toItEEEE10hipError_tPvRmT2_T3_mT4_T5_T6_T7_T8_P12ihipStream_tbENKUlT_T0_E_clISt17integral_constantIbLb0EESY_IbLb1EEEEDaSU_SV_EUlSU_E_NS1_11comp_targetILNS1_3genE2ELNS1_11target_archE906ELNS1_3gpuE6ELNS1_3repE0EEENS1_30default_config_static_selectorELNS0_4arch9wavefront6targetE1EEEvT1_,comdat
.Lfunc_end818:
	.size	_ZN7rocprim17ROCPRIM_400000_NS6detail17trampoline_kernelINS0_14default_configENS1_33run_length_encode_config_selectorItjNS0_4plusIjEEEEZZNS1_33reduce_by_key_impl_wrapped_configILNS1_25lookback_scan_determinismE0ES3_S7_PKtNS0_17constant_iteratorIjlEEPtPlSF_S6_NS0_8equal_toItEEEE10hipError_tPvRmT2_T3_mT4_T5_T6_T7_T8_P12ihipStream_tbENKUlT_T0_E_clISt17integral_constantIbLb0EESY_IbLb1EEEEDaSU_SV_EUlSU_E_NS1_11comp_targetILNS1_3genE2ELNS1_11target_archE906ELNS1_3gpuE6ELNS1_3repE0EEENS1_30default_config_static_selectorELNS0_4arch9wavefront6targetE1EEEvT1_, .Lfunc_end818-_ZN7rocprim17ROCPRIM_400000_NS6detail17trampoline_kernelINS0_14default_configENS1_33run_length_encode_config_selectorItjNS0_4plusIjEEEEZZNS1_33reduce_by_key_impl_wrapped_configILNS1_25lookback_scan_determinismE0ES3_S7_PKtNS0_17constant_iteratorIjlEEPtPlSF_S6_NS0_8equal_toItEEEE10hipError_tPvRmT2_T3_mT4_T5_T6_T7_T8_P12ihipStream_tbENKUlT_T0_E_clISt17integral_constantIbLb0EESY_IbLb1EEEEDaSU_SV_EUlSU_E_NS1_11comp_targetILNS1_3genE2ELNS1_11target_archE906ELNS1_3gpuE6ELNS1_3repE0EEENS1_30default_config_static_selectorELNS0_4arch9wavefront6targetE1EEEvT1_
                                        ; -- End function
	.section	.AMDGPU.csdata,"",@progbits
; Kernel info:
; codeLenInByte = 0
; NumSgprs: 6
; NumVgprs: 0
; NumAgprs: 0
; TotalNumVgprs: 0
; ScratchSize: 0
; MemoryBound: 0
; FloatMode: 240
; IeeeMode: 1
; LDSByteSize: 0 bytes/workgroup (compile time only)
; SGPRBlocks: 0
; VGPRBlocks: 0
; NumSGPRsForWavesPerEU: 6
; NumVGPRsForWavesPerEU: 1
; AccumOffset: 4
; Occupancy: 8
; WaveLimiterHint : 0
; COMPUTE_PGM_RSRC2:SCRATCH_EN: 0
; COMPUTE_PGM_RSRC2:USER_SGPR: 2
; COMPUTE_PGM_RSRC2:TRAP_HANDLER: 0
; COMPUTE_PGM_RSRC2:TGID_X_EN: 1
; COMPUTE_PGM_RSRC2:TGID_Y_EN: 0
; COMPUTE_PGM_RSRC2:TGID_Z_EN: 0
; COMPUTE_PGM_RSRC2:TIDIG_COMP_CNT: 0
; COMPUTE_PGM_RSRC3_GFX90A:ACCUM_OFFSET: 0
; COMPUTE_PGM_RSRC3_GFX90A:TG_SPLIT: 0
	.section	.text._ZN7rocprim17ROCPRIM_400000_NS6detail17trampoline_kernelINS0_14default_configENS1_33run_length_encode_config_selectorItjNS0_4plusIjEEEEZZNS1_33reduce_by_key_impl_wrapped_configILNS1_25lookback_scan_determinismE0ES3_S7_PKtNS0_17constant_iteratorIjlEEPtPlSF_S6_NS0_8equal_toItEEEE10hipError_tPvRmT2_T3_mT4_T5_T6_T7_T8_P12ihipStream_tbENKUlT_T0_E_clISt17integral_constantIbLb0EESY_IbLb1EEEEDaSU_SV_EUlSU_E_NS1_11comp_targetILNS1_3genE10ELNS1_11target_archE1201ELNS1_3gpuE5ELNS1_3repE0EEENS1_30default_config_static_selectorELNS0_4arch9wavefront6targetE1EEEvT1_,"axG",@progbits,_ZN7rocprim17ROCPRIM_400000_NS6detail17trampoline_kernelINS0_14default_configENS1_33run_length_encode_config_selectorItjNS0_4plusIjEEEEZZNS1_33reduce_by_key_impl_wrapped_configILNS1_25lookback_scan_determinismE0ES3_S7_PKtNS0_17constant_iteratorIjlEEPtPlSF_S6_NS0_8equal_toItEEEE10hipError_tPvRmT2_T3_mT4_T5_T6_T7_T8_P12ihipStream_tbENKUlT_T0_E_clISt17integral_constantIbLb0EESY_IbLb1EEEEDaSU_SV_EUlSU_E_NS1_11comp_targetILNS1_3genE10ELNS1_11target_archE1201ELNS1_3gpuE5ELNS1_3repE0EEENS1_30default_config_static_selectorELNS0_4arch9wavefront6targetE1EEEvT1_,comdat
	.protected	_ZN7rocprim17ROCPRIM_400000_NS6detail17trampoline_kernelINS0_14default_configENS1_33run_length_encode_config_selectorItjNS0_4plusIjEEEEZZNS1_33reduce_by_key_impl_wrapped_configILNS1_25lookback_scan_determinismE0ES3_S7_PKtNS0_17constant_iteratorIjlEEPtPlSF_S6_NS0_8equal_toItEEEE10hipError_tPvRmT2_T3_mT4_T5_T6_T7_T8_P12ihipStream_tbENKUlT_T0_E_clISt17integral_constantIbLb0EESY_IbLb1EEEEDaSU_SV_EUlSU_E_NS1_11comp_targetILNS1_3genE10ELNS1_11target_archE1201ELNS1_3gpuE5ELNS1_3repE0EEENS1_30default_config_static_selectorELNS0_4arch9wavefront6targetE1EEEvT1_ ; -- Begin function _ZN7rocprim17ROCPRIM_400000_NS6detail17trampoline_kernelINS0_14default_configENS1_33run_length_encode_config_selectorItjNS0_4plusIjEEEEZZNS1_33reduce_by_key_impl_wrapped_configILNS1_25lookback_scan_determinismE0ES3_S7_PKtNS0_17constant_iteratorIjlEEPtPlSF_S6_NS0_8equal_toItEEEE10hipError_tPvRmT2_T3_mT4_T5_T6_T7_T8_P12ihipStream_tbENKUlT_T0_E_clISt17integral_constantIbLb0EESY_IbLb1EEEEDaSU_SV_EUlSU_E_NS1_11comp_targetILNS1_3genE10ELNS1_11target_archE1201ELNS1_3gpuE5ELNS1_3repE0EEENS1_30default_config_static_selectorELNS0_4arch9wavefront6targetE1EEEvT1_
	.globl	_ZN7rocprim17ROCPRIM_400000_NS6detail17trampoline_kernelINS0_14default_configENS1_33run_length_encode_config_selectorItjNS0_4plusIjEEEEZZNS1_33reduce_by_key_impl_wrapped_configILNS1_25lookback_scan_determinismE0ES3_S7_PKtNS0_17constant_iteratorIjlEEPtPlSF_S6_NS0_8equal_toItEEEE10hipError_tPvRmT2_T3_mT4_T5_T6_T7_T8_P12ihipStream_tbENKUlT_T0_E_clISt17integral_constantIbLb0EESY_IbLb1EEEEDaSU_SV_EUlSU_E_NS1_11comp_targetILNS1_3genE10ELNS1_11target_archE1201ELNS1_3gpuE5ELNS1_3repE0EEENS1_30default_config_static_selectorELNS0_4arch9wavefront6targetE1EEEvT1_
	.p2align	8
	.type	_ZN7rocprim17ROCPRIM_400000_NS6detail17trampoline_kernelINS0_14default_configENS1_33run_length_encode_config_selectorItjNS0_4plusIjEEEEZZNS1_33reduce_by_key_impl_wrapped_configILNS1_25lookback_scan_determinismE0ES3_S7_PKtNS0_17constant_iteratorIjlEEPtPlSF_S6_NS0_8equal_toItEEEE10hipError_tPvRmT2_T3_mT4_T5_T6_T7_T8_P12ihipStream_tbENKUlT_T0_E_clISt17integral_constantIbLb0EESY_IbLb1EEEEDaSU_SV_EUlSU_E_NS1_11comp_targetILNS1_3genE10ELNS1_11target_archE1201ELNS1_3gpuE5ELNS1_3repE0EEENS1_30default_config_static_selectorELNS0_4arch9wavefront6targetE1EEEvT1_,@function
_ZN7rocprim17ROCPRIM_400000_NS6detail17trampoline_kernelINS0_14default_configENS1_33run_length_encode_config_selectorItjNS0_4plusIjEEEEZZNS1_33reduce_by_key_impl_wrapped_configILNS1_25lookback_scan_determinismE0ES3_S7_PKtNS0_17constant_iteratorIjlEEPtPlSF_S6_NS0_8equal_toItEEEE10hipError_tPvRmT2_T3_mT4_T5_T6_T7_T8_P12ihipStream_tbENKUlT_T0_E_clISt17integral_constantIbLb0EESY_IbLb1EEEEDaSU_SV_EUlSU_E_NS1_11comp_targetILNS1_3genE10ELNS1_11target_archE1201ELNS1_3gpuE5ELNS1_3repE0EEENS1_30default_config_static_selectorELNS0_4arch9wavefront6targetE1EEEvT1_: ; @_ZN7rocprim17ROCPRIM_400000_NS6detail17trampoline_kernelINS0_14default_configENS1_33run_length_encode_config_selectorItjNS0_4plusIjEEEEZZNS1_33reduce_by_key_impl_wrapped_configILNS1_25lookback_scan_determinismE0ES3_S7_PKtNS0_17constant_iteratorIjlEEPtPlSF_S6_NS0_8equal_toItEEEE10hipError_tPvRmT2_T3_mT4_T5_T6_T7_T8_P12ihipStream_tbENKUlT_T0_E_clISt17integral_constantIbLb0EESY_IbLb1EEEEDaSU_SV_EUlSU_E_NS1_11comp_targetILNS1_3genE10ELNS1_11target_archE1201ELNS1_3gpuE5ELNS1_3repE0EEENS1_30default_config_static_selectorELNS0_4arch9wavefront6targetE1EEEvT1_
; %bb.0:
	.section	.rodata,"a",@progbits
	.p2align	6, 0x0
	.amdhsa_kernel _ZN7rocprim17ROCPRIM_400000_NS6detail17trampoline_kernelINS0_14default_configENS1_33run_length_encode_config_selectorItjNS0_4plusIjEEEEZZNS1_33reduce_by_key_impl_wrapped_configILNS1_25lookback_scan_determinismE0ES3_S7_PKtNS0_17constant_iteratorIjlEEPtPlSF_S6_NS0_8equal_toItEEEE10hipError_tPvRmT2_T3_mT4_T5_T6_T7_T8_P12ihipStream_tbENKUlT_T0_E_clISt17integral_constantIbLb0EESY_IbLb1EEEEDaSU_SV_EUlSU_E_NS1_11comp_targetILNS1_3genE10ELNS1_11target_archE1201ELNS1_3gpuE5ELNS1_3repE0EEENS1_30default_config_static_selectorELNS0_4arch9wavefront6targetE1EEEvT1_
		.amdhsa_group_segment_fixed_size 0
		.amdhsa_private_segment_fixed_size 0
		.amdhsa_kernarg_size 128
		.amdhsa_user_sgpr_count 2
		.amdhsa_user_sgpr_dispatch_ptr 0
		.amdhsa_user_sgpr_queue_ptr 0
		.amdhsa_user_sgpr_kernarg_segment_ptr 1
		.amdhsa_user_sgpr_dispatch_id 0
		.amdhsa_user_sgpr_kernarg_preload_length 0
		.amdhsa_user_sgpr_kernarg_preload_offset 0
		.amdhsa_user_sgpr_private_segment_size 0
		.amdhsa_uses_dynamic_stack 0
		.amdhsa_enable_private_segment 0
		.amdhsa_system_sgpr_workgroup_id_x 1
		.amdhsa_system_sgpr_workgroup_id_y 0
		.amdhsa_system_sgpr_workgroup_id_z 0
		.amdhsa_system_sgpr_workgroup_info 0
		.amdhsa_system_vgpr_workitem_id 0
		.amdhsa_next_free_vgpr 1
		.amdhsa_next_free_sgpr 0
		.amdhsa_accum_offset 4
		.amdhsa_reserve_vcc 0
		.amdhsa_float_round_mode_32 0
		.amdhsa_float_round_mode_16_64 0
		.amdhsa_float_denorm_mode_32 3
		.amdhsa_float_denorm_mode_16_64 3
		.amdhsa_dx10_clamp 1
		.amdhsa_ieee_mode 1
		.amdhsa_fp16_overflow 0
		.amdhsa_tg_split 0
		.amdhsa_exception_fp_ieee_invalid_op 0
		.amdhsa_exception_fp_denorm_src 0
		.amdhsa_exception_fp_ieee_div_zero 0
		.amdhsa_exception_fp_ieee_overflow 0
		.amdhsa_exception_fp_ieee_underflow 0
		.amdhsa_exception_fp_ieee_inexact 0
		.amdhsa_exception_int_div_zero 0
	.end_amdhsa_kernel
	.section	.text._ZN7rocprim17ROCPRIM_400000_NS6detail17trampoline_kernelINS0_14default_configENS1_33run_length_encode_config_selectorItjNS0_4plusIjEEEEZZNS1_33reduce_by_key_impl_wrapped_configILNS1_25lookback_scan_determinismE0ES3_S7_PKtNS0_17constant_iteratorIjlEEPtPlSF_S6_NS0_8equal_toItEEEE10hipError_tPvRmT2_T3_mT4_T5_T6_T7_T8_P12ihipStream_tbENKUlT_T0_E_clISt17integral_constantIbLb0EESY_IbLb1EEEEDaSU_SV_EUlSU_E_NS1_11comp_targetILNS1_3genE10ELNS1_11target_archE1201ELNS1_3gpuE5ELNS1_3repE0EEENS1_30default_config_static_selectorELNS0_4arch9wavefront6targetE1EEEvT1_,"axG",@progbits,_ZN7rocprim17ROCPRIM_400000_NS6detail17trampoline_kernelINS0_14default_configENS1_33run_length_encode_config_selectorItjNS0_4plusIjEEEEZZNS1_33reduce_by_key_impl_wrapped_configILNS1_25lookback_scan_determinismE0ES3_S7_PKtNS0_17constant_iteratorIjlEEPtPlSF_S6_NS0_8equal_toItEEEE10hipError_tPvRmT2_T3_mT4_T5_T6_T7_T8_P12ihipStream_tbENKUlT_T0_E_clISt17integral_constantIbLb0EESY_IbLb1EEEEDaSU_SV_EUlSU_E_NS1_11comp_targetILNS1_3genE10ELNS1_11target_archE1201ELNS1_3gpuE5ELNS1_3repE0EEENS1_30default_config_static_selectorELNS0_4arch9wavefront6targetE1EEEvT1_,comdat
.Lfunc_end819:
	.size	_ZN7rocprim17ROCPRIM_400000_NS6detail17trampoline_kernelINS0_14default_configENS1_33run_length_encode_config_selectorItjNS0_4plusIjEEEEZZNS1_33reduce_by_key_impl_wrapped_configILNS1_25lookback_scan_determinismE0ES3_S7_PKtNS0_17constant_iteratorIjlEEPtPlSF_S6_NS0_8equal_toItEEEE10hipError_tPvRmT2_T3_mT4_T5_T6_T7_T8_P12ihipStream_tbENKUlT_T0_E_clISt17integral_constantIbLb0EESY_IbLb1EEEEDaSU_SV_EUlSU_E_NS1_11comp_targetILNS1_3genE10ELNS1_11target_archE1201ELNS1_3gpuE5ELNS1_3repE0EEENS1_30default_config_static_selectorELNS0_4arch9wavefront6targetE1EEEvT1_, .Lfunc_end819-_ZN7rocprim17ROCPRIM_400000_NS6detail17trampoline_kernelINS0_14default_configENS1_33run_length_encode_config_selectorItjNS0_4plusIjEEEEZZNS1_33reduce_by_key_impl_wrapped_configILNS1_25lookback_scan_determinismE0ES3_S7_PKtNS0_17constant_iteratorIjlEEPtPlSF_S6_NS0_8equal_toItEEEE10hipError_tPvRmT2_T3_mT4_T5_T6_T7_T8_P12ihipStream_tbENKUlT_T0_E_clISt17integral_constantIbLb0EESY_IbLb1EEEEDaSU_SV_EUlSU_E_NS1_11comp_targetILNS1_3genE10ELNS1_11target_archE1201ELNS1_3gpuE5ELNS1_3repE0EEENS1_30default_config_static_selectorELNS0_4arch9wavefront6targetE1EEEvT1_
                                        ; -- End function
	.section	.AMDGPU.csdata,"",@progbits
; Kernel info:
; codeLenInByte = 0
; NumSgprs: 6
; NumVgprs: 0
; NumAgprs: 0
; TotalNumVgprs: 0
; ScratchSize: 0
; MemoryBound: 0
; FloatMode: 240
; IeeeMode: 1
; LDSByteSize: 0 bytes/workgroup (compile time only)
; SGPRBlocks: 0
; VGPRBlocks: 0
; NumSGPRsForWavesPerEU: 6
; NumVGPRsForWavesPerEU: 1
; AccumOffset: 4
; Occupancy: 8
; WaveLimiterHint : 0
; COMPUTE_PGM_RSRC2:SCRATCH_EN: 0
; COMPUTE_PGM_RSRC2:USER_SGPR: 2
; COMPUTE_PGM_RSRC2:TRAP_HANDLER: 0
; COMPUTE_PGM_RSRC2:TGID_X_EN: 1
; COMPUTE_PGM_RSRC2:TGID_Y_EN: 0
; COMPUTE_PGM_RSRC2:TGID_Z_EN: 0
; COMPUTE_PGM_RSRC2:TIDIG_COMP_CNT: 0
; COMPUTE_PGM_RSRC3_GFX90A:ACCUM_OFFSET: 0
; COMPUTE_PGM_RSRC3_GFX90A:TG_SPLIT: 0
	.section	.text._ZN7rocprim17ROCPRIM_400000_NS6detail17trampoline_kernelINS0_14default_configENS1_33run_length_encode_config_selectorItjNS0_4plusIjEEEEZZNS1_33reduce_by_key_impl_wrapped_configILNS1_25lookback_scan_determinismE0ES3_S7_PKtNS0_17constant_iteratorIjlEEPtPlSF_S6_NS0_8equal_toItEEEE10hipError_tPvRmT2_T3_mT4_T5_T6_T7_T8_P12ihipStream_tbENKUlT_T0_E_clISt17integral_constantIbLb0EESY_IbLb1EEEEDaSU_SV_EUlSU_E_NS1_11comp_targetILNS1_3genE10ELNS1_11target_archE1200ELNS1_3gpuE4ELNS1_3repE0EEENS1_30default_config_static_selectorELNS0_4arch9wavefront6targetE1EEEvT1_,"axG",@progbits,_ZN7rocprim17ROCPRIM_400000_NS6detail17trampoline_kernelINS0_14default_configENS1_33run_length_encode_config_selectorItjNS0_4plusIjEEEEZZNS1_33reduce_by_key_impl_wrapped_configILNS1_25lookback_scan_determinismE0ES3_S7_PKtNS0_17constant_iteratorIjlEEPtPlSF_S6_NS0_8equal_toItEEEE10hipError_tPvRmT2_T3_mT4_T5_T6_T7_T8_P12ihipStream_tbENKUlT_T0_E_clISt17integral_constantIbLb0EESY_IbLb1EEEEDaSU_SV_EUlSU_E_NS1_11comp_targetILNS1_3genE10ELNS1_11target_archE1200ELNS1_3gpuE4ELNS1_3repE0EEENS1_30default_config_static_selectorELNS0_4arch9wavefront6targetE1EEEvT1_,comdat
	.protected	_ZN7rocprim17ROCPRIM_400000_NS6detail17trampoline_kernelINS0_14default_configENS1_33run_length_encode_config_selectorItjNS0_4plusIjEEEEZZNS1_33reduce_by_key_impl_wrapped_configILNS1_25lookback_scan_determinismE0ES3_S7_PKtNS0_17constant_iteratorIjlEEPtPlSF_S6_NS0_8equal_toItEEEE10hipError_tPvRmT2_T3_mT4_T5_T6_T7_T8_P12ihipStream_tbENKUlT_T0_E_clISt17integral_constantIbLb0EESY_IbLb1EEEEDaSU_SV_EUlSU_E_NS1_11comp_targetILNS1_3genE10ELNS1_11target_archE1200ELNS1_3gpuE4ELNS1_3repE0EEENS1_30default_config_static_selectorELNS0_4arch9wavefront6targetE1EEEvT1_ ; -- Begin function _ZN7rocprim17ROCPRIM_400000_NS6detail17trampoline_kernelINS0_14default_configENS1_33run_length_encode_config_selectorItjNS0_4plusIjEEEEZZNS1_33reduce_by_key_impl_wrapped_configILNS1_25lookback_scan_determinismE0ES3_S7_PKtNS0_17constant_iteratorIjlEEPtPlSF_S6_NS0_8equal_toItEEEE10hipError_tPvRmT2_T3_mT4_T5_T6_T7_T8_P12ihipStream_tbENKUlT_T0_E_clISt17integral_constantIbLb0EESY_IbLb1EEEEDaSU_SV_EUlSU_E_NS1_11comp_targetILNS1_3genE10ELNS1_11target_archE1200ELNS1_3gpuE4ELNS1_3repE0EEENS1_30default_config_static_selectorELNS0_4arch9wavefront6targetE1EEEvT1_
	.globl	_ZN7rocprim17ROCPRIM_400000_NS6detail17trampoline_kernelINS0_14default_configENS1_33run_length_encode_config_selectorItjNS0_4plusIjEEEEZZNS1_33reduce_by_key_impl_wrapped_configILNS1_25lookback_scan_determinismE0ES3_S7_PKtNS0_17constant_iteratorIjlEEPtPlSF_S6_NS0_8equal_toItEEEE10hipError_tPvRmT2_T3_mT4_T5_T6_T7_T8_P12ihipStream_tbENKUlT_T0_E_clISt17integral_constantIbLb0EESY_IbLb1EEEEDaSU_SV_EUlSU_E_NS1_11comp_targetILNS1_3genE10ELNS1_11target_archE1200ELNS1_3gpuE4ELNS1_3repE0EEENS1_30default_config_static_selectorELNS0_4arch9wavefront6targetE1EEEvT1_
	.p2align	8
	.type	_ZN7rocprim17ROCPRIM_400000_NS6detail17trampoline_kernelINS0_14default_configENS1_33run_length_encode_config_selectorItjNS0_4plusIjEEEEZZNS1_33reduce_by_key_impl_wrapped_configILNS1_25lookback_scan_determinismE0ES3_S7_PKtNS0_17constant_iteratorIjlEEPtPlSF_S6_NS0_8equal_toItEEEE10hipError_tPvRmT2_T3_mT4_T5_T6_T7_T8_P12ihipStream_tbENKUlT_T0_E_clISt17integral_constantIbLb0EESY_IbLb1EEEEDaSU_SV_EUlSU_E_NS1_11comp_targetILNS1_3genE10ELNS1_11target_archE1200ELNS1_3gpuE4ELNS1_3repE0EEENS1_30default_config_static_selectorELNS0_4arch9wavefront6targetE1EEEvT1_,@function
_ZN7rocprim17ROCPRIM_400000_NS6detail17trampoline_kernelINS0_14default_configENS1_33run_length_encode_config_selectorItjNS0_4plusIjEEEEZZNS1_33reduce_by_key_impl_wrapped_configILNS1_25lookback_scan_determinismE0ES3_S7_PKtNS0_17constant_iteratorIjlEEPtPlSF_S6_NS0_8equal_toItEEEE10hipError_tPvRmT2_T3_mT4_T5_T6_T7_T8_P12ihipStream_tbENKUlT_T0_E_clISt17integral_constantIbLb0EESY_IbLb1EEEEDaSU_SV_EUlSU_E_NS1_11comp_targetILNS1_3genE10ELNS1_11target_archE1200ELNS1_3gpuE4ELNS1_3repE0EEENS1_30default_config_static_selectorELNS0_4arch9wavefront6targetE1EEEvT1_: ; @_ZN7rocprim17ROCPRIM_400000_NS6detail17trampoline_kernelINS0_14default_configENS1_33run_length_encode_config_selectorItjNS0_4plusIjEEEEZZNS1_33reduce_by_key_impl_wrapped_configILNS1_25lookback_scan_determinismE0ES3_S7_PKtNS0_17constant_iteratorIjlEEPtPlSF_S6_NS0_8equal_toItEEEE10hipError_tPvRmT2_T3_mT4_T5_T6_T7_T8_P12ihipStream_tbENKUlT_T0_E_clISt17integral_constantIbLb0EESY_IbLb1EEEEDaSU_SV_EUlSU_E_NS1_11comp_targetILNS1_3genE10ELNS1_11target_archE1200ELNS1_3gpuE4ELNS1_3repE0EEENS1_30default_config_static_selectorELNS0_4arch9wavefront6targetE1EEEvT1_
; %bb.0:
	.section	.rodata,"a",@progbits
	.p2align	6, 0x0
	.amdhsa_kernel _ZN7rocprim17ROCPRIM_400000_NS6detail17trampoline_kernelINS0_14default_configENS1_33run_length_encode_config_selectorItjNS0_4plusIjEEEEZZNS1_33reduce_by_key_impl_wrapped_configILNS1_25lookback_scan_determinismE0ES3_S7_PKtNS0_17constant_iteratorIjlEEPtPlSF_S6_NS0_8equal_toItEEEE10hipError_tPvRmT2_T3_mT4_T5_T6_T7_T8_P12ihipStream_tbENKUlT_T0_E_clISt17integral_constantIbLb0EESY_IbLb1EEEEDaSU_SV_EUlSU_E_NS1_11comp_targetILNS1_3genE10ELNS1_11target_archE1200ELNS1_3gpuE4ELNS1_3repE0EEENS1_30default_config_static_selectorELNS0_4arch9wavefront6targetE1EEEvT1_
		.amdhsa_group_segment_fixed_size 0
		.amdhsa_private_segment_fixed_size 0
		.amdhsa_kernarg_size 128
		.amdhsa_user_sgpr_count 2
		.amdhsa_user_sgpr_dispatch_ptr 0
		.amdhsa_user_sgpr_queue_ptr 0
		.amdhsa_user_sgpr_kernarg_segment_ptr 1
		.amdhsa_user_sgpr_dispatch_id 0
		.amdhsa_user_sgpr_kernarg_preload_length 0
		.amdhsa_user_sgpr_kernarg_preload_offset 0
		.amdhsa_user_sgpr_private_segment_size 0
		.amdhsa_uses_dynamic_stack 0
		.amdhsa_enable_private_segment 0
		.amdhsa_system_sgpr_workgroup_id_x 1
		.amdhsa_system_sgpr_workgroup_id_y 0
		.amdhsa_system_sgpr_workgroup_id_z 0
		.amdhsa_system_sgpr_workgroup_info 0
		.amdhsa_system_vgpr_workitem_id 0
		.amdhsa_next_free_vgpr 1
		.amdhsa_next_free_sgpr 0
		.amdhsa_accum_offset 4
		.amdhsa_reserve_vcc 0
		.amdhsa_float_round_mode_32 0
		.amdhsa_float_round_mode_16_64 0
		.amdhsa_float_denorm_mode_32 3
		.amdhsa_float_denorm_mode_16_64 3
		.amdhsa_dx10_clamp 1
		.amdhsa_ieee_mode 1
		.amdhsa_fp16_overflow 0
		.amdhsa_tg_split 0
		.amdhsa_exception_fp_ieee_invalid_op 0
		.amdhsa_exception_fp_denorm_src 0
		.amdhsa_exception_fp_ieee_div_zero 0
		.amdhsa_exception_fp_ieee_overflow 0
		.amdhsa_exception_fp_ieee_underflow 0
		.amdhsa_exception_fp_ieee_inexact 0
		.amdhsa_exception_int_div_zero 0
	.end_amdhsa_kernel
	.section	.text._ZN7rocprim17ROCPRIM_400000_NS6detail17trampoline_kernelINS0_14default_configENS1_33run_length_encode_config_selectorItjNS0_4plusIjEEEEZZNS1_33reduce_by_key_impl_wrapped_configILNS1_25lookback_scan_determinismE0ES3_S7_PKtNS0_17constant_iteratorIjlEEPtPlSF_S6_NS0_8equal_toItEEEE10hipError_tPvRmT2_T3_mT4_T5_T6_T7_T8_P12ihipStream_tbENKUlT_T0_E_clISt17integral_constantIbLb0EESY_IbLb1EEEEDaSU_SV_EUlSU_E_NS1_11comp_targetILNS1_3genE10ELNS1_11target_archE1200ELNS1_3gpuE4ELNS1_3repE0EEENS1_30default_config_static_selectorELNS0_4arch9wavefront6targetE1EEEvT1_,"axG",@progbits,_ZN7rocprim17ROCPRIM_400000_NS6detail17trampoline_kernelINS0_14default_configENS1_33run_length_encode_config_selectorItjNS0_4plusIjEEEEZZNS1_33reduce_by_key_impl_wrapped_configILNS1_25lookback_scan_determinismE0ES3_S7_PKtNS0_17constant_iteratorIjlEEPtPlSF_S6_NS0_8equal_toItEEEE10hipError_tPvRmT2_T3_mT4_T5_T6_T7_T8_P12ihipStream_tbENKUlT_T0_E_clISt17integral_constantIbLb0EESY_IbLb1EEEEDaSU_SV_EUlSU_E_NS1_11comp_targetILNS1_3genE10ELNS1_11target_archE1200ELNS1_3gpuE4ELNS1_3repE0EEENS1_30default_config_static_selectorELNS0_4arch9wavefront6targetE1EEEvT1_,comdat
.Lfunc_end820:
	.size	_ZN7rocprim17ROCPRIM_400000_NS6detail17trampoline_kernelINS0_14default_configENS1_33run_length_encode_config_selectorItjNS0_4plusIjEEEEZZNS1_33reduce_by_key_impl_wrapped_configILNS1_25lookback_scan_determinismE0ES3_S7_PKtNS0_17constant_iteratorIjlEEPtPlSF_S6_NS0_8equal_toItEEEE10hipError_tPvRmT2_T3_mT4_T5_T6_T7_T8_P12ihipStream_tbENKUlT_T0_E_clISt17integral_constantIbLb0EESY_IbLb1EEEEDaSU_SV_EUlSU_E_NS1_11comp_targetILNS1_3genE10ELNS1_11target_archE1200ELNS1_3gpuE4ELNS1_3repE0EEENS1_30default_config_static_selectorELNS0_4arch9wavefront6targetE1EEEvT1_, .Lfunc_end820-_ZN7rocprim17ROCPRIM_400000_NS6detail17trampoline_kernelINS0_14default_configENS1_33run_length_encode_config_selectorItjNS0_4plusIjEEEEZZNS1_33reduce_by_key_impl_wrapped_configILNS1_25lookback_scan_determinismE0ES3_S7_PKtNS0_17constant_iteratorIjlEEPtPlSF_S6_NS0_8equal_toItEEEE10hipError_tPvRmT2_T3_mT4_T5_T6_T7_T8_P12ihipStream_tbENKUlT_T0_E_clISt17integral_constantIbLb0EESY_IbLb1EEEEDaSU_SV_EUlSU_E_NS1_11comp_targetILNS1_3genE10ELNS1_11target_archE1200ELNS1_3gpuE4ELNS1_3repE0EEENS1_30default_config_static_selectorELNS0_4arch9wavefront6targetE1EEEvT1_
                                        ; -- End function
	.section	.AMDGPU.csdata,"",@progbits
; Kernel info:
; codeLenInByte = 0
; NumSgprs: 6
; NumVgprs: 0
; NumAgprs: 0
; TotalNumVgprs: 0
; ScratchSize: 0
; MemoryBound: 0
; FloatMode: 240
; IeeeMode: 1
; LDSByteSize: 0 bytes/workgroup (compile time only)
; SGPRBlocks: 0
; VGPRBlocks: 0
; NumSGPRsForWavesPerEU: 6
; NumVGPRsForWavesPerEU: 1
; AccumOffset: 4
; Occupancy: 8
; WaveLimiterHint : 0
; COMPUTE_PGM_RSRC2:SCRATCH_EN: 0
; COMPUTE_PGM_RSRC2:USER_SGPR: 2
; COMPUTE_PGM_RSRC2:TRAP_HANDLER: 0
; COMPUTE_PGM_RSRC2:TGID_X_EN: 1
; COMPUTE_PGM_RSRC2:TGID_Y_EN: 0
; COMPUTE_PGM_RSRC2:TGID_Z_EN: 0
; COMPUTE_PGM_RSRC2:TIDIG_COMP_CNT: 0
; COMPUTE_PGM_RSRC3_GFX90A:ACCUM_OFFSET: 0
; COMPUTE_PGM_RSRC3_GFX90A:TG_SPLIT: 0
	.section	.text._ZN7rocprim17ROCPRIM_400000_NS6detail17trampoline_kernelINS0_14default_configENS1_33run_length_encode_config_selectorItjNS0_4plusIjEEEEZZNS1_33reduce_by_key_impl_wrapped_configILNS1_25lookback_scan_determinismE0ES3_S7_PKtNS0_17constant_iteratorIjlEEPtPlSF_S6_NS0_8equal_toItEEEE10hipError_tPvRmT2_T3_mT4_T5_T6_T7_T8_P12ihipStream_tbENKUlT_T0_E_clISt17integral_constantIbLb0EESY_IbLb1EEEEDaSU_SV_EUlSU_E_NS1_11comp_targetILNS1_3genE9ELNS1_11target_archE1100ELNS1_3gpuE3ELNS1_3repE0EEENS1_30default_config_static_selectorELNS0_4arch9wavefront6targetE1EEEvT1_,"axG",@progbits,_ZN7rocprim17ROCPRIM_400000_NS6detail17trampoline_kernelINS0_14default_configENS1_33run_length_encode_config_selectorItjNS0_4plusIjEEEEZZNS1_33reduce_by_key_impl_wrapped_configILNS1_25lookback_scan_determinismE0ES3_S7_PKtNS0_17constant_iteratorIjlEEPtPlSF_S6_NS0_8equal_toItEEEE10hipError_tPvRmT2_T3_mT4_T5_T6_T7_T8_P12ihipStream_tbENKUlT_T0_E_clISt17integral_constantIbLb0EESY_IbLb1EEEEDaSU_SV_EUlSU_E_NS1_11comp_targetILNS1_3genE9ELNS1_11target_archE1100ELNS1_3gpuE3ELNS1_3repE0EEENS1_30default_config_static_selectorELNS0_4arch9wavefront6targetE1EEEvT1_,comdat
	.protected	_ZN7rocprim17ROCPRIM_400000_NS6detail17trampoline_kernelINS0_14default_configENS1_33run_length_encode_config_selectorItjNS0_4plusIjEEEEZZNS1_33reduce_by_key_impl_wrapped_configILNS1_25lookback_scan_determinismE0ES3_S7_PKtNS0_17constant_iteratorIjlEEPtPlSF_S6_NS0_8equal_toItEEEE10hipError_tPvRmT2_T3_mT4_T5_T6_T7_T8_P12ihipStream_tbENKUlT_T0_E_clISt17integral_constantIbLb0EESY_IbLb1EEEEDaSU_SV_EUlSU_E_NS1_11comp_targetILNS1_3genE9ELNS1_11target_archE1100ELNS1_3gpuE3ELNS1_3repE0EEENS1_30default_config_static_selectorELNS0_4arch9wavefront6targetE1EEEvT1_ ; -- Begin function _ZN7rocprim17ROCPRIM_400000_NS6detail17trampoline_kernelINS0_14default_configENS1_33run_length_encode_config_selectorItjNS0_4plusIjEEEEZZNS1_33reduce_by_key_impl_wrapped_configILNS1_25lookback_scan_determinismE0ES3_S7_PKtNS0_17constant_iteratorIjlEEPtPlSF_S6_NS0_8equal_toItEEEE10hipError_tPvRmT2_T3_mT4_T5_T6_T7_T8_P12ihipStream_tbENKUlT_T0_E_clISt17integral_constantIbLb0EESY_IbLb1EEEEDaSU_SV_EUlSU_E_NS1_11comp_targetILNS1_3genE9ELNS1_11target_archE1100ELNS1_3gpuE3ELNS1_3repE0EEENS1_30default_config_static_selectorELNS0_4arch9wavefront6targetE1EEEvT1_
	.globl	_ZN7rocprim17ROCPRIM_400000_NS6detail17trampoline_kernelINS0_14default_configENS1_33run_length_encode_config_selectorItjNS0_4plusIjEEEEZZNS1_33reduce_by_key_impl_wrapped_configILNS1_25lookback_scan_determinismE0ES3_S7_PKtNS0_17constant_iteratorIjlEEPtPlSF_S6_NS0_8equal_toItEEEE10hipError_tPvRmT2_T3_mT4_T5_T6_T7_T8_P12ihipStream_tbENKUlT_T0_E_clISt17integral_constantIbLb0EESY_IbLb1EEEEDaSU_SV_EUlSU_E_NS1_11comp_targetILNS1_3genE9ELNS1_11target_archE1100ELNS1_3gpuE3ELNS1_3repE0EEENS1_30default_config_static_selectorELNS0_4arch9wavefront6targetE1EEEvT1_
	.p2align	8
	.type	_ZN7rocprim17ROCPRIM_400000_NS6detail17trampoline_kernelINS0_14default_configENS1_33run_length_encode_config_selectorItjNS0_4plusIjEEEEZZNS1_33reduce_by_key_impl_wrapped_configILNS1_25lookback_scan_determinismE0ES3_S7_PKtNS0_17constant_iteratorIjlEEPtPlSF_S6_NS0_8equal_toItEEEE10hipError_tPvRmT2_T3_mT4_T5_T6_T7_T8_P12ihipStream_tbENKUlT_T0_E_clISt17integral_constantIbLb0EESY_IbLb1EEEEDaSU_SV_EUlSU_E_NS1_11comp_targetILNS1_3genE9ELNS1_11target_archE1100ELNS1_3gpuE3ELNS1_3repE0EEENS1_30default_config_static_selectorELNS0_4arch9wavefront6targetE1EEEvT1_,@function
_ZN7rocprim17ROCPRIM_400000_NS6detail17trampoline_kernelINS0_14default_configENS1_33run_length_encode_config_selectorItjNS0_4plusIjEEEEZZNS1_33reduce_by_key_impl_wrapped_configILNS1_25lookback_scan_determinismE0ES3_S7_PKtNS0_17constant_iteratorIjlEEPtPlSF_S6_NS0_8equal_toItEEEE10hipError_tPvRmT2_T3_mT4_T5_T6_T7_T8_P12ihipStream_tbENKUlT_T0_E_clISt17integral_constantIbLb0EESY_IbLb1EEEEDaSU_SV_EUlSU_E_NS1_11comp_targetILNS1_3genE9ELNS1_11target_archE1100ELNS1_3gpuE3ELNS1_3repE0EEENS1_30default_config_static_selectorELNS0_4arch9wavefront6targetE1EEEvT1_: ; @_ZN7rocprim17ROCPRIM_400000_NS6detail17trampoline_kernelINS0_14default_configENS1_33run_length_encode_config_selectorItjNS0_4plusIjEEEEZZNS1_33reduce_by_key_impl_wrapped_configILNS1_25lookback_scan_determinismE0ES3_S7_PKtNS0_17constant_iteratorIjlEEPtPlSF_S6_NS0_8equal_toItEEEE10hipError_tPvRmT2_T3_mT4_T5_T6_T7_T8_P12ihipStream_tbENKUlT_T0_E_clISt17integral_constantIbLb0EESY_IbLb1EEEEDaSU_SV_EUlSU_E_NS1_11comp_targetILNS1_3genE9ELNS1_11target_archE1100ELNS1_3gpuE3ELNS1_3repE0EEENS1_30default_config_static_selectorELNS0_4arch9wavefront6targetE1EEEvT1_
; %bb.0:
	.section	.rodata,"a",@progbits
	.p2align	6, 0x0
	.amdhsa_kernel _ZN7rocprim17ROCPRIM_400000_NS6detail17trampoline_kernelINS0_14default_configENS1_33run_length_encode_config_selectorItjNS0_4plusIjEEEEZZNS1_33reduce_by_key_impl_wrapped_configILNS1_25lookback_scan_determinismE0ES3_S7_PKtNS0_17constant_iteratorIjlEEPtPlSF_S6_NS0_8equal_toItEEEE10hipError_tPvRmT2_T3_mT4_T5_T6_T7_T8_P12ihipStream_tbENKUlT_T0_E_clISt17integral_constantIbLb0EESY_IbLb1EEEEDaSU_SV_EUlSU_E_NS1_11comp_targetILNS1_3genE9ELNS1_11target_archE1100ELNS1_3gpuE3ELNS1_3repE0EEENS1_30default_config_static_selectorELNS0_4arch9wavefront6targetE1EEEvT1_
		.amdhsa_group_segment_fixed_size 0
		.amdhsa_private_segment_fixed_size 0
		.amdhsa_kernarg_size 128
		.amdhsa_user_sgpr_count 2
		.amdhsa_user_sgpr_dispatch_ptr 0
		.amdhsa_user_sgpr_queue_ptr 0
		.amdhsa_user_sgpr_kernarg_segment_ptr 1
		.amdhsa_user_sgpr_dispatch_id 0
		.amdhsa_user_sgpr_kernarg_preload_length 0
		.amdhsa_user_sgpr_kernarg_preload_offset 0
		.amdhsa_user_sgpr_private_segment_size 0
		.amdhsa_uses_dynamic_stack 0
		.amdhsa_enable_private_segment 0
		.amdhsa_system_sgpr_workgroup_id_x 1
		.amdhsa_system_sgpr_workgroup_id_y 0
		.amdhsa_system_sgpr_workgroup_id_z 0
		.amdhsa_system_sgpr_workgroup_info 0
		.amdhsa_system_vgpr_workitem_id 0
		.amdhsa_next_free_vgpr 1
		.amdhsa_next_free_sgpr 0
		.amdhsa_accum_offset 4
		.amdhsa_reserve_vcc 0
		.amdhsa_float_round_mode_32 0
		.amdhsa_float_round_mode_16_64 0
		.amdhsa_float_denorm_mode_32 3
		.amdhsa_float_denorm_mode_16_64 3
		.amdhsa_dx10_clamp 1
		.amdhsa_ieee_mode 1
		.amdhsa_fp16_overflow 0
		.amdhsa_tg_split 0
		.amdhsa_exception_fp_ieee_invalid_op 0
		.amdhsa_exception_fp_denorm_src 0
		.amdhsa_exception_fp_ieee_div_zero 0
		.amdhsa_exception_fp_ieee_overflow 0
		.amdhsa_exception_fp_ieee_underflow 0
		.amdhsa_exception_fp_ieee_inexact 0
		.amdhsa_exception_int_div_zero 0
	.end_amdhsa_kernel
	.section	.text._ZN7rocprim17ROCPRIM_400000_NS6detail17trampoline_kernelINS0_14default_configENS1_33run_length_encode_config_selectorItjNS0_4plusIjEEEEZZNS1_33reduce_by_key_impl_wrapped_configILNS1_25lookback_scan_determinismE0ES3_S7_PKtNS0_17constant_iteratorIjlEEPtPlSF_S6_NS0_8equal_toItEEEE10hipError_tPvRmT2_T3_mT4_T5_T6_T7_T8_P12ihipStream_tbENKUlT_T0_E_clISt17integral_constantIbLb0EESY_IbLb1EEEEDaSU_SV_EUlSU_E_NS1_11comp_targetILNS1_3genE9ELNS1_11target_archE1100ELNS1_3gpuE3ELNS1_3repE0EEENS1_30default_config_static_selectorELNS0_4arch9wavefront6targetE1EEEvT1_,"axG",@progbits,_ZN7rocprim17ROCPRIM_400000_NS6detail17trampoline_kernelINS0_14default_configENS1_33run_length_encode_config_selectorItjNS0_4plusIjEEEEZZNS1_33reduce_by_key_impl_wrapped_configILNS1_25lookback_scan_determinismE0ES3_S7_PKtNS0_17constant_iteratorIjlEEPtPlSF_S6_NS0_8equal_toItEEEE10hipError_tPvRmT2_T3_mT4_T5_T6_T7_T8_P12ihipStream_tbENKUlT_T0_E_clISt17integral_constantIbLb0EESY_IbLb1EEEEDaSU_SV_EUlSU_E_NS1_11comp_targetILNS1_3genE9ELNS1_11target_archE1100ELNS1_3gpuE3ELNS1_3repE0EEENS1_30default_config_static_selectorELNS0_4arch9wavefront6targetE1EEEvT1_,comdat
.Lfunc_end821:
	.size	_ZN7rocprim17ROCPRIM_400000_NS6detail17trampoline_kernelINS0_14default_configENS1_33run_length_encode_config_selectorItjNS0_4plusIjEEEEZZNS1_33reduce_by_key_impl_wrapped_configILNS1_25lookback_scan_determinismE0ES3_S7_PKtNS0_17constant_iteratorIjlEEPtPlSF_S6_NS0_8equal_toItEEEE10hipError_tPvRmT2_T3_mT4_T5_T6_T7_T8_P12ihipStream_tbENKUlT_T0_E_clISt17integral_constantIbLb0EESY_IbLb1EEEEDaSU_SV_EUlSU_E_NS1_11comp_targetILNS1_3genE9ELNS1_11target_archE1100ELNS1_3gpuE3ELNS1_3repE0EEENS1_30default_config_static_selectorELNS0_4arch9wavefront6targetE1EEEvT1_, .Lfunc_end821-_ZN7rocprim17ROCPRIM_400000_NS6detail17trampoline_kernelINS0_14default_configENS1_33run_length_encode_config_selectorItjNS0_4plusIjEEEEZZNS1_33reduce_by_key_impl_wrapped_configILNS1_25lookback_scan_determinismE0ES3_S7_PKtNS0_17constant_iteratorIjlEEPtPlSF_S6_NS0_8equal_toItEEEE10hipError_tPvRmT2_T3_mT4_T5_T6_T7_T8_P12ihipStream_tbENKUlT_T0_E_clISt17integral_constantIbLb0EESY_IbLb1EEEEDaSU_SV_EUlSU_E_NS1_11comp_targetILNS1_3genE9ELNS1_11target_archE1100ELNS1_3gpuE3ELNS1_3repE0EEENS1_30default_config_static_selectorELNS0_4arch9wavefront6targetE1EEEvT1_
                                        ; -- End function
	.section	.AMDGPU.csdata,"",@progbits
; Kernel info:
; codeLenInByte = 0
; NumSgprs: 6
; NumVgprs: 0
; NumAgprs: 0
; TotalNumVgprs: 0
; ScratchSize: 0
; MemoryBound: 0
; FloatMode: 240
; IeeeMode: 1
; LDSByteSize: 0 bytes/workgroup (compile time only)
; SGPRBlocks: 0
; VGPRBlocks: 0
; NumSGPRsForWavesPerEU: 6
; NumVGPRsForWavesPerEU: 1
; AccumOffset: 4
; Occupancy: 8
; WaveLimiterHint : 0
; COMPUTE_PGM_RSRC2:SCRATCH_EN: 0
; COMPUTE_PGM_RSRC2:USER_SGPR: 2
; COMPUTE_PGM_RSRC2:TRAP_HANDLER: 0
; COMPUTE_PGM_RSRC2:TGID_X_EN: 1
; COMPUTE_PGM_RSRC2:TGID_Y_EN: 0
; COMPUTE_PGM_RSRC2:TGID_Z_EN: 0
; COMPUTE_PGM_RSRC2:TIDIG_COMP_CNT: 0
; COMPUTE_PGM_RSRC3_GFX90A:ACCUM_OFFSET: 0
; COMPUTE_PGM_RSRC3_GFX90A:TG_SPLIT: 0
	.section	.text._ZN7rocprim17ROCPRIM_400000_NS6detail17trampoline_kernelINS0_14default_configENS1_33run_length_encode_config_selectorItjNS0_4plusIjEEEEZZNS1_33reduce_by_key_impl_wrapped_configILNS1_25lookback_scan_determinismE0ES3_S7_PKtNS0_17constant_iteratorIjlEEPtPlSF_S6_NS0_8equal_toItEEEE10hipError_tPvRmT2_T3_mT4_T5_T6_T7_T8_P12ihipStream_tbENKUlT_T0_E_clISt17integral_constantIbLb0EESY_IbLb1EEEEDaSU_SV_EUlSU_E_NS1_11comp_targetILNS1_3genE8ELNS1_11target_archE1030ELNS1_3gpuE2ELNS1_3repE0EEENS1_30default_config_static_selectorELNS0_4arch9wavefront6targetE1EEEvT1_,"axG",@progbits,_ZN7rocprim17ROCPRIM_400000_NS6detail17trampoline_kernelINS0_14default_configENS1_33run_length_encode_config_selectorItjNS0_4plusIjEEEEZZNS1_33reduce_by_key_impl_wrapped_configILNS1_25lookback_scan_determinismE0ES3_S7_PKtNS0_17constant_iteratorIjlEEPtPlSF_S6_NS0_8equal_toItEEEE10hipError_tPvRmT2_T3_mT4_T5_T6_T7_T8_P12ihipStream_tbENKUlT_T0_E_clISt17integral_constantIbLb0EESY_IbLb1EEEEDaSU_SV_EUlSU_E_NS1_11comp_targetILNS1_3genE8ELNS1_11target_archE1030ELNS1_3gpuE2ELNS1_3repE0EEENS1_30default_config_static_selectorELNS0_4arch9wavefront6targetE1EEEvT1_,comdat
	.protected	_ZN7rocprim17ROCPRIM_400000_NS6detail17trampoline_kernelINS0_14default_configENS1_33run_length_encode_config_selectorItjNS0_4plusIjEEEEZZNS1_33reduce_by_key_impl_wrapped_configILNS1_25lookback_scan_determinismE0ES3_S7_PKtNS0_17constant_iteratorIjlEEPtPlSF_S6_NS0_8equal_toItEEEE10hipError_tPvRmT2_T3_mT4_T5_T6_T7_T8_P12ihipStream_tbENKUlT_T0_E_clISt17integral_constantIbLb0EESY_IbLb1EEEEDaSU_SV_EUlSU_E_NS1_11comp_targetILNS1_3genE8ELNS1_11target_archE1030ELNS1_3gpuE2ELNS1_3repE0EEENS1_30default_config_static_selectorELNS0_4arch9wavefront6targetE1EEEvT1_ ; -- Begin function _ZN7rocprim17ROCPRIM_400000_NS6detail17trampoline_kernelINS0_14default_configENS1_33run_length_encode_config_selectorItjNS0_4plusIjEEEEZZNS1_33reduce_by_key_impl_wrapped_configILNS1_25lookback_scan_determinismE0ES3_S7_PKtNS0_17constant_iteratorIjlEEPtPlSF_S6_NS0_8equal_toItEEEE10hipError_tPvRmT2_T3_mT4_T5_T6_T7_T8_P12ihipStream_tbENKUlT_T0_E_clISt17integral_constantIbLb0EESY_IbLb1EEEEDaSU_SV_EUlSU_E_NS1_11comp_targetILNS1_3genE8ELNS1_11target_archE1030ELNS1_3gpuE2ELNS1_3repE0EEENS1_30default_config_static_selectorELNS0_4arch9wavefront6targetE1EEEvT1_
	.globl	_ZN7rocprim17ROCPRIM_400000_NS6detail17trampoline_kernelINS0_14default_configENS1_33run_length_encode_config_selectorItjNS0_4plusIjEEEEZZNS1_33reduce_by_key_impl_wrapped_configILNS1_25lookback_scan_determinismE0ES3_S7_PKtNS0_17constant_iteratorIjlEEPtPlSF_S6_NS0_8equal_toItEEEE10hipError_tPvRmT2_T3_mT4_T5_T6_T7_T8_P12ihipStream_tbENKUlT_T0_E_clISt17integral_constantIbLb0EESY_IbLb1EEEEDaSU_SV_EUlSU_E_NS1_11comp_targetILNS1_3genE8ELNS1_11target_archE1030ELNS1_3gpuE2ELNS1_3repE0EEENS1_30default_config_static_selectorELNS0_4arch9wavefront6targetE1EEEvT1_
	.p2align	8
	.type	_ZN7rocprim17ROCPRIM_400000_NS6detail17trampoline_kernelINS0_14default_configENS1_33run_length_encode_config_selectorItjNS0_4plusIjEEEEZZNS1_33reduce_by_key_impl_wrapped_configILNS1_25lookback_scan_determinismE0ES3_S7_PKtNS0_17constant_iteratorIjlEEPtPlSF_S6_NS0_8equal_toItEEEE10hipError_tPvRmT2_T3_mT4_T5_T6_T7_T8_P12ihipStream_tbENKUlT_T0_E_clISt17integral_constantIbLb0EESY_IbLb1EEEEDaSU_SV_EUlSU_E_NS1_11comp_targetILNS1_3genE8ELNS1_11target_archE1030ELNS1_3gpuE2ELNS1_3repE0EEENS1_30default_config_static_selectorELNS0_4arch9wavefront6targetE1EEEvT1_,@function
_ZN7rocprim17ROCPRIM_400000_NS6detail17trampoline_kernelINS0_14default_configENS1_33run_length_encode_config_selectorItjNS0_4plusIjEEEEZZNS1_33reduce_by_key_impl_wrapped_configILNS1_25lookback_scan_determinismE0ES3_S7_PKtNS0_17constant_iteratorIjlEEPtPlSF_S6_NS0_8equal_toItEEEE10hipError_tPvRmT2_T3_mT4_T5_T6_T7_T8_P12ihipStream_tbENKUlT_T0_E_clISt17integral_constantIbLb0EESY_IbLb1EEEEDaSU_SV_EUlSU_E_NS1_11comp_targetILNS1_3genE8ELNS1_11target_archE1030ELNS1_3gpuE2ELNS1_3repE0EEENS1_30default_config_static_selectorELNS0_4arch9wavefront6targetE1EEEvT1_: ; @_ZN7rocprim17ROCPRIM_400000_NS6detail17trampoline_kernelINS0_14default_configENS1_33run_length_encode_config_selectorItjNS0_4plusIjEEEEZZNS1_33reduce_by_key_impl_wrapped_configILNS1_25lookback_scan_determinismE0ES3_S7_PKtNS0_17constant_iteratorIjlEEPtPlSF_S6_NS0_8equal_toItEEEE10hipError_tPvRmT2_T3_mT4_T5_T6_T7_T8_P12ihipStream_tbENKUlT_T0_E_clISt17integral_constantIbLb0EESY_IbLb1EEEEDaSU_SV_EUlSU_E_NS1_11comp_targetILNS1_3genE8ELNS1_11target_archE1030ELNS1_3gpuE2ELNS1_3repE0EEENS1_30default_config_static_selectorELNS0_4arch9wavefront6targetE1EEEvT1_
; %bb.0:
	.section	.rodata,"a",@progbits
	.p2align	6, 0x0
	.amdhsa_kernel _ZN7rocprim17ROCPRIM_400000_NS6detail17trampoline_kernelINS0_14default_configENS1_33run_length_encode_config_selectorItjNS0_4plusIjEEEEZZNS1_33reduce_by_key_impl_wrapped_configILNS1_25lookback_scan_determinismE0ES3_S7_PKtNS0_17constant_iteratorIjlEEPtPlSF_S6_NS0_8equal_toItEEEE10hipError_tPvRmT2_T3_mT4_T5_T6_T7_T8_P12ihipStream_tbENKUlT_T0_E_clISt17integral_constantIbLb0EESY_IbLb1EEEEDaSU_SV_EUlSU_E_NS1_11comp_targetILNS1_3genE8ELNS1_11target_archE1030ELNS1_3gpuE2ELNS1_3repE0EEENS1_30default_config_static_selectorELNS0_4arch9wavefront6targetE1EEEvT1_
		.amdhsa_group_segment_fixed_size 0
		.amdhsa_private_segment_fixed_size 0
		.amdhsa_kernarg_size 128
		.amdhsa_user_sgpr_count 2
		.amdhsa_user_sgpr_dispatch_ptr 0
		.amdhsa_user_sgpr_queue_ptr 0
		.amdhsa_user_sgpr_kernarg_segment_ptr 1
		.amdhsa_user_sgpr_dispatch_id 0
		.amdhsa_user_sgpr_kernarg_preload_length 0
		.amdhsa_user_sgpr_kernarg_preload_offset 0
		.amdhsa_user_sgpr_private_segment_size 0
		.amdhsa_uses_dynamic_stack 0
		.amdhsa_enable_private_segment 0
		.amdhsa_system_sgpr_workgroup_id_x 1
		.amdhsa_system_sgpr_workgroup_id_y 0
		.amdhsa_system_sgpr_workgroup_id_z 0
		.amdhsa_system_sgpr_workgroup_info 0
		.amdhsa_system_vgpr_workitem_id 0
		.amdhsa_next_free_vgpr 1
		.amdhsa_next_free_sgpr 0
		.amdhsa_accum_offset 4
		.amdhsa_reserve_vcc 0
		.amdhsa_float_round_mode_32 0
		.amdhsa_float_round_mode_16_64 0
		.amdhsa_float_denorm_mode_32 3
		.amdhsa_float_denorm_mode_16_64 3
		.amdhsa_dx10_clamp 1
		.amdhsa_ieee_mode 1
		.amdhsa_fp16_overflow 0
		.amdhsa_tg_split 0
		.amdhsa_exception_fp_ieee_invalid_op 0
		.amdhsa_exception_fp_denorm_src 0
		.amdhsa_exception_fp_ieee_div_zero 0
		.amdhsa_exception_fp_ieee_overflow 0
		.amdhsa_exception_fp_ieee_underflow 0
		.amdhsa_exception_fp_ieee_inexact 0
		.amdhsa_exception_int_div_zero 0
	.end_amdhsa_kernel
	.section	.text._ZN7rocprim17ROCPRIM_400000_NS6detail17trampoline_kernelINS0_14default_configENS1_33run_length_encode_config_selectorItjNS0_4plusIjEEEEZZNS1_33reduce_by_key_impl_wrapped_configILNS1_25lookback_scan_determinismE0ES3_S7_PKtNS0_17constant_iteratorIjlEEPtPlSF_S6_NS0_8equal_toItEEEE10hipError_tPvRmT2_T3_mT4_T5_T6_T7_T8_P12ihipStream_tbENKUlT_T0_E_clISt17integral_constantIbLb0EESY_IbLb1EEEEDaSU_SV_EUlSU_E_NS1_11comp_targetILNS1_3genE8ELNS1_11target_archE1030ELNS1_3gpuE2ELNS1_3repE0EEENS1_30default_config_static_selectorELNS0_4arch9wavefront6targetE1EEEvT1_,"axG",@progbits,_ZN7rocprim17ROCPRIM_400000_NS6detail17trampoline_kernelINS0_14default_configENS1_33run_length_encode_config_selectorItjNS0_4plusIjEEEEZZNS1_33reduce_by_key_impl_wrapped_configILNS1_25lookback_scan_determinismE0ES3_S7_PKtNS0_17constant_iteratorIjlEEPtPlSF_S6_NS0_8equal_toItEEEE10hipError_tPvRmT2_T3_mT4_T5_T6_T7_T8_P12ihipStream_tbENKUlT_T0_E_clISt17integral_constantIbLb0EESY_IbLb1EEEEDaSU_SV_EUlSU_E_NS1_11comp_targetILNS1_3genE8ELNS1_11target_archE1030ELNS1_3gpuE2ELNS1_3repE0EEENS1_30default_config_static_selectorELNS0_4arch9wavefront6targetE1EEEvT1_,comdat
.Lfunc_end822:
	.size	_ZN7rocprim17ROCPRIM_400000_NS6detail17trampoline_kernelINS0_14default_configENS1_33run_length_encode_config_selectorItjNS0_4plusIjEEEEZZNS1_33reduce_by_key_impl_wrapped_configILNS1_25lookback_scan_determinismE0ES3_S7_PKtNS0_17constant_iteratorIjlEEPtPlSF_S6_NS0_8equal_toItEEEE10hipError_tPvRmT2_T3_mT4_T5_T6_T7_T8_P12ihipStream_tbENKUlT_T0_E_clISt17integral_constantIbLb0EESY_IbLb1EEEEDaSU_SV_EUlSU_E_NS1_11comp_targetILNS1_3genE8ELNS1_11target_archE1030ELNS1_3gpuE2ELNS1_3repE0EEENS1_30default_config_static_selectorELNS0_4arch9wavefront6targetE1EEEvT1_, .Lfunc_end822-_ZN7rocprim17ROCPRIM_400000_NS6detail17trampoline_kernelINS0_14default_configENS1_33run_length_encode_config_selectorItjNS0_4plusIjEEEEZZNS1_33reduce_by_key_impl_wrapped_configILNS1_25lookback_scan_determinismE0ES3_S7_PKtNS0_17constant_iteratorIjlEEPtPlSF_S6_NS0_8equal_toItEEEE10hipError_tPvRmT2_T3_mT4_T5_T6_T7_T8_P12ihipStream_tbENKUlT_T0_E_clISt17integral_constantIbLb0EESY_IbLb1EEEEDaSU_SV_EUlSU_E_NS1_11comp_targetILNS1_3genE8ELNS1_11target_archE1030ELNS1_3gpuE2ELNS1_3repE0EEENS1_30default_config_static_selectorELNS0_4arch9wavefront6targetE1EEEvT1_
                                        ; -- End function
	.section	.AMDGPU.csdata,"",@progbits
; Kernel info:
; codeLenInByte = 0
; NumSgprs: 6
; NumVgprs: 0
; NumAgprs: 0
; TotalNumVgprs: 0
; ScratchSize: 0
; MemoryBound: 0
; FloatMode: 240
; IeeeMode: 1
; LDSByteSize: 0 bytes/workgroup (compile time only)
; SGPRBlocks: 0
; VGPRBlocks: 0
; NumSGPRsForWavesPerEU: 6
; NumVGPRsForWavesPerEU: 1
; AccumOffset: 4
; Occupancy: 8
; WaveLimiterHint : 0
; COMPUTE_PGM_RSRC2:SCRATCH_EN: 0
; COMPUTE_PGM_RSRC2:USER_SGPR: 2
; COMPUTE_PGM_RSRC2:TRAP_HANDLER: 0
; COMPUTE_PGM_RSRC2:TGID_X_EN: 1
; COMPUTE_PGM_RSRC2:TGID_Y_EN: 0
; COMPUTE_PGM_RSRC2:TGID_Z_EN: 0
; COMPUTE_PGM_RSRC2:TIDIG_COMP_CNT: 0
; COMPUTE_PGM_RSRC3_GFX90A:ACCUM_OFFSET: 0
; COMPUTE_PGM_RSRC3_GFX90A:TG_SPLIT: 0
	.section	.text._ZN2at6native8internal12_GLOBAL__N_126adjacent_difference_kernelIPKN3c108BFloat16EEEvlT_Pi,"axG",@progbits,_ZN2at6native8internal12_GLOBAL__N_126adjacent_difference_kernelIPKN3c108BFloat16EEEvlT_Pi,comdat
	.globl	_ZN2at6native8internal12_GLOBAL__N_126adjacent_difference_kernelIPKN3c108BFloat16EEEvlT_Pi ; -- Begin function _ZN2at6native8internal12_GLOBAL__N_126adjacent_difference_kernelIPKN3c108BFloat16EEEvlT_Pi
	.p2align	8
	.type	_ZN2at6native8internal12_GLOBAL__N_126adjacent_difference_kernelIPKN3c108BFloat16EEEvlT_Pi,@function
_ZN2at6native8internal12_GLOBAL__N_126adjacent_difference_kernelIPKN3c108BFloat16EEEvlT_Pi: ; @_ZN2at6native8internal12_GLOBAL__N_126adjacent_difference_kernelIPKN3c108BFloat16EEEvlT_Pi
; %bb.0:
	s_load_dword s3, s[0:1], 0x24
	s_load_dwordx4 s[4:7], s[0:1], 0x0
	s_add_u32 s10, s0, 24
	s_addc_u32 s11, s1, 0
	v_mov_b32_e32 v1, 0
	s_waitcnt lgkmcnt(0)
	s_and_b32 s12, s3, 0xffff
	v_mov_b32_e32 v2, s2
	v_mad_u64_u32 v[4:5], s[8:9], s12, v2, v[0:1]
	v_cmp_gt_i64_e32 vcc, s[4:5], v[4:5]
	s_and_saveexec_b64 s[8:9], vcc
	s_cbranch_execz .LBB823_5
; %bb.1:
	s_load_dword s13, s[10:11], 0x0
	s_load_dwordx2 s[8:9], s[0:1], 0x10
	s_mul_hi_u32 s1, s12, s2
	s_mul_i32 s0, s12, s2
	s_mov_b32 s3, 0
	s_waitcnt lgkmcnt(0)
	s_mul_i32 s2, s13, s12
	v_mov_b32_e32 v2, v1
	v_mov_b32_e32 v3, v4
	s_mov_b32 s10, s3
	s_mov_b32 s11, s2
	s_mov_b64 s[12:13], 0
	v_mov_b64_e32 v[4:5], v[0:1]
	s_branch .LBB823_3
.LBB823_2:                              ;   in Loop: Header=BB823_3 Depth=1
	s_or_b64 exec, exec, s[14:15]
	v_ashrrev_i64 v[6:7], 30, v[2:3]
	v_lshl_add_u64 v[6:7], s[8:9], 0, v[6:7]
	v_lshl_add_u64 v[4:5], v[4:5], 0, s[2:3]
	global_store_dword v[6:7], v0, off
	v_lshl_add_u64 v[6:7], s[0:1], 0, v[4:5]
	v_cmp_le_i64_e32 vcc, s[4:5], v[6:7]
	s_or_b64 s[12:13], vcc, s[12:13]
	v_lshl_add_u64 v[2:3], v[2:3], 0, s[10:11]
	s_andn2_b64 exec, exec, s[12:13]
	s_cbranch_execz .LBB823_5
.LBB823_3:                              ; =>This Inner Loop Header: Depth=1
	v_add_u32_e32 v0, s0, v4
	v_cmp_lt_i32_e32 vcc, 0, v0
	v_mov_b32_e32 v0, 0
	s_and_saveexec_b64 s[14:15], vcc
	s_cbranch_execz .LBB823_2
; %bb.4:                                ;   in Loop: Header=BB823_3 Depth=1
	v_add_u32_e32 v0, s0, v4
	v_lshlrev_b32_e32 v8, 1, v0
	v_add_u32_e32 v0, -1, v0
	v_lshl_add_u64 v[6:7], v[0:1], 1, s[6:7]
	global_load_ushort v0, v8, s[6:7]
	global_load_ushort v9, v[6:7], off
	s_waitcnt vmcnt(1)
	v_lshlrev_b32_e32 v0, 16, v0
	s_waitcnt vmcnt(0)
	v_lshlrev_b32_e32 v6, 16, v9
	v_cmp_neq_f32_e32 vcc, v0, v6
	s_nop 1
	v_cndmask_b32_e64 v0, 0, 1, vcc
	s_branch .LBB823_2
.LBB823_5:
	s_endpgm
	.section	.rodata,"a",@progbits
	.p2align	6, 0x0
	.amdhsa_kernel _ZN2at6native8internal12_GLOBAL__N_126adjacent_difference_kernelIPKN3c108BFloat16EEEvlT_Pi
		.amdhsa_group_segment_fixed_size 0
		.amdhsa_private_segment_fixed_size 0
		.amdhsa_kernarg_size 280
		.amdhsa_user_sgpr_count 2
		.amdhsa_user_sgpr_dispatch_ptr 0
		.amdhsa_user_sgpr_queue_ptr 0
		.amdhsa_user_sgpr_kernarg_segment_ptr 1
		.amdhsa_user_sgpr_dispatch_id 0
		.amdhsa_user_sgpr_kernarg_preload_length 0
		.amdhsa_user_sgpr_kernarg_preload_offset 0
		.amdhsa_user_sgpr_private_segment_size 0
		.amdhsa_uses_dynamic_stack 0
		.amdhsa_enable_private_segment 0
		.amdhsa_system_sgpr_workgroup_id_x 1
		.amdhsa_system_sgpr_workgroup_id_y 0
		.amdhsa_system_sgpr_workgroup_id_z 0
		.amdhsa_system_sgpr_workgroup_info 0
		.amdhsa_system_vgpr_workitem_id 0
		.amdhsa_next_free_vgpr 10
		.amdhsa_next_free_sgpr 16
		.amdhsa_accum_offset 12
		.amdhsa_reserve_vcc 1
		.amdhsa_float_round_mode_32 0
		.amdhsa_float_round_mode_16_64 0
		.amdhsa_float_denorm_mode_32 3
		.amdhsa_float_denorm_mode_16_64 3
		.amdhsa_dx10_clamp 1
		.amdhsa_ieee_mode 1
		.amdhsa_fp16_overflow 0
		.amdhsa_tg_split 0
		.amdhsa_exception_fp_ieee_invalid_op 0
		.amdhsa_exception_fp_denorm_src 0
		.amdhsa_exception_fp_ieee_div_zero 0
		.amdhsa_exception_fp_ieee_overflow 0
		.amdhsa_exception_fp_ieee_underflow 0
		.amdhsa_exception_fp_ieee_inexact 0
		.amdhsa_exception_int_div_zero 0
	.end_amdhsa_kernel
	.section	.text._ZN2at6native8internal12_GLOBAL__N_126adjacent_difference_kernelIPKN3c108BFloat16EEEvlT_Pi,"axG",@progbits,_ZN2at6native8internal12_GLOBAL__N_126adjacent_difference_kernelIPKN3c108BFloat16EEEvlT_Pi,comdat
.Lfunc_end823:
	.size	_ZN2at6native8internal12_GLOBAL__N_126adjacent_difference_kernelIPKN3c108BFloat16EEEvlT_Pi, .Lfunc_end823-_ZN2at6native8internal12_GLOBAL__N_126adjacent_difference_kernelIPKN3c108BFloat16EEEvlT_Pi
                                        ; -- End function
	.section	.AMDGPU.csdata,"",@progbits
; Kernel info:
; codeLenInByte = 292
; NumSgprs: 22
; NumVgprs: 10
; NumAgprs: 0
; TotalNumVgprs: 10
; ScratchSize: 0
; MemoryBound: 0
; FloatMode: 240
; IeeeMode: 1
; LDSByteSize: 0 bytes/workgroup (compile time only)
; SGPRBlocks: 2
; VGPRBlocks: 1
; NumSGPRsForWavesPerEU: 22
; NumVGPRsForWavesPerEU: 10
; AccumOffset: 12
; Occupancy: 8
; WaveLimiterHint : 0
; COMPUTE_PGM_RSRC2:SCRATCH_EN: 0
; COMPUTE_PGM_RSRC2:USER_SGPR: 2
; COMPUTE_PGM_RSRC2:TRAP_HANDLER: 0
; COMPUTE_PGM_RSRC2:TGID_X_EN: 1
; COMPUTE_PGM_RSRC2:TGID_Y_EN: 0
; COMPUTE_PGM_RSRC2:TGID_Z_EN: 0
; COMPUTE_PGM_RSRC2:TIDIG_COMP_CNT: 0
; COMPUTE_PGM_RSRC3_GFX90A:ACCUM_OFFSET: 2
; COMPUTE_PGM_RSRC3_GFX90A:TG_SPLIT: 0
	.section	.text._ZN7rocprim17ROCPRIM_400000_NS6detail17trampoline_kernelINS0_14default_configENS1_25partition_config_selectorILNS1_17partition_subalgoE8EN3c108BFloat16ENS0_10empty_typeEbEEZZNS1_14partition_implILS5_8ELb0ES3_jPKS7_PS8_PKS8_NS0_5tupleIJPS7_S8_EEENSG_IJSD_SD_EEENS0_18inequality_wrapperIN6hipcub16HIPCUB_304000_NS8EqualityEEEPlJS8_EEE10hipError_tPvRmT3_T4_T5_T6_T7_T9_mT8_P12ihipStream_tbDpT10_ENKUlT_T0_E_clISt17integral_constantIbLb0EES19_EEDaS14_S15_EUlS14_E_NS1_11comp_targetILNS1_3genE0ELNS1_11target_archE4294967295ELNS1_3gpuE0ELNS1_3repE0EEENS1_30default_config_static_selectorELNS0_4arch9wavefront6targetE1EEEvT1_,"axG",@progbits,_ZN7rocprim17ROCPRIM_400000_NS6detail17trampoline_kernelINS0_14default_configENS1_25partition_config_selectorILNS1_17partition_subalgoE8EN3c108BFloat16ENS0_10empty_typeEbEEZZNS1_14partition_implILS5_8ELb0ES3_jPKS7_PS8_PKS8_NS0_5tupleIJPS7_S8_EEENSG_IJSD_SD_EEENS0_18inequality_wrapperIN6hipcub16HIPCUB_304000_NS8EqualityEEEPlJS8_EEE10hipError_tPvRmT3_T4_T5_T6_T7_T9_mT8_P12ihipStream_tbDpT10_ENKUlT_T0_E_clISt17integral_constantIbLb0EES19_EEDaS14_S15_EUlS14_E_NS1_11comp_targetILNS1_3genE0ELNS1_11target_archE4294967295ELNS1_3gpuE0ELNS1_3repE0EEENS1_30default_config_static_selectorELNS0_4arch9wavefront6targetE1EEEvT1_,comdat
	.protected	_ZN7rocprim17ROCPRIM_400000_NS6detail17trampoline_kernelINS0_14default_configENS1_25partition_config_selectorILNS1_17partition_subalgoE8EN3c108BFloat16ENS0_10empty_typeEbEEZZNS1_14partition_implILS5_8ELb0ES3_jPKS7_PS8_PKS8_NS0_5tupleIJPS7_S8_EEENSG_IJSD_SD_EEENS0_18inequality_wrapperIN6hipcub16HIPCUB_304000_NS8EqualityEEEPlJS8_EEE10hipError_tPvRmT3_T4_T5_T6_T7_T9_mT8_P12ihipStream_tbDpT10_ENKUlT_T0_E_clISt17integral_constantIbLb0EES19_EEDaS14_S15_EUlS14_E_NS1_11comp_targetILNS1_3genE0ELNS1_11target_archE4294967295ELNS1_3gpuE0ELNS1_3repE0EEENS1_30default_config_static_selectorELNS0_4arch9wavefront6targetE1EEEvT1_ ; -- Begin function _ZN7rocprim17ROCPRIM_400000_NS6detail17trampoline_kernelINS0_14default_configENS1_25partition_config_selectorILNS1_17partition_subalgoE8EN3c108BFloat16ENS0_10empty_typeEbEEZZNS1_14partition_implILS5_8ELb0ES3_jPKS7_PS8_PKS8_NS0_5tupleIJPS7_S8_EEENSG_IJSD_SD_EEENS0_18inequality_wrapperIN6hipcub16HIPCUB_304000_NS8EqualityEEEPlJS8_EEE10hipError_tPvRmT3_T4_T5_T6_T7_T9_mT8_P12ihipStream_tbDpT10_ENKUlT_T0_E_clISt17integral_constantIbLb0EES19_EEDaS14_S15_EUlS14_E_NS1_11comp_targetILNS1_3genE0ELNS1_11target_archE4294967295ELNS1_3gpuE0ELNS1_3repE0EEENS1_30default_config_static_selectorELNS0_4arch9wavefront6targetE1EEEvT1_
	.globl	_ZN7rocprim17ROCPRIM_400000_NS6detail17trampoline_kernelINS0_14default_configENS1_25partition_config_selectorILNS1_17partition_subalgoE8EN3c108BFloat16ENS0_10empty_typeEbEEZZNS1_14partition_implILS5_8ELb0ES3_jPKS7_PS8_PKS8_NS0_5tupleIJPS7_S8_EEENSG_IJSD_SD_EEENS0_18inequality_wrapperIN6hipcub16HIPCUB_304000_NS8EqualityEEEPlJS8_EEE10hipError_tPvRmT3_T4_T5_T6_T7_T9_mT8_P12ihipStream_tbDpT10_ENKUlT_T0_E_clISt17integral_constantIbLb0EES19_EEDaS14_S15_EUlS14_E_NS1_11comp_targetILNS1_3genE0ELNS1_11target_archE4294967295ELNS1_3gpuE0ELNS1_3repE0EEENS1_30default_config_static_selectorELNS0_4arch9wavefront6targetE1EEEvT1_
	.p2align	8
	.type	_ZN7rocprim17ROCPRIM_400000_NS6detail17trampoline_kernelINS0_14default_configENS1_25partition_config_selectorILNS1_17partition_subalgoE8EN3c108BFloat16ENS0_10empty_typeEbEEZZNS1_14partition_implILS5_8ELb0ES3_jPKS7_PS8_PKS8_NS0_5tupleIJPS7_S8_EEENSG_IJSD_SD_EEENS0_18inequality_wrapperIN6hipcub16HIPCUB_304000_NS8EqualityEEEPlJS8_EEE10hipError_tPvRmT3_T4_T5_T6_T7_T9_mT8_P12ihipStream_tbDpT10_ENKUlT_T0_E_clISt17integral_constantIbLb0EES19_EEDaS14_S15_EUlS14_E_NS1_11comp_targetILNS1_3genE0ELNS1_11target_archE4294967295ELNS1_3gpuE0ELNS1_3repE0EEENS1_30default_config_static_selectorELNS0_4arch9wavefront6targetE1EEEvT1_,@function
_ZN7rocprim17ROCPRIM_400000_NS6detail17trampoline_kernelINS0_14default_configENS1_25partition_config_selectorILNS1_17partition_subalgoE8EN3c108BFloat16ENS0_10empty_typeEbEEZZNS1_14partition_implILS5_8ELb0ES3_jPKS7_PS8_PKS8_NS0_5tupleIJPS7_S8_EEENSG_IJSD_SD_EEENS0_18inequality_wrapperIN6hipcub16HIPCUB_304000_NS8EqualityEEEPlJS8_EEE10hipError_tPvRmT3_T4_T5_T6_T7_T9_mT8_P12ihipStream_tbDpT10_ENKUlT_T0_E_clISt17integral_constantIbLb0EES19_EEDaS14_S15_EUlS14_E_NS1_11comp_targetILNS1_3genE0ELNS1_11target_archE4294967295ELNS1_3gpuE0ELNS1_3repE0EEENS1_30default_config_static_selectorELNS0_4arch9wavefront6targetE1EEEvT1_: ; @_ZN7rocprim17ROCPRIM_400000_NS6detail17trampoline_kernelINS0_14default_configENS1_25partition_config_selectorILNS1_17partition_subalgoE8EN3c108BFloat16ENS0_10empty_typeEbEEZZNS1_14partition_implILS5_8ELb0ES3_jPKS7_PS8_PKS8_NS0_5tupleIJPS7_S8_EEENSG_IJSD_SD_EEENS0_18inequality_wrapperIN6hipcub16HIPCUB_304000_NS8EqualityEEEPlJS8_EEE10hipError_tPvRmT3_T4_T5_T6_T7_T9_mT8_P12ihipStream_tbDpT10_ENKUlT_T0_E_clISt17integral_constantIbLb0EES19_EEDaS14_S15_EUlS14_E_NS1_11comp_targetILNS1_3genE0ELNS1_11target_archE4294967295ELNS1_3gpuE0ELNS1_3repE0EEENS1_30default_config_static_selectorELNS0_4arch9wavefront6targetE1EEEvT1_
; %bb.0:
	.section	.rodata,"a",@progbits
	.p2align	6, 0x0
	.amdhsa_kernel _ZN7rocprim17ROCPRIM_400000_NS6detail17trampoline_kernelINS0_14default_configENS1_25partition_config_selectorILNS1_17partition_subalgoE8EN3c108BFloat16ENS0_10empty_typeEbEEZZNS1_14partition_implILS5_8ELb0ES3_jPKS7_PS8_PKS8_NS0_5tupleIJPS7_S8_EEENSG_IJSD_SD_EEENS0_18inequality_wrapperIN6hipcub16HIPCUB_304000_NS8EqualityEEEPlJS8_EEE10hipError_tPvRmT3_T4_T5_T6_T7_T9_mT8_P12ihipStream_tbDpT10_ENKUlT_T0_E_clISt17integral_constantIbLb0EES19_EEDaS14_S15_EUlS14_E_NS1_11comp_targetILNS1_3genE0ELNS1_11target_archE4294967295ELNS1_3gpuE0ELNS1_3repE0EEENS1_30default_config_static_selectorELNS0_4arch9wavefront6targetE1EEEvT1_
		.amdhsa_group_segment_fixed_size 0
		.amdhsa_private_segment_fixed_size 0
		.amdhsa_kernarg_size 112
		.amdhsa_user_sgpr_count 2
		.amdhsa_user_sgpr_dispatch_ptr 0
		.amdhsa_user_sgpr_queue_ptr 0
		.amdhsa_user_sgpr_kernarg_segment_ptr 1
		.amdhsa_user_sgpr_dispatch_id 0
		.amdhsa_user_sgpr_kernarg_preload_length 0
		.amdhsa_user_sgpr_kernarg_preload_offset 0
		.amdhsa_user_sgpr_private_segment_size 0
		.amdhsa_uses_dynamic_stack 0
		.amdhsa_enable_private_segment 0
		.amdhsa_system_sgpr_workgroup_id_x 1
		.amdhsa_system_sgpr_workgroup_id_y 0
		.amdhsa_system_sgpr_workgroup_id_z 0
		.amdhsa_system_sgpr_workgroup_info 0
		.amdhsa_system_vgpr_workitem_id 0
		.amdhsa_next_free_vgpr 1
		.amdhsa_next_free_sgpr 0
		.amdhsa_accum_offset 4
		.amdhsa_reserve_vcc 0
		.amdhsa_float_round_mode_32 0
		.amdhsa_float_round_mode_16_64 0
		.amdhsa_float_denorm_mode_32 3
		.amdhsa_float_denorm_mode_16_64 3
		.amdhsa_dx10_clamp 1
		.amdhsa_ieee_mode 1
		.amdhsa_fp16_overflow 0
		.amdhsa_tg_split 0
		.amdhsa_exception_fp_ieee_invalid_op 0
		.amdhsa_exception_fp_denorm_src 0
		.amdhsa_exception_fp_ieee_div_zero 0
		.amdhsa_exception_fp_ieee_overflow 0
		.amdhsa_exception_fp_ieee_underflow 0
		.amdhsa_exception_fp_ieee_inexact 0
		.amdhsa_exception_int_div_zero 0
	.end_amdhsa_kernel
	.section	.text._ZN7rocprim17ROCPRIM_400000_NS6detail17trampoline_kernelINS0_14default_configENS1_25partition_config_selectorILNS1_17partition_subalgoE8EN3c108BFloat16ENS0_10empty_typeEbEEZZNS1_14partition_implILS5_8ELb0ES3_jPKS7_PS8_PKS8_NS0_5tupleIJPS7_S8_EEENSG_IJSD_SD_EEENS0_18inequality_wrapperIN6hipcub16HIPCUB_304000_NS8EqualityEEEPlJS8_EEE10hipError_tPvRmT3_T4_T5_T6_T7_T9_mT8_P12ihipStream_tbDpT10_ENKUlT_T0_E_clISt17integral_constantIbLb0EES19_EEDaS14_S15_EUlS14_E_NS1_11comp_targetILNS1_3genE0ELNS1_11target_archE4294967295ELNS1_3gpuE0ELNS1_3repE0EEENS1_30default_config_static_selectorELNS0_4arch9wavefront6targetE1EEEvT1_,"axG",@progbits,_ZN7rocprim17ROCPRIM_400000_NS6detail17trampoline_kernelINS0_14default_configENS1_25partition_config_selectorILNS1_17partition_subalgoE8EN3c108BFloat16ENS0_10empty_typeEbEEZZNS1_14partition_implILS5_8ELb0ES3_jPKS7_PS8_PKS8_NS0_5tupleIJPS7_S8_EEENSG_IJSD_SD_EEENS0_18inequality_wrapperIN6hipcub16HIPCUB_304000_NS8EqualityEEEPlJS8_EEE10hipError_tPvRmT3_T4_T5_T6_T7_T9_mT8_P12ihipStream_tbDpT10_ENKUlT_T0_E_clISt17integral_constantIbLb0EES19_EEDaS14_S15_EUlS14_E_NS1_11comp_targetILNS1_3genE0ELNS1_11target_archE4294967295ELNS1_3gpuE0ELNS1_3repE0EEENS1_30default_config_static_selectorELNS0_4arch9wavefront6targetE1EEEvT1_,comdat
.Lfunc_end824:
	.size	_ZN7rocprim17ROCPRIM_400000_NS6detail17trampoline_kernelINS0_14default_configENS1_25partition_config_selectorILNS1_17partition_subalgoE8EN3c108BFloat16ENS0_10empty_typeEbEEZZNS1_14partition_implILS5_8ELb0ES3_jPKS7_PS8_PKS8_NS0_5tupleIJPS7_S8_EEENSG_IJSD_SD_EEENS0_18inequality_wrapperIN6hipcub16HIPCUB_304000_NS8EqualityEEEPlJS8_EEE10hipError_tPvRmT3_T4_T5_T6_T7_T9_mT8_P12ihipStream_tbDpT10_ENKUlT_T0_E_clISt17integral_constantIbLb0EES19_EEDaS14_S15_EUlS14_E_NS1_11comp_targetILNS1_3genE0ELNS1_11target_archE4294967295ELNS1_3gpuE0ELNS1_3repE0EEENS1_30default_config_static_selectorELNS0_4arch9wavefront6targetE1EEEvT1_, .Lfunc_end824-_ZN7rocprim17ROCPRIM_400000_NS6detail17trampoline_kernelINS0_14default_configENS1_25partition_config_selectorILNS1_17partition_subalgoE8EN3c108BFloat16ENS0_10empty_typeEbEEZZNS1_14partition_implILS5_8ELb0ES3_jPKS7_PS8_PKS8_NS0_5tupleIJPS7_S8_EEENSG_IJSD_SD_EEENS0_18inequality_wrapperIN6hipcub16HIPCUB_304000_NS8EqualityEEEPlJS8_EEE10hipError_tPvRmT3_T4_T5_T6_T7_T9_mT8_P12ihipStream_tbDpT10_ENKUlT_T0_E_clISt17integral_constantIbLb0EES19_EEDaS14_S15_EUlS14_E_NS1_11comp_targetILNS1_3genE0ELNS1_11target_archE4294967295ELNS1_3gpuE0ELNS1_3repE0EEENS1_30default_config_static_selectorELNS0_4arch9wavefront6targetE1EEEvT1_
                                        ; -- End function
	.section	.AMDGPU.csdata,"",@progbits
; Kernel info:
; codeLenInByte = 0
; NumSgprs: 6
; NumVgprs: 0
; NumAgprs: 0
; TotalNumVgprs: 0
; ScratchSize: 0
; MemoryBound: 0
; FloatMode: 240
; IeeeMode: 1
; LDSByteSize: 0 bytes/workgroup (compile time only)
; SGPRBlocks: 0
; VGPRBlocks: 0
; NumSGPRsForWavesPerEU: 6
; NumVGPRsForWavesPerEU: 1
; AccumOffset: 4
; Occupancy: 8
; WaveLimiterHint : 0
; COMPUTE_PGM_RSRC2:SCRATCH_EN: 0
; COMPUTE_PGM_RSRC2:USER_SGPR: 2
; COMPUTE_PGM_RSRC2:TRAP_HANDLER: 0
; COMPUTE_PGM_RSRC2:TGID_X_EN: 1
; COMPUTE_PGM_RSRC2:TGID_Y_EN: 0
; COMPUTE_PGM_RSRC2:TGID_Z_EN: 0
; COMPUTE_PGM_RSRC2:TIDIG_COMP_CNT: 0
; COMPUTE_PGM_RSRC3_GFX90A:ACCUM_OFFSET: 0
; COMPUTE_PGM_RSRC3_GFX90A:TG_SPLIT: 0
	.section	.text._ZN7rocprim17ROCPRIM_400000_NS6detail17trampoline_kernelINS0_14default_configENS1_25partition_config_selectorILNS1_17partition_subalgoE8EN3c108BFloat16ENS0_10empty_typeEbEEZZNS1_14partition_implILS5_8ELb0ES3_jPKS7_PS8_PKS8_NS0_5tupleIJPS7_S8_EEENSG_IJSD_SD_EEENS0_18inequality_wrapperIN6hipcub16HIPCUB_304000_NS8EqualityEEEPlJS8_EEE10hipError_tPvRmT3_T4_T5_T6_T7_T9_mT8_P12ihipStream_tbDpT10_ENKUlT_T0_E_clISt17integral_constantIbLb0EES19_EEDaS14_S15_EUlS14_E_NS1_11comp_targetILNS1_3genE5ELNS1_11target_archE942ELNS1_3gpuE9ELNS1_3repE0EEENS1_30default_config_static_selectorELNS0_4arch9wavefront6targetE1EEEvT1_,"axG",@progbits,_ZN7rocprim17ROCPRIM_400000_NS6detail17trampoline_kernelINS0_14default_configENS1_25partition_config_selectorILNS1_17partition_subalgoE8EN3c108BFloat16ENS0_10empty_typeEbEEZZNS1_14partition_implILS5_8ELb0ES3_jPKS7_PS8_PKS8_NS0_5tupleIJPS7_S8_EEENSG_IJSD_SD_EEENS0_18inequality_wrapperIN6hipcub16HIPCUB_304000_NS8EqualityEEEPlJS8_EEE10hipError_tPvRmT3_T4_T5_T6_T7_T9_mT8_P12ihipStream_tbDpT10_ENKUlT_T0_E_clISt17integral_constantIbLb0EES19_EEDaS14_S15_EUlS14_E_NS1_11comp_targetILNS1_3genE5ELNS1_11target_archE942ELNS1_3gpuE9ELNS1_3repE0EEENS1_30default_config_static_selectorELNS0_4arch9wavefront6targetE1EEEvT1_,comdat
	.protected	_ZN7rocprim17ROCPRIM_400000_NS6detail17trampoline_kernelINS0_14default_configENS1_25partition_config_selectorILNS1_17partition_subalgoE8EN3c108BFloat16ENS0_10empty_typeEbEEZZNS1_14partition_implILS5_8ELb0ES3_jPKS7_PS8_PKS8_NS0_5tupleIJPS7_S8_EEENSG_IJSD_SD_EEENS0_18inequality_wrapperIN6hipcub16HIPCUB_304000_NS8EqualityEEEPlJS8_EEE10hipError_tPvRmT3_T4_T5_T6_T7_T9_mT8_P12ihipStream_tbDpT10_ENKUlT_T0_E_clISt17integral_constantIbLb0EES19_EEDaS14_S15_EUlS14_E_NS1_11comp_targetILNS1_3genE5ELNS1_11target_archE942ELNS1_3gpuE9ELNS1_3repE0EEENS1_30default_config_static_selectorELNS0_4arch9wavefront6targetE1EEEvT1_ ; -- Begin function _ZN7rocprim17ROCPRIM_400000_NS6detail17trampoline_kernelINS0_14default_configENS1_25partition_config_selectorILNS1_17partition_subalgoE8EN3c108BFloat16ENS0_10empty_typeEbEEZZNS1_14partition_implILS5_8ELb0ES3_jPKS7_PS8_PKS8_NS0_5tupleIJPS7_S8_EEENSG_IJSD_SD_EEENS0_18inequality_wrapperIN6hipcub16HIPCUB_304000_NS8EqualityEEEPlJS8_EEE10hipError_tPvRmT3_T4_T5_T6_T7_T9_mT8_P12ihipStream_tbDpT10_ENKUlT_T0_E_clISt17integral_constantIbLb0EES19_EEDaS14_S15_EUlS14_E_NS1_11comp_targetILNS1_3genE5ELNS1_11target_archE942ELNS1_3gpuE9ELNS1_3repE0EEENS1_30default_config_static_selectorELNS0_4arch9wavefront6targetE1EEEvT1_
	.globl	_ZN7rocprim17ROCPRIM_400000_NS6detail17trampoline_kernelINS0_14default_configENS1_25partition_config_selectorILNS1_17partition_subalgoE8EN3c108BFloat16ENS0_10empty_typeEbEEZZNS1_14partition_implILS5_8ELb0ES3_jPKS7_PS8_PKS8_NS0_5tupleIJPS7_S8_EEENSG_IJSD_SD_EEENS0_18inequality_wrapperIN6hipcub16HIPCUB_304000_NS8EqualityEEEPlJS8_EEE10hipError_tPvRmT3_T4_T5_T6_T7_T9_mT8_P12ihipStream_tbDpT10_ENKUlT_T0_E_clISt17integral_constantIbLb0EES19_EEDaS14_S15_EUlS14_E_NS1_11comp_targetILNS1_3genE5ELNS1_11target_archE942ELNS1_3gpuE9ELNS1_3repE0EEENS1_30default_config_static_selectorELNS0_4arch9wavefront6targetE1EEEvT1_
	.p2align	8
	.type	_ZN7rocprim17ROCPRIM_400000_NS6detail17trampoline_kernelINS0_14default_configENS1_25partition_config_selectorILNS1_17partition_subalgoE8EN3c108BFloat16ENS0_10empty_typeEbEEZZNS1_14partition_implILS5_8ELb0ES3_jPKS7_PS8_PKS8_NS0_5tupleIJPS7_S8_EEENSG_IJSD_SD_EEENS0_18inequality_wrapperIN6hipcub16HIPCUB_304000_NS8EqualityEEEPlJS8_EEE10hipError_tPvRmT3_T4_T5_T6_T7_T9_mT8_P12ihipStream_tbDpT10_ENKUlT_T0_E_clISt17integral_constantIbLb0EES19_EEDaS14_S15_EUlS14_E_NS1_11comp_targetILNS1_3genE5ELNS1_11target_archE942ELNS1_3gpuE9ELNS1_3repE0EEENS1_30default_config_static_selectorELNS0_4arch9wavefront6targetE1EEEvT1_,@function
_ZN7rocprim17ROCPRIM_400000_NS6detail17trampoline_kernelINS0_14default_configENS1_25partition_config_selectorILNS1_17partition_subalgoE8EN3c108BFloat16ENS0_10empty_typeEbEEZZNS1_14partition_implILS5_8ELb0ES3_jPKS7_PS8_PKS8_NS0_5tupleIJPS7_S8_EEENSG_IJSD_SD_EEENS0_18inequality_wrapperIN6hipcub16HIPCUB_304000_NS8EqualityEEEPlJS8_EEE10hipError_tPvRmT3_T4_T5_T6_T7_T9_mT8_P12ihipStream_tbDpT10_ENKUlT_T0_E_clISt17integral_constantIbLb0EES19_EEDaS14_S15_EUlS14_E_NS1_11comp_targetILNS1_3genE5ELNS1_11target_archE942ELNS1_3gpuE9ELNS1_3repE0EEENS1_30default_config_static_selectorELNS0_4arch9wavefront6targetE1EEEvT1_: ; @_ZN7rocprim17ROCPRIM_400000_NS6detail17trampoline_kernelINS0_14default_configENS1_25partition_config_selectorILNS1_17partition_subalgoE8EN3c108BFloat16ENS0_10empty_typeEbEEZZNS1_14partition_implILS5_8ELb0ES3_jPKS7_PS8_PKS8_NS0_5tupleIJPS7_S8_EEENSG_IJSD_SD_EEENS0_18inequality_wrapperIN6hipcub16HIPCUB_304000_NS8EqualityEEEPlJS8_EEE10hipError_tPvRmT3_T4_T5_T6_T7_T9_mT8_P12ihipStream_tbDpT10_ENKUlT_T0_E_clISt17integral_constantIbLb0EES19_EEDaS14_S15_EUlS14_E_NS1_11comp_targetILNS1_3genE5ELNS1_11target_archE942ELNS1_3gpuE9ELNS1_3repE0EEENS1_30default_config_static_selectorELNS0_4arch9wavefront6targetE1EEEvT1_
; %bb.0:
	s_load_dwordx2 s[8:9], s[0:1], 0x50
	s_load_dwordx4 s[4:7], s[0:1], 0x8
	s_load_dwordx4 s[20:23], s[0:1], 0x40
	s_load_dword s3, s[0:1], 0x68
	s_waitcnt lgkmcnt(0)
	v_mov_b32_e32 v3, s9
	s_lshl_b64 s[10:11], s[6:7], 1
	s_add_u32 s12, s4, s10
	s_mul_i32 s9, s3, 0x3c00
	s_addc_u32 s13, s5, s11
	s_add_i32 s10, s3, -1
	s_add_i32 s3, s9, s6
	s_sub_i32 s3, s8, s3
	v_mov_b32_e32 v2, s8
	s_add_u32 s8, s6, s9
	s_addc_u32 s9, s7, 0
	s_cmp_eq_u32 s2, s10
	s_load_dwordx2 s[22:23], s[22:23], 0x0
	v_cmp_ge_u64_e32 vcc, s[8:9], v[2:3]
	s_cselect_b64 s[24:25], -1, 0
	s_mul_i32 s4, s2, 0x3c00
	s_mov_b32 s5, 0
	s_and_b64 s[8:9], s[24:25], vcc
	s_xor_b64 s[26:27], s[8:9], -1
	s_lshl_b64 s[4:5], s[4:5], 1
	s_add_u32 s4, s12, s4
	s_mov_b64 s[10:11], -1
	s_addc_u32 s5, s13, s5
	s_and_b64 vcc, exec, s[26:27]
	s_cbranch_vccz .LBB825_2
; %bb.1:
	v_lshlrev_b32_e32 v2, 1, v0
	v_mov_b32_e32 v3, 0
	v_lshl_add_u64 v[4:5], s[4:5], 0, v[2:3]
	v_add_co_u32_e32 v6, vcc, 0x1000, v4
	global_load_ushort v1, v2, s[4:5]
	global_load_ushort v3, v2, s[4:5] offset:1024
	global_load_ushort v10, v2, s[4:5] offset:2048
	;; [unrolled: 1-line block ×3, first 2 shown]
	v_addc_co_u32_e32 v7, vcc, 0, v5, vcc
	v_add_co_u32_e32 v8, vcc, 0x2000, v4
	s_mov_b64 s[10:11], 0
	s_nop 0
	v_addc_co_u32_e32 v9, vcc, 0, v5, vcc
	global_load_ushort v12, v[6:7], off
	global_load_ushort v13, v[6:7], off offset:1024
	global_load_ushort v14, v[6:7], off offset:2048
	;; [unrolled: 1-line block ×3, first 2 shown]
	global_load_ushort v16, v[8:9], off
	global_load_ushort v17, v[8:9], off offset:1024
	global_load_ushort v18, v[8:9], off offset:2048
	global_load_ushort v19, v[8:9], off offset:3072
	v_add_co_u32_e32 v6, vcc, 0x3000, v4
	s_nop 1
	v_addc_co_u32_e32 v7, vcc, 0, v5, vcc
	v_add_co_u32_e32 v8, vcc, 0x4000, v4
	s_nop 1
	v_addc_co_u32_e32 v9, vcc, 0, v5, vcc
	global_load_ushort v20, v[6:7], off
	global_load_ushort v21, v[6:7], off offset:1024
	global_load_ushort v22, v[6:7], off offset:2048
	;; [unrolled: 1-line block ×3, first 2 shown]
	global_load_ushort v24, v[8:9], off
	global_load_ushort v25, v[8:9], off offset:1024
	global_load_ushort v26, v[8:9], off offset:2048
	global_load_ushort v27, v[8:9], off offset:3072
	v_add_co_u32_e32 v6, vcc, 0x5000, v4
	s_nop 1
	v_addc_co_u32_e32 v7, vcc, 0, v5, vcc
	v_add_co_u32_e32 v8, vcc, 0x6000, v4
	s_nop 1
	v_addc_co_u32_e32 v9, vcc, 0, v5, vcc
	v_add_co_u32_e32 v4, vcc, 0x7000, v4
	global_load_ushort v28, v[6:7], off
	global_load_ushort v29, v[6:7], off offset:1024
	global_load_ushort v30, v[6:7], off offset:2048
	;; [unrolled: 1-line block ×3, first 2 shown]
	global_load_ushort v32, v[8:9], off
	global_load_ushort v33, v[8:9], off offset:1024
	global_load_ushort v34, v[8:9], off offset:2048
	;; [unrolled: 1-line block ×3, first 2 shown]
	v_addc_co_u32_e32 v5, vcc, 0, v5, vcc
	global_load_ushort v6, v[4:5], off
	global_load_ushort v7, v[4:5], off offset:1024
	s_waitcnt vmcnt(29)
	ds_write_b16 v2, v1
	s_waitcnt vmcnt(28)
	ds_write_b16 v2, v3 offset:1024
	s_waitcnt vmcnt(27)
	ds_write_b16 v2, v10 offset:2048
	;; [unrolled: 2-line block ×29, first 2 shown]
	s_waitcnt lgkmcnt(0)
	s_barrier
.LBB825_2:
	s_andn2_b64 vcc, exec, s[10:11]
	s_addk_i32 s3, 0x3c00
	s_cbranch_vccnz .LBB825_64
; %bb.3:
	v_cmp_gt_u32_e32 vcc, s3, v0
                                        ; implicit-def: $vgpr1
	s_and_saveexec_b64 s[10:11], vcc
	s_cbranch_execz .LBB825_5
; %bb.4:
	v_lshlrev_b32_e32 v1, 1, v0
	global_load_ushort v1, v1, s[4:5]
.LBB825_5:
	s_or_b64 exec, exec, s[10:11]
	v_or_b32_e32 v2, 0x200, v0
	v_cmp_gt_u32_e32 vcc, s3, v2
                                        ; implicit-def: $vgpr2
	s_and_saveexec_b64 s[10:11], vcc
	s_cbranch_execz .LBB825_7
; %bb.6:
	v_lshlrev_b32_e32 v2, 1, v0
	global_load_ushort v2, v2, s[4:5] offset:1024
.LBB825_7:
	s_or_b64 exec, exec, s[10:11]
	v_or_b32_e32 v3, 0x400, v0
	v_cmp_gt_u32_e32 vcc, s3, v3
                                        ; implicit-def: $vgpr3
	s_and_saveexec_b64 s[10:11], vcc
	s_cbranch_execz .LBB825_9
; %bb.8:
	v_lshlrev_b32_e32 v3, 1, v0
	global_load_ushort v3, v3, s[4:5] offset:2048
.LBB825_9:
	s_or_b64 exec, exec, s[10:11]
	v_or_b32_e32 v4, 0x600, v0
	v_cmp_gt_u32_e32 vcc, s3, v4
                                        ; implicit-def: $vgpr4
	s_and_saveexec_b64 s[10:11], vcc
	s_cbranch_execz .LBB825_11
; %bb.10:
	v_lshlrev_b32_e32 v4, 1, v0
	global_load_ushort v4, v4, s[4:5] offset:3072
.LBB825_11:
	s_or_b64 exec, exec, s[10:11]
	v_or_b32_e32 v6, 0x800, v0
	v_cmp_gt_u32_e32 vcc, s3, v6
                                        ; implicit-def: $vgpr5
	s_and_saveexec_b64 s[10:11], vcc
	s_cbranch_execz .LBB825_13
; %bb.12:
	v_lshlrev_b32_e32 v5, 1, v6
	global_load_ushort v5, v5, s[4:5]
.LBB825_13:
	s_or_b64 exec, exec, s[10:11]
	v_or_b32_e32 v7, 0xa00, v0
	v_cmp_gt_u32_e32 vcc, s3, v7
                                        ; implicit-def: $vgpr6
	s_and_saveexec_b64 s[10:11], vcc
	s_cbranch_execz .LBB825_15
; %bb.14:
	v_lshlrev_b32_e32 v6, 1, v7
	global_load_ushort v6, v6, s[4:5]
.LBB825_15:
	s_or_b64 exec, exec, s[10:11]
	v_or_b32_e32 v8, 0xc00, v0
	v_cmp_gt_u32_e32 vcc, s3, v8
                                        ; implicit-def: $vgpr7
	s_and_saveexec_b64 s[10:11], vcc
	s_cbranch_execz .LBB825_17
; %bb.16:
	v_lshlrev_b32_e32 v7, 1, v8
	global_load_ushort v7, v7, s[4:5]
.LBB825_17:
	s_or_b64 exec, exec, s[10:11]
	v_or_b32_e32 v9, 0xe00, v0
	v_cmp_gt_u32_e32 vcc, s3, v9
                                        ; implicit-def: $vgpr8
	s_and_saveexec_b64 s[10:11], vcc
	s_cbranch_execz .LBB825_19
; %bb.18:
	v_lshlrev_b32_e32 v8, 1, v9
	global_load_ushort v8, v8, s[4:5]
.LBB825_19:
	s_or_b64 exec, exec, s[10:11]
	v_or_b32_e32 v10, 0x1000, v0
	v_cmp_gt_u32_e32 vcc, s3, v10
                                        ; implicit-def: $vgpr9
	s_and_saveexec_b64 s[10:11], vcc
	s_cbranch_execz .LBB825_21
; %bb.20:
	v_lshlrev_b32_e32 v9, 1, v10
	global_load_ushort v9, v9, s[4:5]
.LBB825_21:
	s_or_b64 exec, exec, s[10:11]
	v_or_b32_e32 v11, 0x1200, v0
	v_cmp_gt_u32_e32 vcc, s3, v11
                                        ; implicit-def: $vgpr10
	s_and_saveexec_b64 s[10:11], vcc
	s_cbranch_execz .LBB825_23
; %bb.22:
	v_lshlrev_b32_e32 v10, 1, v11
	global_load_ushort v10, v10, s[4:5]
.LBB825_23:
	s_or_b64 exec, exec, s[10:11]
	v_or_b32_e32 v12, 0x1400, v0
	v_cmp_gt_u32_e32 vcc, s3, v12
                                        ; implicit-def: $vgpr11
	s_and_saveexec_b64 s[10:11], vcc
	s_cbranch_execz .LBB825_25
; %bb.24:
	v_lshlrev_b32_e32 v11, 1, v12
	global_load_ushort v11, v11, s[4:5]
.LBB825_25:
	s_or_b64 exec, exec, s[10:11]
	v_or_b32_e32 v13, 0x1600, v0
	v_cmp_gt_u32_e32 vcc, s3, v13
                                        ; implicit-def: $vgpr12
	s_and_saveexec_b64 s[10:11], vcc
	s_cbranch_execz .LBB825_27
; %bb.26:
	v_lshlrev_b32_e32 v12, 1, v13
	global_load_ushort v12, v12, s[4:5]
.LBB825_27:
	s_or_b64 exec, exec, s[10:11]
	v_or_b32_e32 v14, 0x1800, v0
	v_cmp_gt_u32_e32 vcc, s3, v14
                                        ; implicit-def: $vgpr13
	s_and_saveexec_b64 s[10:11], vcc
	s_cbranch_execz .LBB825_29
; %bb.28:
	v_lshlrev_b32_e32 v13, 1, v14
	global_load_ushort v13, v13, s[4:5]
.LBB825_29:
	s_or_b64 exec, exec, s[10:11]
	v_or_b32_e32 v15, 0x1a00, v0
	v_cmp_gt_u32_e32 vcc, s3, v15
                                        ; implicit-def: $vgpr14
	s_and_saveexec_b64 s[10:11], vcc
	s_cbranch_execz .LBB825_31
; %bb.30:
	v_lshlrev_b32_e32 v14, 1, v15
	global_load_ushort v14, v14, s[4:5]
.LBB825_31:
	s_or_b64 exec, exec, s[10:11]
	v_or_b32_e32 v16, 0x1c00, v0
	v_cmp_gt_u32_e32 vcc, s3, v16
                                        ; implicit-def: $vgpr15
	s_and_saveexec_b64 s[10:11], vcc
	s_cbranch_execz .LBB825_33
; %bb.32:
	v_lshlrev_b32_e32 v15, 1, v16
	global_load_ushort v15, v15, s[4:5]
.LBB825_33:
	s_or_b64 exec, exec, s[10:11]
	v_or_b32_e32 v17, 0x1e00, v0
	v_cmp_gt_u32_e32 vcc, s3, v17
                                        ; implicit-def: $vgpr16
	s_and_saveexec_b64 s[10:11], vcc
	s_cbranch_execz .LBB825_35
; %bb.34:
	v_lshlrev_b32_e32 v16, 1, v17
	global_load_ushort v16, v16, s[4:5]
.LBB825_35:
	s_or_b64 exec, exec, s[10:11]
	v_or_b32_e32 v18, 0x2000, v0
	v_cmp_gt_u32_e32 vcc, s3, v18
                                        ; implicit-def: $vgpr17
	s_and_saveexec_b64 s[10:11], vcc
	s_cbranch_execz .LBB825_37
; %bb.36:
	v_lshlrev_b32_e32 v17, 1, v18
	global_load_ushort v17, v17, s[4:5]
.LBB825_37:
	s_or_b64 exec, exec, s[10:11]
	v_or_b32_e32 v19, 0x2200, v0
	v_cmp_gt_u32_e32 vcc, s3, v19
                                        ; implicit-def: $vgpr18
	s_and_saveexec_b64 s[10:11], vcc
	s_cbranch_execz .LBB825_39
; %bb.38:
	v_lshlrev_b32_e32 v18, 1, v19
	global_load_ushort v18, v18, s[4:5]
.LBB825_39:
	s_or_b64 exec, exec, s[10:11]
	v_or_b32_e32 v20, 0x2400, v0
	v_cmp_gt_u32_e32 vcc, s3, v20
                                        ; implicit-def: $vgpr19
	s_and_saveexec_b64 s[10:11], vcc
	s_cbranch_execz .LBB825_41
; %bb.40:
	v_lshlrev_b32_e32 v19, 1, v20
	global_load_ushort v19, v19, s[4:5]
.LBB825_41:
	s_or_b64 exec, exec, s[10:11]
	v_or_b32_e32 v21, 0x2600, v0
	v_cmp_gt_u32_e32 vcc, s3, v21
                                        ; implicit-def: $vgpr20
	s_and_saveexec_b64 s[10:11], vcc
	s_cbranch_execz .LBB825_43
; %bb.42:
	v_lshlrev_b32_e32 v20, 1, v21
	global_load_ushort v20, v20, s[4:5]
.LBB825_43:
	s_or_b64 exec, exec, s[10:11]
	v_or_b32_e32 v22, 0x2800, v0
	v_cmp_gt_u32_e32 vcc, s3, v22
                                        ; implicit-def: $vgpr21
	s_and_saveexec_b64 s[10:11], vcc
	s_cbranch_execz .LBB825_45
; %bb.44:
	v_lshlrev_b32_e32 v21, 1, v22
	global_load_ushort v21, v21, s[4:5]
.LBB825_45:
	s_or_b64 exec, exec, s[10:11]
	v_or_b32_e32 v23, 0x2a00, v0
	v_cmp_gt_u32_e32 vcc, s3, v23
                                        ; implicit-def: $vgpr22
	s_and_saveexec_b64 s[10:11], vcc
	s_cbranch_execz .LBB825_47
; %bb.46:
	v_lshlrev_b32_e32 v22, 1, v23
	global_load_ushort v22, v22, s[4:5]
.LBB825_47:
	s_or_b64 exec, exec, s[10:11]
	v_or_b32_e32 v24, 0x2c00, v0
	v_cmp_gt_u32_e32 vcc, s3, v24
                                        ; implicit-def: $vgpr23
	s_and_saveexec_b64 s[10:11], vcc
	s_cbranch_execz .LBB825_49
; %bb.48:
	v_lshlrev_b32_e32 v23, 1, v24
	global_load_ushort v23, v23, s[4:5]
.LBB825_49:
	s_or_b64 exec, exec, s[10:11]
	v_or_b32_e32 v25, 0x2e00, v0
	v_cmp_gt_u32_e32 vcc, s3, v25
                                        ; implicit-def: $vgpr24
	s_and_saveexec_b64 s[10:11], vcc
	s_cbranch_execz .LBB825_51
; %bb.50:
	v_lshlrev_b32_e32 v24, 1, v25
	global_load_ushort v24, v24, s[4:5]
.LBB825_51:
	s_or_b64 exec, exec, s[10:11]
	v_or_b32_e32 v26, 0x3000, v0
	v_cmp_gt_u32_e32 vcc, s3, v26
                                        ; implicit-def: $vgpr25
	s_and_saveexec_b64 s[10:11], vcc
	s_cbranch_execz .LBB825_53
; %bb.52:
	v_lshlrev_b32_e32 v25, 1, v26
	global_load_ushort v25, v25, s[4:5]
.LBB825_53:
	s_or_b64 exec, exec, s[10:11]
	v_or_b32_e32 v27, 0x3200, v0
	v_cmp_gt_u32_e32 vcc, s3, v27
                                        ; implicit-def: $vgpr26
	s_and_saveexec_b64 s[10:11], vcc
	s_cbranch_execz .LBB825_55
; %bb.54:
	v_lshlrev_b32_e32 v26, 1, v27
	global_load_ushort v26, v26, s[4:5]
.LBB825_55:
	s_or_b64 exec, exec, s[10:11]
	v_or_b32_e32 v28, 0x3400, v0
	v_cmp_gt_u32_e32 vcc, s3, v28
                                        ; implicit-def: $vgpr27
	s_and_saveexec_b64 s[10:11], vcc
	s_cbranch_execz .LBB825_57
; %bb.56:
	v_lshlrev_b32_e32 v27, 1, v28
	global_load_ushort v27, v27, s[4:5]
.LBB825_57:
	s_or_b64 exec, exec, s[10:11]
	v_or_b32_e32 v29, 0x3600, v0
	v_cmp_gt_u32_e32 vcc, s3, v29
                                        ; implicit-def: $vgpr28
	s_and_saveexec_b64 s[10:11], vcc
	s_cbranch_execz .LBB825_59
; %bb.58:
	v_lshlrev_b32_e32 v28, 1, v29
	global_load_ushort v28, v28, s[4:5]
.LBB825_59:
	s_or_b64 exec, exec, s[10:11]
	v_or_b32_e32 v30, 0x3800, v0
	v_cmp_gt_u32_e32 vcc, s3, v30
                                        ; implicit-def: $vgpr29
	s_and_saveexec_b64 s[10:11], vcc
	s_cbranch_execz .LBB825_61
; %bb.60:
	v_lshlrev_b32_e32 v29, 1, v30
	global_load_ushort v29, v29, s[4:5]
.LBB825_61:
	s_or_b64 exec, exec, s[10:11]
	v_or_b32_e32 v31, 0x3a00, v0
	v_cmp_gt_u32_e32 vcc, s3, v31
                                        ; implicit-def: $vgpr30
	s_and_saveexec_b64 s[10:11], vcc
	s_cbranch_execz .LBB825_63
; %bb.62:
	v_lshlrev_b32_e32 v30, 1, v31
	global_load_ushort v30, v30, s[4:5]
.LBB825_63:
	s_or_b64 exec, exec, s[10:11]
	v_lshlrev_b32_e32 v31, 1, v0
	s_waitcnt vmcnt(0)
	ds_write_b16 v31, v1
	ds_write_b16 v31, v2 offset:1024
	ds_write_b16 v31, v3 offset:2048
	;; [unrolled: 1-line block ×29, first 2 shown]
	s_waitcnt lgkmcnt(0)
	s_barrier
.LBB825_64:
	v_mul_u32_u24_e32 v24, 30, v0
	v_lshlrev_b32_e32 v46, 1, v24
	s_waitcnt lgkmcnt(0)
	ds_read2_b32 v[14:15], v46 offset1:1
	ds_read2_b32 v[12:13], v46 offset0:2 offset1:3
	ds_read2_b32 v[10:11], v46 offset0:4 offset1:5
	;; [unrolled: 1-line block ×3, first 2 shown]
	ds_read_b32 v1, v46 offset:56
	ds_read2_b32 v[2:3], v46 offset0:12 offset1:13
	ds_read2_b32 v[4:5], v46 offset0:10 offset1:11
	;; [unrolled: 1-line block ×3, first 2 shown]
	s_cmp_lg_u32 s2, 0
	s_cselect_b64 s[16:17], -1, 0
	s_cmp_lg_u64 s[6:7], 0
	s_cselect_b64 s[6:7], -1, 0
	s_or_b64 s[6:7], s[16:17], s[6:7]
	v_mad_u32_u24 v16, v0, 30, 29
	v_mad_u32_u24 v17, v0, 30, 28
	;; [unrolled: 1-line block ×8, first 2 shown]
	v_or_b32_e32 v44, 1, v24
	v_mad_u32_u24 v45, v0, 30, 2
	v_mad_u32_u24 v43, v0, 30, 3
	;; [unrolled: 1-line block ×20, first 2 shown]
	s_mov_b64 s[10:11], 0
	s_and_b64 vcc, exec, s[6:7]
	s_waitcnt lgkmcnt(0)
	s_barrier
	s_cbranch_vccz .LBB825_69
; %bb.65:
	v_mov_b32_e32 v47, 0
	global_load_ushort v47, v47, s[4:5] offset:-2
	v_lshlrev_b32_e32 v48, 1, v0
	s_and_b64 vcc, exec, s[26:27]
	ds_write_b16_d16_hi v48, v1
	s_cbranch_vccz .LBB825_71
; %bb.66:
	v_cmp_ne_u32_e32 vcc, 0, v0
	s_waitcnt vmcnt(0)
	v_mov_b32_e32 v49, v47
	s_waitcnt lgkmcnt(0)
	s_barrier
	s_and_saveexec_b64 s[4:5], vcc
	s_cbranch_execz .LBB825_68
; %bb.67:
	v_add_u32_e32 v49, -2, v48
	ds_read_u16 v49, v49
.LBB825_68:
	s_or_b64 exec, exec, s[4:5]
	v_and_b32_e32 v50, 0xffff0000, v1
	v_lshlrev_b32_e32 v51, 16, v1
	v_cmp_neq_f32_e32 vcc, v51, v50
	v_and_b32_e32 v50, 0xffff0000, v3
	v_lshlrev_b32_e32 v52, 16, v3
	v_cndmask_b32_e64 v80, 0, 1, vcc
	v_cmp_neq_f32_e32 vcc, v50, v51
	v_lshlrev_b32_e32 v51, 16, v2
	s_waitcnt lgkmcnt(0)
	v_lshlrev_b32_e32 v49, 16, v49
	v_cndmask_b32_e64 v81, 0, 1, vcc
	v_cmp_neq_f32_e32 vcc, v52, v50
	v_and_b32_e32 v50, 0xffff0000, v2
	s_nop 0
	v_cndmask_b32_e64 v82, 0, 1, vcc
	v_cmp_neq_f32_e32 vcc, v50, v52
	v_lshlrev_b32_e32 v52, 16, v5
	s_nop 0
	v_cndmask_b32_e64 v83, 0, 1, vcc
	v_cmp_neq_f32_e32 vcc, v51, v50
	v_and_b32_e32 v50, 0xffff0000, v5
	s_nop 0
	v_cndmask_b32_e64 v84, 0, 1, vcc
	v_cmp_neq_f32_e32 vcc, v50, v51
	v_lshlrev_b32_e32 v51, 16, v4
	s_nop 0
	;; [unrolled: 8-line block ×11, first 2 shown]
	v_cndmask_b32_e64 v103, 0, 1, vcc
	v_cmp_neq_f32_e32 vcc, v51, v50
	v_and_b32_e32 v50, 0xffff0000, v15
	s_nop 0
	v_cndmask_b32_e64 v104, 0, 1, vcc
	v_cmp_neq_f32_e32 vcc, v50, v51
	v_lshlrev_b32_e32 v51, 16, v14
	v_cmp_neq_f32_e64 s[4:5], v51, v49
	v_cndmask_b32_e64 v105, 0, 1, vcc
	v_cmp_neq_f32_e32 vcc, v52, v50
	v_and_b32_e32 v50, 0xffff0000, v14
	s_nop 0
	v_cndmask_b32_e64 v106, 0, 1, vcc
	v_cmp_neq_f32_e32 vcc, v50, v52
	s_nop 1
	v_cndmask_b32_e64 v107, 0, 1, vcc
	v_cmp_neq_f32_e32 vcc, v51, v50
	s_nop 1
	v_cndmask_b32_e64 v108, 0, 1, vcc
	s_branch .LBB825_75
.LBB825_69:
                                        ; implicit-def: $sgpr4_sgpr5
                                        ; implicit-def: $vgpr108
                                        ; implicit-def: $vgpr107
                                        ; implicit-def: $vgpr106
                                        ; implicit-def: $vgpr105
                                        ; implicit-def: $vgpr104
                                        ; implicit-def: $vgpr103
                                        ; implicit-def: $vgpr102
                                        ; implicit-def: $vgpr101
                                        ; implicit-def: $vgpr100
                                        ; implicit-def: $vgpr99
                                        ; implicit-def: $vgpr98
                                        ; implicit-def: $vgpr97
                                        ; implicit-def: $vgpr96
                                        ; implicit-def: $vgpr95
                                        ; implicit-def: $vgpr94
                                        ; implicit-def: $vgpr93
                                        ; implicit-def: $vgpr92
                                        ; implicit-def: $vgpr91
                                        ; implicit-def: $vgpr90
                                        ; implicit-def: $vgpr89
                                        ; implicit-def: $vgpr88
                                        ; implicit-def: $vgpr87
                                        ; implicit-def: $vgpr86
                                        ; implicit-def: $vgpr85
                                        ; implicit-def: $vgpr84
                                        ; implicit-def: $vgpr83
                                        ; implicit-def: $vgpr82
                                        ; implicit-def: $vgpr81
                                        ; implicit-def: $vgpr80
	s_branch .LBB825_76
.LBB825_70:
                                        ; implicit-def: $sgpr12
	s_branch .LBB825_84
.LBB825_71:
                                        ; implicit-def: $sgpr4_sgpr5
                                        ; implicit-def: $vgpr108
                                        ; implicit-def: $vgpr107
                                        ; implicit-def: $vgpr106
                                        ; implicit-def: $vgpr105
                                        ; implicit-def: $vgpr104
                                        ; implicit-def: $vgpr103
                                        ; implicit-def: $vgpr102
                                        ; implicit-def: $vgpr101
                                        ; implicit-def: $vgpr100
                                        ; implicit-def: $vgpr99
                                        ; implicit-def: $vgpr98
                                        ; implicit-def: $vgpr97
                                        ; implicit-def: $vgpr96
                                        ; implicit-def: $vgpr95
                                        ; implicit-def: $vgpr94
                                        ; implicit-def: $vgpr93
                                        ; implicit-def: $vgpr92
                                        ; implicit-def: $vgpr91
                                        ; implicit-def: $vgpr90
                                        ; implicit-def: $vgpr89
                                        ; implicit-def: $vgpr88
                                        ; implicit-def: $vgpr87
                                        ; implicit-def: $vgpr86
                                        ; implicit-def: $vgpr85
                                        ; implicit-def: $vgpr84
                                        ; implicit-def: $vgpr83
                                        ; implicit-def: $vgpr82
                                        ; implicit-def: $vgpr81
                                        ; implicit-def: $vgpr80
	s_cbranch_execz .LBB825_75
; %bb.72:
	v_cmp_ne_u32_e32 vcc, 0, v0
	s_waitcnt lgkmcnt(0)
	s_barrier
	s_and_saveexec_b64 s[4:5], vcc
	s_cbranch_execz .LBB825_74
; %bb.73:
	s_waitcnt vmcnt(0)
	v_add_u32_e32 v47, -2, v48
	ds_read_u16 v47, v47
.LBB825_74:
	s_or_b64 exec, exec, s[4:5]
	v_and_b32_e32 v48, 0xffff0000, v1
	v_lshlrev_b32_e32 v49, 16, v1
	v_cmp_gt_u32_e32 vcc, s3, v16
	v_cmp_neq_f32_e64 s[4:5], v49, v48
	v_and_b32_e32 v48, 0xffff0000, v3
	s_and_b64 s[4:5], vcc, s[4:5]
	v_cmp_gt_u32_e32 vcc, s3, v17
	v_lshlrev_b32_e32 v50, 16, v3
	v_cmp_neq_f32_e64 s[6:7], v48, v49
	v_cndmask_b32_e64 v80, 0, 1, s[4:5]
	v_cmp_gt_u32_e64 s[4:5], s3, v18
	s_and_b64 s[6:7], vcc, s[6:7]
	v_cmp_neq_f32_e32 vcc, v50, v48
	v_and_b32_e32 v48, 0xffff0000, v2
	v_cndmask_b32_e64 v81, 0, 1, s[6:7]
	s_and_b64 s[4:5], s[4:5], vcc
	v_cmp_gt_u32_e32 vcc, s3, v19
	v_lshlrev_b32_e32 v49, 16, v2
	v_cmp_neq_f32_e64 s[6:7], v48, v50
	v_cndmask_b32_e64 v82, 0, 1, s[4:5]
	v_cmp_gt_u32_e64 s[4:5], s3, v20
	s_and_b64 s[6:7], vcc, s[6:7]
	v_cmp_neq_f32_e32 vcc, v49, v48
	v_and_b32_e32 v48, 0xffff0000, v5
	v_cndmask_b32_e64 v83, 0, 1, s[6:7]
	s_and_b64 s[4:5], s[4:5], vcc
	;; [unrolled: 10-line block ×13, first 2 shown]
	v_cmp_gt_u32_e32 vcc, s3, v45
	v_lshlrev_b32_e32 v49, 16, v14
	v_cmp_neq_f32_e64 s[6:7], v48, v50
	v_cndmask_b32_e64 v106, 0, 1, s[4:5]
	v_cmp_gt_u32_e64 s[4:5], s3, v44
	s_and_b64 s[6:7], vcc, s[6:7]
	v_cmp_neq_f32_e32 vcc, v49, v48
	s_and_b64 s[4:5], s[4:5], vcc
	s_waitcnt vmcnt(0) lgkmcnt(0)
	v_lshlrev_b32_e32 v47, 16, v47
	v_cndmask_b32_e64 v108, 0, 1, s[4:5]
	v_cmp_gt_u32_e32 vcc, s3, v24
	v_cmp_neq_f32_e64 s[4:5], v49, v47
	v_cndmask_b32_e64 v107, 0, 1, s[6:7]
	s_and_b64 s[4:5], vcc, s[4:5]
.LBB825_75:
	s_mov_b64 s[10:11], -1
	s_cbranch_execnz .LBB825_70
.LBB825_76:
	s_movk_i32 s4, 0xffc6
	v_mad_i32_i24 v46, v0, s4, v46
	s_and_b64 vcc, exec, s[26:27]
	v_lshlrev_b32_e32 v61, 16, v1
	v_lshlrev_b32_e32 v60, 16, v3
	;; [unrolled: 1-line block ×14, first 2 shown]
	s_waitcnt vmcnt(0)
	v_lshlrev_b32_e32 v47, 16, v14
	ds_write_b16_d16_hi v46, v1
	s_cbranch_vccz .LBB825_80
; %bb.77:
	v_and_b32_e32 v62, 0xffff0000, v1
	v_cmp_neq_f32_e32 vcc, v61, v62
	v_and_b32_e32 v62, 0xffff0000, v3
	s_waitcnt lgkmcnt(0)
	v_cndmask_b32_e64 v80, 0, 1, vcc
	v_cmp_neq_f32_e32 vcc, v62, v61
	s_barrier
	s_nop 0
	v_cndmask_b32_e64 v81, 0, 1, vcc
	v_cmp_neq_f32_e32 vcc, v60, v62
	v_and_b32_e32 v62, 0xffff0000, v2
                                        ; implicit-def: $sgpr4_sgpr5
	s_nop 0
	v_cndmask_b32_e64 v82, 0, 1, vcc
	v_cmp_neq_f32_e32 vcc, v62, v60
	s_nop 1
	v_cndmask_b32_e64 v83, 0, 1, vcc
	v_cmp_neq_f32_e32 vcc, v59, v62
	v_and_b32_e32 v62, 0xffff0000, v5
	s_nop 0
	v_cndmask_b32_e64 v84, 0, 1, vcc
	v_cmp_neq_f32_e32 vcc, v62, v59
	s_nop 1
	v_cndmask_b32_e64 v85, 0, 1, vcc
	v_cmp_neq_f32_e32 vcc, v58, v62
	v_and_b32_e32 v62, 0xffff0000, v4
	;; [unrolled: 7-line block ×12, first 2 shown]
	s_nop 0
	v_cndmask_b32_e64 v106, 0, 1, vcc
	v_cmp_neq_f32_e32 vcc, v62, v48
	s_nop 1
	v_cndmask_b32_e64 v107, 0, 1, vcc
	v_cmp_neq_f32_e32 vcc, v47, v62
	s_nop 1
	v_cndmask_b32_e64 v108, 0, 1, vcc
	v_cmp_ne_u32_e32 vcc, 0, v0
	s_and_saveexec_b64 s[6:7], vcc
	s_xor_b64 s[6:7], exec, s[6:7]
	s_cbranch_execz .LBB825_79
; %bb.78:
	v_add_u32_e32 v62, -2, v46
	ds_read_u16 v62, v62
	s_or_b64 s[10:11], s[10:11], exec
	s_waitcnt lgkmcnt(0)
	v_lshlrev_b32_e32 v62, 16, v62
	v_cmp_neq_f32_e32 vcc, v47, v62
	s_and_b64 s[4:5], vcc, exec
.LBB825_79:
	s_or_b64 exec, exec, s[6:7]
	s_mov_b32 s12, 1
	s_branch .LBB825_84
.LBB825_80:
                                        ; implicit-def: $sgpr4_sgpr5
                                        ; implicit-def: $vgpr108
                                        ; implicit-def: $vgpr107
                                        ; implicit-def: $vgpr106
                                        ; implicit-def: $vgpr105
                                        ; implicit-def: $vgpr104
                                        ; implicit-def: $vgpr103
                                        ; implicit-def: $vgpr102
                                        ; implicit-def: $vgpr101
                                        ; implicit-def: $vgpr100
                                        ; implicit-def: $vgpr99
                                        ; implicit-def: $vgpr98
                                        ; implicit-def: $vgpr97
                                        ; implicit-def: $vgpr96
                                        ; implicit-def: $vgpr95
                                        ; implicit-def: $vgpr94
                                        ; implicit-def: $vgpr93
                                        ; implicit-def: $vgpr92
                                        ; implicit-def: $vgpr91
                                        ; implicit-def: $vgpr90
                                        ; implicit-def: $vgpr89
                                        ; implicit-def: $vgpr88
                                        ; implicit-def: $vgpr87
                                        ; implicit-def: $vgpr86
                                        ; implicit-def: $vgpr85
                                        ; implicit-def: $vgpr84
                                        ; implicit-def: $vgpr83
                                        ; implicit-def: $vgpr82
                                        ; implicit-def: $vgpr81
                                        ; implicit-def: $vgpr80
                                        ; implicit-def: $sgpr12
	s_cbranch_execz .LBB825_84
; %bb.81:
	v_and_b32_e32 v62, 0xffff0000, v1
	v_cmp_gt_u32_e32 vcc, s3, v16
	v_cmp_neq_f32_e64 s[4:5], v61, v62
	v_and_b32_e32 v62, 0xffff0000, v3
	s_and_b64 s[4:5], vcc, s[4:5]
	v_cmp_gt_u32_e32 vcc, s3, v17
	v_cmp_neq_f32_e64 s[6:7], v62, v61
	v_cndmask_b32_e64 v80, 0, 1, s[4:5]
	v_cmp_gt_u32_e64 s[4:5], s3, v18
	s_and_b64 s[6:7], vcc, s[6:7]
	v_cmp_neq_f32_e32 vcc, v60, v62
	v_and_b32_e32 v61, 0xffff0000, v2
	v_cndmask_b32_e64 v81, 0, 1, s[6:7]
	s_and_b64 s[4:5], s[4:5], vcc
	v_cmp_gt_u32_e32 vcc, s3, v19
	v_cmp_neq_f32_e64 s[6:7], v61, v60
	v_cndmask_b32_e64 v82, 0, 1, s[4:5]
	v_cmp_gt_u32_e64 s[4:5], s3, v20
	s_and_b64 s[6:7], vcc, s[6:7]
	v_cmp_neq_f32_e32 vcc, v59, v61
	v_and_b32_e32 v60, 0xffff0000, v5
	v_cndmask_b32_e64 v83, 0, 1, s[6:7]
	s_and_b64 s[4:5], s[4:5], vcc
	;; [unrolled: 9-line block ×13, first 2 shown]
	v_cmp_gt_u32_e32 vcc, s3, v45
	v_cmp_neq_f32_e64 s[6:7], v49, v48
	v_cndmask_b32_e64 v106, 0, 1, s[4:5]
	v_cmp_gt_u32_e64 s[4:5], s3, v44
	s_and_b64 s[6:7], vcc, s[6:7]
	v_cmp_neq_f32_e32 vcc, v47, v49
	s_and_b64 s[4:5], s[4:5], vcc
	v_cndmask_b32_e64 v107, 0, 1, s[6:7]
	v_cndmask_b32_e64 v108, 0, 1, s[4:5]
	v_cmp_ne_u32_e32 vcc, 0, v0
	s_waitcnt lgkmcnt(0)
	s_barrier
	s_waitcnt lgkmcnt(0)
                                        ; implicit-def: $sgpr4_sgpr5
	s_and_saveexec_b64 s[6:7], vcc
	s_cbranch_execz .LBB825_83
; %bb.82:
	v_add_u32_e32 v46, -2, v46
	ds_read_u16 v46, v46
	v_cmp_gt_u32_e32 vcc, s3, v24
	s_or_b64 s[10:11], s[10:11], exec
	s_waitcnt lgkmcnt(0)
	v_lshlrev_b32_e32 v46, 16, v46
	v_cmp_neq_f32_e64 s[4:5], v47, v46
	s_and_b64 s[4:5], vcc, s[4:5]
	s_and_b64 s[4:5], s[4:5], exec
.LBB825_83:
	s_or_b64 exec, exec, s[6:7]
	s_mov_b32 s12, 1
.LBB825_84:
	v_mov_b32_e32 v109, s12
	s_and_saveexec_b64 s[6:7], s[10:11]
; %bb.85:
	v_cndmask_b32_e64 v109, 0, 1, s[4:5]
; %bb.86:
	s_or_b64 exec, exec, s[6:7]
	s_load_dwordx2 s[28:29], s[0:1], 0x60
	s_andn2_b64 vcc, exec, s[8:9]
	s_cbranch_vccnz .LBB825_88
; %bb.87:
	v_cmp_gt_u32_e32 vcc, s3, v24
	s_nop 1
	v_cndmask_b32_e32 v109, 0, v109, vcc
	v_cmp_gt_u32_e32 vcc, s3, v44
	s_nop 1
	v_cndmask_b32_e32 v108, 0, v108, vcc
	;; [unrolled: 3-line block ×30, first 2 shown]
.LBB825_88:
	v_and_b32_e32 v61, 0xff, v83
	v_and_b32_e32 v63, 0xff, v82
	v_add_u32_sdwa v16, v81, v80 dst_sel:DWORD dst_unused:UNUSED_PAD src0_sel:BYTE_0 src1_sel:BYTE_0
	v_and_b32_e32 v57, 0xff, v85
	v_and_b32_e32 v59, 0xff, v84
	v_add3_u32 v16, v16, v63, v61
	v_and_b32_e32 v53, 0xff, v87
	v_and_b32_e32 v55, 0xff, v86
	v_add3_u32 v16, v16, v59, v57
	;; [unrolled: 3-line block ×3, first 2 shown]
	v_and_b32_e32 v45, 0xff, v91
	s_waitcnt vmcnt(0)
	v_and_b32_e32 v47, 0xff, v90
	v_add3_u32 v16, v16, v51, v49
	v_and_b32_e32 v42, 0xff, v93
	v_and_b32_e32 v43, 0xff, v92
	v_add3_u32 v16, v16, v47, v45
	v_and_b32_e32 v40, 0xff, v95
	v_and_b32_e32 v41, 0xff, v94
	v_add3_u32 v16, v16, v43, v42
	v_and_b32_e32 v38, 0xff, v97
	v_and_b32_e32 v39, 0xff, v96
	v_add3_u32 v16, v16, v41, v40
	v_and_b32_e32 v36, 0xff, v99
	v_and_b32_e32 v37, 0xff, v98
	v_add3_u32 v16, v16, v39, v38
	v_and_b32_e32 v34, 0xff, v101
	v_and_b32_e32 v35, 0xff, v100
	v_add3_u32 v16, v16, v37, v36
	v_and_b32_e32 v32, 0xff, v103
	v_and_b32_e32 v33, 0xff, v102
	v_add3_u32 v16, v16, v35, v34
	v_and_b32_e32 v30, 0xff, v105
	v_and_b32_e32 v31, 0xff, v104
	v_add3_u32 v16, v16, v33, v32
	v_and_b32_e32 v28, 0xff, v107
	v_and_b32_e32 v29, 0xff, v106
	v_add3_u32 v16, v16, v31, v30
	v_and_b32_e32 v26, 0xff, v109
	v_and_b32_e32 v27, 0xff, v108
	v_add3_u32 v16, v16, v29, v28
	v_add3_u32 v48, v16, v27, v26
	v_mbcnt_lo_u32_b32 v16, -1, 0
	v_mbcnt_hi_u32_b32 v44, -1, v16
	v_and_b32_e32 v16, 15, v44
	v_cmp_eq_u32_e64 s[14:15], 0, v16
	v_cmp_lt_u32_e64 s[12:13], 1, v16
	v_cmp_lt_u32_e64 s[10:11], 3, v16
	;; [unrolled: 1-line block ×3, first 2 shown]
	v_and_b32_e32 v16, 16, v44
	v_cmp_eq_u32_e64 s[6:7], 0, v16
	v_or_b32_e32 v16, 63, v0
	v_cmp_lt_u32_e64 s[18:19], 31, v44
	v_lshrrev_b32_e32 v46, 6, v0
	v_cmp_eq_u32_e64 s[4:5], v16, v0
	s_and_b64 vcc, exec, s[16:17]
	s_waitcnt lgkmcnt(0)
	s_barrier
	s_cbranch_vccz .LBB825_115
; %bb.89:
	v_mov_b32_dpp v16, v48 row_shr:1 row_mask:0xf bank_mask:0xf
	v_cndmask_b32_e64 v16, v16, 0, s[14:15]
	v_add_u32_e32 v16, v16, v48
	s_nop 1
	v_mov_b32_dpp v17, v16 row_shr:2 row_mask:0xf bank_mask:0xf
	v_cndmask_b32_e64 v17, 0, v17, s[12:13]
	v_add_u32_e32 v16, v16, v17
	s_nop 1
	;; [unrolled: 4-line block ×4, first 2 shown]
	v_mov_b32_dpp v17, v16 row_bcast:15 row_mask:0xf bank_mask:0xf
	v_cndmask_b32_e64 v17, v17, 0, s[6:7]
	v_add_u32_e32 v16, v16, v17
	s_nop 1
	v_mov_b32_dpp v17, v16 row_bcast:31 row_mask:0xf bank_mask:0xf
	v_cndmask_b32_e64 v17, 0, v17, s[18:19]
	v_add_u32_e32 v16, v16, v17
	s_and_saveexec_b64 s[16:17], s[4:5]
	s_cbranch_execz .LBB825_91
; %bb.90:
	v_lshlrev_b32_e32 v17, 2, v46
	ds_write_b32 v17, v16
.LBB825_91:
	s_or_b64 exec, exec, s[16:17]
	v_cmp_gt_u32_e32 vcc, 8, v0
	s_waitcnt lgkmcnt(0)
	s_barrier
	s_and_saveexec_b64 s[16:17], vcc
	s_cbranch_execz .LBB825_93
; %bb.92:
	v_lshlrev_b32_e32 v17, 2, v0
	ds_read_b32 v18, v17
	v_and_b32_e32 v19, 7, v44
	v_cmp_ne_u32_e32 vcc, 0, v19
	s_waitcnt lgkmcnt(0)
	v_mov_b32_dpp v20, v18 row_shr:1 row_mask:0xf bank_mask:0xf
	v_cndmask_b32_e32 v20, 0, v20, vcc
	v_add_u32_e32 v18, v20, v18
	v_cmp_lt_u32_e32 vcc, 1, v19
	s_nop 0
	v_mov_b32_dpp v20, v18 row_shr:2 row_mask:0xf bank_mask:0xf
	v_cndmask_b32_e32 v20, 0, v20, vcc
	v_add_u32_e32 v18, v18, v20
	v_cmp_lt_u32_e32 vcc, 3, v19
	s_nop 0
	v_mov_b32_dpp v20, v18 row_shr:4 row_mask:0xf bank_mask:0xf
	v_cndmask_b32_e32 v19, 0, v20, vcc
	v_add_u32_e32 v18, v18, v19
	ds_write_b32 v17, v18
.LBB825_93:
	s_or_b64 exec, exec, s[16:17]
	v_cmp_gt_u32_e32 vcc, 64, v0
	v_cmp_lt_u32_e64 s[16:17], 63, v0
	s_waitcnt lgkmcnt(0)
	s_barrier
	s_waitcnt lgkmcnt(0)
                                        ; implicit-def: $vgpr50
	s_and_saveexec_b64 s[30:31], s[16:17]
	s_cbranch_execz .LBB825_95
; %bb.94:
	v_lshl_add_u32 v17, v46, 2, -4
	ds_read_b32 v50, v17
	s_waitcnt lgkmcnt(0)
	v_add_u32_e32 v16, v50, v16
.LBB825_95:
	s_or_b64 exec, exec, s[30:31]
	v_add_u32_e32 v17, -1, v44
	v_and_b32_e32 v18, 64, v44
	v_cmp_lt_i32_e64 s[16:17], v17, v18
	s_nop 1
	v_cndmask_b32_e64 v17, v17, v44, s[16:17]
	v_lshlrev_b32_e32 v17, 2, v17
	ds_bpermute_b32 v52, v17, v16
	v_cmp_eq_u32_e64 s[16:17], 0, v44
	s_and_saveexec_b64 s[30:31], vcc
	s_cbranch_execz .LBB825_114
; %bb.96:
	v_mov_b32_e32 v23, 0
	ds_read_b32 v16, v23 offset:28
	s_and_saveexec_b64 s[34:35], s[16:17]
	s_cbranch_execz .LBB825_98
; %bb.97:
	s_add_i32 s36, s2, 64
	s_mov_b32 s37, 0
	s_lshl_b64 s[36:37], s[36:37], 3
	s_add_u32 s36, s28, s36
	v_mov_b32_e32 v17, 1
	s_addc_u32 s37, s29, s37
	s_waitcnt lgkmcnt(0)
	global_store_dwordx2 v23, v[16:17], s[36:37] sc1
.LBB825_98:
	s_or_b64 exec, exec, s[34:35]
	v_xad_u32 v18, v44, -1, s2
	v_add_u32_e32 v22, 64, v18
	v_lshl_add_u64 v[24:25], v[22:23], 3, s[28:29]
	global_load_dwordx2 v[20:21], v[24:25], off sc1
	s_waitcnt vmcnt(0)
	v_cmp_eq_u16_sdwa s[36:37], v21, v23 src0_sel:BYTE_0 src1_sel:DWORD
	s_and_saveexec_b64 s[34:35], s[36:37]
	s_cbranch_execz .LBB825_102
; %bb.99:
	s_mov_b64 s[36:37], 0
	v_mov_b32_e32 v17, 0
.LBB825_100:                            ; =>This Inner Loop Header: Depth=1
	global_load_dwordx2 v[20:21], v[24:25], off sc1
	s_waitcnt vmcnt(0)
	v_cmp_ne_u16_sdwa s[38:39], v21, v17 src0_sel:BYTE_0 src1_sel:DWORD
	s_or_b64 s[36:37], s[38:39], s[36:37]
	s_andn2_b64 exec, exec, s[36:37]
	s_cbranch_execnz .LBB825_100
; %bb.101:
	s_or_b64 exec, exec, s[36:37]
.LBB825_102:
	s_or_b64 exec, exec, s[34:35]
	v_and_b32_e32 v56, 63, v44
	v_mov_b32_e32 v54, 2
	v_cmp_ne_u32_e32 vcc, 63, v56
	v_cmp_eq_u16_sdwa s[34:35], v21, v54 src0_sel:BYTE_0 src1_sel:DWORD
	v_lshlrev_b64 v[22:23], v44, -1
	v_addc_co_u32_e32 v24, vcc, 0, v44, vcc
	v_and_b32_e32 v17, s35, v23
	v_lshlrev_b32_e32 v58, 2, v24
	v_or_b32_e32 v17, 0x80000000, v17
	ds_bpermute_b32 v24, v58, v20
	v_and_b32_e32 v19, s34, v22
	v_ffbl_b32_e32 v17, v17
	v_add_u32_e32 v17, 32, v17
	v_ffbl_b32_e32 v19, v19
	v_min_u32_e32 v17, v19, v17
	v_cmp_lt_u32_e32 vcc, v56, v17
	v_add_u32_e32 v62, 2, v56
	v_add_u32_e32 v65, 4, v56
	s_waitcnt lgkmcnt(0)
	v_cndmask_b32_e32 v19, 0, v24, vcc
	v_cmp_gt_u32_e32 vcc, 62, v56
	v_add_u32_e32 v19, v19, v20
	v_add_u32_e32 v67, 8, v56
	v_cndmask_b32_e64 v20, 0, 1, vcc
	v_lshlrev_b32_e32 v20, 1, v20
	v_add_lshl_u32 v60, v20, v44, 2
	ds_bpermute_b32 v20, v60, v19
	v_cmp_le_u32_e32 vcc, v62, v17
	v_add_u32_e32 v69, 16, v56
	v_add_u32_e32 v71, 32, v56
	s_waitcnt lgkmcnt(0)
	v_cndmask_b32_e32 v20, 0, v20, vcc
	v_cmp_gt_u32_e32 vcc, 60, v56
	v_add_u32_e32 v19, v19, v20
	s_nop 0
	v_cndmask_b32_e64 v20, 0, 1, vcc
	v_lshlrev_b32_e32 v20, 2, v20
	v_add_lshl_u32 v64, v20, v44, 2
	ds_bpermute_b32 v20, v64, v19
	v_cmp_le_u32_e32 vcc, v65, v17
	s_waitcnt lgkmcnt(0)
	s_nop 0
	v_cndmask_b32_e32 v20, 0, v20, vcc
	v_cmp_gt_u32_e32 vcc, 56, v56
	v_add_u32_e32 v19, v19, v20
	s_nop 0
	v_cndmask_b32_e64 v20, 0, 1, vcc
	v_lshlrev_b32_e32 v20, 3, v20
	v_add_lshl_u32 v66, v20, v44, 2
	ds_bpermute_b32 v20, v66, v19
	v_cmp_le_u32_e32 vcc, v67, v17
	s_waitcnt lgkmcnt(0)
	s_nop 0
	;; [unrolled: 11-line block ×4, first 2 shown]
	v_cndmask_b32_e32 v17, 0, v20, vcc
	v_add_u32_e32 v20, v19, v17
	v_mov_b32_e32 v19, 0
	s_branch .LBB825_104
.LBB825_103:                            ;   in Loop: Header=BB825_104 Depth=1
	s_or_b64 exec, exec, s[34:35]
	v_cmp_eq_u16_sdwa s[34:35], v21, v54 src0_sel:BYTE_0 src1_sel:DWORD
	ds_bpermute_b32 v72, v58, v20
	v_subrev_u32_e32 v18, 64, v18
	v_and_b32_e32 v24, s35, v23
	v_or_b32_e32 v24, 0x80000000, v24
	v_and_b32_e32 v25, s34, v22
	v_ffbl_b32_e32 v24, v24
	v_add_u32_e32 v24, 32, v24
	v_ffbl_b32_e32 v25, v25
	v_min_u32_e32 v24, v25, v24
	v_cmp_lt_u32_e32 vcc, v56, v24
	s_waitcnt lgkmcnt(0)
	s_nop 0
	v_cndmask_b32_e32 v25, 0, v72, vcc
	v_add_u32_e32 v20, v25, v20
	ds_bpermute_b32 v25, v60, v20
	v_cmp_le_u32_e32 vcc, v62, v24
	s_waitcnt lgkmcnt(0)
	s_nop 0
	v_cndmask_b32_e32 v25, 0, v25, vcc
	v_add_u32_e32 v20, v20, v25
	ds_bpermute_b32 v25, v64, v20
	v_cmp_le_u32_e32 vcc, v65, v24
	s_waitcnt lgkmcnt(0)
	s_nop 0
	v_cndmask_b32_e32 v25, 0, v25, vcc
	v_add_u32_e32 v20, v20, v25
	ds_bpermute_b32 v25, v66, v20
	v_cmp_le_u32_e32 vcc, v67, v24
	s_waitcnt lgkmcnt(0)
	s_nop 0
	v_cndmask_b32_e32 v25, 0, v25, vcc
	v_add_u32_e32 v20, v20, v25
	ds_bpermute_b32 v25, v68, v20
	v_cmp_le_u32_e32 vcc, v69, v24
	s_waitcnt lgkmcnt(0)
	s_nop 0
	v_cndmask_b32_e32 v25, 0, v25, vcc
	v_add_u32_e32 v20, v20, v25
	ds_bpermute_b32 v25, v70, v20
	v_cmp_le_u32_e32 vcc, v71, v24
	s_waitcnt lgkmcnt(0)
	s_nop 0
	v_cndmask_b32_e32 v24, 0, v25, vcc
	v_add3_u32 v20, v24, v17, v20
.LBB825_104:                            ; =>This Loop Header: Depth=1
                                        ;     Child Loop BB825_107 Depth 2
	v_cmp_ne_u16_sdwa s[34:35], v21, v54 src0_sel:BYTE_0 src1_sel:DWORD
	s_nop 1
	v_cndmask_b32_e64 v17, 0, 1, s[34:35]
	;;#ASMSTART
	;;#ASMEND
	s_nop 0
	v_cmp_ne_u32_e32 vcc, 0, v17
	s_cmp_lg_u64 vcc, exec
	v_mov_b32_e32 v17, v20
	s_cbranch_scc1 .LBB825_109
; %bb.105:                              ;   in Loop: Header=BB825_104 Depth=1
	v_lshl_add_u64 v[24:25], v[18:19], 3, s[28:29]
	global_load_dwordx2 v[20:21], v[24:25], off sc1
	s_waitcnt vmcnt(0)
	v_cmp_eq_u16_sdwa s[36:37], v21, v19 src0_sel:BYTE_0 src1_sel:DWORD
	s_and_saveexec_b64 s[34:35], s[36:37]
	s_cbranch_execz .LBB825_103
; %bb.106:                              ;   in Loop: Header=BB825_104 Depth=1
	s_mov_b64 s[36:37], 0
.LBB825_107:                            ;   Parent Loop BB825_104 Depth=1
                                        ; =>  This Inner Loop Header: Depth=2
	global_load_dwordx2 v[20:21], v[24:25], off sc1
	s_waitcnt vmcnt(0)
	v_cmp_ne_u16_sdwa s[38:39], v21, v19 src0_sel:BYTE_0 src1_sel:DWORD
	s_or_b64 s[36:37], s[38:39], s[36:37]
	s_andn2_b64 exec, exec, s[36:37]
	s_cbranch_execnz .LBB825_107
; %bb.108:                              ;   in Loop: Header=BB825_104 Depth=1
	s_or_b64 exec, exec, s[36:37]
	s_branch .LBB825_103
.LBB825_109:                            ;   in Loop: Header=BB825_104 Depth=1
                                        ; implicit-def: $vgpr20
                                        ; implicit-def: $vgpr21
	s_cbranch_execz .LBB825_104
; %bb.110:
	s_and_saveexec_b64 s[34:35], s[16:17]
	s_cbranch_execz .LBB825_112
; %bb.111:
	s_add_i32 s2, s2, 64
	s_mov_b32 s3, 0
	s_lshl_b64 s[2:3], s[2:3], 3
	s_add_u32 s2, s28, s2
	v_add_u32_e32 v18, v17, v16
	v_mov_b32_e32 v19, 2
	s_addc_u32 s3, s29, s3
	v_mov_b32_e32 v20, 0
	global_store_dwordx2 v20, v[18:19], s[2:3] sc1
	ds_write_b64 v20, v[16:17] offset:30720
.LBB825_112:
	s_or_b64 exec, exec, s[34:35]
	v_cmp_eq_u32_e32 vcc, 0, v0
	s_and_b64 exec, exec, vcc
	s_cbranch_execz .LBB825_114
; %bb.113:
	v_mov_b32_e32 v16, 0
	ds_write_b32 v16, v17 offset:28
.LBB825_114:
	s_or_b64 exec, exec, s[30:31]
	v_mov_b32_e32 v16, 0
	s_waitcnt lgkmcnt(0)
	s_barrier
	ds_read_b32 v19, v16 offset:28
	s_waitcnt lgkmcnt(0)
	s_barrier
	ds_read_b64 v[16:17], v16 offset:30720
	v_cndmask_b32_e64 v18, v52, v50, s[16:17]
	v_cmp_ne_u32_e32 vcc, 0, v0
	s_nop 1
	v_cndmask_b32_e32 v18, 0, v18, vcc
	v_add_u32_e32 v72, v19, v18
	s_waitcnt lgkmcnt(0)
	v_mov_b32_e32 v18, v17
	s_load_dwordx2 s[2:3], s[0:1], 0x28
	s_branch .LBB825_125
.LBB825_115:
                                        ; implicit-def: $vgpr18
                                        ; implicit-def: $vgpr16
                                        ; implicit-def: $vgpr72
	s_load_dwordx2 s[2:3], s[0:1], 0x28
	s_cbranch_execz .LBB825_125
; %bb.116:
	v_mov_b32_dpp v16, v48 row_shr:1 row_mask:0xf bank_mask:0xf
	v_cndmask_b32_e64 v16, v16, 0, s[14:15]
	v_add_u32_e32 v16, v16, v48
	s_nop 1
	v_mov_b32_dpp v17, v16 row_shr:2 row_mask:0xf bank_mask:0xf
	v_cndmask_b32_e64 v17, 0, v17, s[12:13]
	v_add_u32_e32 v16, v16, v17
	s_nop 1
	;; [unrolled: 4-line block ×4, first 2 shown]
	v_mov_b32_dpp v17, v16 row_bcast:15 row_mask:0xf bank_mask:0xf
	v_cndmask_b32_e64 v17, v17, 0, s[6:7]
	v_add_u32_e32 v16, v16, v17
	s_nop 1
	v_mov_b32_dpp v17, v16 row_bcast:31 row_mask:0xf bank_mask:0xf
	v_cndmask_b32_e64 v17, 0, v17, s[18:19]
	v_add_u32_e32 v16, v16, v17
	s_and_saveexec_b64 s[0:1], s[4:5]
	s_cbranch_execz .LBB825_118
; %bb.117:
	v_lshlrev_b32_e32 v17, 2, v46
	ds_write_b32 v17, v16
.LBB825_118:
	s_or_b64 exec, exec, s[0:1]
	v_cmp_gt_u32_e32 vcc, 8, v0
	s_waitcnt lgkmcnt(0)
	s_barrier
	s_and_saveexec_b64 s[0:1], vcc
	s_cbranch_execz .LBB825_120
; %bb.119:
	v_lshlrev_b32_e32 v17, 2, v0
	ds_read_b32 v18, v17
	v_and_b32_e32 v19, 7, v44
	v_cmp_ne_u32_e32 vcc, 0, v19
	s_waitcnt lgkmcnt(0)
	v_mov_b32_dpp v20, v18 row_shr:1 row_mask:0xf bank_mask:0xf
	v_cndmask_b32_e32 v20, 0, v20, vcc
	v_add_u32_e32 v18, v20, v18
	v_cmp_lt_u32_e32 vcc, 1, v19
	s_nop 0
	v_mov_b32_dpp v20, v18 row_shr:2 row_mask:0xf bank_mask:0xf
	v_cndmask_b32_e32 v20, 0, v20, vcc
	v_add_u32_e32 v18, v18, v20
	v_cmp_lt_u32_e32 vcc, 3, v19
	s_nop 0
	v_mov_b32_dpp v20, v18 row_shr:4 row_mask:0xf bank_mask:0xf
	v_cndmask_b32_e32 v19, 0, v20, vcc
	v_add_u32_e32 v18, v18, v19
	ds_write_b32 v17, v18
.LBB825_120:
	s_or_b64 exec, exec, s[0:1]
	v_cmp_lt_u32_e32 vcc, 63, v0
	v_mov_b32_e32 v17, 0
	v_mov_b32_e32 v18, 0
	s_waitcnt lgkmcnt(0)
	s_barrier
	s_and_saveexec_b64 s[0:1], vcc
	s_cbranch_execz .LBB825_122
; %bb.121:
	v_lshl_add_u32 v18, v46, 2, -4
	ds_read_b32 v18, v18
.LBB825_122:
	s_or_b64 exec, exec, s[0:1]
	v_add_u32_e32 v19, -1, v44
	v_and_b32_e32 v20, 64, v44
	v_cmp_lt_i32_e32 vcc, v19, v20
	s_waitcnt lgkmcnt(0)
	v_add_u32_e32 v16, v18, v16
	v_cndmask_b32_e32 v19, v19, v44, vcc
	v_lshlrev_b32_e32 v19, 2, v19
	ds_bpermute_b32 v19, v19, v16
	ds_read_b32 v16, v17 offset:28
	v_cmp_eq_u32_e32 vcc, 0, v0
	s_and_saveexec_b64 s[0:1], vcc
	s_cbranch_execz .LBB825_124
; %bb.123:
	v_mov_b32_e32 v20, 0
	v_mov_b32_e32 v17, 2
	s_waitcnt lgkmcnt(0)
	global_store_dwordx2 v20, v[16:17], s[28:29] offset:512 sc1
.LBB825_124:
	s_or_b64 exec, exec, s[0:1]
	v_cmp_eq_u32_e64 s[0:1], 0, v44
	s_waitcnt lgkmcnt(0)
	s_barrier
	v_cndmask_b32_e64 v17, v19, v18, s[0:1]
	v_mov_b32_e32 v18, 0
	v_cndmask_b32_e64 v72, v17, 0, vcc
.LBB825_125:
	v_add_u32_e32 v78, v72, v26
	v_add_u32_e32 v76, v78, v27
	;; [unrolled: 1-line block ×27, first 2 shown]
	s_movk_i32 s0, 0x201
	v_add_u32_e32 v22, v24, v63
	v_cmp_gt_u32_e32 vcc, s0, v16
	v_add_u32_sdwa v20, v22, v81 dst_sel:DWORD dst_unused:UNUSED_PAD src0_sel:DWORD src1_sel:BYTE_0
	s_mov_b64 s[0:1], -1
	s_cbranch_vccnz .LBB825_129
; %bb.126:
	s_and_b64 vcc, exec, s[0:1]
	s_cbranch_vccnz .LBB825_220
.LBB825_127:
	v_cmp_eq_u32_e32 vcc, 0, v0
	s_and_b64 s[0:1], vcc, s[24:25]
	s_waitcnt lgkmcnt(0)
	s_and_saveexec_b64 s[2:3], s[0:1]
	s_cbranch_execnz .LBB825_294
.LBB825_128:
	s_endpgm
.LBB825_129:
	v_add_u32_e32 v17, v18, v16
	s_lshl_b64 s[0:1], s[22:23], 1
	s_waitcnt lgkmcnt(0)
	s_add_u32 s0, s2, s0
	v_cmp_lt_u32_e32 vcc, v72, v17
	s_addc_u32 s1, s3, s1
	s_or_b64 s[6:7], s[26:27], vcc
	s_and_saveexec_b64 s[4:5], s[6:7]
	s_cbranch_execz .LBB825_132
; %bb.130:
	v_and_b32_e32 v19, 1, v109
	v_cmp_eq_u32_e32 vcc, 1, v19
	s_and_b64 exec, exec, vcc
	s_cbranch_execz .LBB825_132
; %bb.131:
	v_mov_b32_e32 v73, 0
	v_lshl_add_u64 v[110:111], v[72:73], 1, s[0:1]
	global_store_short v[110:111], v14, off
.LBB825_132:
	s_or_b64 exec, exec, s[4:5]
	v_cmp_lt_u32_e32 vcc, v78, v17
	s_or_b64 s[6:7], s[26:27], vcc
	s_and_saveexec_b64 s[4:5], s[6:7]
	s_cbranch_execz .LBB825_135
; %bb.133:
	v_and_b32_e32 v19, 1, v108
	v_cmp_eq_u32_e32 vcc, 1, v19
	s_and_b64 exec, exec, vcc
	s_cbranch_execz .LBB825_135
; %bb.134:
	v_mov_b32_e32 v79, 0
	v_lshl_add_u64 v[110:111], v[78:79], 1, s[0:1]
	global_store_short_d16_hi v[110:111], v14, off
.LBB825_135:
	s_or_b64 exec, exec, s[4:5]
	v_cmp_lt_u32_e32 vcc, v76, v17
	s_or_b64 s[6:7], s[26:27], vcc
	s_and_saveexec_b64 s[4:5], s[6:7]
	s_cbranch_execz .LBB825_138
; %bb.136:
	v_and_b32_e32 v19, 1, v107
	v_cmp_eq_u32_e32 vcc, 1, v19
	s_and_b64 exec, exec, vcc
	s_cbranch_execz .LBB825_138
; %bb.137:
	v_mov_b32_e32 v77, 0
	v_lshl_add_u64 v[110:111], v[76:77], 1, s[0:1]
	global_store_short v[110:111], v15, off
.LBB825_138:
	s_or_b64 exec, exec, s[4:5]
	v_cmp_lt_u32_e32 vcc, v74, v17
	s_or_b64 s[6:7], s[26:27], vcc
	s_and_saveexec_b64 s[4:5], s[6:7]
	s_cbranch_execz .LBB825_141
; %bb.139:
	v_and_b32_e32 v19, 1, v106
	v_cmp_eq_u32_e32 vcc, 1, v19
	s_and_b64 exec, exec, vcc
	s_cbranch_execz .LBB825_141
; %bb.140:
	v_mov_b32_e32 v75, 0
	v_lshl_add_u64 v[110:111], v[74:75], 1, s[0:1]
	global_store_short_d16_hi v[110:111], v15, off
.LBB825_141:
	s_or_b64 exec, exec, s[4:5]
	v_cmp_lt_u32_e32 vcc, v70, v17
	;; [unrolled: 30-line block ×14, first 2 shown]
	s_or_b64 s[6:7], s[26:27], vcc
	s_and_saveexec_b64 s[4:5], s[6:7]
	s_cbranch_execz .LBB825_216
; %bb.214:
	v_and_b32_e32 v19, 1, v81
	v_cmp_eq_u32_e32 vcc, 1, v19
	s_and_b64 exec, exec, vcc
	s_cbranch_execz .LBB825_216
; %bb.215:
	v_mov_b32_e32 v23, 0
	v_lshl_add_u64 v[110:111], v[22:23], 1, s[0:1]
	global_store_short v[110:111], v1, off
.LBB825_216:
	s_or_b64 exec, exec, s[4:5]
	v_cmp_lt_u32_e32 vcc, v20, v17
	s_or_b64 s[6:7], s[26:27], vcc
	s_and_saveexec_b64 s[4:5], s[6:7]
	s_cbranch_execz .LBB825_219
; %bb.217:
	v_and_b32_e32 v17, 1, v80
	v_cmp_eq_u32_e32 vcc, 1, v17
	s_and_b64 exec, exec, vcc
	s_cbranch_execz .LBB825_219
; %bb.218:
	v_mov_b32_e32 v21, 0
	v_lshl_add_u64 v[110:111], v[20:21], 1, s[0:1]
	global_store_short_d16_hi v[110:111], v1, off
.LBB825_219:
	s_or_b64 exec, exec, s[4:5]
	s_branch .LBB825_127
.LBB825_220:
	v_and_b32_e32 v17, 1, v109
	v_cmp_eq_u32_e32 vcc, 1, v17
	s_and_saveexec_b64 s[0:1], vcc
	s_cbranch_execz .LBB825_222
; %bb.221:
	v_sub_u32_e32 v17, v72, v18
	v_lshlrev_b32_e32 v17, 1, v17
	ds_write_b16 v17, v14
.LBB825_222:
	s_or_b64 exec, exec, s[0:1]
	v_and_b32_e32 v17, 1, v108
	v_cmp_eq_u32_e32 vcc, 1, v17
	s_and_saveexec_b64 s[0:1], vcc
	s_cbranch_execz .LBB825_224
; %bb.223:
	v_sub_u32_e32 v17, v78, v18
	v_lshlrev_b32_e32 v17, 1, v17
	ds_write_b16_d16_hi v17, v14
.LBB825_224:
	s_or_b64 exec, exec, s[0:1]
	v_and_b32_e32 v14, 1, v107
	v_cmp_eq_u32_e32 vcc, 1, v14
	s_and_saveexec_b64 s[0:1], vcc
	s_cbranch_execz .LBB825_226
; %bb.225:
	v_sub_u32_e32 v14, v76, v18
	v_lshlrev_b32_e32 v14, 1, v14
	ds_write_b16 v14, v15
.LBB825_226:
	s_or_b64 exec, exec, s[0:1]
	v_and_b32_e32 v14, 1, v106
	v_cmp_eq_u32_e32 vcc, 1, v14
	s_and_saveexec_b64 s[0:1], vcc
	s_cbranch_execz .LBB825_228
; %bb.227:
	v_sub_u32_e32 v14, v74, v18
	v_lshlrev_b32_e32 v14, 1, v14
	ds_write_b16_d16_hi v14, v15
.LBB825_228:
	s_or_b64 exec, exec, s[0:1]
	;; [unrolled: 20-line block ×15, first 2 shown]
	v_cmp_lt_u32_e32 vcc, v0, v16
	s_waitcnt lgkmcnt(0)
	s_barrier
	s_and_saveexec_b64 s[0:1], vcc
	s_cbranch_execz .LBB825_293
; %bb.281:
	s_lshl_b64 s[4:5], s[22:23], 1
	v_mov_b32_e32 v19, 0
	s_add_u32 s2, s2, s4
	s_addc_u32 s3, s3, s5
	v_lshlrev_b64 v[2:3], 1, v[18:19]
	v_lshl_add_u64 v[8:9], s[2:3], 0, v[2:3]
	v_xad_u32 v1, v0, -1, v16
	s_movk_i32 s2, 0x5ff
	v_cmp_lt_u32_e32 vcc, s2, v1
	s_mov_b64 s[4:5], -1
	v_mov_b32_e32 v2, v0
	s_and_saveexec_b64 s[2:3], vcc
	s_cbranch_execz .LBB825_290
; %bb.282:
	v_lshrrev_b32_e32 v12, 9, v1
	v_add_u32_e32 v4, -3, v12
	v_or_b32_e32 v3, 0x600, v0
	v_or_b32_e32 v2, 0x400, v0
	v_lshrrev_b32_e32 v5, 2, v4
	v_or_b32_e32 v1, 0x200, v0
	v_add_u32_e32 v14, 1, v5
	v_cmp_lt_u32_e32 vcc, 11, v4
	v_mov_b64_e32 v[6:7], v[2:3]
	v_lshlrev_b32_e32 v13, 1, v0
	v_mov_b64_e32 v[4:5], v[0:1]
	s_and_saveexec_b64 s[4:5], vcc
	s_cbranch_execz .LBB825_286
; %bb.283:
	v_mov_b64_e32 v[6:7], v[2:3]
	v_and_b32_e32 v15, 0x7ffffffc, v14
	s_mov_b32 s8, 0
	s_mov_b64 s[6:7], 0
	v_mov_b32_e32 v11, 0
	v_mov_b32_e32 v17, v13
	v_mov_b64_e32 v[4:5], v[0:1]
.LBB825_284:                            ; =>This Inner Loop Header: Depth=1
	v_mov_b32_e32 v10, v4
	ds_read_u16 v1, v17
	ds_read_u16 v44, v17 offset:1024
	ds_read_u16 v45, v17 offset:2048
	;; [unrolled: 1-line block ×7, first 2 shown]
	v_lshl_add_u64 v[36:37], v[10:11], 1, v[8:9]
	v_mov_b32_e32 v10, v5
	v_lshl_add_u64 v[38:39], v[10:11], 1, v[8:9]
	v_mov_b32_e32 v10, v6
	ds_read_u16 v51, v17 offset:8192
	ds_read_u16 v52, v17 offset:9216
	;; [unrolled: 1-line block ×8, first 2 shown]
	v_lshl_add_u64 v[40:41], v[10:11], 1, v[8:9]
	v_mov_b32_e32 v10, v7
	v_add_u32_e32 v2, 0x800, v7
	v_mov_b32_e32 v3, v11
	v_lshl_add_u64 v[42:43], v[10:11], 1, v[8:9]
	v_add_u32_e32 v10, 0x800, v4
	v_add_u32_e32 v20, 0x800, v6
	;; [unrolled: 1-line block ×3, first 2 shown]
	v_mov_b32_e32 v23, v11
	v_mov_b32_e32 v21, v11
	v_add_u32_e32 v15, -4, v15
	v_lshl_add_u64 v[2:3], v[2:3], 1, v[8:9]
	s_waitcnt lgkmcnt(14)
	global_store_short v[36:37], v1, off
	global_store_short v[38:39], v44, off
	s_waitcnt lgkmcnt(13)
	global_store_short v[40:41], v45, off
	s_waitcnt lgkmcnt(12)
	global_store_short v[42:43], v46, off
	v_lshl_add_u64 v[36:37], v[10:11], 1, v[8:9]
	v_add_u32_e32 v10, 0x1000, v4
	v_add_u32_e32 v24, 0x1000, v7
	;; [unrolled: 1-line block ×4, first 2 shown]
	v_mov_b32_e32 v29, v11
	v_mov_b32_e32 v27, v11
	v_mov_b32_e32 v25, v11
	s_add_i32 s8, s8, 16
	v_lshl_add_u64 v[22:23], v[22:23], 1, v[8:9]
	v_lshl_add_u64 v[20:21], v[20:21], 1, v[8:9]
	v_cmp_eq_u32_e32 vcc, 0, v15
	s_waitcnt lgkmcnt(11)
	global_store_short v[36:37], v47, off
	s_waitcnt lgkmcnt(10)
	global_store_short v[22:23], v48, off
	;; [unrolled: 2-line block ×4, first 2 shown]
	v_lshl_add_u64 v[2:3], v[10:11], 1, v[8:9]
	v_add_u32_e32 v10, 0x1800, v4
	v_add_u32_e32 v30, 0x1800, v7
	;; [unrolled: 1-line block ×4, first 2 shown]
	v_mov_b32_e32 v35, v11
	v_mov_b32_e32 v33, v11
	;; [unrolled: 1-line block ×3, first 2 shown]
	v_add_u32_e32 v17, 0x4000, v17
	v_lshl_add_u64 v[28:29], v[28:29], 1, v[8:9]
	v_lshl_add_u64 v[26:27], v[26:27], 1, v[8:9]
	;; [unrolled: 1-line block ×3, first 2 shown]
	v_add_u32_e32 v5, 0x2000, v5
	v_mov_b32_e32 v19, s8
	v_add_u32_e32 v6, 0x2000, v6
	s_or_b64 s[6:7], vcc, s[6:7]
	v_add_u32_e32 v7, 0x2000, v7
	v_add_u32_e32 v4, 0x2000, v4
	s_waitcnt lgkmcnt(7)
	global_store_short v[2:3], v51, off
	s_waitcnt lgkmcnt(6)
	global_store_short v[28:29], v52, off
	;; [unrolled: 2-line block ×4, first 2 shown]
	v_lshl_add_u64 v[2:3], v[10:11], 1, v[8:9]
	v_lshl_add_u64 v[34:35], v[34:35], 1, v[8:9]
	;; [unrolled: 1-line block ×4, first 2 shown]
	s_waitcnt lgkmcnt(3)
	global_store_short v[2:3], v55, off
	s_waitcnt lgkmcnt(2)
	global_store_short v[34:35], v56, off
	;; [unrolled: 2-line block ×4, first 2 shown]
	s_andn2_b64 exec, exec, s[6:7]
	s_cbranch_execnz .LBB825_284
; %bb.285:
	s_or_b64 exec, exec, s[6:7]
.LBB825_286:
	s_or_b64 exec, exec, s[4:5]
	v_and_b32_e32 v1, 3, v14
	v_cmp_ne_u32_e32 vcc, 0, v1
	s_and_saveexec_b64 s[4:5], vcc
	s_cbranch_execz .LBB825_289
; %bb.287:
	v_lshl_or_b32 v10, v19, 10, v13
	s_mov_b64 s[6:7], 0
	v_mov_b32_e32 v3, 0
.LBB825_288:                            ; =>This Inner Loop Header: Depth=1
	ds_read_u16 v11, v10
	ds_read_u16 v13, v10 offset:1024
	ds_read_u16 v17, v10 offset:2048
	;; [unrolled: 1-line block ×3, first 2 shown]
	v_mov_b32_e32 v2, v4
	v_add_u32_e32 v1, -1, v1
	v_lshl_add_u64 v[14:15], v[2:3], 1, v[8:9]
	v_mov_b32_e32 v2, v5
	v_cmp_eq_u32_e32 vcc, 0, v1
	v_lshl_add_u64 v[20:21], v[2:3], 1, v[8:9]
	v_mov_b32_e32 v2, v6
	v_add_u32_e32 v4, 0x800, v4
	v_add_u32_e32 v10, 0x1000, v10
	;; [unrolled: 1-line block ×4, first 2 shown]
	s_or_b64 s[6:7], vcc, s[6:7]
	v_lshl_add_u64 v[22:23], v[2:3], 1, v[8:9]
	v_mov_b32_e32 v2, v7
	v_add_u32_e32 v7, 0x800, v7
	v_lshl_add_u64 v[24:25], v[2:3], 1, v[8:9]
	s_waitcnt lgkmcnt(3)
	global_store_short v[14:15], v11, off
	s_waitcnt lgkmcnt(2)
	global_store_short v[20:21], v13, off
	;; [unrolled: 2-line block ×4, first 2 shown]
	s_andn2_b64 exec, exec, s[6:7]
	s_cbranch_execnz .LBB825_288
.LBB825_289:
	s_or_b64 exec, exec, s[4:5]
	v_add_u32_e32 v1, 1, v12
	v_and_b32_e32 v3, 0xfffffc, v1
	v_cmp_ne_u32_e32 vcc, v1, v3
	v_lshl_or_b32 v2, v3, 9, v0
	s_orn2_b64 s[4:5], vcc, exec
.LBB825_290:
	s_or_b64 exec, exec, s[2:3]
	s_and_b64 exec, exec, s[4:5]
	s_cbranch_execz .LBB825_293
; %bb.291:
	v_lshlrev_b32_e32 v1, 1, v2
	s_mov_b64 s[2:3], 0
	v_mov_b32_e32 v3, 0
.LBB825_292:                            ; =>This Inner Loop Header: Depth=1
	ds_read_u16 v6, v1
	v_lshl_add_u64 v[4:5], v[2:3], 1, v[8:9]
	v_add_u32_e32 v2, 0x200, v2
	v_cmp_ge_u32_e32 vcc, v2, v16
	v_add_u32_e32 v1, 0x400, v1
	s_or_b64 s[2:3], vcc, s[2:3]
	s_waitcnt lgkmcnt(0)
	global_store_short v[4:5], v6, off
	s_andn2_b64 exec, exec, s[2:3]
	s_cbranch_execnz .LBB825_292
.LBB825_293:
	s_or_b64 exec, exec, s[0:1]
	v_cmp_eq_u32_e32 vcc, 0, v0
	s_and_b64 s[0:1], vcc, s[24:25]
	s_and_saveexec_b64 s[2:3], s[0:1]
	s_cbranch_execz .LBB825_128
.LBB825_294:
	v_mov_b32_e32 v17, 0
	v_lshl_add_u64 v[0:1], s[22:23], 0, v[16:17]
	v_mov_b32_e32 v19, v17
	v_lshl_add_u64 v[0:1], v[0:1], 0, v[18:19]
	global_store_dwordx2 v17, v[0:1], s[20:21]
	s_endpgm
	.section	.rodata,"a",@progbits
	.p2align	6, 0x0
	.amdhsa_kernel _ZN7rocprim17ROCPRIM_400000_NS6detail17trampoline_kernelINS0_14default_configENS1_25partition_config_selectorILNS1_17partition_subalgoE8EN3c108BFloat16ENS0_10empty_typeEbEEZZNS1_14partition_implILS5_8ELb0ES3_jPKS7_PS8_PKS8_NS0_5tupleIJPS7_S8_EEENSG_IJSD_SD_EEENS0_18inequality_wrapperIN6hipcub16HIPCUB_304000_NS8EqualityEEEPlJS8_EEE10hipError_tPvRmT3_T4_T5_T6_T7_T9_mT8_P12ihipStream_tbDpT10_ENKUlT_T0_E_clISt17integral_constantIbLb0EES19_EEDaS14_S15_EUlS14_E_NS1_11comp_targetILNS1_3genE5ELNS1_11target_archE942ELNS1_3gpuE9ELNS1_3repE0EEENS1_30default_config_static_selectorELNS0_4arch9wavefront6targetE1EEEvT1_
		.amdhsa_group_segment_fixed_size 30728
		.amdhsa_private_segment_fixed_size 0
		.amdhsa_kernarg_size 112
		.amdhsa_user_sgpr_count 2
		.amdhsa_user_sgpr_dispatch_ptr 0
		.amdhsa_user_sgpr_queue_ptr 0
		.amdhsa_user_sgpr_kernarg_segment_ptr 1
		.amdhsa_user_sgpr_dispatch_id 0
		.amdhsa_user_sgpr_kernarg_preload_length 0
		.amdhsa_user_sgpr_kernarg_preload_offset 0
		.amdhsa_user_sgpr_private_segment_size 0
		.amdhsa_uses_dynamic_stack 0
		.amdhsa_enable_private_segment 0
		.amdhsa_system_sgpr_workgroup_id_x 1
		.amdhsa_system_sgpr_workgroup_id_y 0
		.amdhsa_system_sgpr_workgroup_id_z 0
		.amdhsa_system_sgpr_workgroup_info 0
		.amdhsa_system_vgpr_workitem_id 0
		.amdhsa_next_free_vgpr 112
		.amdhsa_next_free_sgpr 40
		.amdhsa_accum_offset 112
		.amdhsa_reserve_vcc 1
		.amdhsa_float_round_mode_32 0
		.amdhsa_float_round_mode_16_64 0
		.amdhsa_float_denorm_mode_32 3
		.amdhsa_float_denorm_mode_16_64 3
		.amdhsa_dx10_clamp 1
		.amdhsa_ieee_mode 1
		.amdhsa_fp16_overflow 0
		.amdhsa_tg_split 0
		.amdhsa_exception_fp_ieee_invalid_op 0
		.amdhsa_exception_fp_denorm_src 0
		.amdhsa_exception_fp_ieee_div_zero 0
		.amdhsa_exception_fp_ieee_overflow 0
		.amdhsa_exception_fp_ieee_underflow 0
		.amdhsa_exception_fp_ieee_inexact 0
		.amdhsa_exception_int_div_zero 0
	.end_amdhsa_kernel
	.section	.text._ZN7rocprim17ROCPRIM_400000_NS6detail17trampoline_kernelINS0_14default_configENS1_25partition_config_selectorILNS1_17partition_subalgoE8EN3c108BFloat16ENS0_10empty_typeEbEEZZNS1_14partition_implILS5_8ELb0ES3_jPKS7_PS8_PKS8_NS0_5tupleIJPS7_S8_EEENSG_IJSD_SD_EEENS0_18inequality_wrapperIN6hipcub16HIPCUB_304000_NS8EqualityEEEPlJS8_EEE10hipError_tPvRmT3_T4_T5_T6_T7_T9_mT8_P12ihipStream_tbDpT10_ENKUlT_T0_E_clISt17integral_constantIbLb0EES19_EEDaS14_S15_EUlS14_E_NS1_11comp_targetILNS1_3genE5ELNS1_11target_archE942ELNS1_3gpuE9ELNS1_3repE0EEENS1_30default_config_static_selectorELNS0_4arch9wavefront6targetE1EEEvT1_,"axG",@progbits,_ZN7rocprim17ROCPRIM_400000_NS6detail17trampoline_kernelINS0_14default_configENS1_25partition_config_selectorILNS1_17partition_subalgoE8EN3c108BFloat16ENS0_10empty_typeEbEEZZNS1_14partition_implILS5_8ELb0ES3_jPKS7_PS8_PKS8_NS0_5tupleIJPS7_S8_EEENSG_IJSD_SD_EEENS0_18inequality_wrapperIN6hipcub16HIPCUB_304000_NS8EqualityEEEPlJS8_EEE10hipError_tPvRmT3_T4_T5_T6_T7_T9_mT8_P12ihipStream_tbDpT10_ENKUlT_T0_E_clISt17integral_constantIbLb0EES19_EEDaS14_S15_EUlS14_E_NS1_11comp_targetILNS1_3genE5ELNS1_11target_archE942ELNS1_3gpuE9ELNS1_3repE0EEENS1_30default_config_static_selectorELNS0_4arch9wavefront6targetE1EEEvT1_,comdat
.Lfunc_end825:
	.size	_ZN7rocprim17ROCPRIM_400000_NS6detail17trampoline_kernelINS0_14default_configENS1_25partition_config_selectorILNS1_17partition_subalgoE8EN3c108BFloat16ENS0_10empty_typeEbEEZZNS1_14partition_implILS5_8ELb0ES3_jPKS7_PS8_PKS8_NS0_5tupleIJPS7_S8_EEENSG_IJSD_SD_EEENS0_18inequality_wrapperIN6hipcub16HIPCUB_304000_NS8EqualityEEEPlJS8_EEE10hipError_tPvRmT3_T4_T5_T6_T7_T9_mT8_P12ihipStream_tbDpT10_ENKUlT_T0_E_clISt17integral_constantIbLb0EES19_EEDaS14_S15_EUlS14_E_NS1_11comp_targetILNS1_3genE5ELNS1_11target_archE942ELNS1_3gpuE9ELNS1_3repE0EEENS1_30default_config_static_selectorELNS0_4arch9wavefront6targetE1EEEvT1_, .Lfunc_end825-_ZN7rocprim17ROCPRIM_400000_NS6detail17trampoline_kernelINS0_14default_configENS1_25partition_config_selectorILNS1_17partition_subalgoE8EN3c108BFloat16ENS0_10empty_typeEbEEZZNS1_14partition_implILS5_8ELb0ES3_jPKS7_PS8_PKS8_NS0_5tupleIJPS7_S8_EEENSG_IJSD_SD_EEENS0_18inequality_wrapperIN6hipcub16HIPCUB_304000_NS8EqualityEEEPlJS8_EEE10hipError_tPvRmT3_T4_T5_T6_T7_T9_mT8_P12ihipStream_tbDpT10_ENKUlT_T0_E_clISt17integral_constantIbLb0EES19_EEDaS14_S15_EUlS14_E_NS1_11comp_targetILNS1_3genE5ELNS1_11target_archE942ELNS1_3gpuE9ELNS1_3repE0EEENS1_30default_config_static_selectorELNS0_4arch9wavefront6targetE1EEEvT1_
                                        ; -- End function
	.section	.AMDGPU.csdata,"",@progbits
; Kernel info:
; codeLenInByte = 12848
; NumSgprs: 46
; NumVgprs: 112
; NumAgprs: 0
; TotalNumVgprs: 112
; ScratchSize: 0
; MemoryBound: 0
; FloatMode: 240
; IeeeMode: 1
; LDSByteSize: 30728 bytes/workgroup (compile time only)
; SGPRBlocks: 5
; VGPRBlocks: 13
; NumSGPRsForWavesPerEU: 46
; NumVGPRsForWavesPerEU: 112
; AccumOffset: 112
; Occupancy: 4
; WaveLimiterHint : 1
; COMPUTE_PGM_RSRC2:SCRATCH_EN: 0
; COMPUTE_PGM_RSRC2:USER_SGPR: 2
; COMPUTE_PGM_RSRC2:TRAP_HANDLER: 0
; COMPUTE_PGM_RSRC2:TGID_X_EN: 1
; COMPUTE_PGM_RSRC2:TGID_Y_EN: 0
; COMPUTE_PGM_RSRC2:TGID_Z_EN: 0
; COMPUTE_PGM_RSRC2:TIDIG_COMP_CNT: 0
; COMPUTE_PGM_RSRC3_GFX90A:ACCUM_OFFSET: 27
; COMPUTE_PGM_RSRC3_GFX90A:TG_SPLIT: 0
	.section	.text._ZN7rocprim17ROCPRIM_400000_NS6detail17trampoline_kernelINS0_14default_configENS1_25partition_config_selectorILNS1_17partition_subalgoE8EN3c108BFloat16ENS0_10empty_typeEbEEZZNS1_14partition_implILS5_8ELb0ES3_jPKS7_PS8_PKS8_NS0_5tupleIJPS7_S8_EEENSG_IJSD_SD_EEENS0_18inequality_wrapperIN6hipcub16HIPCUB_304000_NS8EqualityEEEPlJS8_EEE10hipError_tPvRmT3_T4_T5_T6_T7_T9_mT8_P12ihipStream_tbDpT10_ENKUlT_T0_E_clISt17integral_constantIbLb0EES19_EEDaS14_S15_EUlS14_E_NS1_11comp_targetILNS1_3genE4ELNS1_11target_archE910ELNS1_3gpuE8ELNS1_3repE0EEENS1_30default_config_static_selectorELNS0_4arch9wavefront6targetE1EEEvT1_,"axG",@progbits,_ZN7rocprim17ROCPRIM_400000_NS6detail17trampoline_kernelINS0_14default_configENS1_25partition_config_selectorILNS1_17partition_subalgoE8EN3c108BFloat16ENS0_10empty_typeEbEEZZNS1_14partition_implILS5_8ELb0ES3_jPKS7_PS8_PKS8_NS0_5tupleIJPS7_S8_EEENSG_IJSD_SD_EEENS0_18inequality_wrapperIN6hipcub16HIPCUB_304000_NS8EqualityEEEPlJS8_EEE10hipError_tPvRmT3_T4_T5_T6_T7_T9_mT8_P12ihipStream_tbDpT10_ENKUlT_T0_E_clISt17integral_constantIbLb0EES19_EEDaS14_S15_EUlS14_E_NS1_11comp_targetILNS1_3genE4ELNS1_11target_archE910ELNS1_3gpuE8ELNS1_3repE0EEENS1_30default_config_static_selectorELNS0_4arch9wavefront6targetE1EEEvT1_,comdat
	.protected	_ZN7rocprim17ROCPRIM_400000_NS6detail17trampoline_kernelINS0_14default_configENS1_25partition_config_selectorILNS1_17partition_subalgoE8EN3c108BFloat16ENS0_10empty_typeEbEEZZNS1_14partition_implILS5_8ELb0ES3_jPKS7_PS8_PKS8_NS0_5tupleIJPS7_S8_EEENSG_IJSD_SD_EEENS0_18inequality_wrapperIN6hipcub16HIPCUB_304000_NS8EqualityEEEPlJS8_EEE10hipError_tPvRmT3_T4_T5_T6_T7_T9_mT8_P12ihipStream_tbDpT10_ENKUlT_T0_E_clISt17integral_constantIbLb0EES19_EEDaS14_S15_EUlS14_E_NS1_11comp_targetILNS1_3genE4ELNS1_11target_archE910ELNS1_3gpuE8ELNS1_3repE0EEENS1_30default_config_static_selectorELNS0_4arch9wavefront6targetE1EEEvT1_ ; -- Begin function _ZN7rocprim17ROCPRIM_400000_NS6detail17trampoline_kernelINS0_14default_configENS1_25partition_config_selectorILNS1_17partition_subalgoE8EN3c108BFloat16ENS0_10empty_typeEbEEZZNS1_14partition_implILS5_8ELb0ES3_jPKS7_PS8_PKS8_NS0_5tupleIJPS7_S8_EEENSG_IJSD_SD_EEENS0_18inequality_wrapperIN6hipcub16HIPCUB_304000_NS8EqualityEEEPlJS8_EEE10hipError_tPvRmT3_T4_T5_T6_T7_T9_mT8_P12ihipStream_tbDpT10_ENKUlT_T0_E_clISt17integral_constantIbLb0EES19_EEDaS14_S15_EUlS14_E_NS1_11comp_targetILNS1_3genE4ELNS1_11target_archE910ELNS1_3gpuE8ELNS1_3repE0EEENS1_30default_config_static_selectorELNS0_4arch9wavefront6targetE1EEEvT1_
	.globl	_ZN7rocprim17ROCPRIM_400000_NS6detail17trampoline_kernelINS0_14default_configENS1_25partition_config_selectorILNS1_17partition_subalgoE8EN3c108BFloat16ENS0_10empty_typeEbEEZZNS1_14partition_implILS5_8ELb0ES3_jPKS7_PS8_PKS8_NS0_5tupleIJPS7_S8_EEENSG_IJSD_SD_EEENS0_18inequality_wrapperIN6hipcub16HIPCUB_304000_NS8EqualityEEEPlJS8_EEE10hipError_tPvRmT3_T4_T5_T6_T7_T9_mT8_P12ihipStream_tbDpT10_ENKUlT_T0_E_clISt17integral_constantIbLb0EES19_EEDaS14_S15_EUlS14_E_NS1_11comp_targetILNS1_3genE4ELNS1_11target_archE910ELNS1_3gpuE8ELNS1_3repE0EEENS1_30default_config_static_selectorELNS0_4arch9wavefront6targetE1EEEvT1_
	.p2align	8
	.type	_ZN7rocprim17ROCPRIM_400000_NS6detail17trampoline_kernelINS0_14default_configENS1_25partition_config_selectorILNS1_17partition_subalgoE8EN3c108BFloat16ENS0_10empty_typeEbEEZZNS1_14partition_implILS5_8ELb0ES3_jPKS7_PS8_PKS8_NS0_5tupleIJPS7_S8_EEENSG_IJSD_SD_EEENS0_18inequality_wrapperIN6hipcub16HIPCUB_304000_NS8EqualityEEEPlJS8_EEE10hipError_tPvRmT3_T4_T5_T6_T7_T9_mT8_P12ihipStream_tbDpT10_ENKUlT_T0_E_clISt17integral_constantIbLb0EES19_EEDaS14_S15_EUlS14_E_NS1_11comp_targetILNS1_3genE4ELNS1_11target_archE910ELNS1_3gpuE8ELNS1_3repE0EEENS1_30default_config_static_selectorELNS0_4arch9wavefront6targetE1EEEvT1_,@function
_ZN7rocprim17ROCPRIM_400000_NS6detail17trampoline_kernelINS0_14default_configENS1_25partition_config_selectorILNS1_17partition_subalgoE8EN3c108BFloat16ENS0_10empty_typeEbEEZZNS1_14partition_implILS5_8ELb0ES3_jPKS7_PS8_PKS8_NS0_5tupleIJPS7_S8_EEENSG_IJSD_SD_EEENS0_18inequality_wrapperIN6hipcub16HIPCUB_304000_NS8EqualityEEEPlJS8_EEE10hipError_tPvRmT3_T4_T5_T6_T7_T9_mT8_P12ihipStream_tbDpT10_ENKUlT_T0_E_clISt17integral_constantIbLb0EES19_EEDaS14_S15_EUlS14_E_NS1_11comp_targetILNS1_3genE4ELNS1_11target_archE910ELNS1_3gpuE8ELNS1_3repE0EEENS1_30default_config_static_selectorELNS0_4arch9wavefront6targetE1EEEvT1_: ; @_ZN7rocprim17ROCPRIM_400000_NS6detail17trampoline_kernelINS0_14default_configENS1_25partition_config_selectorILNS1_17partition_subalgoE8EN3c108BFloat16ENS0_10empty_typeEbEEZZNS1_14partition_implILS5_8ELb0ES3_jPKS7_PS8_PKS8_NS0_5tupleIJPS7_S8_EEENSG_IJSD_SD_EEENS0_18inequality_wrapperIN6hipcub16HIPCUB_304000_NS8EqualityEEEPlJS8_EEE10hipError_tPvRmT3_T4_T5_T6_T7_T9_mT8_P12ihipStream_tbDpT10_ENKUlT_T0_E_clISt17integral_constantIbLb0EES19_EEDaS14_S15_EUlS14_E_NS1_11comp_targetILNS1_3genE4ELNS1_11target_archE910ELNS1_3gpuE8ELNS1_3repE0EEENS1_30default_config_static_selectorELNS0_4arch9wavefront6targetE1EEEvT1_
; %bb.0:
	.section	.rodata,"a",@progbits
	.p2align	6, 0x0
	.amdhsa_kernel _ZN7rocprim17ROCPRIM_400000_NS6detail17trampoline_kernelINS0_14default_configENS1_25partition_config_selectorILNS1_17partition_subalgoE8EN3c108BFloat16ENS0_10empty_typeEbEEZZNS1_14partition_implILS5_8ELb0ES3_jPKS7_PS8_PKS8_NS0_5tupleIJPS7_S8_EEENSG_IJSD_SD_EEENS0_18inequality_wrapperIN6hipcub16HIPCUB_304000_NS8EqualityEEEPlJS8_EEE10hipError_tPvRmT3_T4_T5_T6_T7_T9_mT8_P12ihipStream_tbDpT10_ENKUlT_T0_E_clISt17integral_constantIbLb0EES19_EEDaS14_S15_EUlS14_E_NS1_11comp_targetILNS1_3genE4ELNS1_11target_archE910ELNS1_3gpuE8ELNS1_3repE0EEENS1_30default_config_static_selectorELNS0_4arch9wavefront6targetE1EEEvT1_
		.amdhsa_group_segment_fixed_size 0
		.amdhsa_private_segment_fixed_size 0
		.amdhsa_kernarg_size 112
		.amdhsa_user_sgpr_count 2
		.amdhsa_user_sgpr_dispatch_ptr 0
		.amdhsa_user_sgpr_queue_ptr 0
		.amdhsa_user_sgpr_kernarg_segment_ptr 1
		.amdhsa_user_sgpr_dispatch_id 0
		.amdhsa_user_sgpr_kernarg_preload_length 0
		.amdhsa_user_sgpr_kernarg_preload_offset 0
		.amdhsa_user_sgpr_private_segment_size 0
		.amdhsa_uses_dynamic_stack 0
		.amdhsa_enable_private_segment 0
		.amdhsa_system_sgpr_workgroup_id_x 1
		.amdhsa_system_sgpr_workgroup_id_y 0
		.amdhsa_system_sgpr_workgroup_id_z 0
		.amdhsa_system_sgpr_workgroup_info 0
		.amdhsa_system_vgpr_workitem_id 0
		.amdhsa_next_free_vgpr 1
		.amdhsa_next_free_sgpr 0
		.amdhsa_accum_offset 4
		.amdhsa_reserve_vcc 0
		.amdhsa_float_round_mode_32 0
		.amdhsa_float_round_mode_16_64 0
		.amdhsa_float_denorm_mode_32 3
		.amdhsa_float_denorm_mode_16_64 3
		.amdhsa_dx10_clamp 1
		.amdhsa_ieee_mode 1
		.amdhsa_fp16_overflow 0
		.amdhsa_tg_split 0
		.amdhsa_exception_fp_ieee_invalid_op 0
		.amdhsa_exception_fp_denorm_src 0
		.amdhsa_exception_fp_ieee_div_zero 0
		.amdhsa_exception_fp_ieee_overflow 0
		.amdhsa_exception_fp_ieee_underflow 0
		.amdhsa_exception_fp_ieee_inexact 0
		.amdhsa_exception_int_div_zero 0
	.end_amdhsa_kernel
	.section	.text._ZN7rocprim17ROCPRIM_400000_NS6detail17trampoline_kernelINS0_14default_configENS1_25partition_config_selectorILNS1_17partition_subalgoE8EN3c108BFloat16ENS0_10empty_typeEbEEZZNS1_14partition_implILS5_8ELb0ES3_jPKS7_PS8_PKS8_NS0_5tupleIJPS7_S8_EEENSG_IJSD_SD_EEENS0_18inequality_wrapperIN6hipcub16HIPCUB_304000_NS8EqualityEEEPlJS8_EEE10hipError_tPvRmT3_T4_T5_T6_T7_T9_mT8_P12ihipStream_tbDpT10_ENKUlT_T0_E_clISt17integral_constantIbLb0EES19_EEDaS14_S15_EUlS14_E_NS1_11comp_targetILNS1_3genE4ELNS1_11target_archE910ELNS1_3gpuE8ELNS1_3repE0EEENS1_30default_config_static_selectorELNS0_4arch9wavefront6targetE1EEEvT1_,"axG",@progbits,_ZN7rocprim17ROCPRIM_400000_NS6detail17trampoline_kernelINS0_14default_configENS1_25partition_config_selectorILNS1_17partition_subalgoE8EN3c108BFloat16ENS0_10empty_typeEbEEZZNS1_14partition_implILS5_8ELb0ES3_jPKS7_PS8_PKS8_NS0_5tupleIJPS7_S8_EEENSG_IJSD_SD_EEENS0_18inequality_wrapperIN6hipcub16HIPCUB_304000_NS8EqualityEEEPlJS8_EEE10hipError_tPvRmT3_T4_T5_T6_T7_T9_mT8_P12ihipStream_tbDpT10_ENKUlT_T0_E_clISt17integral_constantIbLb0EES19_EEDaS14_S15_EUlS14_E_NS1_11comp_targetILNS1_3genE4ELNS1_11target_archE910ELNS1_3gpuE8ELNS1_3repE0EEENS1_30default_config_static_selectorELNS0_4arch9wavefront6targetE1EEEvT1_,comdat
.Lfunc_end826:
	.size	_ZN7rocprim17ROCPRIM_400000_NS6detail17trampoline_kernelINS0_14default_configENS1_25partition_config_selectorILNS1_17partition_subalgoE8EN3c108BFloat16ENS0_10empty_typeEbEEZZNS1_14partition_implILS5_8ELb0ES3_jPKS7_PS8_PKS8_NS0_5tupleIJPS7_S8_EEENSG_IJSD_SD_EEENS0_18inequality_wrapperIN6hipcub16HIPCUB_304000_NS8EqualityEEEPlJS8_EEE10hipError_tPvRmT3_T4_T5_T6_T7_T9_mT8_P12ihipStream_tbDpT10_ENKUlT_T0_E_clISt17integral_constantIbLb0EES19_EEDaS14_S15_EUlS14_E_NS1_11comp_targetILNS1_3genE4ELNS1_11target_archE910ELNS1_3gpuE8ELNS1_3repE0EEENS1_30default_config_static_selectorELNS0_4arch9wavefront6targetE1EEEvT1_, .Lfunc_end826-_ZN7rocprim17ROCPRIM_400000_NS6detail17trampoline_kernelINS0_14default_configENS1_25partition_config_selectorILNS1_17partition_subalgoE8EN3c108BFloat16ENS0_10empty_typeEbEEZZNS1_14partition_implILS5_8ELb0ES3_jPKS7_PS8_PKS8_NS0_5tupleIJPS7_S8_EEENSG_IJSD_SD_EEENS0_18inequality_wrapperIN6hipcub16HIPCUB_304000_NS8EqualityEEEPlJS8_EEE10hipError_tPvRmT3_T4_T5_T6_T7_T9_mT8_P12ihipStream_tbDpT10_ENKUlT_T0_E_clISt17integral_constantIbLb0EES19_EEDaS14_S15_EUlS14_E_NS1_11comp_targetILNS1_3genE4ELNS1_11target_archE910ELNS1_3gpuE8ELNS1_3repE0EEENS1_30default_config_static_selectorELNS0_4arch9wavefront6targetE1EEEvT1_
                                        ; -- End function
	.section	.AMDGPU.csdata,"",@progbits
; Kernel info:
; codeLenInByte = 0
; NumSgprs: 6
; NumVgprs: 0
; NumAgprs: 0
; TotalNumVgprs: 0
; ScratchSize: 0
; MemoryBound: 0
; FloatMode: 240
; IeeeMode: 1
; LDSByteSize: 0 bytes/workgroup (compile time only)
; SGPRBlocks: 0
; VGPRBlocks: 0
; NumSGPRsForWavesPerEU: 6
; NumVGPRsForWavesPerEU: 1
; AccumOffset: 4
; Occupancy: 8
; WaveLimiterHint : 0
; COMPUTE_PGM_RSRC2:SCRATCH_EN: 0
; COMPUTE_PGM_RSRC2:USER_SGPR: 2
; COMPUTE_PGM_RSRC2:TRAP_HANDLER: 0
; COMPUTE_PGM_RSRC2:TGID_X_EN: 1
; COMPUTE_PGM_RSRC2:TGID_Y_EN: 0
; COMPUTE_PGM_RSRC2:TGID_Z_EN: 0
; COMPUTE_PGM_RSRC2:TIDIG_COMP_CNT: 0
; COMPUTE_PGM_RSRC3_GFX90A:ACCUM_OFFSET: 0
; COMPUTE_PGM_RSRC3_GFX90A:TG_SPLIT: 0
	.section	.text._ZN7rocprim17ROCPRIM_400000_NS6detail17trampoline_kernelINS0_14default_configENS1_25partition_config_selectorILNS1_17partition_subalgoE8EN3c108BFloat16ENS0_10empty_typeEbEEZZNS1_14partition_implILS5_8ELb0ES3_jPKS7_PS8_PKS8_NS0_5tupleIJPS7_S8_EEENSG_IJSD_SD_EEENS0_18inequality_wrapperIN6hipcub16HIPCUB_304000_NS8EqualityEEEPlJS8_EEE10hipError_tPvRmT3_T4_T5_T6_T7_T9_mT8_P12ihipStream_tbDpT10_ENKUlT_T0_E_clISt17integral_constantIbLb0EES19_EEDaS14_S15_EUlS14_E_NS1_11comp_targetILNS1_3genE3ELNS1_11target_archE908ELNS1_3gpuE7ELNS1_3repE0EEENS1_30default_config_static_selectorELNS0_4arch9wavefront6targetE1EEEvT1_,"axG",@progbits,_ZN7rocprim17ROCPRIM_400000_NS6detail17trampoline_kernelINS0_14default_configENS1_25partition_config_selectorILNS1_17partition_subalgoE8EN3c108BFloat16ENS0_10empty_typeEbEEZZNS1_14partition_implILS5_8ELb0ES3_jPKS7_PS8_PKS8_NS0_5tupleIJPS7_S8_EEENSG_IJSD_SD_EEENS0_18inequality_wrapperIN6hipcub16HIPCUB_304000_NS8EqualityEEEPlJS8_EEE10hipError_tPvRmT3_T4_T5_T6_T7_T9_mT8_P12ihipStream_tbDpT10_ENKUlT_T0_E_clISt17integral_constantIbLb0EES19_EEDaS14_S15_EUlS14_E_NS1_11comp_targetILNS1_3genE3ELNS1_11target_archE908ELNS1_3gpuE7ELNS1_3repE0EEENS1_30default_config_static_selectorELNS0_4arch9wavefront6targetE1EEEvT1_,comdat
	.protected	_ZN7rocprim17ROCPRIM_400000_NS6detail17trampoline_kernelINS0_14default_configENS1_25partition_config_selectorILNS1_17partition_subalgoE8EN3c108BFloat16ENS0_10empty_typeEbEEZZNS1_14partition_implILS5_8ELb0ES3_jPKS7_PS8_PKS8_NS0_5tupleIJPS7_S8_EEENSG_IJSD_SD_EEENS0_18inequality_wrapperIN6hipcub16HIPCUB_304000_NS8EqualityEEEPlJS8_EEE10hipError_tPvRmT3_T4_T5_T6_T7_T9_mT8_P12ihipStream_tbDpT10_ENKUlT_T0_E_clISt17integral_constantIbLb0EES19_EEDaS14_S15_EUlS14_E_NS1_11comp_targetILNS1_3genE3ELNS1_11target_archE908ELNS1_3gpuE7ELNS1_3repE0EEENS1_30default_config_static_selectorELNS0_4arch9wavefront6targetE1EEEvT1_ ; -- Begin function _ZN7rocprim17ROCPRIM_400000_NS6detail17trampoline_kernelINS0_14default_configENS1_25partition_config_selectorILNS1_17partition_subalgoE8EN3c108BFloat16ENS0_10empty_typeEbEEZZNS1_14partition_implILS5_8ELb0ES3_jPKS7_PS8_PKS8_NS0_5tupleIJPS7_S8_EEENSG_IJSD_SD_EEENS0_18inequality_wrapperIN6hipcub16HIPCUB_304000_NS8EqualityEEEPlJS8_EEE10hipError_tPvRmT3_T4_T5_T6_T7_T9_mT8_P12ihipStream_tbDpT10_ENKUlT_T0_E_clISt17integral_constantIbLb0EES19_EEDaS14_S15_EUlS14_E_NS1_11comp_targetILNS1_3genE3ELNS1_11target_archE908ELNS1_3gpuE7ELNS1_3repE0EEENS1_30default_config_static_selectorELNS0_4arch9wavefront6targetE1EEEvT1_
	.globl	_ZN7rocprim17ROCPRIM_400000_NS6detail17trampoline_kernelINS0_14default_configENS1_25partition_config_selectorILNS1_17partition_subalgoE8EN3c108BFloat16ENS0_10empty_typeEbEEZZNS1_14partition_implILS5_8ELb0ES3_jPKS7_PS8_PKS8_NS0_5tupleIJPS7_S8_EEENSG_IJSD_SD_EEENS0_18inequality_wrapperIN6hipcub16HIPCUB_304000_NS8EqualityEEEPlJS8_EEE10hipError_tPvRmT3_T4_T5_T6_T7_T9_mT8_P12ihipStream_tbDpT10_ENKUlT_T0_E_clISt17integral_constantIbLb0EES19_EEDaS14_S15_EUlS14_E_NS1_11comp_targetILNS1_3genE3ELNS1_11target_archE908ELNS1_3gpuE7ELNS1_3repE0EEENS1_30default_config_static_selectorELNS0_4arch9wavefront6targetE1EEEvT1_
	.p2align	8
	.type	_ZN7rocprim17ROCPRIM_400000_NS6detail17trampoline_kernelINS0_14default_configENS1_25partition_config_selectorILNS1_17partition_subalgoE8EN3c108BFloat16ENS0_10empty_typeEbEEZZNS1_14partition_implILS5_8ELb0ES3_jPKS7_PS8_PKS8_NS0_5tupleIJPS7_S8_EEENSG_IJSD_SD_EEENS0_18inequality_wrapperIN6hipcub16HIPCUB_304000_NS8EqualityEEEPlJS8_EEE10hipError_tPvRmT3_T4_T5_T6_T7_T9_mT8_P12ihipStream_tbDpT10_ENKUlT_T0_E_clISt17integral_constantIbLb0EES19_EEDaS14_S15_EUlS14_E_NS1_11comp_targetILNS1_3genE3ELNS1_11target_archE908ELNS1_3gpuE7ELNS1_3repE0EEENS1_30default_config_static_selectorELNS0_4arch9wavefront6targetE1EEEvT1_,@function
_ZN7rocprim17ROCPRIM_400000_NS6detail17trampoline_kernelINS0_14default_configENS1_25partition_config_selectorILNS1_17partition_subalgoE8EN3c108BFloat16ENS0_10empty_typeEbEEZZNS1_14partition_implILS5_8ELb0ES3_jPKS7_PS8_PKS8_NS0_5tupleIJPS7_S8_EEENSG_IJSD_SD_EEENS0_18inequality_wrapperIN6hipcub16HIPCUB_304000_NS8EqualityEEEPlJS8_EEE10hipError_tPvRmT3_T4_T5_T6_T7_T9_mT8_P12ihipStream_tbDpT10_ENKUlT_T0_E_clISt17integral_constantIbLb0EES19_EEDaS14_S15_EUlS14_E_NS1_11comp_targetILNS1_3genE3ELNS1_11target_archE908ELNS1_3gpuE7ELNS1_3repE0EEENS1_30default_config_static_selectorELNS0_4arch9wavefront6targetE1EEEvT1_: ; @_ZN7rocprim17ROCPRIM_400000_NS6detail17trampoline_kernelINS0_14default_configENS1_25partition_config_selectorILNS1_17partition_subalgoE8EN3c108BFloat16ENS0_10empty_typeEbEEZZNS1_14partition_implILS5_8ELb0ES3_jPKS7_PS8_PKS8_NS0_5tupleIJPS7_S8_EEENSG_IJSD_SD_EEENS0_18inequality_wrapperIN6hipcub16HIPCUB_304000_NS8EqualityEEEPlJS8_EEE10hipError_tPvRmT3_T4_T5_T6_T7_T9_mT8_P12ihipStream_tbDpT10_ENKUlT_T0_E_clISt17integral_constantIbLb0EES19_EEDaS14_S15_EUlS14_E_NS1_11comp_targetILNS1_3genE3ELNS1_11target_archE908ELNS1_3gpuE7ELNS1_3repE0EEENS1_30default_config_static_selectorELNS0_4arch9wavefront6targetE1EEEvT1_
; %bb.0:
	.section	.rodata,"a",@progbits
	.p2align	6, 0x0
	.amdhsa_kernel _ZN7rocprim17ROCPRIM_400000_NS6detail17trampoline_kernelINS0_14default_configENS1_25partition_config_selectorILNS1_17partition_subalgoE8EN3c108BFloat16ENS0_10empty_typeEbEEZZNS1_14partition_implILS5_8ELb0ES3_jPKS7_PS8_PKS8_NS0_5tupleIJPS7_S8_EEENSG_IJSD_SD_EEENS0_18inequality_wrapperIN6hipcub16HIPCUB_304000_NS8EqualityEEEPlJS8_EEE10hipError_tPvRmT3_T4_T5_T6_T7_T9_mT8_P12ihipStream_tbDpT10_ENKUlT_T0_E_clISt17integral_constantIbLb0EES19_EEDaS14_S15_EUlS14_E_NS1_11comp_targetILNS1_3genE3ELNS1_11target_archE908ELNS1_3gpuE7ELNS1_3repE0EEENS1_30default_config_static_selectorELNS0_4arch9wavefront6targetE1EEEvT1_
		.amdhsa_group_segment_fixed_size 0
		.amdhsa_private_segment_fixed_size 0
		.amdhsa_kernarg_size 112
		.amdhsa_user_sgpr_count 2
		.amdhsa_user_sgpr_dispatch_ptr 0
		.amdhsa_user_sgpr_queue_ptr 0
		.amdhsa_user_sgpr_kernarg_segment_ptr 1
		.amdhsa_user_sgpr_dispatch_id 0
		.amdhsa_user_sgpr_kernarg_preload_length 0
		.amdhsa_user_sgpr_kernarg_preload_offset 0
		.amdhsa_user_sgpr_private_segment_size 0
		.amdhsa_uses_dynamic_stack 0
		.amdhsa_enable_private_segment 0
		.amdhsa_system_sgpr_workgroup_id_x 1
		.amdhsa_system_sgpr_workgroup_id_y 0
		.amdhsa_system_sgpr_workgroup_id_z 0
		.amdhsa_system_sgpr_workgroup_info 0
		.amdhsa_system_vgpr_workitem_id 0
		.amdhsa_next_free_vgpr 1
		.amdhsa_next_free_sgpr 0
		.amdhsa_accum_offset 4
		.amdhsa_reserve_vcc 0
		.amdhsa_float_round_mode_32 0
		.amdhsa_float_round_mode_16_64 0
		.amdhsa_float_denorm_mode_32 3
		.amdhsa_float_denorm_mode_16_64 3
		.amdhsa_dx10_clamp 1
		.amdhsa_ieee_mode 1
		.amdhsa_fp16_overflow 0
		.amdhsa_tg_split 0
		.amdhsa_exception_fp_ieee_invalid_op 0
		.amdhsa_exception_fp_denorm_src 0
		.amdhsa_exception_fp_ieee_div_zero 0
		.amdhsa_exception_fp_ieee_overflow 0
		.amdhsa_exception_fp_ieee_underflow 0
		.amdhsa_exception_fp_ieee_inexact 0
		.amdhsa_exception_int_div_zero 0
	.end_amdhsa_kernel
	.section	.text._ZN7rocprim17ROCPRIM_400000_NS6detail17trampoline_kernelINS0_14default_configENS1_25partition_config_selectorILNS1_17partition_subalgoE8EN3c108BFloat16ENS0_10empty_typeEbEEZZNS1_14partition_implILS5_8ELb0ES3_jPKS7_PS8_PKS8_NS0_5tupleIJPS7_S8_EEENSG_IJSD_SD_EEENS0_18inequality_wrapperIN6hipcub16HIPCUB_304000_NS8EqualityEEEPlJS8_EEE10hipError_tPvRmT3_T4_T5_T6_T7_T9_mT8_P12ihipStream_tbDpT10_ENKUlT_T0_E_clISt17integral_constantIbLb0EES19_EEDaS14_S15_EUlS14_E_NS1_11comp_targetILNS1_3genE3ELNS1_11target_archE908ELNS1_3gpuE7ELNS1_3repE0EEENS1_30default_config_static_selectorELNS0_4arch9wavefront6targetE1EEEvT1_,"axG",@progbits,_ZN7rocprim17ROCPRIM_400000_NS6detail17trampoline_kernelINS0_14default_configENS1_25partition_config_selectorILNS1_17partition_subalgoE8EN3c108BFloat16ENS0_10empty_typeEbEEZZNS1_14partition_implILS5_8ELb0ES3_jPKS7_PS8_PKS8_NS0_5tupleIJPS7_S8_EEENSG_IJSD_SD_EEENS0_18inequality_wrapperIN6hipcub16HIPCUB_304000_NS8EqualityEEEPlJS8_EEE10hipError_tPvRmT3_T4_T5_T6_T7_T9_mT8_P12ihipStream_tbDpT10_ENKUlT_T0_E_clISt17integral_constantIbLb0EES19_EEDaS14_S15_EUlS14_E_NS1_11comp_targetILNS1_3genE3ELNS1_11target_archE908ELNS1_3gpuE7ELNS1_3repE0EEENS1_30default_config_static_selectorELNS0_4arch9wavefront6targetE1EEEvT1_,comdat
.Lfunc_end827:
	.size	_ZN7rocprim17ROCPRIM_400000_NS6detail17trampoline_kernelINS0_14default_configENS1_25partition_config_selectorILNS1_17partition_subalgoE8EN3c108BFloat16ENS0_10empty_typeEbEEZZNS1_14partition_implILS5_8ELb0ES3_jPKS7_PS8_PKS8_NS0_5tupleIJPS7_S8_EEENSG_IJSD_SD_EEENS0_18inequality_wrapperIN6hipcub16HIPCUB_304000_NS8EqualityEEEPlJS8_EEE10hipError_tPvRmT3_T4_T5_T6_T7_T9_mT8_P12ihipStream_tbDpT10_ENKUlT_T0_E_clISt17integral_constantIbLb0EES19_EEDaS14_S15_EUlS14_E_NS1_11comp_targetILNS1_3genE3ELNS1_11target_archE908ELNS1_3gpuE7ELNS1_3repE0EEENS1_30default_config_static_selectorELNS0_4arch9wavefront6targetE1EEEvT1_, .Lfunc_end827-_ZN7rocprim17ROCPRIM_400000_NS6detail17trampoline_kernelINS0_14default_configENS1_25partition_config_selectorILNS1_17partition_subalgoE8EN3c108BFloat16ENS0_10empty_typeEbEEZZNS1_14partition_implILS5_8ELb0ES3_jPKS7_PS8_PKS8_NS0_5tupleIJPS7_S8_EEENSG_IJSD_SD_EEENS0_18inequality_wrapperIN6hipcub16HIPCUB_304000_NS8EqualityEEEPlJS8_EEE10hipError_tPvRmT3_T4_T5_T6_T7_T9_mT8_P12ihipStream_tbDpT10_ENKUlT_T0_E_clISt17integral_constantIbLb0EES19_EEDaS14_S15_EUlS14_E_NS1_11comp_targetILNS1_3genE3ELNS1_11target_archE908ELNS1_3gpuE7ELNS1_3repE0EEENS1_30default_config_static_selectorELNS0_4arch9wavefront6targetE1EEEvT1_
                                        ; -- End function
	.section	.AMDGPU.csdata,"",@progbits
; Kernel info:
; codeLenInByte = 0
; NumSgprs: 6
; NumVgprs: 0
; NumAgprs: 0
; TotalNumVgprs: 0
; ScratchSize: 0
; MemoryBound: 0
; FloatMode: 240
; IeeeMode: 1
; LDSByteSize: 0 bytes/workgroup (compile time only)
; SGPRBlocks: 0
; VGPRBlocks: 0
; NumSGPRsForWavesPerEU: 6
; NumVGPRsForWavesPerEU: 1
; AccumOffset: 4
; Occupancy: 8
; WaveLimiterHint : 0
; COMPUTE_PGM_RSRC2:SCRATCH_EN: 0
; COMPUTE_PGM_RSRC2:USER_SGPR: 2
; COMPUTE_PGM_RSRC2:TRAP_HANDLER: 0
; COMPUTE_PGM_RSRC2:TGID_X_EN: 1
; COMPUTE_PGM_RSRC2:TGID_Y_EN: 0
; COMPUTE_PGM_RSRC2:TGID_Z_EN: 0
; COMPUTE_PGM_RSRC2:TIDIG_COMP_CNT: 0
; COMPUTE_PGM_RSRC3_GFX90A:ACCUM_OFFSET: 0
; COMPUTE_PGM_RSRC3_GFX90A:TG_SPLIT: 0
	.section	.text._ZN7rocprim17ROCPRIM_400000_NS6detail17trampoline_kernelINS0_14default_configENS1_25partition_config_selectorILNS1_17partition_subalgoE8EN3c108BFloat16ENS0_10empty_typeEbEEZZNS1_14partition_implILS5_8ELb0ES3_jPKS7_PS8_PKS8_NS0_5tupleIJPS7_S8_EEENSG_IJSD_SD_EEENS0_18inequality_wrapperIN6hipcub16HIPCUB_304000_NS8EqualityEEEPlJS8_EEE10hipError_tPvRmT3_T4_T5_T6_T7_T9_mT8_P12ihipStream_tbDpT10_ENKUlT_T0_E_clISt17integral_constantIbLb0EES19_EEDaS14_S15_EUlS14_E_NS1_11comp_targetILNS1_3genE2ELNS1_11target_archE906ELNS1_3gpuE6ELNS1_3repE0EEENS1_30default_config_static_selectorELNS0_4arch9wavefront6targetE1EEEvT1_,"axG",@progbits,_ZN7rocprim17ROCPRIM_400000_NS6detail17trampoline_kernelINS0_14default_configENS1_25partition_config_selectorILNS1_17partition_subalgoE8EN3c108BFloat16ENS0_10empty_typeEbEEZZNS1_14partition_implILS5_8ELb0ES3_jPKS7_PS8_PKS8_NS0_5tupleIJPS7_S8_EEENSG_IJSD_SD_EEENS0_18inequality_wrapperIN6hipcub16HIPCUB_304000_NS8EqualityEEEPlJS8_EEE10hipError_tPvRmT3_T4_T5_T6_T7_T9_mT8_P12ihipStream_tbDpT10_ENKUlT_T0_E_clISt17integral_constantIbLb0EES19_EEDaS14_S15_EUlS14_E_NS1_11comp_targetILNS1_3genE2ELNS1_11target_archE906ELNS1_3gpuE6ELNS1_3repE0EEENS1_30default_config_static_selectorELNS0_4arch9wavefront6targetE1EEEvT1_,comdat
	.protected	_ZN7rocprim17ROCPRIM_400000_NS6detail17trampoline_kernelINS0_14default_configENS1_25partition_config_selectorILNS1_17partition_subalgoE8EN3c108BFloat16ENS0_10empty_typeEbEEZZNS1_14partition_implILS5_8ELb0ES3_jPKS7_PS8_PKS8_NS0_5tupleIJPS7_S8_EEENSG_IJSD_SD_EEENS0_18inequality_wrapperIN6hipcub16HIPCUB_304000_NS8EqualityEEEPlJS8_EEE10hipError_tPvRmT3_T4_T5_T6_T7_T9_mT8_P12ihipStream_tbDpT10_ENKUlT_T0_E_clISt17integral_constantIbLb0EES19_EEDaS14_S15_EUlS14_E_NS1_11comp_targetILNS1_3genE2ELNS1_11target_archE906ELNS1_3gpuE6ELNS1_3repE0EEENS1_30default_config_static_selectorELNS0_4arch9wavefront6targetE1EEEvT1_ ; -- Begin function _ZN7rocprim17ROCPRIM_400000_NS6detail17trampoline_kernelINS0_14default_configENS1_25partition_config_selectorILNS1_17partition_subalgoE8EN3c108BFloat16ENS0_10empty_typeEbEEZZNS1_14partition_implILS5_8ELb0ES3_jPKS7_PS8_PKS8_NS0_5tupleIJPS7_S8_EEENSG_IJSD_SD_EEENS0_18inequality_wrapperIN6hipcub16HIPCUB_304000_NS8EqualityEEEPlJS8_EEE10hipError_tPvRmT3_T4_T5_T6_T7_T9_mT8_P12ihipStream_tbDpT10_ENKUlT_T0_E_clISt17integral_constantIbLb0EES19_EEDaS14_S15_EUlS14_E_NS1_11comp_targetILNS1_3genE2ELNS1_11target_archE906ELNS1_3gpuE6ELNS1_3repE0EEENS1_30default_config_static_selectorELNS0_4arch9wavefront6targetE1EEEvT1_
	.globl	_ZN7rocprim17ROCPRIM_400000_NS6detail17trampoline_kernelINS0_14default_configENS1_25partition_config_selectorILNS1_17partition_subalgoE8EN3c108BFloat16ENS0_10empty_typeEbEEZZNS1_14partition_implILS5_8ELb0ES3_jPKS7_PS8_PKS8_NS0_5tupleIJPS7_S8_EEENSG_IJSD_SD_EEENS0_18inequality_wrapperIN6hipcub16HIPCUB_304000_NS8EqualityEEEPlJS8_EEE10hipError_tPvRmT3_T4_T5_T6_T7_T9_mT8_P12ihipStream_tbDpT10_ENKUlT_T0_E_clISt17integral_constantIbLb0EES19_EEDaS14_S15_EUlS14_E_NS1_11comp_targetILNS1_3genE2ELNS1_11target_archE906ELNS1_3gpuE6ELNS1_3repE0EEENS1_30default_config_static_selectorELNS0_4arch9wavefront6targetE1EEEvT1_
	.p2align	8
	.type	_ZN7rocprim17ROCPRIM_400000_NS6detail17trampoline_kernelINS0_14default_configENS1_25partition_config_selectorILNS1_17partition_subalgoE8EN3c108BFloat16ENS0_10empty_typeEbEEZZNS1_14partition_implILS5_8ELb0ES3_jPKS7_PS8_PKS8_NS0_5tupleIJPS7_S8_EEENSG_IJSD_SD_EEENS0_18inequality_wrapperIN6hipcub16HIPCUB_304000_NS8EqualityEEEPlJS8_EEE10hipError_tPvRmT3_T4_T5_T6_T7_T9_mT8_P12ihipStream_tbDpT10_ENKUlT_T0_E_clISt17integral_constantIbLb0EES19_EEDaS14_S15_EUlS14_E_NS1_11comp_targetILNS1_3genE2ELNS1_11target_archE906ELNS1_3gpuE6ELNS1_3repE0EEENS1_30default_config_static_selectorELNS0_4arch9wavefront6targetE1EEEvT1_,@function
_ZN7rocprim17ROCPRIM_400000_NS6detail17trampoline_kernelINS0_14default_configENS1_25partition_config_selectorILNS1_17partition_subalgoE8EN3c108BFloat16ENS0_10empty_typeEbEEZZNS1_14partition_implILS5_8ELb0ES3_jPKS7_PS8_PKS8_NS0_5tupleIJPS7_S8_EEENSG_IJSD_SD_EEENS0_18inequality_wrapperIN6hipcub16HIPCUB_304000_NS8EqualityEEEPlJS8_EEE10hipError_tPvRmT3_T4_T5_T6_T7_T9_mT8_P12ihipStream_tbDpT10_ENKUlT_T0_E_clISt17integral_constantIbLb0EES19_EEDaS14_S15_EUlS14_E_NS1_11comp_targetILNS1_3genE2ELNS1_11target_archE906ELNS1_3gpuE6ELNS1_3repE0EEENS1_30default_config_static_selectorELNS0_4arch9wavefront6targetE1EEEvT1_: ; @_ZN7rocprim17ROCPRIM_400000_NS6detail17trampoline_kernelINS0_14default_configENS1_25partition_config_selectorILNS1_17partition_subalgoE8EN3c108BFloat16ENS0_10empty_typeEbEEZZNS1_14partition_implILS5_8ELb0ES3_jPKS7_PS8_PKS8_NS0_5tupleIJPS7_S8_EEENSG_IJSD_SD_EEENS0_18inequality_wrapperIN6hipcub16HIPCUB_304000_NS8EqualityEEEPlJS8_EEE10hipError_tPvRmT3_T4_T5_T6_T7_T9_mT8_P12ihipStream_tbDpT10_ENKUlT_T0_E_clISt17integral_constantIbLb0EES19_EEDaS14_S15_EUlS14_E_NS1_11comp_targetILNS1_3genE2ELNS1_11target_archE906ELNS1_3gpuE6ELNS1_3repE0EEENS1_30default_config_static_selectorELNS0_4arch9wavefront6targetE1EEEvT1_
; %bb.0:
	.section	.rodata,"a",@progbits
	.p2align	6, 0x0
	.amdhsa_kernel _ZN7rocprim17ROCPRIM_400000_NS6detail17trampoline_kernelINS0_14default_configENS1_25partition_config_selectorILNS1_17partition_subalgoE8EN3c108BFloat16ENS0_10empty_typeEbEEZZNS1_14partition_implILS5_8ELb0ES3_jPKS7_PS8_PKS8_NS0_5tupleIJPS7_S8_EEENSG_IJSD_SD_EEENS0_18inequality_wrapperIN6hipcub16HIPCUB_304000_NS8EqualityEEEPlJS8_EEE10hipError_tPvRmT3_T4_T5_T6_T7_T9_mT8_P12ihipStream_tbDpT10_ENKUlT_T0_E_clISt17integral_constantIbLb0EES19_EEDaS14_S15_EUlS14_E_NS1_11comp_targetILNS1_3genE2ELNS1_11target_archE906ELNS1_3gpuE6ELNS1_3repE0EEENS1_30default_config_static_selectorELNS0_4arch9wavefront6targetE1EEEvT1_
		.amdhsa_group_segment_fixed_size 0
		.amdhsa_private_segment_fixed_size 0
		.amdhsa_kernarg_size 112
		.amdhsa_user_sgpr_count 2
		.amdhsa_user_sgpr_dispatch_ptr 0
		.amdhsa_user_sgpr_queue_ptr 0
		.amdhsa_user_sgpr_kernarg_segment_ptr 1
		.amdhsa_user_sgpr_dispatch_id 0
		.amdhsa_user_sgpr_kernarg_preload_length 0
		.amdhsa_user_sgpr_kernarg_preload_offset 0
		.amdhsa_user_sgpr_private_segment_size 0
		.amdhsa_uses_dynamic_stack 0
		.amdhsa_enable_private_segment 0
		.amdhsa_system_sgpr_workgroup_id_x 1
		.amdhsa_system_sgpr_workgroup_id_y 0
		.amdhsa_system_sgpr_workgroup_id_z 0
		.amdhsa_system_sgpr_workgroup_info 0
		.amdhsa_system_vgpr_workitem_id 0
		.amdhsa_next_free_vgpr 1
		.amdhsa_next_free_sgpr 0
		.amdhsa_accum_offset 4
		.amdhsa_reserve_vcc 0
		.amdhsa_float_round_mode_32 0
		.amdhsa_float_round_mode_16_64 0
		.amdhsa_float_denorm_mode_32 3
		.amdhsa_float_denorm_mode_16_64 3
		.amdhsa_dx10_clamp 1
		.amdhsa_ieee_mode 1
		.amdhsa_fp16_overflow 0
		.amdhsa_tg_split 0
		.amdhsa_exception_fp_ieee_invalid_op 0
		.amdhsa_exception_fp_denorm_src 0
		.amdhsa_exception_fp_ieee_div_zero 0
		.amdhsa_exception_fp_ieee_overflow 0
		.amdhsa_exception_fp_ieee_underflow 0
		.amdhsa_exception_fp_ieee_inexact 0
		.amdhsa_exception_int_div_zero 0
	.end_amdhsa_kernel
	.section	.text._ZN7rocprim17ROCPRIM_400000_NS6detail17trampoline_kernelINS0_14default_configENS1_25partition_config_selectorILNS1_17partition_subalgoE8EN3c108BFloat16ENS0_10empty_typeEbEEZZNS1_14partition_implILS5_8ELb0ES3_jPKS7_PS8_PKS8_NS0_5tupleIJPS7_S8_EEENSG_IJSD_SD_EEENS0_18inequality_wrapperIN6hipcub16HIPCUB_304000_NS8EqualityEEEPlJS8_EEE10hipError_tPvRmT3_T4_T5_T6_T7_T9_mT8_P12ihipStream_tbDpT10_ENKUlT_T0_E_clISt17integral_constantIbLb0EES19_EEDaS14_S15_EUlS14_E_NS1_11comp_targetILNS1_3genE2ELNS1_11target_archE906ELNS1_3gpuE6ELNS1_3repE0EEENS1_30default_config_static_selectorELNS0_4arch9wavefront6targetE1EEEvT1_,"axG",@progbits,_ZN7rocprim17ROCPRIM_400000_NS6detail17trampoline_kernelINS0_14default_configENS1_25partition_config_selectorILNS1_17partition_subalgoE8EN3c108BFloat16ENS0_10empty_typeEbEEZZNS1_14partition_implILS5_8ELb0ES3_jPKS7_PS8_PKS8_NS0_5tupleIJPS7_S8_EEENSG_IJSD_SD_EEENS0_18inequality_wrapperIN6hipcub16HIPCUB_304000_NS8EqualityEEEPlJS8_EEE10hipError_tPvRmT3_T4_T5_T6_T7_T9_mT8_P12ihipStream_tbDpT10_ENKUlT_T0_E_clISt17integral_constantIbLb0EES19_EEDaS14_S15_EUlS14_E_NS1_11comp_targetILNS1_3genE2ELNS1_11target_archE906ELNS1_3gpuE6ELNS1_3repE0EEENS1_30default_config_static_selectorELNS0_4arch9wavefront6targetE1EEEvT1_,comdat
.Lfunc_end828:
	.size	_ZN7rocprim17ROCPRIM_400000_NS6detail17trampoline_kernelINS0_14default_configENS1_25partition_config_selectorILNS1_17partition_subalgoE8EN3c108BFloat16ENS0_10empty_typeEbEEZZNS1_14partition_implILS5_8ELb0ES3_jPKS7_PS8_PKS8_NS0_5tupleIJPS7_S8_EEENSG_IJSD_SD_EEENS0_18inequality_wrapperIN6hipcub16HIPCUB_304000_NS8EqualityEEEPlJS8_EEE10hipError_tPvRmT3_T4_T5_T6_T7_T9_mT8_P12ihipStream_tbDpT10_ENKUlT_T0_E_clISt17integral_constantIbLb0EES19_EEDaS14_S15_EUlS14_E_NS1_11comp_targetILNS1_3genE2ELNS1_11target_archE906ELNS1_3gpuE6ELNS1_3repE0EEENS1_30default_config_static_selectorELNS0_4arch9wavefront6targetE1EEEvT1_, .Lfunc_end828-_ZN7rocprim17ROCPRIM_400000_NS6detail17trampoline_kernelINS0_14default_configENS1_25partition_config_selectorILNS1_17partition_subalgoE8EN3c108BFloat16ENS0_10empty_typeEbEEZZNS1_14partition_implILS5_8ELb0ES3_jPKS7_PS8_PKS8_NS0_5tupleIJPS7_S8_EEENSG_IJSD_SD_EEENS0_18inequality_wrapperIN6hipcub16HIPCUB_304000_NS8EqualityEEEPlJS8_EEE10hipError_tPvRmT3_T4_T5_T6_T7_T9_mT8_P12ihipStream_tbDpT10_ENKUlT_T0_E_clISt17integral_constantIbLb0EES19_EEDaS14_S15_EUlS14_E_NS1_11comp_targetILNS1_3genE2ELNS1_11target_archE906ELNS1_3gpuE6ELNS1_3repE0EEENS1_30default_config_static_selectorELNS0_4arch9wavefront6targetE1EEEvT1_
                                        ; -- End function
	.section	.AMDGPU.csdata,"",@progbits
; Kernel info:
; codeLenInByte = 0
; NumSgprs: 6
; NumVgprs: 0
; NumAgprs: 0
; TotalNumVgprs: 0
; ScratchSize: 0
; MemoryBound: 0
; FloatMode: 240
; IeeeMode: 1
; LDSByteSize: 0 bytes/workgroup (compile time only)
; SGPRBlocks: 0
; VGPRBlocks: 0
; NumSGPRsForWavesPerEU: 6
; NumVGPRsForWavesPerEU: 1
; AccumOffset: 4
; Occupancy: 8
; WaveLimiterHint : 0
; COMPUTE_PGM_RSRC2:SCRATCH_EN: 0
; COMPUTE_PGM_RSRC2:USER_SGPR: 2
; COMPUTE_PGM_RSRC2:TRAP_HANDLER: 0
; COMPUTE_PGM_RSRC2:TGID_X_EN: 1
; COMPUTE_PGM_RSRC2:TGID_Y_EN: 0
; COMPUTE_PGM_RSRC2:TGID_Z_EN: 0
; COMPUTE_PGM_RSRC2:TIDIG_COMP_CNT: 0
; COMPUTE_PGM_RSRC3_GFX90A:ACCUM_OFFSET: 0
; COMPUTE_PGM_RSRC3_GFX90A:TG_SPLIT: 0
	.section	.text._ZN7rocprim17ROCPRIM_400000_NS6detail17trampoline_kernelINS0_14default_configENS1_25partition_config_selectorILNS1_17partition_subalgoE8EN3c108BFloat16ENS0_10empty_typeEbEEZZNS1_14partition_implILS5_8ELb0ES3_jPKS7_PS8_PKS8_NS0_5tupleIJPS7_S8_EEENSG_IJSD_SD_EEENS0_18inequality_wrapperIN6hipcub16HIPCUB_304000_NS8EqualityEEEPlJS8_EEE10hipError_tPvRmT3_T4_T5_T6_T7_T9_mT8_P12ihipStream_tbDpT10_ENKUlT_T0_E_clISt17integral_constantIbLb0EES19_EEDaS14_S15_EUlS14_E_NS1_11comp_targetILNS1_3genE10ELNS1_11target_archE1200ELNS1_3gpuE4ELNS1_3repE0EEENS1_30default_config_static_selectorELNS0_4arch9wavefront6targetE1EEEvT1_,"axG",@progbits,_ZN7rocprim17ROCPRIM_400000_NS6detail17trampoline_kernelINS0_14default_configENS1_25partition_config_selectorILNS1_17partition_subalgoE8EN3c108BFloat16ENS0_10empty_typeEbEEZZNS1_14partition_implILS5_8ELb0ES3_jPKS7_PS8_PKS8_NS0_5tupleIJPS7_S8_EEENSG_IJSD_SD_EEENS0_18inequality_wrapperIN6hipcub16HIPCUB_304000_NS8EqualityEEEPlJS8_EEE10hipError_tPvRmT3_T4_T5_T6_T7_T9_mT8_P12ihipStream_tbDpT10_ENKUlT_T0_E_clISt17integral_constantIbLb0EES19_EEDaS14_S15_EUlS14_E_NS1_11comp_targetILNS1_3genE10ELNS1_11target_archE1200ELNS1_3gpuE4ELNS1_3repE0EEENS1_30default_config_static_selectorELNS0_4arch9wavefront6targetE1EEEvT1_,comdat
	.protected	_ZN7rocprim17ROCPRIM_400000_NS6detail17trampoline_kernelINS0_14default_configENS1_25partition_config_selectorILNS1_17partition_subalgoE8EN3c108BFloat16ENS0_10empty_typeEbEEZZNS1_14partition_implILS5_8ELb0ES3_jPKS7_PS8_PKS8_NS0_5tupleIJPS7_S8_EEENSG_IJSD_SD_EEENS0_18inequality_wrapperIN6hipcub16HIPCUB_304000_NS8EqualityEEEPlJS8_EEE10hipError_tPvRmT3_T4_T5_T6_T7_T9_mT8_P12ihipStream_tbDpT10_ENKUlT_T0_E_clISt17integral_constantIbLb0EES19_EEDaS14_S15_EUlS14_E_NS1_11comp_targetILNS1_3genE10ELNS1_11target_archE1200ELNS1_3gpuE4ELNS1_3repE0EEENS1_30default_config_static_selectorELNS0_4arch9wavefront6targetE1EEEvT1_ ; -- Begin function _ZN7rocprim17ROCPRIM_400000_NS6detail17trampoline_kernelINS0_14default_configENS1_25partition_config_selectorILNS1_17partition_subalgoE8EN3c108BFloat16ENS0_10empty_typeEbEEZZNS1_14partition_implILS5_8ELb0ES3_jPKS7_PS8_PKS8_NS0_5tupleIJPS7_S8_EEENSG_IJSD_SD_EEENS0_18inequality_wrapperIN6hipcub16HIPCUB_304000_NS8EqualityEEEPlJS8_EEE10hipError_tPvRmT3_T4_T5_T6_T7_T9_mT8_P12ihipStream_tbDpT10_ENKUlT_T0_E_clISt17integral_constantIbLb0EES19_EEDaS14_S15_EUlS14_E_NS1_11comp_targetILNS1_3genE10ELNS1_11target_archE1200ELNS1_3gpuE4ELNS1_3repE0EEENS1_30default_config_static_selectorELNS0_4arch9wavefront6targetE1EEEvT1_
	.globl	_ZN7rocprim17ROCPRIM_400000_NS6detail17trampoline_kernelINS0_14default_configENS1_25partition_config_selectorILNS1_17partition_subalgoE8EN3c108BFloat16ENS0_10empty_typeEbEEZZNS1_14partition_implILS5_8ELb0ES3_jPKS7_PS8_PKS8_NS0_5tupleIJPS7_S8_EEENSG_IJSD_SD_EEENS0_18inequality_wrapperIN6hipcub16HIPCUB_304000_NS8EqualityEEEPlJS8_EEE10hipError_tPvRmT3_T4_T5_T6_T7_T9_mT8_P12ihipStream_tbDpT10_ENKUlT_T0_E_clISt17integral_constantIbLb0EES19_EEDaS14_S15_EUlS14_E_NS1_11comp_targetILNS1_3genE10ELNS1_11target_archE1200ELNS1_3gpuE4ELNS1_3repE0EEENS1_30default_config_static_selectorELNS0_4arch9wavefront6targetE1EEEvT1_
	.p2align	8
	.type	_ZN7rocprim17ROCPRIM_400000_NS6detail17trampoline_kernelINS0_14default_configENS1_25partition_config_selectorILNS1_17partition_subalgoE8EN3c108BFloat16ENS0_10empty_typeEbEEZZNS1_14partition_implILS5_8ELb0ES3_jPKS7_PS8_PKS8_NS0_5tupleIJPS7_S8_EEENSG_IJSD_SD_EEENS0_18inequality_wrapperIN6hipcub16HIPCUB_304000_NS8EqualityEEEPlJS8_EEE10hipError_tPvRmT3_T4_T5_T6_T7_T9_mT8_P12ihipStream_tbDpT10_ENKUlT_T0_E_clISt17integral_constantIbLb0EES19_EEDaS14_S15_EUlS14_E_NS1_11comp_targetILNS1_3genE10ELNS1_11target_archE1200ELNS1_3gpuE4ELNS1_3repE0EEENS1_30default_config_static_selectorELNS0_4arch9wavefront6targetE1EEEvT1_,@function
_ZN7rocprim17ROCPRIM_400000_NS6detail17trampoline_kernelINS0_14default_configENS1_25partition_config_selectorILNS1_17partition_subalgoE8EN3c108BFloat16ENS0_10empty_typeEbEEZZNS1_14partition_implILS5_8ELb0ES3_jPKS7_PS8_PKS8_NS0_5tupleIJPS7_S8_EEENSG_IJSD_SD_EEENS0_18inequality_wrapperIN6hipcub16HIPCUB_304000_NS8EqualityEEEPlJS8_EEE10hipError_tPvRmT3_T4_T5_T6_T7_T9_mT8_P12ihipStream_tbDpT10_ENKUlT_T0_E_clISt17integral_constantIbLb0EES19_EEDaS14_S15_EUlS14_E_NS1_11comp_targetILNS1_3genE10ELNS1_11target_archE1200ELNS1_3gpuE4ELNS1_3repE0EEENS1_30default_config_static_selectorELNS0_4arch9wavefront6targetE1EEEvT1_: ; @_ZN7rocprim17ROCPRIM_400000_NS6detail17trampoline_kernelINS0_14default_configENS1_25partition_config_selectorILNS1_17partition_subalgoE8EN3c108BFloat16ENS0_10empty_typeEbEEZZNS1_14partition_implILS5_8ELb0ES3_jPKS7_PS8_PKS8_NS0_5tupleIJPS7_S8_EEENSG_IJSD_SD_EEENS0_18inequality_wrapperIN6hipcub16HIPCUB_304000_NS8EqualityEEEPlJS8_EEE10hipError_tPvRmT3_T4_T5_T6_T7_T9_mT8_P12ihipStream_tbDpT10_ENKUlT_T0_E_clISt17integral_constantIbLb0EES19_EEDaS14_S15_EUlS14_E_NS1_11comp_targetILNS1_3genE10ELNS1_11target_archE1200ELNS1_3gpuE4ELNS1_3repE0EEENS1_30default_config_static_selectorELNS0_4arch9wavefront6targetE1EEEvT1_
; %bb.0:
	.section	.rodata,"a",@progbits
	.p2align	6, 0x0
	.amdhsa_kernel _ZN7rocprim17ROCPRIM_400000_NS6detail17trampoline_kernelINS0_14default_configENS1_25partition_config_selectorILNS1_17partition_subalgoE8EN3c108BFloat16ENS0_10empty_typeEbEEZZNS1_14partition_implILS5_8ELb0ES3_jPKS7_PS8_PKS8_NS0_5tupleIJPS7_S8_EEENSG_IJSD_SD_EEENS0_18inequality_wrapperIN6hipcub16HIPCUB_304000_NS8EqualityEEEPlJS8_EEE10hipError_tPvRmT3_T4_T5_T6_T7_T9_mT8_P12ihipStream_tbDpT10_ENKUlT_T0_E_clISt17integral_constantIbLb0EES19_EEDaS14_S15_EUlS14_E_NS1_11comp_targetILNS1_3genE10ELNS1_11target_archE1200ELNS1_3gpuE4ELNS1_3repE0EEENS1_30default_config_static_selectorELNS0_4arch9wavefront6targetE1EEEvT1_
		.amdhsa_group_segment_fixed_size 0
		.amdhsa_private_segment_fixed_size 0
		.amdhsa_kernarg_size 112
		.amdhsa_user_sgpr_count 2
		.amdhsa_user_sgpr_dispatch_ptr 0
		.amdhsa_user_sgpr_queue_ptr 0
		.amdhsa_user_sgpr_kernarg_segment_ptr 1
		.amdhsa_user_sgpr_dispatch_id 0
		.amdhsa_user_sgpr_kernarg_preload_length 0
		.amdhsa_user_sgpr_kernarg_preload_offset 0
		.amdhsa_user_sgpr_private_segment_size 0
		.amdhsa_uses_dynamic_stack 0
		.amdhsa_enable_private_segment 0
		.amdhsa_system_sgpr_workgroup_id_x 1
		.amdhsa_system_sgpr_workgroup_id_y 0
		.amdhsa_system_sgpr_workgroup_id_z 0
		.amdhsa_system_sgpr_workgroup_info 0
		.amdhsa_system_vgpr_workitem_id 0
		.amdhsa_next_free_vgpr 1
		.amdhsa_next_free_sgpr 0
		.amdhsa_accum_offset 4
		.amdhsa_reserve_vcc 0
		.amdhsa_float_round_mode_32 0
		.amdhsa_float_round_mode_16_64 0
		.amdhsa_float_denorm_mode_32 3
		.amdhsa_float_denorm_mode_16_64 3
		.amdhsa_dx10_clamp 1
		.amdhsa_ieee_mode 1
		.amdhsa_fp16_overflow 0
		.amdhsa_tg_split 0
		.amdhsa_exception_fp_ieee_invalid_op 0
		.amdhsa_exception_fp_denorm_src 0
		.amdhsa_exception_fp_ieee_div_zero 0
		.amdhsa_exception_fp_ieee_overflow 0
		.amdhsa_exception_fp_ieee_underflow 0
		.amdhsa_exception_fp_ieee_inexact 0
		.amdhsa_exception_int_div_zero 0
	.end_amdhsa_kernel
	.section	.text._ZN7rocprim17ROCPRIM_400000_NS6detail17trampoline_kernelINS0_14default_configENS1_25partition_config_selectorILNS1_17partition_subalgoE8EN3c108BFloat16ENS0_10empty_typeEbEEZZNS1_14partition_implILS5_8ELb0ES3_jPKS7_PS8_PKS8_NS0_5tupleIJPS7_S8_EEENSG_IJSD_SD_EEENS0_18inequality_wrapperIN6hipcub16HIPCUB_304000_NS8EqualityEEEPlJS8_EEE10hipError_tPvRmT3_T4_T5_T6_T7_T9_mT8_P12ihipStream_tbDpT10_ENKUlT_T0_E_clISt17integral_constantIbLb0EES19_EEDaS14_S15_EUlS14_E_NS1_11comp_targetILNS1_3genE10ELNS1_11target_archE1200ELNS1_3gpuE4ELNS1_3repE0EEENS1_30default_config_static_selectorELNS0_4arch9wavefront6targetE1EEEvT1_,"axG",@progbits,_ZN7rocprim17ROCPRIM_400000_NS6detail17trampoline_kernelINS0_14default_configENS1_25partition_config_selectorILNS1_17partition_subalgoE8EN3c108BFloat16ENS0_10empty_typeEbEEZZNS1_14partition_implILS5_8ELb0ES3_jPKS7_PS8_PKS8_NS0_5tupleIJPS7_S8_EEENSG_IJSD_SD_EEENS0_18inequality_wrapperIN6hipcub16HIPCUB_304000_NS8EqualityEEEPlJS8_EEE10hipError_tPvRmT3_T4_T5_T6_T7_T9_mT8_P12ihipStream_tbDpT10_ENKUlT_T0_E_clISt17integral_constantIbLb0EES19_EEDaS14_S15_EUlS14_E_NS1_11comp_targetILNS1_3genE10ELNS1_11target_archE1200ELNS1_3gpuE4ELNS1_3repE0EEENS1_30default_config_static_selectorELNS0_4arch9wavefront6targetE1EEEvT1_,comdat
.Lfunc_end829:
	.size	_ZN7rocprim17ROCPRIM_400000_NS6detail17trampoline_kernelINS0_14default_configENS1_25partition_config_selectorILNS1_17partition_subalgoE8EN3c108BFloat16ENS0_10empty_typeEbEEZZNS1_14partition_implILS5_8ELb0ES3_jPKS7_PS8_PKS8_NS0_5tupleIJPS7_S8_EEENSG_IJSD_SD_EEENS0_18inequality_wrapperIN6hipcub16HIPCUB_304000_NS8EqualityEEEPlJS8_EEE10hipError_tPvRmT3_T4_T5_T6_T7_T9_mT8_P12ihipStream_tbDpT10_ENKUlT_T0_E_clISt17integral_constantIbLb0EES19_EEDaS14_S15_EUlS14_E_NS1_11comp_targetILNS1_3genE10ELNS1_11target_archE1200ELNS1_3gpuE4ELNS1_3repE0EEENS1_30default_config_static_selectorELNS0_4arch9wavefront6targetE1EEEvT1_, .Lfunc_end829-_ZN7rocprim17ROCPRIM_400000_NS6detail17trampoline_kernelINS0_14default_configENS1_25partition_config_selectorILNS1_17partition_subalgoE8EN3c108BFloat16ENS0_10empty_typeEbEEZZNS1_14partition_implILS5_8ELb0ES3_jPKS7_PS8_PKS8_NS0_5tupleIJPS7_S8_EEENSG_IJSD_SD_EEENS0_18inequality_wrapperIN6hipcub16HIPCUB_304000_NS8EqualityEEEPlJS8_EEE10hipError_tPvRmT3_T4_T5_T6_T7_T9_mT8_P12ihipStream_tbDpT10_ENKUlT_T0_E_clISt17integral_constantIbLb0EES19_EEDaS14_S15_EUlS14_E_NS1_11comp_targetILNS1_3genE10ELNS1_11target_archE1200ELNS1_3gpuE4ELNS1_3repE0EEENS1_30default_config_static_selectorELNS0_4arch9wavefront6targetE1EEEvT1_
                                        ; -- End function
	.section	.AMDGPU.csdata,"",@progbits
; Kernel info:
; codeLenInByte = 0
; NumSgprs: 6
; NumVgprs: 0
; NumAgprs: 0
; TotalNumVgprs: 0
; ScratchSize: 0
; MemoryBound: 0
; FloatMode: 240
; IeeeMode: 1
; LDSByteSize: 0 bytes/workgroup (compile time only)
; SGPRBlocks: 0
; VGPRBlocks: 0
; NumSGPRsForWavesPerEU: 6
; NumVGPRsForWavesPerEU: 1
; AccumOffset: 4
; Occupancy: 8
; WaveLimiterHint : 0
; COMPUTE_PGM_RSRC2:SCRATCH_EN: 0
; COMPUTE_PGM_RSRC2:USER_SGPR: 2
; COMPUTE_PGM_RSRC2:TRAP_HANDLER: 0
; COMPUTE_PGM_RSRC2:TGID_X_EN: 1
; COMPUTE_PGM_RSRC2:TGID_Y_EN: 0
; COMPUTE_PGM_RSRC2:TGID_Z_EN: 0
; COMPUTE_PGM_RSRC2:TIDIG_COMP_CNT: 0
; COMPUTE_PGM_RSRC3_GFX90A:ACCUM_OFFSET: 0
; COMPUTE_PGM_RSRC3_GFX90A:TG_SPLIT: 0
	.section	.text._ZN7rocprim17ROCPRIM_400000_NS6detail17trampoline_kernelINS0_14default_configENS1_25partition_config_selectorILNS1_17partition_subalgoE8EN3c108BFloat16ENS0_10empty_typeEbEEZZNS1_14partition_implILS5_8ELb0ES3_jPKS7_PS8_PKS8_NS0_5tupleIJPS7_S8_EEENSG_IJSD_SD_EEENS0_18inequality_wrapperIN6hipcub16HIPCUB_304000_NS8EqualityEEEPlJS8_EEE10hipError_tPvRmT3_T4_T5_T6_T7_T9_mT8_P12ihipStream_tbDpT10_ENKUlT_T0_E_clISt17integral_constantIbLb0EES19_EEDaS14_S15_EUlS14_E_NS1_11comp_targetILNS1_3genE9ELNS1_11target_archE1100ELNS1_3gpuE3ELNS1_3repE0EEENS1_30default_config_static_selectorELNS0_4arch9wavefront6targetE1EEEvT1_,"axG",@progbits,_ZN7rocprim17ROCPRIM_400000_NS6detail17trampoline_kernelINS0_14default_configENS1_25partition_config_selectorILNS1_17partition_subalgoE8EN3c108BFloat16ENS0_10empty_typeEbEEZZNS1_14partition_implILS5_8ELb0ES3_jPKS7_PS8_PKS8_NS0_5tupleIJPS7_S8_EEENSG_IJSD_SD_EEENS0_18inequality_wrapperIN6hipcub16HIPCUB_304000_NS8EqualityEEEPlJS8_EEE10hipError_tPvRmT3_T4_T5_T6_T7_T9_mT8_P12ihipStream_tbDpT10_ENKUlT_T0_E_clISt17integral_constantIbLb0EES19_EEDaS14_S15_EUlS14_E_NS1_11comp_targetILNS1_3genE9ELNS1_11target_archE1100ELNS1_3gpuE3ELNS1_3repE0EEENS1_30default_config_static_selectorELNS0_4arch9wavefront6targetE1EEEvT1_,comdat
	.protected	_ZN7rocprim17ROCPRIM_400000_NS6detail17trampoline_kernelINS0_14default_configENS1_25partition_config_selectorILNS1_17partition_subalgoE8EN3c108BFloat16ENS0_10empty_typeEbEEZZNS1_14partition_implILS5_8ELb0ES3_jPKS7_PS8_PKS8_NS0_5tupleIJPS7_S8_EEENSG_IJSD_SD_EEENS0_18inequality_wrapperIN6hipcub16HIPCUB_304000_NS8EqualityEEEPlJS8_EEE10hipError_tPvRmT3_T4_T5_T6_T7_T9_mT8_P12ihipStream_tbDpT10_ENKUlT_T0_E_clISt17integral_constantIbLb0EES19_EEDaS14_S15_EUlS14_E_NS1_11comp_targetILNS1_3genE9ELNS1_11target_archE1100ELNS1_3gpuE3ELNS1_3repE0EEENS1_30default_config_static_selectorELNS0_4arch9wavefront6targetE1EEEvT1_ ; -- Begin function _ZN7rocprim17ROCPRIM_400000_NS6detail17trampoline_kernelINS0_14default_configENS1_25partition_config_selectorILNS1_17partition_subalgoE8EN3c108BFloat16ENS0_10empty_typeEbEEZZNS1_14partition_implILS5_8ELb0ES3_jPKS7_PS8_PKS8_NS0_5tupleIJPS7_S8_EEENSG_IJSD_SD_EEENS0_18inequality_wrapperIN6hipcub16HIPCUB_304000_NS8EqualityEEEPlJS8_EEE10hipError_tPvRmT3_T4_T5_T6_T7_T9_mT8_P12ihipStream_tbDpT10_ENKUlT_T0_E_clISt17integral_constantIbLb0EES19_EEDaS14_S15_EUlS14_E_NS1_11comp_targetILNS1_3genE9ELNS1_11target_archE1100ELNS1_3gpuE3ELNS1_3repE0EEENS1_30default_config_static_selectorELNS0_4arch9wavefront6targetE1EEEvT1_
	.globl	_ZN7rocprim17ROCPRIM_400000_NS6detail17trampoline_kernelINS0_14default_configENS1_25partition_config_selectorILNS1_17partition_subalgoE8EN3c108BFloat16ENS0_10empty_typeEbEEZZNS1_14partition_implILS5_8ELb0ES3_jPKS7_PS8_PKS8_NS0_5tupleIJPS7_S8_EEENSG_IJSD_SD_EEENS0_18inequality_wrapperIN6hipcub16HIPCUB_304000_NS8EqualityEEEPlJS8_EEE10hipError_tPvRmT3_T4_T5_T6_T7_T9_mT8_P12ihipStream_tbDpT10_ENKUlT_T0_E_clISt17integral_constantIbLb0EES19_EEDaS14_S15_EUlS14_E_NS1_11comp_targetILNS1_3genE9ELNS1_11target_archE1100ELNS1_3gpuE3ELNS1_3repE0EEENS1_30default_config_static_selectorELNS0_4arch9wavefront6targetE1EEEvT1_
	.p2align	8
	.type	_ZN7rocprim17ROCPRIM_400000_NS6detail17trampoline_kernelINS0_14default_configENS1_25partition_config_selectorILNS1_17partition_subalgoE8EN3c108BFloat16ENS0_10empty_typeEbEEZZNS1_14partition_implILS5_8ELb0ES3_jPKS7_PS8_PKS8_NS0_5tupleIJPS7_S8_EEENSG_IJSD_SD_EEENS0_18inequality_wrapperIN6hipcub16HIPCUB_304000_NS8EqualityEEEPlJS8_EEE10hipError_tPvRmT3_T4_T5_T6_T7_T9_mT8_P12ihipStream_tbDpT10_ENKUlT_T0_E_clISt17integral_constantIbLb0EES19_EEDaS14_S15_EUlS14_E_NS1_11comp_targetILNS1_3genE9ELNS1_11target_archE1100ELNS1_3gpuE3ELNS1_3repE0EEENS1_30default_config_static_selectorELNS0_4arch9wavefront6targetE1EEEvT1_,@function
_ZN7rocprim17ROCPRIM_400000_NS6detail17trampoline_kernelINS0_14default_configENS1_25partition_config_selectorILNS1_17partition_subalgoE8EN3c108BFloat16ENS0_10empty_typeEbEEZZNS1_14partition_implILS5_8ELb0ES3_jPKS7_PS8_PKS8_NS0_5tupleIJPS7_S8_EEENSG_IJSD_SD_EEENS0_18inequality_wrapperIN6hipcub16HIPCUB_304000_NS8EqualityEEEPlJS8_EEE10hipError_tPvRmT3_T4_T5_T6_T7_T9_mT8_P12ihipStream_tbDpT10_ENKUlT_T0_E_clISt17integral_constantIbLb0EES19_EEDaS14_S15_EUlS14_E_NS1_11comp_targetILNS1_3genE9ELNS1_11target_archE1100ELNS1_3gpuE3ELNS1_3repE0EEENS1_30default_config_static_selectorELNS0_4arch9wavefront6targetE1EEEvT1_: ; @_ZN7rocprim17ROCPRIM_400000_NS6detail17trampoline_kernelINS0_14default_configENS1_25partition_config_selectorILNS1_17partition_subalgoE8EN3c108BFloat16ENS0_10empty_typeEbEEZZNS1_14partition_implILS5_8ELb0ES3_jPKS7_PS8_PKS8_NS0_5tupleIJPS7_S8_EEENSG_IJSD_SD_EEENS0_18inequality_wrapperIN6hipcub16HIPCUB_304000_NS8EqualityEEEPlJS8_EEE10hipError_tPvRmT3_T4_T5_T6_T7_T9_mT8_P12ihipStream_tbDpT10_ENKUlT_T0_E_clISt17integral_constantIbLb0EES19_EEDaS14_S15_EUlS14_E_NS1_11comp_targetILNS1_3genE9ELNS1_11target_archE1100ELNS1_3gpuE3ELNS1_3repE0EEENS1_30default_config_static_selectorELNS0_4arch9wavefront6targetE1EEEvT1_
; %bb.0:
	.section	.rodata,"a",@progbits
	.p2align	6, 0x0
	.amdhsa_kernel _ZN7rocprim17ROCPRIM_400000_NS6detail17trampoline_kernelINS0_14default_configENS1_25partition_config_selectorILNS1_17partition_subalgoE8EN3c108BFloat16ENS0_10empty_typeEbEEZZNS1_14partition_implILS5_8ELb0ES3_jPKS7_PS8_PKS8_NS0_5tupleIJPS7_S8_EEENSG_IJSD_SD_EEENS0_18inequality_wrapperIN6hipcub16HIPCUB_304000_NS8EqualityEEEPlJS8_EEE10hipError_tPvRmT3_T4_T5_T6_T7_T9_mT8_P12ihipStream_tbDpT10_ENKUlT_T0_E_clISt17integral_constantIbLb0EES19_EEDaS14_S15_EUlS14_E_NS1_11comp_targetILNS1_3genE9ELNS1_11target_archE1100ELNS1_3gpuE3ELNS1_3repE0EEENS1_30default_config_static_selectorELNS0_4arch9wavefront6targetE1EEEvT1_
		.amdhsa_group_segment_fixed_size 0
		.amdhsa_private_segment_fixed_size 0
		.amdhsa_kernarg_size 112
		.amdhsa_user_sgpr_count 2
		.amdhsa_user_sgpr_dispatch_ptr 0
		.amdhsa_user_sgpr_queue_ptr 0
		.amdhsa_user_sgpr_kernarg_segment_ptr 1
		.amdhsa_user_sgpr_dispatch_id 0
		.amdhsa_user_sgpr_kernarg_preload_length 0
		.amdhsa_user_sgpr_kernarg_preload_offset 0
		.amdhsa_user_sgpr_private_segment_size 0
		.amdhsa_uses_dynamic_stack 0
		.amdhsa_enable_private_segment 0
		.amdhsa_system_sgpr_workgroup_id_x 1
		.amdhsa_system_sgpr_workgroup_id_y 0
		.amdhsa_system_sgpr_workgroup_id_z 0
		.amdhsa_system_sgpr_workgroup_info 0
		.amdhsa_system_vgpr_workitem_id 0
		.amdhsa_next_free_vgpr 1
		.amdhsa_next_free_sgpr 0
		.amdhsa_accum_offset 4
		.amdhsa_reserve_vcc 0
		.amdhsa_float_round_mode_32 0
		.amdhsa_float_round_mode_16_64 0
		.amdhsa_float_denorm_mode_32 3
		.amdhsa_float_denorm_mode_16_64 3
		.amdhsa_dx10_clamp 1
		.amdhsa_ieee_mode 1
		.amdhsa_fp16_overflow 0
		.amdhsa_tg_split 0
		.amdhsa_exception_fp_ieee_invalid_op 0
		.amdhsa_exception_fp_denorm_src 0
		.amdhsa_exception_fp_ieee_div_zero 0
		.amdhsa_exception_fp_ieee_overflow 0
		.amdhsa_exception_fp_ieee_underflow 0
		.amdhsa_exception_fp_ieee_inexact 0
		.amdhsa_exception_int_div_zero 0
	.end_amdhsa_kernel
	.section	.text._ZN7rocprim17ROCPRIM_400000_NS6detail17trampoline_kernelINS0_14default_configENS1_25partition_config_selectorILNS1_17partition_subalgoE8EN3c108BFloat16ENS0_10empty_typeEbEEZZNS1_14partition_implILS5_8ELb0ES3_jPKS7_PS8_PKS8_NS0_5tupleIJPS7_S8_EEENSG_IJSD_SD_EEENS0_18inequality_wrapperIN6hipcub16HIPCUB_304000_NS8EqualityEEEPlJS8_EEE10hipError_tPvRmT3_T4_T5_T6_T7_T9_mT8_P12ihipStream_tbDpT10_ENKUlT_T0_E_clISt17integral_constantIbLb0EES19_EEDaS14_S15_EUlS14_E_NS1_11comp_targetILNS1_3genE9ELNS1_11target_archE1100ELNS1_3gpuE3ELNS1_3repE0EEENS1_30default_config_static_selectorELNS0_4arch9wavefront6targetE1EEEvT1_,"axG",@progbits,_ZN7rocprim17ROCPRIM_400000_NS6detail17trampoline_kernelINS0_14default_configENS1_25partition_config_selectorILNS1_17partition_subalgoE8EN3c108BFloat16ENS0_10empty_typeEbEEZZNS1_14partition_implILS5_8ELb0ES3_jPKS7_PS8_PKS8_NS0_5tupleIJPS7_S8_EEENSG_IJSD_SD_EEENS0_18inequality_wrapperIN6hipcub16HIPCUB_304000_NS8EqualityEEEPlJS8_EEE10hipError_tPvRmT3_T4_T5_T6_T7_T9_mT8_P12ihipStream_tbDpT10_ENKUlT_T0_E_clISt17integral_constantIbLb0EES19_EEDaS14_S15_EUlS14_E_NS1_11comp_targetILNS1_3genE9ELNS1_11target_archE1100ELNS1_3gpuE3ELNS1_3repE0EEENS1_30default_config_static_selectorELNS0_4arch9wavefront6targetE1EEEvT1_,comdat
.Lfunc_end830:
	.size	_ZN7rocprim17ROCPRIM_400000_NS6detail17trampoline_kernelINS0_14default_configENS1_25partition_config_selectorILNS1_17partition_subalgoE8EN3c108BFloat16ENS0_10empty_typeEbEEZZNS1_14partition_implILS5_8ELb0ES3_jPKS7_PS8_PKS8_NS0_5tupleIJPS7_S8_EEENSG_IJSD_SD_EEENS0_18inequality_wrapperIN6hipcub16HIPCUB_304000_NS8EqualityEEEPlJS8_EEE10hipError_tPvRmT3_T4_T5_T6_T7_T9_mT8_P12ihipStream_tbDpT10_ENKUlT_T0_E_clISt17integral_constantIbLb0EES19_EEDaS14_S15_EUlS14_E_NS1_11comp_targetILNS1_3genE9ELNS1_11target_archE1100ELNS1_3gpuE3ELNS1_3repE0EEENS1_30default_config_static_selectorELNS0_4arch9wavefront6targetE1EEEvT1_, .Lfunc_end830-_ZN7rocprim17ROCPRIM_400000_NS6detail17trampoline_kernelINS0_14default_configENS1_25partition_config_selectorILNS1_17partition_subalgoE8EN3c108BFloat16ENS0_10empty_typeEbEEZZNS1_14partition_implILS5_8ELb0ES3_jPKS7_PS8_PKS8_NS0_5tupleIJPS7_S8_EEENSG_IJSD_SD_EEENS0_18inequality_wrapperIN6hipcub16HIPCUB_304000_NS8EqualityEEEPlJS8_EEE10hipError_tPvRmT3_T4_T5_T6_T7_T9_mT8_P12ihipStream_tbDpT10_ENKUlT_T0_E_clISt17integral_constantIbLb0EES19_EEDaS14_S15_EUlS14_E_NS1_11comp_targetILNS1_3genE9ELNS1_11target_archE1100ELNS1_3gpuE3ELNS1_3repE0EEENS1_30default_config_static_selectorELNS0_4arch9wavefront6targetE1EEEvT1_
                                        ; -- End function
	.section	.AMDGPU.csdata,"",@progbits
; Kernel info:
; codeLenInByte = 0
; NumSgprs: 6
; NumVgprs: 0
; NumAgprs: 0
; TotalNumVgprs: 0
; ScratchSize: 0
; MemoryBound: 0
; FloatMode: 240
; IeeeMode: 1
; LDSByteSize: 0 bytes/workgroup (compile time only)
; SGPRBlocks: 0
; VGPRBlocks: 0
; NumSGPRsForWavesPerEU: 6
; NumVGPRsForWavesPerEU: 1
; AccumOffset: 4
; Occupancy: 8
; WaveLimiterHint : 0
; COMPUTE_PGM_RSRC2:SCRATCH_EN: 0
; COMPUTE_PGM_RSRC2:USER_SGPR: 2
; COMPUTE_PGM_RSRC2:TRAP_HANDLER: 0
; COMPUTE_PGM_RSRC2:TGID_X_EN: 1
; COMPUTE_PGM_RSRC2:TGID_Y_EN: 0
; COMPUTE_PGM_RSRC2:TGID_Z_EN: 0
; COMPUTE_PGM_RSRC2:TIDIG_COMP_CNT: 0
; COMPUTE_PGM_RSRC3_GFX90A:ACCUM_OFFSET: 0
; COMPUTE_PGM_RSRC3_GFX90A:TG_SPLIT: 0
	.section	.text._ZN7rocprim17ROCPRIM_400000_NS6detail17trampoline_kernelINS0_14default_configENS1_25partition_config_selectorILNS1_17partition_subalgoE8EN3c108BFloat16ENS0_10empty_typeEbEEZZNS1_14partition_implILS5_8ELb0ES3_jPKS7_PS8_PKS8_NS0_5tupleIJPS7_S8_EEENSG_IJSD_SD_EEENS0_18inequality_wrapperIN6hipcub16HIPCUB_304000_NS8EqualityEEEPlJS8_EEE10hipError_tPvRmT3_T4_T5_T6_T7_T9_mT8_P12ihipStream_tbDpT10_ENKUlT_T0_E_clISt17integral_constantIbLb0EES19_EEDaS14_S15_EUlS14_E_NS1_11comp_targetILNS1_3genE8ELNS1_11target_archE1030ELNS1_3gpuE2ELNS1_3repE0EEENS1_30default_config_static_selectorELNS0_4arch9wavefront6targetE1EEEvT1_,"axG",@progbits,_ZN7rocprim17ROCPRIM_400000_NS6detail17trampoline_kernelINS0_14default_configENS1_25partition_config_selectorILNS1_17partition_subalgoE8EN3c108BFloat16ENS0_10empty_typeEbEEZZNS1_14partition_implILS5_8ELb0ES3_jPKS7_PS8_PKS8_NS0_5tupleIJPS7_S8_EEENSG_IJSD_SD_EEENS0_18inequality_wrapperIN6hipcub16HIPCUB_304000_NS8EqualityEEEPlJS8_EEE10hipError_tPvRmT3_T4_T5_T6_T7_T9_mT8_P12ihipStream_tbDpT10_ENKUlT_T0_E_clISt17integral_constantIbLb0EES19_EEDaS14_S15_EUlS14_E_NS1_11comp_targetILNS1_3genE8ELNS1_11target_archE1030ELNS1_3gpuE2ELNS1_3repE0EEENS1_30default_config_static_selectorELNS0_4arch9wavefront6targetE1EEEvT1_,comdat
	.protected	_ZN7rocprim17ROCPRIM_400000_NS6detail17trampoline_kernelINS0_14default_configENS1_25partition_config_selectorILNS1_17partition_subalgoE8EN3c108BFloat16ENS0_10empty_typeEbEEZZNS1_14partition_implILS5_8ELb0ES3_jPKS7_PS8_PKS8_NS0_5tupleIJPS7_S8_EEENSG_IJSD_SD_EEENS0_18inequality_wrapperIN6hipcub16HIPCUB_304000_NS8EqualityEEEPlJS8_EEE10hipError_tPvRmT3_T4_T5_T6_T7_T9_mT8_P12ihipStream_tbDpT10_ENKUlT_T0_E_clISt17integral_constantIbLb0EES19_EEDaS14_S15_EUlS14_E_NS1_11comp_targetILNS1_3genE8ELNS1_11target_archE1030ELNS1_3gpuE2ELNS1_3repE0EEENS1_30default_config_static_selectorELNS0_4arch9wavefront6targetE1EEEvT1_ ; -- Begin function _ZN7rocprim17ROCPRIM_400000_NS6detail17trampoline_kernelINS0_14default_configENS1_25partition_config_selectorILNS1_17partition_subalgoE8EN3c108BFloat16ENS0_10empty_typeEbEEZZNS1_14partition_implILS5_8ELb0ES3_jPKS7_PS8_PKS8_NS0_5tupleIJPS7_S8_EEENSG_IJSD_SD_EEENS0_18inequality_wrapperIN6hipcub16HIPCUB_304000_NS8EqualityEEEPlJS8_EEE10hipError_tPvRmT3_T4_T5_T6_T7_T9_mT8_P12ihipStream_tbDpT10_ENKUlT_T0_E_clISt17integral_constantIbLb0EES19_EEDaS14_S15_EUlS14_E_NS1_11comp_targetILNS1_3genE8ELNS1_11target_archE1030ELNS1_3gpuE2ELNS1_3repE0EEENS1_30default_config_static_selectorELNS0_4arch9wavefront6targetE1EEEvT1_
	.globl	_ZN7rocprim17ROCPRIM_400000_NS6detail17trampoline_kernelINS0_14default_configENS1_25partition_config_selectorILNS1_17partition_subalgoE8EN3c108BFloat16ENS0_10empty_typeEbEEZZNS1_14partition_implILS5_8ELb0ES3_jPKS7_PS8_PKS8_NS0_5tupleIJPS7_S8_EEENSG_IJSD_SD_EEENS0_18inequality_wrapperIN6hipcub16HIPCUB_304000_NS8EqualityEEEPlJS8_EEE10hipError_tPvRmT3_T4_T5_T6_T7_T9_mT8_P12ihipStream_tbDpT10_ENKUlT_T0_E_clISt17integral_constantIbLb0EES19_EEDaS14_S15_EUlS14_E_NS1_11comp_targetILNS1_3genE8ELNS1_11target_archE1030ELNS1_3gpuE2ELNS1_3repE0EEENS1_30default_config_static_selectorELNS0_4arch9wavefront6targetE1EEEvT1_
	.p2align	8
	.type	_ZN7rocprim17ROCPRIM_400000_NS6detail17trampoline_kernelINS0_14default_configENS1_25partition_config_selectorILNS1_17partition_subalgoE8EN3c108BFloat16ENS0_10empty_typeEbEEZZNS1_14partition_implILS5_8ELb0ES3_jPKS7_PS8_PKS8_NS0_5tupleIJPS7_S8_EEENSG_IJSD_SD_EEENS0_18inequality_wrapperIN6hipcub16HIPCUB_304000_NS8EqualityEEEPlJS8_EEE10hipError_tPvRmT3_T4_T5_T6_T7_T9_mT8_P12ihipStream_tbDpT10_ENKUlT_T0_E_clISt17integral_constantIbLb0EES19_EEDaS14_S15_EUlS14_E_NS1_11comp_targetILNS1_3genE8ELNS1_11target_archE1030ELNS1_3gpuE2ELNS1_3repE0EEENS1_30default_config_static_selectorELNS0_4arch9wavefront6targetE1EEEvT1_,@function
_ZN7rocprim17ROCPRIM_400000_NS6detail17trampoline_kernelINS0_14default_configENS1_25partition_config_selectorILNS1_17partition_subalgoE8EN3c108BFloat16ENS0_10empty_typeEbEEZZNS1_14partition_implILS5_8ELb0ES3_jPKS7_PS8_PKS8_NS0_5tupleIJPS7_S8_EEENSG_IJSD_SD_EEENS0_18inequality_wrapperIN6hipcub16HIPCUB_304000_NS8EqualityEEEPlJS8_EEE10hipError_tPvRmT3_T4_T5_T6_T7_T9_mT8_P12ihipStream_tbDpT10_ENKUlT_T0_E_clISt17integral_constantIbLb0EES19_EEDaS14_S15_EUlS14_E_NS1_11comp_targetILNS1_3genE8ELNS1_11target_archE1030ELNS1_3gpuE2ELNS1_3repE0EEENS1_30default_config_static_selectorELNS0_4arch9wavefront6targetE1EEEvT1_: ; @_ZN7rocprim17ROCPRIM_400000_NS6detail17trampoline_kernelINS0_14default_configENS1_25partition_config_selectorILNS1_17partition_subalgoE8EN3c108BFloat16ENS0_10empty_typeEbEEZZNS1_14partition_implILS5_8ELb0ES3_jPKS7_PS8_PKS8_NS0_5tupleIJPS7_S8_EEENSG_IJSD_SD_EEENS0_18inequality_wrapperIN6hipcub16HIPCUB_304000_NS8EqualityEEEPlJS8_EEE10hipError_tPvRmT3_T4_T5_T6_T7_T9_mT8_P12ihipStream_tbDpT10_ENKUlT_T0_E_clISt17integral_constantIbLb0EES19_EEDaS14_S15_EUlS14_E_NS1_11comp_targetILNS1_3genE8ELNS1_11target_archE1030ELNS1_3gpuE2ELNS1_3repE0EEENS1_30default_config_static_selectorELNS0_4arch9wavefront6targetE1EEEvT1_
; %bb.0:
	.section	.rodata,"a",@progbits
	.p2align	6, 0x0
	.amdhsa_kernel _ZN7rocprim17ROCPRIM_400000_NS6detail17trampoline_kernelINS0_14default_configENS1_25partition_config_selectorILNS1_17partition_subalgoE8EN3c108BFloat16ENS0_10empty_typeEbEEZZNS1_14partition_implILS5_8ELb0ES3_jPKS7_PS8_PKS8_NS0_5tupleIJPS7_S8_EEENSG_IJSD_SD_EEENS0_18inequality_wrapperIN6hipcub16HIPCUB_304000_NS8EqualityEEEPlJS8_EEE10hipError_tPvRmT3_T4_T5_T6_T7_T9_mT8_P12ihipStream_tbDpT10_ENKUlT_T0_E_clISt17integral_constantIbLb0EES19_EEDaS14_S15_EUlS14_E_NS1_11comp_targetILNS1_3genE8ELNS1_11target_archE1030ELNS1_3gpuE2ELNS1_3repE0EEENS1_30default_config_static_selectorELNS0_4arch9wavefront6targetE1EEEvT1_
		.amdhsa_group_segment_fixed_size 0
		.amdhsa_private_segment_fixed_size 0
		.amdhsa_kernarg_size 112
		.amdhsa_user_sgpr_count 2
		.amdhsa_user_sgpr_dispatch_ptr 0
		.amdhsa_user_sgpr_queue_ptr 0
		.amdhsa_user_sgpr_kernarg_segment_ptr 1
		.amdhsa_user_sgpr_dispatch_id 0
		.amdhsa_user_sgpr_kernarg_preload_length 0
		.amdhsa_user_sgpr_kernarg_preload_offset 0
		.amdhsa_user_sgpr_private_segment_size 0
		.amdhsa_uses_dynamic_stack 0
		.amdhsa_enable_private_segment 0
		.amdhsa_system_sgpr_workgroup_id_x 1
		.amdhsa_system_sgpr_workgroup_id_y 0
		.amdhsa_system_sgpr_workgroup_id_z 0
		.amdhsa_system_sgpr_workgroup_info 0
		.amdhsa_system_vgpr_workitem_id 0
		.amdhsa_next_free_vgpr 1
		.amdhsa_next_free_sgpr 0
		.amdhsa_accum_offset 4
		.amdhsa_reserve_vcc 0
		.amdhsa_float_round_mode_32 0
		.amdhsa_float_round_mode_16_64 0
		.amdhsa_float_denorm_mode_32 3
		.amdhsa_float_denorm_mode_16_64 3
		.amdhsa_dx10_clamp 1
		.amdhsa_ieee_mode 1
		.amdhsa_fp16_overflow 0
		.amdhsa_tg_split 0
		.amdhsa_exception_fp_ieee_invalid_op 0
		.amdhsa_exception_fp_denorm_src 0
		.amdhsa_exception_fp_ieee_div_zero 0
		.amdhsa_exception_fp_ieee_overflow 0
		.amdhsa_exception_fp_ieee_underflow 0
		.amdhsa_exception_fp_ieee_inexact 0
		.amdhsa_exception_int_div_zero 0
	.end_amdhsa_kernel
	.section	.text._ZN7rocprim17ROCPRIM_400000_NS6detail17trampoline_kernelINS0_14default_configENS1_25partition_config_selectorILNS1_17partition_subalgoE8EN3c108BFloat16ENS0_10empty_typeEbEEZZNS1_14partition_implILS5_8ELb0ES3_jPKS7_PS8_PKS8_NS0_5tupleIJPS7_S8_EEENSG_IJSD_SD_EEENS0_18inequality_wrapperIN6hipcub16HIPCUB_304000_NS8EqualityEEEPlJS8_EEE10hipError_tPvRmT3_T4_T5_T6_T7_T9_mT8_P12ihipStream_tbDpT10_ENKUlT_T0_E_clISt17integral_constantIbLb0EES19_EEDaS14_S15_EUlS14_E_NS1_11comp_targetILNS1_3genE8ELNS1_11target_archE1030ELNS1_3gpuE2ELNS1_3repE0EEENS1_30default_config_static_selectorELNS0_4arch9wavefront6targetE1EEEvT1_,"axG",@progbits,_ZN7rocprim17ROCPRIM_400000_NS6detail17trampoline_kernelINS0_14default_configENS1_25partition_config_selectorILNS1_17partition_subalgoE8EN3c108BFloat16ENS0_10empty_typeEbEEZZNS1_14partition_implILS5_8ELb0ES3_jPKS7_PS8_PKS8_NS0_5tupleIJPS7_S8_EEENSG_IJSD_SD_EEENS0_18inequality_wrapperIN6hipcub16HIPCUB_304000_NS8EqualityEEEPlJS8_EEE10hipError_tPvRmT3_T4_T5_T6_T7_T9_mT8_P12ihipStream_tbDpT10_ENKUlT_T0_E_clISt17integral_constantIbLb0EES19_EEDaS14_S15_EUlS14_E_NS1_11comp_targetILNS1_3genE8ELNS1_11target_archE1030ELNS1_3gpuE2ELNS1_3repE0EEENS1_30default_config_static_selectorELNS0_4arch9wavefront6targetE1EEEvT1_,comdat
.Lfunc_end831:
	.size	_ZN7rocprim17ROCPRIM_400000_NS6detail17trampoline_kernelINS0_14default_configENS1_25partition_config_selectorILNS1_17partition_subalgoE8EN3c108BFloat16ENS0_10empty_typeEbEEZZNS1_14partition_implILS5_8ELb0ES3_jPKS7_PS8_PKS8_NS0_5tupleIJPS7_S8_EEENSG_IJSD_SD_EEENS0_18inequality_wrapperIN6hipcub16HIPCUB_304000_NS8EqualityEEEPlJS8_EEE10hipError_tPvRmT3_T4_T5_T6_T7_T9_mT8_P12ihipStream_tbDpT10_ENKUlT_T0_E_clISt17integral_constantIbLb0EES19_EEDaS14_S15_EUlS14_E_NS1_11comp_targetILNS1_3genE8ELNS1_11target_archE1030ELNS1_3gpuE2ELNS1_3repE0EEENS1_30default_config_static_selectorELNS0_4arch9wavefront6targetE1EEEvT1_, .Lfunc_end831-_ZN7rocprim17ROCPRIM_400000_NS6detail17trampoline_kernelINS0_14default_configENS1_25partition_config_selectorILNS1_17partition_subalgoE8EN3c108BFloat16ENS0_10empty_typeEbEEZZNS1_14partition_implILS5_8ELb0ES3_jPKS7_PS8_PKS8_NS0_5tupleIJPS7_S8_EEENSG_IJSD_SD_EEENS0_18inequality_wrapperIN6hipcub16HIPCUB_304000_NS8EqualityEEEPlJS8_EEE10hipError_tPvRmT3_T4_T5_T6_T7_T9_mT8_P12ihipStream_tbDpT10_ENKUlT_T0_E_clISt17integral_constantIbLb0EES19_EEDaS14_S15_EUlS14_E_NS1_11comp_targetILNS1_3genE8ELNS1_11target_archE1030ELNS1_3gpuE2ELNS1_3repE0EEENS1_30default_config_static_selectorELNS0_4arch9wavefront6targetE1EEEvT1_
                                        ; -- End function
	.section	.AMDGPU.csdata,"",@progbits
; Kernel info:
; codeLenInByte = 0
; NumSgprs: 6
; NumVgprs: 0
; NumAgprs: 0
; TotalNumVgprs: 0
; ScratchSize: 0
; MemoryBound: 0
; FloatMode: 240
; IeeeMode: 1
; LDSByteSize: 0 bytes/workgroup (compile time only)
; SGPRBlocks: 0
; VGPRBlocks: 0
; NumSGPRsForWavesPerEU: 6
; NumVGPRsForWavesPerEU: 1
; AccumOffset: 4
; Occupancy: 8
; WaveLimiterHint : 0
; COMPUTE_PGM_RSRC2:SCRATCH_EN: 0
; COMPUTE_PGM_RSRC2:USER_SGPR: 2
; COMPUTE_PGM_RSRC2:TRAP_HANDLER: 0
; COMPUTE_PGM_RSRC2:TGID_X_EN: 1
; COMPUTE_PGM_RSRC2:TGID_Y_EN: 0
; COMPUTE_PGM_RSRC2:TGID_Z_EN: 0
; COMPUTE_PGM_RSRC2:TIDIG_COMP_CNT: 0
; COMPUTE_PGM_RSRC3_GFX90A:ACCUM_OFFSET: 0
; COMPUTE_PGM_RSRC3_GFX90A:TG_SPLIT: 0
	.section	.text._ZN7rocprim17ROCPRIM_400000_NS6detail17trampoline_kernelINS0_14default_configENS1_25partition_config_selectorILNS1_17partition_subalgoE8EN3c108BFloat16ENS0_10empty_typeEbEEZZNS1_14partition_implILS5_8ELb0ES3_jPKS7_PS8_PKS8_NS0_5tupleIJPS7_S8_EEENSG_IJSD_SD_EEENS0_18inequality_wrapperIN6hipcub16HIPCUB_304000_NS8EqualityEEEPlJS8_EEE10hipError_tPvRmT3_T4_T5_T6_T7_T9_mT8_P12ihipStream_tbDpT10_ENKUlT_T0_E_clISt17integral_constantIbLb1EES19_EEDaS14_S15_EUlS14_E_NS1_11comp_targetILNS1_3genE0ELNS1_11target_archE4294967295ELNS1_3gpuE0ELNS1_3repE0EEENS1_30default_config_static_selectorELNS0_4arch9wavefront6targetE1EEEvT1_,"axG",@progbits,_ZN7rocprim17ROCPRIM_400000_NS6detail17trampoline_kernelINS0_14default_configENS1_25partition_config_selectorILNS1_17partition_subalgoE8EN3c108BFloat16ENS0_10empty_typeEbEEZZNS1_14partition_implILS5_8ELb0ES3_jPKS7_PS8_PKS8_NS0_5tupleIJPS7_S8_EEENSG_IJSD_SD_EEENS0_18inequality_wrapperIN6hipcub16HIPCUB_304000_NS8EqualityEEEPlJS8_EEE10hipError_tPvRmT3_T4_T5_T6_T7_T9_mT8_P12ihipStream_tbDpT10_ENKUlT_T0_E_clISt17integral_constantIbLb1EES19_EEDaS14_S15_EUlS14_E_NS1_11comp_targetILNS1_3genE0ELNS1_11target_archE4294967295ELNS1_3gpuE0ELNS1_3repE0EEENS1_30default_config_static_selectorELNS0_4arch9wavefront6targetE1EEEvT1_,comdat
	.protected	_ZN7rocprim17ROCPRIM_400000_NS6detail17trampoline_kernelINS0_14default_configENS1_25partition_config_selectorILNS1_17partition_subalgoE8EN3c108BFloat16ENS0_10empty_typeEbEEZZNS1_14partition_implILS5_8ELb0ES3_jPKS7_PS8_PKS8_NS0_5tupleIJPS7_S8_EEENSG_IJSD_SD_EEENS0_18inequality_wrapperIN6hipcub16HIPCUB_304000_NS8EqualityEEEPlJS8_EEE10hipError_tPvRmT3_T4_T5_T6_T7_T9_mT8_P12ihipStream_tbDpT10_ENKUlT_T0_E_clISt17integral_constantIbLb1EES19_EEDaS14_S15_EUlS14_E_NS1_11comp_targetILNS1_3genE0ELNS1_11target_archE4294967295ELNS1_3gpuE0ELNS1_3repE0EEENS1_30default_config_static_selectorELNS0_4arch9wavefront6targetE1EEEvT1_ ; -- Begin function _ZN7rocprim17ROCPRIM_400000_NS6detail17trampoline_kernelINS0_14default_configENS1_25partition_config_selectorILNS1_17partition_subalgoE8EN3c108BFloat16ENS0_10empty_typeEbEEZZNS1_14partition_implILS5_8ELb0ES3_jPKS7_PS8_PKS8_NS0_5tupleIJPS7_S8_EEENSG_IJSD_SD_EEENS0_18inequality_wrapperIN6hipcub16HIPCUB_304000_NS8EqualityEEEPlJS8_EEE10hipError_tPvRmT3_T4_T5_T6_T7_T9_mT8_P12ihipStream_tbDpT10_ENKUlT_T0_E_clISt17integral_constantIbLb1EES19_EEDaS14_S15_EUlS14_E_NS1_11comp_targetILNS1_3genE0ELNS1_11target_archE4294967295ELNS1_3gpuE0ELNS1_3repE0EEENS1_30default_config_static_selectorELNS0_4arch9wavefront6targetE1EEEvT1_
	.globl	_ZN7rocprim17ROCPRIM_400000_NS6detail17trampoline_kernelINS0_14default_configENS1_25partition_config_selectorILNS1_17partition_subalgoE8EN3c108BFloat16ENS0_10empty_typeEbEEZZNS1_14partition_implILS5_8ELb0ES3_jPKS7_PS8_PKS8_NS0_5tupleIJPS7_S8_EEENSG_IJSD_SD_EEENS0_18inequality_wrapperIN6hipcub16HIPCUB_304000_NS8EqualityEEEPlJS8_EEE10hipError_tPvRmT3_T4_T5_T6_T7_T9_mT8_P12ihipStream_tbDpT10_ENKUlT_T0_E_clISt17integral_constantIbLb1EES19_EEDaS14_S15_EUlS14_E_NS1_11comp_targetILNS1_3genE0ELNS1_11target_archE4294967295ELNS1_3gpuE0ELNS1_3repE0EEENS1_30default_config_static_selectorELNS0_4arch9wavefront6targetE1EEEvT1_
	.p2align	8
	.type	_ZN7rocprim17ROCPRIM_400000_NS6detail17trampoline_kernelINS0_14default_configENS1_25partition_config_selectorILNS1_17partition_subalgoE8EN3c108BFloat16ENS0_10empty_typeEbEEZZNS1_14partition_implILS5_8ELb0ES3_jPKS7_PS8_PKS8_NS0_5tupleIJPS7_S8_EEENSG_IJSD_SD_EEENS0_18inequality_wrapperIN6hipcub16HIPCUB_304000_NS8EqualityEEEPlJS8_EEE10hipError_tPvRmT3_T4_T5_T6_T7_T9_mT8_P12ihipStream_tbDpT10_ENKUlT_T0_E_clISt17integral_constantIbLb1EES19_EEDaS14_S15_EUlS14_E_NS1_11comp_targetILNS1_3genE0ELNS1_11target_archE4294967295ELNS1_3gpuE0ELNS1_3repE0EEENS1_30default_config_static_selectorELNS0_4arch9wavefront6targetE1EEEvT1_,@function
_ZN7rocprim17ROCPRIM_400000_NS6detail17trampoline_kernelINS0_14default_configENS1_25partition_config_selectorILNS1_17partition_subalgoE8EN3c108BFloat16ENS0_10empty_typeEbEEZZNS1_14partition_implILS5_8ELb0ES3_jPKS7_PS8_PKS8_NS0_5tupleIJPS7_S8_EEENSG_IJSD_SD_EEENS0_18inequality_wrapperIN6hipcub16HIPCUB_304000_NS8EqualityEEEPlJS8_EEE10hipError_tPvRmT3_T4_T5_T6_T7_T9_mT8_P12ihipStream_tbDpT10_ENKUlT_T0_E_clISt17integral_constantIbLb1EES19_EEDaS14_S15_EUlS14_E_NS1_11comp_targetILNS1_3genE0ELNS1_11target_archE4294967295ELNS1_3gpuE0ELNS1_3repE0EEENS1_30default_config_static_selectorELNS0_4arch9wavefront6targetE1EEEvT1_: ; @_ZN7rocprim17ROCPRIM_400000_NS6detail17trampoline_kernelINS0_14default_configENS1_25partition_config_selectorILNS1_17partition_subalgoE8EN3c108BFloat16ENS0_10empty_typeEbEEZZNS1_14partition_implILS5_8ELb0ES3_jPKS7_PS8_PKS8_NS0_5tupleIJPS7_S8_EEENSG_IJSD_SD_EEENS0_18inequality_wrapperIN6hipcub16HIPCUB_304000_NS8EqualityEEEPlJS8_EEE10hipError_tPvRmT3_T4_T5_T6_T7_T9_mT8_P12ihipStream_tbDpT10_ENKUlT_T0_E_clISt17integral_constantIbLb1EES19_EEDaS14_S15_EUlS14_E_NS1_11comp_targetILNS1_3genE0ELNS1_11target_archE4294967295ELNS1_3gpuE0ELNS1_3repE0EEENS1_30default_config_static_selectorELNS0_4arch9wavefront6targetE1EEEvT1_
; %bb.0:
	.section	.rodata,"a",@progbits
	.p2align	6, 0x0
	.amdhsa_kernel _ZN7rocprim17ROCPRIM_400000_NS6detail17trampoline_kernelINS0_14default_configENS1_25partition_config_selectorILNS1_17partition_subalgoE8EN3c108BFloat16ENS0_10empty_typeEbEEZZNS1_14partition_implILS5_8ELb0ES3_jPKS7_PS8_PKS8_NS0_5tupleIJPS7_S8_EEENSG_IJSD_SD_EEENS0_18inequality_wrapperIN6hipcub16HIPCUB_304000_NS8EqualityEEEPlJS8_EEE10hipError_tPvRmT3_T4_T5_T6_T7_T9_mT8_P12ihipStream_tbDpT10_ENKUlT_T0_E_clISt17integral_constantIbLb1EES19_EEDaS14_S15_EUlS14_E_NS1_11comp_targetILNS1_3genE0ELNS1_11target_archE4294967295ELNS1_3gpuE0ELNS1_3repE0EEENS1_30default_config_static_selectorELNS0_4arch9wavefront6targetE1EEEvT1_
		.amdhsa_group_segment_fixed_size 0
		.amdhsa_private_segment_fixed_size 0
		.amdhsa_kernarg_size 128
		.amdhsa_user_sgpr_count 2
		.amdhsa_user_sgpr_dispatch_ptr 0
		.amdhsa_user_sgpr_queue_ptr 0
		.amdhsa_user_sgpr_kernarg_segment_ptr 1
		.amdhsa_user_sgpr_dispatch_id 0
		.amdhsa_user_sgpr_kernarg_preload_length 0
		.amdhsa_user_sgpr_kernarg_preload_offset 0
		.amdhsa_user_sgpr_private_segment_size 0
		.amdhsa_uses_dynamic_stack 0
		.amdhsa_enable_private_segment 0
		.amdhsa_system_sgpr_workgroup_id_x 1
		.amdhsa_system_sgpr_workgroup_id_y 0
		.amdhsa_system_sgpr_workgroup_id_z 0
		.amdhsa_system_sgpr_workgroup_info 0
		.amdhsa_system_vgpr_workitem_id 0
		.amdhsa_next_free_vgpr 1
		.amdhsa_next_free_sgpr 0
		.amdhsa_accum_offset 4
		.amdhsa_reserve_vcc 0
		.amdhsa_float_round_mode_32 0
		.amdhsa_float_round_mode_16_64 0
		.amdhsa_float_denorm_mode_32 3
		.amdhsa_float_denorm_mode_16_64 3
		.amdhsa_dx10_clamp 1
		.amdhsa_ieee_mode 1
		.amdhsa_fp16_overflow 0
		.amdhsa_tg_split 0
		.amdhsa_exception_fp_ieee_invalid_op 0
		.amdhsa_exception_fp_denorm_src 0
		.amdhsa_exception_fp_ieee_div_zero 0
		.amdhsa_exception_fp_ieee_overflow 0
		.amdhsa_exception_fp_ieee_underflow 0
		.amdhsa_exception_fp_ieee_inexact 0
		.amdhsa_exception_int_div_zero 0
	.end_amdhsa_kernel
	.section	.text._ZN7rocprim17ROCPRIM_400000_NS6detail17trampoline_kernelINS0_14default_configENS1_25partition_config_selectorILNS1_17partition_subalgoE8EN3c108BFloat16ENS0_10empty_typeEbEEZZNS1_14partition_implILS5_8ELb0ES3_jPKS7_PS8_PKS8_NS0_5tupleIJPS7_S8_EEENSG_IJSD_SD_EEENS0_18inequality_wrapperIN6hipcub16HIPCUB_304000_NS8EqualityEEEPlJS8_EEE10hipError_tPvRmT3_T4_T5_T6_T7_T9_mT8_P12ihipStream_tbDpT10_ENKUlT_T0_E_clISt17integral_constantIbLb1EES19_EEDaS14_S15_EUlS14_E_NS1_11comp_targetILNS1_3genE0ELNS1_11target_archE4294967295ELNS1_3gpuE0ELNS1_3repE0EEENS1_30default_config_static_selectorELNS0_4arch9wavefront6targetE1EEEvT1_,"axG",@progbits,_ZN7rocprim17ROCPRIM_400000_NS6detail17trampoline_kernelINS0_14default_configENS1_25partition_config_selectorILNS1_17partition_subalgoE8EN3c108BFloat16ENS0_10empty_typeEbEEZZNS1_14partition_implILS5_8ELb0ES3_jPKS7_PS8_PKS8_NS0_5tupleIJPS7_S8_EEENSG_IJSD_SD_EEENS0_18inequality_wrapperIN6hipcub16HIPCUB_304000_NS8EqualityEEEPlJS8_EEE10hipError_tPvRmT3_T4_T5_T6_T7_T9_mT8_P12ihipStream_tbDpT10_ENKUlT_T0_E_clISt17integral_constantIbLb1EES19_EEDaS14_S15_EUlS14_E_NS1_11comp_targetILNS1_3genE0ELNS1_11target_archE4294967295ELNS1_3gpuE0ELNS1_3repE0EEENS1_30default_config_static_selectorELNS0_4arch9wavefront6targetE1EEEvT1_,comdat
.Lfunc_end832:
	.size	_ZN7rocprim17ROCPRIM_400000_NS6detail17trampoline_kernelINS0_14default_configENS1_25partition_config_selectorILNS1_17partition_subalgoE8EN3c108BFloat16ENS0_10empty_typeEbEEZZNS1_14partition_implILS5_8ELb0ES3_jPKS7_PS8_PKS8_NS0_5tupleIJPS7_S8_EEENSG_IJSD_SD_EEENS0_18inequality_wrapperIN6hipcub16HIPCUB_304000_NS8EqualityEEEPlJS8_EEE10hipError_tPvRmT3_T4_T5_T6_T7_T9_mT8_P12ihipStream_tbDpT10_ENKUlT_T0_E_clISt17integral_constantIbLb1EES19_EEDaS14_S15_EUlS14_E_NS1_11comp_targetILNS1_3genE0ELNS1_11target_archE4294967295ELNS1_3gpuE0ELNS1_3repE0EEENS1_30default_config_static_selectorELNS0_4arch9wavefront6targetE1EEEvT1_, .Lfunc_end832-_ZN7rocprim17ROCPRIM_400000_NS6detail17trampoline_kernelINS0_14default_configENS1_25partition_config_selectorILNS1_17partition_subalgoE8EN3c108BFloat16ENS0_10empty_typeEbEEZZNS1_14partition_implILS5_8ELb0ES3_jPKS7_PS8_PKS8_NS0_5tupleIJPS7_S8_EEENSG_IJSD_SD_EEENS0_18inequality_wrapperIN6hipcub16HIPCUB_304000_NS8EqualityEEEPlJS8_EEE10hipError_tPvRmT3_T4_T5_T6_T7_T9_mT8_P12ihipStream_tbDpT10_ENKUlT_T0_E_clISt17integral_constantIbLb1EES19_EEDaS14_S15_EUlS14_E_NS1_11comp_targetILNS1_3genE0ELNS1_11target_archE4294967295ELNS1_3gpuE0ELNS1_3repE0EEENS1_30default_config_static_selectorELNS0_4arch9wavefront6targetE1EEEvT1_
                                        ; -- End function
	.section	.AMDGPU.csdata,"",@progbits
; Kernel info:
; codeLenInByte = 0
; NumSgprs: 6
; NumVgprs: 0
; NumAgprs: 0
; TotalNumVgprs: 0
; ScratchSize: 0
; MemoryBound: 0
; FloatMode: 240
; IeeeMode: 1
; LDSByteSize: 0 bytes/workgroup (compile time only)
; SGPRBlocks: 0
; VGPRBlocks: 0
; NumSGPRsForWavesPerEU: 6
; NumVGPRsForWavesPerEU: 1
; AccumOffset: 4
; Occupancy: 8
; WaveLimiterHint : 0
; COMPUTE_PGM_RSRC2:SCRATCH_EN: 0
; COMPUTE_PGM_RSRC2:USER_SGPR: 2
; COMPUTE_PGM_RSRC2:TRAP_HANDLER: 0
; COMPUTE_PGM_RSRC2:TGID_X_EN: 1
; COMPUTE_PGM_RSRC2:TGID_Y_EN: 0
; COMPUTE_PGM_RSRC2:TGID_Z_EN: 0
; COMPUTE_PGM_RSRC2:TIDIG_COMP_CNT: 0
; COMPUTE_PGM_RSRC3_GFX90A:ACCUM_OFFSET: 0
; COMPUTE_PGM_RSRC3_GFX90A:TG_SPLIT: 0
	.section	.text._ZN7rocprim17ROCPRIM_400000_NS6detail17trampoline_kernelINS0_14default_configENS1_25partition_config_selectorILNS1_17partition_subalgoE8EN3c108BFloat16ENS0_10empty_typeEbEEZZNS1_14partition_implILS5_8ELb0ES3_jPKS7_PS8_PKS8_NS0_5tupleIJPS7_S8_EEENSG_IJSD_SD_EEENS0_18inequality_wrapperIN6hipcub16HIPCUB_304000_NS8EqualityEEEPlJS8_EEE10hipError_tPvRmT3_T4_T5_T6_T7_T9_mT8_P12ihipStream_tbDpT10_ENKUlT_T0_E_clISt17integral_constantIbLb1EES19_EEDaS14_S15_EUlS14_E_NS1_11comp_targetILNS1_3genE5ELNS1_11target_archE942ELNS1_3gpuE9ELNS1_3repE0EEENS1_30default_config_static_selectorELNS0_4arch9wavefront6targetE1EEEvT1_,"axG",@progbits,_ZN7rocprim17ROCPRIM_400000_NS6detail17trampoline_kernelINS0_14default_configENS1_25partition_config_selectorILNS1_17partition_subalgoE8EN3c108BFloat16ENS0_10empty_typeEbEEZZNS1_14partition_implILS5_8ELb0ES3_jPKS7_PS8_PKS8_NS0_5tupleIJPS7_S8_EEENSG_IJSD_SD_EEENS0_18inequality_wrapperIN6hipcub16HIPCUB_304000_NS8EqualityEEEPlJS8_EEE10hipError_tPvRmT3_T4_T5_T6_T7_T9_mT8_P12ihipStream_tbDpT10_ENKUlT_T0_E_clISt17integral_constantIbLb1EES19_EEDaS14_S15_EUlS14_E_NS1_11comp_targetILNS1_3genE5ELNS1_11target_archE942ELNS1_3gpuE9ELNS1_3repE0EEENS1_30default_config_static_selectorELNS0_4arch9wavefront6targetE1EEEvT1_,comdat
	.protected	_ZN7rocprim17ROCPRIM_400000_NS6detail17trampoline_kernelINS0_14default_configENS1_25partition_config_selectorILNS1_17partition_subalgoE8EN3c108BFloat16ENS0_10empty_typeEbEEZZNS1_14partition_implILS5_8ELb0ES3_jPKS7_PS8_PKS8_NS0_5tupleIJPS7_S8_EEENSG_IJSD_SD_EEENS0_18inequality_wrapperIN6hipcub16HIPCUB_304000_NS8EqualityEEEPlJS8_EEE10hipError_tPvRmT3_T4_T5_T6_T7_T9_mT8_P12ihipStream_tbDpT10_ENKUlT_T0_E_clISt17integral_constantIbLb1EES19_EEDaS14_S15_EUlS14_E_NS1_11comp_targetILNS1_3genE5ELNS1_11target_archE942ELNS1_3gpuE9ELNS1_3repE0EEENS1_30default_config_static_selectorELNS0_4arch9wavefront6targetE1EEEvT1_ ; -- Begin function _ZN7rocprim17ROCPRIM_400000_NS6detail17trampoline_kernelINS0_14default_configENS1_25partition_config_selectorILNS1_17partition_subalgoE8EN3c108BFloat16ENS0_10empty_typeEbEEZZNS1_14partition_implILS5_8ELb0ES3_jPKS7_PS8_PKS8_NS0_5tupleIJPS7_S8_EEENSG_IJSD_SD_EEENS0_18inequality_wrapperIN6hipcub16HIPCUB_304000_NS8EqualityEEEPlJS8_EEE10hipError_tPvRmT3_T4_T5_T6_T7_T9_mT8_P12ihipStream_tbDpT10_ENKUlT_T0_E_clISt17integral_constantIbLb1EES19_EEDaS14_S15_EUlS14_E_NS1_11comp_targetILNS1_3genE5ELNS1_11target_archE942ELNS1_3gpuE9ELNS1_3repE0EEENS1_30default_config_static_selectorELNS0_4arch9wavefront6targetE1EEEvT1_
	.globl	_ZN7rocprim17ROCPRIM_400000_NS6detail17trampoline_kernelINS0_14default_configENS1_25partition_config_selectorILNS1_17partition_subalgoE8EN3c108BFloat16ENS0_10empty_typeEbEEZZNS1_14partition_implILS5_8ELb0ES3_jPKS7_PS8_PKS8_NS0_5tupleIJPS7_S8_EEENSG_IJSD_SD_EEENS0_18inequality_wrapperIN6hipcub16HIPCUB_304000_NS8EqualityEEEPlJS8_EEE10hipError_tPvRmT3_T4_T5_T6_T7_T9_mT8_P12ihipStream_tbDpT10_ENKUlT_T0_E_clISt17integral_constantIbLb1EES19_EEDaS14_S15_EUlS14_E_NS1_11comp_targetILNS1_3genE5ELNS1_11target_archE942ELNS1_3gpuE9ELNS1_3repE0EEENS1_30default_config_static_selectorELNS0_4arch9wavefront6targetE1EEEvT1_
	.p2align	8
	.type	_ZN7rocprim17ROCPRIM_400000_NS6detail17trampoline_kernelINS0_14default_configENS1_25partition_config_selectorILNS1_17partition_subalgoE8EN3c108BFloat16ENS0_10empty_typeEbEEZZNS1_14partition_implILS5_8ELb0ES3_jPKS7_PS8_PKS8_NS0_5tupleIJPS7_S8_EEENSG_IJSD_SD_EEENS0_18inequality_wrapperIN6hipcub16HIPCUB_304000_NS8EqualityEEEPlJS8_EEE10hipError_tPvRmT3_T4_T5_T6_T7_T9_mT8_P12ihipStream_tbDpT10_ENKUlT_T0_E_clISt17integral_constantIbLb1EES19_EEDaS14_S15_EUlS14_E_NS1_11comp_targetILNS1_3genE5ELNS1_11target_archE942ELNS1_3gpuE9ELNS1_3repE0EEENS1_30default_config_static_selectorELNS0_4arch9wavefront6targetE1EEEvT1_,@function
_ZN7rocprim17ROCPRIM_400000_NS6detail17trampoline_kernelINS0_14default_configENS1_25partition_config_selectorILNS1_17partition_subalgoE8EN3c108BFloat16ENS0_10empty_typeEbEEZZNS1_14partition_implILS5_8ELb0ES3_jPKS7_PS8_PKS8_NS0_5tupleIJPS7_S8_EEENSG_IJSD_SD_EEENS0_18inequality_wrapperIN6hipcub16HIPCUB_304000_NS8EqualityEEEPlJS8_EEE10hipError_tPvRmT3_T4_T5_T6_T7_T9_mT8_P12ihipStream_tbDpT10_ENKUlT_T0_E_clISt17integral_constantIbLb1EES19_EEDaS14_S15_EUlS14_E_NS1_11comp_targetILNS1_3genE5ELNS1_11target_archE942ELNS1_3gpuE9ELNS1_3repE0EEENS1_30default_config_static_selectorELNS0_4arch9wavefront6targetE1EEEvT1_: ; @_ZN7rocprim17ROCPRIM_400000_NS6detail17trampoline_kernelINS0_14default_configENS1_25partition_config_selectorILNS1_17partition_subalgoE8EN3c108BFloat16ENS0_10empty_typeEbEEZZNS1_14partition_implILS5_8ELb0ES3_jPKS7_PS8_PKS8_NS0_5tupleIJPS7_S8_EEENSG_IJSD_SD_EEENS0_18inequality_wrapperIN6hipcub16HIPCUB_304000_NS8EqualityEEEPlJS8_EEE10hipError_tPvRmT3_T4_T5_T6_T7_T9_mT8_P12ihipStream_tbDpT10_ENKUlT_T0_E_clISt17integral_constantIbLb1EES19_EEDaS14_S15_EUlS14_E_NS1_11comp_targetILNS1_3genE5ELNS1_11target_archE942ELNS1_3gpuE9ELNS1_3repE0EEENS1_30default_config_static_selectorELNS0_4arch9wavefront6targetE1EEEvT1_
; %bb.0:
	s_load_dwordx4 s[20:23], s[0:1], 0x40
	s_load_dwordx2 s[8:9], s[0:1], 0x50
	s_load_dwordx2 s[28:29], s[0:1], 0x60
	v_cmp_ne_u32_e64 s[2:3], 0, v0
	v_cmp_eq_u32_e64 s[18:19], 0, v0
	s_and_saveexec_b64 s[4:5], s[18:19]
	s_cbranch_execz .LBB833_4
; %bb.1:
	s_mov_b64 s[10:11], exec
	v_mbcnt_lo_u32_b32 v1, s10, 0
	v_mbcnt_hi_u32_b32 v1, s11, v1
	v_cmp_eq_u32_e32 vcc, 0, v1
                                        ; implicit-def: $vgpr2
	s_and_saveexec_b64 s[6:7], vcc
	s_cbranch_execz .LBB833_3
; %bb.2:
	s_load_dwordx2 s[12:13], s[0:1], 0x70
	s_bcnt1_i32_b64 s10, s[10:11]
	v_mov_b32_e32 v2, 0
	v_mov_b32_e32 v3, s10
	s_waitcnt lgkmcnt(0)
	global_atomic_add v2, v2, v3, s[12:13] sc0
.LBB833_3:
	s_or_b64 exec, exec, s[6:7]
	s_waitcnt vmcnt(0)
	v_readfirstlane_b32 s6, v2
	v_mov_b32_e32 v2, 0
	s_nop 0
	v_add_u32_e32 v1, s6, v1
	ds_write_b32 v2, v1
.LBB833_4:
	s_or_b64 exec, exec, s[4:5]
	v_mov_b32_e32 v3, 0
	s_load_dwordx4 s[4:7], s[0:1], 0x8
	s_load_dwordx2 s[24:25], s[0:1], 0x28
	s_load_dword s10, s[0:1], 0x68
	s_waitcnt lgkmcnt(0)
	s_barrier
	ds_read_b32 v1, v3
	s_waitcnt lgkmcnt(0)
	s_barrier
	global_load_dwordx2 v[8:9], v3, s[22:23]
	s_lshl_b64 s[0:1], s[6:7], 1
	s_add_u32 s4, s4, s0
	s_movk_i32 s0, 0x3c00
	v_mul_lo_u32 v2, v1, s0
	s_mul_i32 s0, s10, 0x3c00
	s_addc_u32 s5, s5, s1
	s_add_i32 s1, s0, s6
	v_mov_b32_e32 v5, s9
	s_add_i32 s9, s10, -1
	s_sub_i32 s12, s8, s1
	s_add_u32 s0, s6, s0
	v_readfirstlane_b32 s33, v1
	s_addc_u32 s1, s7, 0
	v_mov_b32_e32 v4, s8
	s_cmp_eq_u32 s33, s9
	v_cmp_ge_u64_e32 vcc, s[0:1], v[4:5]
	s_cselect_b64 s[22:23], -1, 0
	s_and_b64 s[8:9], vcc, s[22:23]
	s_xor_b64 s[26:27], s[8:9], -1
	v_lshlrev_b64 v[4:5], 1, v[2:3]
	s_mov_b64 s[0:1], -1
	v_lshl_add_u64 v[18:19], s[4:5], 0, v[4:5]
	s_and_b64 vcc, exec, s[26:27]
	s_cbranch_vccz .LBB833_6
; %bb.5:
	v_lshlrev_b32_e32 v2, 1, v0
	v_lshl_add_u64 v[4:5], v[18:19], 0, v[2:3]
	v_add_co_u32_e32 v6, vcc, 0x1000, v4
	v_readfirstlane_b32 s0, v18
	s_nop 0
	v_addc_co_u32_e32 v7, vcc, 0, v5, vcc
	v_add_co_u32_e32 v10, vcc, 0x2000, v4
	v_readfirstlane_b32 s1, v19
	s_nop 0
	v_addc_co_u32_e32 v11, vcc, 0, v5, vcc
	s_nop 2
	global_load_ushort v1, v2, s[0:1]
	global_load_ushort v3, v2, s[0:1] offset:1024
	global_load_ushort v12, v2, s[0:1] offset:2048
	;; [unrolled: 1-line block ×3, first 2 shown]
	global_load_ushort v14, v[6:7], off
	global_load_ushort v15, v[6:7], off offset:1024
	global_load_ushort v16, v[6:7], off offset:2048
	;; [unrolled: 1-line block ×3, first 2 shown]
	global_load_ushort v20, v[10:11], off
	global_load_ushort v21, v[10:11], off offset:1024
	global_load_ushort v22, v[10:11], off offset:2048
	;; [unrolled: 1-line block ×3, first 2 shown]
	v_add_co_u32_e32 v6, vcc, 0x3000, v4
	s_mov_b64 s[0:1], 0
	s_nop 0
	v_addc_co_u32_e32 v7, vcc, 0, v5, vcc
	v_add_co_u32_e32 v10, vcc, 0x4000, v4
	s_nop 1
	v_addc_co_u32_e32 v11, vcc, 0, v5, vcc
	global_load_ushort v24, v[6:7], off
	global_load_ushort v25, v[6:7], off offset:1024
	global_load_ushort v26, v[6:7], off offset:2048
	;; [unrolled: 1-line block ×3, first 2 shown]
	global_load_ushort v28, v[10:11], off
	global_load_ushort v29, v[10:11], off offset:1024
	global_load_ushort v30, v[10:11], off offset:2048
	global_load_ushort v31, v[10:11], off offset:3072
	v_add_co_u32_e32 v6, vcc, 0x5000, v4
	s_nop 1
	v_addc_co_u32_e32 v7, vcc, 0, v5, vcc
	v_add_co_u32_e32 v10, vcc, 0x6000, v4
	s_nop 1
	v_addc_co_u32_e32 v11, vcc, 0, v5, vcc
	v_add_co_u32_e32 v4, vcc, 0x7000, v4
	global_load_ushort v32, v[6:7], off
	global_load_ushort v33, v[6:7], off offset:1024
	global_load_ushort v34, v[6:7], off offset:2048
	;; [unrolled: 1-line block ×3, first 2 shown]
	global_load_ushort v36, v[10:11], off
	global_load_ushort v37, v[10:11], off offset:1024
	global_load_ushort v38, v[10:11], off offset:2048
	;; [unrolled: 1-line block ×3, first 2 shown]
	v_addc_co_u32_e32 v5, vcc, 0, v5, vcc
	global_load_ushort v6, v[4:5], off
	global_load_ushort v7, v[4:5], off offset:1024
	s_waitcnt vmcnt(29)
	ds_write_b16 v2, v1
	s_waitcnt vmcnt(28)
	ds_write_b16 v2, v3 offset:1024
	s_waitcnt vmcnt(27)
	ds_write_b16 v2, v12 offset:2048
	;; [unrolled: 2-line block ×29, first 2 shown]
	s_waitcnt lgkmcnt(0)
	s_barrier
.LBB833_6:
	s_andn2_b64 vcc, exec, s[0:1]
	s_addk_i32 s12, 0x3c00
	s_cbranch_vccnz .LBB833_68
; %bb.7:
	v_cmp_gt_u32_e32 vcc, s12, v0
                                        ; implicit-def: $vgpr1
	s_and_saveexec_b64 s[0:1], vcc
	s_cbranch_execz .LBB833_9
; %bb.8:
	v_lshlrev_b32_e32 v1, 1, v0
	v_readfirstlane_b32 s4, v18
	v_readfirstlane_b32 s5, v19
	s_nop 4
	global_load_ushort v1, v1, s[4:5]
.LBB833_9:
	s_or_b64 exec, exec, s[0:1]
	v_or_b32_e32 v2, 0x200, v0
	v_cmp_gt_u32_e32 vcc, s12, v2
                                        ; implicit-def: $vgpr2
	s_and_saveexec_b64 s[0:1], vcc
	s_cbranch_execz .LBB833_11
; %bb.10:
	v_lshlrev_b32_e32 v2, 1, v0
	v_readfirstlane_b32 s4, v18
	v_readfirstlane_b32 s5, v19
	s_nop 4
	global_load_ushort v2, v2, s[4:5] offset:1024
.LBB833_11:
	s_or_b64 exec, exec, s[0:1]
	v_or_b32_e32 v3, 0x400, v0
	v_cmp_gt_u32_e32 vcc, s12, v3
                                        ; implicit-def: $vgpr3
	s_and_saveexec_b64 s[0:1], vcc
	s_cbranch_execz .LBB833_13
; %bb.12:
	v_lshlrev_b32_e32 v3, 1, v0
	v_readfirstlane_b32 s4, v18
	v_readfirstlane_b32 s5, v19
	s_nop 4
	global_load_ushort v3, v3, s[4:5] offset:2048
.LBB833_13:
	s_or_b64 exec, exec, s[0:1]
	v_or_b32_e32 v4, 0x600, v0
	v_cmp_gt_u32_e32 vcc, s12, v4
                                        ; implicit-def: $vgpr4
	s_and_saveexec_b64 s[0:1], vcc
	s_cbranch_execz .LBB833_15
; %bb.14:
	v_lshlrev_b32_e32 v4, 1, v0
	v_readfirstlane_b32 s4, v18
	v_readfirstlane_b32 s5, v19
	s_nop 4
	global_load_ushort v4, v4, s[4:5] offset:3072
.LBB833_15:
	s_or_b64 exec, exec, s[0:1]
	v_or_b32_e32 v6, 0x800, v0
	v_cmp_gt_u32_e32 vcc, s12, v6
                                        ; implicit-def: $vgpr5
	s_and_saveexec_b64 s[0:1], vcc
	s_cbranch_execz .LBB833_17
; %bb.16:
	v_lshlrev_b32_e32 v5, 1, v6
	v_readfirstlane_b32 s4, v18
	v_readfirstlane_b32 s5, v19
	s_nop 4
	global_load_ushort v5, v5, s[4:5]
.LBB833_17:
	s_or_b64 exec, exec, s[0:1]
	v_or_b32_e32 v7, 0xa00, v0
	v_cmp_gt_u32_e32 vcc, s12, v7
                                        ; implicit-def: $vgpr6
	s_and_saveexec_b64 s[0:1], vcc
	s_cbranch_execz .LBB833_19
; %bb.18:
	v_lshlrev_b32_e32 v6, 1, v7
	v_readfirstlane_b32 s4, v18
	v_readfirstlane_b32 s5, v19
	s_nop 4
	global_load_ushort v6, v6, s[4:5]
.LBB833_19:
	s_or_b64 exec, exec, s[0:1]
	v_or_b32_e32 v10, 0xc00, v0
	v_cmp_gt_u32_e32 vcc, s12, v10
                                        ; implicit-def: $vgpr7
	s_and_saveexec_b64 s[0:1], vcc
	s_cbranch_execz .LBB833_21
; %bb.20:
	v_lshlrev_b32_e32 v7, 1, v10
	v_readfirstlane_b32 s4, v18
	v_readfirstlane_b32 s5, v19
	s_nop 4
	global_load_ushort v7, v7, s[4:5]
.LBB833_21:
	s_or_b64 exec, exec, s[0:1]
	v_or_b32_e32 v11, 0xe00, v0
	v_cmp_gt_u32_e32 vcc, s12, v11
                                        ; implicit-def: $vgpr10
	s_and_saveexec_b64 s[0:1], vcc
	s_cbranch_execz .LBB833_23
; %bb.22:
	v_lshlrev_b32_e32 v10, 1, v11
	v_readfirstlane_b32 s4, v18
	v_readfirstlane_b32 s5, v19
	s_nop 4
	global_load_ushort v10, v10, s[4:5]
.LBB833_23:
	s_or_b64 exec, exec, s[0:1]
	v_or_b32_e32 v12, 0x1000, v0
	v_cmp_gt_u32_e32 vcc, s12, v12
                                        ; implicit-def: $vgpr11
	s_and_saveexec_b64 s[0:1], vcc
	s_cbranch_execz .LBB833_25
; %bb.24:
	v_lshlrev_b32_e32 v11, 1, v12
	v_readfirstlane_b32 s4, v18
	v_readfirstlane_b32 s5, v19
	s_nop 4
	global_load_ushort v11, v11, s[4:5]
.LBB833_25:
	s_or_b64 exec, exec, s[0:1]
	v_or_b32_e32 v13, 0x1200, v0
	v_cmp_gt_u32_e32 vcc, s12, v13
                                        ; implicit-def: $vgpr12
	s_and_saveexec_b64 s[0:1], vcc
	s_cbranch_execz .LBB833_27
; %bb.26:
	v_lshlrev_b32_e32 v12, 1, v13
	v_readfirstlane_b32 s4, v18
	v_readfirstlane_b32 s5, v19
	s_nop 4
	global_load_ushort v12, v12, s[4:5]
.LBB833_27:
	s_or_b64 exec, exec, s[0:1]
	v_or_b32_e32 v14, 0x1400, v0
	v_cmp_gt_u32_e32 vcc, s12, v14
                                        ; implicit-def: $vgpr13
	s_and_saveexec_b64 s[0:1], vcc
	s_cbranch_execz .LBB833_29
; %bb.28:
	v_lshlrev_b32_e32 v13, 1, v14
	v_readfirstlane_b32 s4, v18
	v_readfirstlane_b32 s5, v19
	s_nop 4
	global_load_ushort v13, v13, s[4:5]
.LBB833_29:
	s_or_b64 exec, exec, s[0:1]
	v_or_b32_e32 v15, 0x1600, v0
	v_cmp_gt_u32_e32 vcc, s12, v15
                                        ; implicit-def: $vgpr14
	s_and_saveexec_b64 s[0:1], vcc
	s_cbranch_execz .LBB833_31
; %bb.30:
	v_lshlrev_b32_e32 v14, 1, v15
	v_readfirstlane_b32 s4, v18
	v_readfirstlane_b32 s5, v19
	s_nop 4
	global_load_ushort v14, v14, s[4:5]
.LBB833_31:
	s_or_b64 exec, exec, s[0:1]
	v_or_b32_e32 v16, 0x1800, v0
	v_cmp_gt_u32_e32 vcc, s12, v16
                                        ; implicit-def: $vgpr15
	s_and_saveexec_b64 s[0:1], vcc
	s_cbranch_execz .LBB833_33
; %bb.32:
	v_lshlrev_b32_e32 v15, 1, v16
	v_readfirstlane_b32 s4, v18
	v_readfirstlane_b32 s5, v19
	s_nop 4
	global_load_ushort v15, v15, s[4:5]
.LBB833_33:
	s_or_b64 exec, exec, s[0:1]
	v_or_b32_e32 v17, 0x1a00, v0
	v_cmp_gt_u32_e32 vcc, s12, v17
                                        ; implicit-def: $vgpr16
	s_and_saveexec_b64 s[0:1], vcc
	s_cbranch_execz .LBB833_35
; %bb.34:
	v_lshlrev_b32_e32 v16, 1, v17
	v_readfirstlane_b32 s4, v18
	v_readfirstlane_b32 s5, v19
	s_nop 4
	global_load_ushort v16, v16, s[4:5]
.LBB833_35:
	s_or_b64 exec, exec, s[0:1]
	v_or_b32_e32 v20, 0x1c00, v0
	v_cmp_gt_u32_e32 vcc, s12, v20
                                        ; implicit-def: $vgpr17
	s_and_saveexec_b64 s[0:1], vcc
	s_cbranch_execz .LBB833_37
; %bb.36:
	v_lshlrev_b32_e32 v17, 1, v20
	v_readfirstlane_b32 s4, v18
	v_readfirstlane_b32 s5, v19
	s_nop 4
	global_load_ushort v17, v17, s[4:5]
.LBB833_37:
	s_or_b64 exec, exec, s[0:1]
	v_or_b32_e32 v21, 0x1e00, v0
	v_cmp_gt_u32_e32 vcc, s12, v21
                                        ; implicit-def: $vgpr20
	s_and_saveexec_b64 s[0:1], vcc
	s_cbranch_execz .LBB833_39
; %bb.38:
	v_lshlrev_b32_e32 v20, 1, v21
	v_readfirstlane_b32 s4, v18
	v_readfirstlane_b32 s5, v19
	s_nop 4
	global_load_ushort v20, v20, s[4:5]
.LBB833_39:
	s_or_b64 exec, exec, s[0:1]
	v_or_b32_e32 v22, 0x2000, v0
	v_cmp_gt_u32_e32 vcc, s12, v22
                                        ; implicit-def: $vgpr21
	s_and_saveexec_b64 s[0:1], vcc
	s_cbranch_execz .LBB833_41
; %bb.40:
	v_lshlrev_b32_e32 v21, 1, v22
	v_readfirstlane_b32 s4, v18
	v_readfirstlane_b32 s5, v19
	s_nop 4
	global_load_ushort v21, v21, s[4:5]
.LBB833_41:
	s_or_b64 exec, exec, s[0:1]
	v_or_b32_e32 v23, 0x2200, v0
	v_cmp_gt_u32_e32 vcc, s12, v23
                                        ; implicit-def: $vgpr22
	s_and_saveexec_b64 s[0:1], vcc
	s_cbranch_execz .LBB833_43
; %bb.42:
	v_lshlrev_b32_e32 v22, 1, v23
	v_readfirstlane_b32 s4, v18
	v_readfirstlane_b32 s5, v19
	s_nop 4
	global_load_ushort v22, v22, s[4:5]
.LBB833_43:
	s_or_b64 exec, exec, s[0:1]
	v_or_b32_e32 v24, 0x2400, v0
	v_cmp_gt_u32_e32 vcc, s12, v24
                                        ; implicit-def: $vgpr23
	s_and_saveexec_b64 s[0:1], vcc
	s_cbranch_execz .LBB833_45
; %bb.44:
	v_lshlrev_b32_e32 v23, 1, v24
	v_readfirstlane_b32 s4, v18
	v_readfirstlane_b32 s5, v19
	s_nop 4
	global_load_ushort v23, v23, s[4:5]
.LBB833_45:
	s_or_b64 exec, exec, s[0:1]
	v_or_b32_e32 v25, 0x2600, v0
	v_cmp_gt_u32_e32 vcc, s12, v25
                                        ; implicit-def: $vgpr24
	s_and_saveexec_b64 s[0:1], vcc
	s_cbranch_execz .LBB833_47
; %bb.46:
	v_lshlrev_b32_e32 v24, 1, v25
	v_readfirstlane_b32 s4, v18
	v_readfirstlane_b32 s5, v19
	s_nop 4
	global_load_ushort v24, v24, s[4:5]
.LBB833_47:
	s_or_b64 exec, exec, s[0:1]
	v_or_b32_e32 v26, 0x2800, v0
	v_cmp_gt_u32_e32 vcc, s12, v26
                                        ; implicit-def: $vgpr25
	s_and_saveexec_b64 s[0:1], vcc
	s_cbranch_execz .LBB833_49
; %bb.48:
	v_lshlrev_b32_e32 v25, 1, v26
	v_readfirstlane_b32 s4, v18
	v_readfirstlane_b32 s5, v19
	s_nop 4
	global_load_ushort v25, v25, s[4:5]
.LBB833_49:
	s_or_b64 exec, exec, s[0:1]
	v_or_b32_e32 v27, 0x2a00, v0
	v_cmp_gt_u32_e32 vcc, s12, v27
                                        ; implicit-def: $vgpr26
	s_and_saveexec_b64 s[0:1], vcc
	s_cbranch_execz .LBB833_51
; %bb.50:
	v_lshlrev_b32_e32 v26, 1, v27
	v_readfirstlane_b32 s4, v18
	v_readfirstlane_b32 s5, v19
	s_nop 4
	global_load_ushort v26, v26, s[4:5]
.LBB833_51:
	s_or_b64 exec, exec, s[0:1]
	v_or_b32_e32 v28, 0x2c00, v0
	v_cmp_gt_u32_e32 vcc, s12, v28
                                        ; implicit-def: $vgpr27
	s_and_saveexec_b64 s[0:1], vcc
	s_cbranch_execz .LBB833_53
; %bb.52:
	v_lshlrev_b32_e32 v27, 1, v28
	v_readfirstlane_b32 s4, v18
	v_readfirstlane_b32 s5, v19
	s_nop 4
	global_load_ushort v27, v27, s[4:5]
.LBB833_53:
	s_or_b64 exec, exec, s[0:1]
	v_or_b32_e32 v29, 0x2e00, v0
	v_cmp_gt_u32_e32 vcc, s12, v29
                                        ; implicit-def: $vgpr28
	s_and_saveexec_b64 s[0:1], vcc
	s_cbranch_execz .LBB833_55
; %bb.54:
	v_lshlrev_b32_e32 v28, 1, v29
	v_readfirstlane_b32 s4, v18
	v_readfirstlane_b32 s5, v19
	s_nop 4
	global_load_ushort v28, v28, s[4:5]
.LBB833_55:
	s_or_b64 exec, exec, s[0:1]
	v_or_b32_e32 v30, 0x3000, v0
	v_cmp_gt_u32_e32 vcc, s12, v30
                                        ; implicit-def: $vgpr29
	s_and_saveexec_b64 s[0:1], vcc
	s_cbranch_execz .LBB833_57
; %bb.56:
	v_lshlrev_b32_e32 v29, 1, v30
	v_readfirstlane_b32 s4, v18
	v_readfirstlane_b32 s5, v19
	s_nop 4
	global_load_ushort v29, v29, s[4:5]
.LBB833_57:
	s_or_b64 exec, exec, s[0:1]
	v_or_b32_e32 v31, 0x3200, v0
	v_cmp_gt_u32_e32 vcc, s12, v31
                                        ; implicit-def: $vgpr30
	s_and_saveexec_b64 s[0:1], vcc
	s_cbranch_execz .LBB833_59
; %bb.58:
	v_lshlrev_b32_e32 v30, 1, v31
	v_readfirstlane_b32 s4, v18
	v_readfirstlane_b32 s5, v19
	s_nop 4
	global_load_ushort v30, v30, s[4:5]
.LBB833_59:
	s_or_b64 exec, exec, s[0:1]
	v_or_b32_e32 v32, 0x3400, v0
	v_cmp_gt_u32_e32 vcc, s12, v32
                                        ; implicit-def: $vgpr31
	s_and_saveexec_b64 s[0:1], vcc
	s_cbranch_execz .LBB833_61
; %bb.60:
	v_lshlrev_b32_e32 v31, 1, v32
	v_readfirstlane_b32 s4, v18
	v_readfirstlane_b32 s5, v19
	s_nop 4
	global_load_ushort v31, v31, s[4:5]
.LBB833_61:
	s_or_b64 exec, exec, s[0:1]
	v_or_b32_e32 v33, 0x3600, v0
	v_cmp_gt_u32_e32 vcc, s12, v33
                                        ; implicit-def: $vgpr32
	s_and_saveexec_b64 s[0:1], vcc
	s_cbranch_execz .LBB833_63
; %bb.62:
	v_lshlrev_b32_e32 v32, 1, v33
	v_readfirstlane_b32 s4, v18
	v_readfirstlane_b32 s5, v19
	s_nop 4
	global_load_ushort v32, v32, s[4:5]
.LBB833_63:
	s_or_b64 exec, exec, s[0:1]
	v_or_b32_e32 v34, 0x3800, v0
	v_cmp_gt_u32_e32 vcc, s12, v34
                                        ; implicit-def: $vgpr33
	s_and_saveexec_b64 s[0:1], vcc
	s_cbranch_execz .LBB833_65
; %bb.64:
	v_lshlrev_b32_e32 v33, 1, v34
	v_readfirstlane_b32 s4, v18
	v_readfirstlane_b32 s5, v19
	s_nop 4
	global_load_ushort v33, v33, s[4:5]
.LBB833_65:
	s_or_b64 exec, exec, s[0:1]
	v_or_b32_e32 v35, 0x3a00, v0
	v_cmp_gt_u32_e32 vcc, s12, v35
                                        ; implicit-def: $vgpr34
	s_and_saveexec_b64 s[0:1], vcc
	s_cbranch_execz .LBB833_67
; %bb.66:
	v_lshlrev_b32_e32 v34, 1, v35
	v_readfirstlane_b32 s4, v18
	v_readfirstlane_b32 s5, v19
	s_nop 4
	global_load_ushort v34, v34, s[4:5]
.LBB833_67:
	s_or_b64 exec, exec, s[0:1]
	v_lshlrev_b32_e32 v35, 1, v0
	s_waitcnt vmcnt(0)
	ds_write_b16 v35, v1
	ds_write_b16 v35, v2 offset:1024
	ds_write_b16 v35, v3 offset:2048
	;; [unrolled: 1-line block ×29, first 2 shown]
	s_waitcnt lgkmcnt(0)
	s_barrier
.LBB833_68:
	v_mul_u32_u24_e32 v28, 30, v0
	v_lshlrev_b32_e32 v50, 1, v28
	ds_read2_b32 v[16:17], v50 offset1:1
	ds_read2_b32 v[14:15], v50 offset0:2 offset1:3
	ds_read2_b32 v[12:13], v50 offset0:4 offset1:5
	;; [unrolled: 1-line block ×3, first 2 shown]
	ds_read_b32 v1, v50 offset:56
	ds_read2_b32 v[2:3], v50 offset0:12 offset1:13
	ds_read2_b32 v[4:5], v50 offset0:10 offset1:11
	;; [unrolled: 1-line block ×3, first 2 shown]
	s_cmp_lg_u32 s33, 0
	s_cselect_b64 s[16:17], -1, 0
	s_cmp_lg_u64 s[6:7], 0
	s_cselect_b64 s[0:1], -1, 0
	s_or_b64 s[0:1], s[0:1], s[16:17]
	v_mad_u32_u24 v20, v0, 30, 29
	v_mad_u32_u24 v21, v0, 30, 28
	;; [unrolled: 1-line block ×8, first 2 shown]
	v_or_b32_e32 v48, 1, v28
	v_mad_u32_u24 v49, v0, 30, 2
	v_mad_u32_u24 v47, v0, 30, 3
	;; [unrolled: 1-line block ×20, first 2 shown]
	s_mov_b64 s[10:11], 0
	s_and_b64 vcc, exec, s[0:1]
	s_waitcnt lgkmcnt(0)
	s_barrier
	s_cbranch_vccz .LBB833_73
; %bb.69:
	global_load_ushort v18, v[18:19], off offset:-2
	v_lshlrev_b32_e32 v19, 1, v0
	s_and_b64 vcc, exec, s[26:27]
	ds_write_b16_d16_hi v19, v1
	s_cbranch_vccz .LBB833_75
; %bb.70:
	s_waitcnt vmcnt(0)
	v_mov_b32_e32 v51, v18
	s_waitcnt lgkmcnt(0)
	s_barrier
	s_and_saveexec_b64 s[0:1], s[2:3]
	s_cbranch_execz .LBB833_72
; %bb.71:
	v_add_u32_e32 v51, -2, v19
	ds_read_u16 v51, v51
.LBB833_72:
	s_or_b64 exec, exec, s[0:1]
	v_and_b32_e32 v52, 0xffff0000, v1
	v_lshlrev_b32_e32 v53, 16, v1
	v_cmp_neq_f32_e32 vcc, v53, v52
	v_and_b32_e32 v52, 0xffff0000, v3
	v_lshlrev_b32_e32 v54, 16, v3
	v_cndmask_b32_e64 v84, 0, 1, vcc
	v_cmp_neq_f32_e32 vcc, v52, v53
	v_lshlrev_b32_e32 v53, 16, v2
	s_waitcnt lgkmcnt(0)
	v_lshlrev_b32_e32 v51, 16, v51
	v_cndmask_b32_e64 v85, 0, 1, vcc
	v_cmp_neq_f32_e32 vcc, v54, v52
	v_and_b32_e32 v52, 0xffff0000, v2
	s_nop 0
	v_cndmask_b32_e64 v86, 0, 1, vcc
	v_cmp_neq_f32_e32 vcc, v52, v54
	v_lshlrev_b32_e32 v54, 16, v5
	s_nop 0
	v_cndmask_b32_e64 v87, 0, 1, vcc
	v_cmp_neq_f32_e32 vcc, v53, v52
	v_and_b32_e32 v52, 0xffff0000, v5
	s_nop 0
	v_cndmask_b32_e64 v88, 0, 1, vcc
	v_cmp_neq_f32_e32 vcc, v52, v53
	v_lshlrev_b32_e32 v53, 16, v4
	s_nop 0
	v_cndmask_b32_e64 v89, 0, 1, vcc
	v_cmp_neq_f32_e32 vcc, v54, v52
	v_and_b32_e32 v52, 0xffff0000, v4
	s_nop 0
	v_cndmask_b32_e64 v90, 0, 1, vcc
	v_cmp_neq_f32_e32 vcc, v52, v54
	v_lshlrev_b32_e32 v54, 16, v7
	s_nop 0
	v_cndmask_b32_e64 v91, 0, 1, vcc
	v_cmp_neq_f32_e32 vcc, v53, v52
	v_and_b32_e32 v52, 0xffff0000, v7
	s_nop 0
	v_cndmask_b32_e64 v92, 0, 1, vcc
	v_cmp_neq_f32_e32 vcc, v52, v53
	v_lshlrev_b32_e32 v53, 16, v6
	s_nop 0
	v_cndmask_b32_e64 v93, 0, 1, vcc
	v_cmp_neq_f32_e32 vcc, v54, v52
	v_and_b32_e32 v52, 0xffff0000, v6
	s_nop 0
	v_cndmask_b32_e64 v94, 0, 1, vcc
	v_cmp_neq_f32_e32 vcc, v52, v54
	v_lshlrev_b32_e32 v54, 16, v11
	s_nop 0
	v_cndmask_b32_e64 v95, 0, 1, vcc
	v_cmp_neq_f32_e32 vcc, v53, v52
	v_and_b32_e32 v52, 0xffff0000, v11
	s_nop 0
	v_cndmask_b32_e64 v96, 0, 1, vcc
	v_cmp_neq_f32_e32 vcc, v52, v53
	v_lshlrev_b32_e32 v53, 16, v10
	s_nop 0
	v_cndmask_b32_e64 v97, 0, 1, vcc
	v_cmp_neq_f32_e32 vcc, v54, v52
	v_and_b32_e32 v52, 0xffff0000, v10
	s_nop 0
	v_cndmask_b32_e64 v98, 0, 1, vcc
	v_cmp_neq_f32_e32 vcc, v52, v54
	v_lshlrev_b32_e32 v54, 16, v13
	s_nop 0
	v_cndmask_b32_e64 v99, 0, 1, vcc
	v_cmp_neq_f32_e32 vcc, v53, v52
	v_and_b32_e32 v52, 0xffff0000, v13
	s_nop 0
	v_cndmask_b32_e64 v100, 0, 1, vcc
	v_cmp_neq_f32_e32 vcc, v52, v53
	v_lshlrev_b32_e32 v53, 16, v12
	s_nop 0
	v_cndmask_b32_e64 v101, 0, 1, vcc
	v_cmp_neq_f32_e32 vcc, v54, v52
	v_and_b32_e32 v52, 0xffff0000, v12
	s_nop 0
	v_cndmask_b32_e64 v102, 0, 1, vcc
	v_cmp_neq_f32_e32 vcc, v52, v54
	v_lshlrev_b32_e32 v54, 16, v15
	s_nop 0
	v_cndmask_b32_e64 v103, 0, 1, vcc
	v_cmp_neq_f32_e32 vcc, v53, v52
	v_and_b32_e32 v52, 0xffff0000, v15
	s_nop 0
	v_cndmask_b32_e64 v104, 0, 1, vcc
	v_cmp_neq_f32_e32 vcc, v52, v53
	v_lshlrev_b32_e32 v53, 16, v14
	s_nop 0
	v_cndmask_b32_e64 v105, 0, 1, vcc
	v_cmp_neq_f32_e32 vcc, v54, v52
	v_and_b32_e32 v52, 0xffff0000, v14
	s_nop 0
	v_cndmask_b32_e64 v106, 0, 1, vcc
	v_cmp_neq_f32_e32 vcc, v52, v54
	v_lshlrev_b32_e32 v54, 16, v17
	s_nop 0
	v_cndmask_b32_e64 v107, 0, 1, vcc
	v_cmp_neq_f32_e32 vcc, v53, v52
	v_and_b32_e32 v52, 0xffff0000, v17
	s_nop 0
	v_cndmask_b32_e64 v108, 0, 1, vcc
	v_cmp_neq_f32_e32 vcc, v52, v53
	v_lshlrev_b32_e32 v53, 16, v16
	v_cmp_neq_f32_e64 s[0:1], v53, v51
	v_cndmask_b32_e64 v109, 0, 1, vcc
	v_cmp_neq_f32_e32 vcc, v54, v52
	v_and_b32_e32 v52, 0xffff0000, v16
	s_nop 0
	v_cndmask_b32_e64 v110, 0, 1, vcc
	v_cmp_neq_f32_e32 vcc, v52, v54
	s_nop 1
	v_cndmask_b32_e64 v111, 0, 1, vcc
	v_cmp_neq_f32_e32 vcc, v53, v52
	s_nop 1
	v_cndmask_b32_e64 v112, 0, 1, vcc
	s_branch .LBB833_79
.LBB833_73:
                                        ; implicit-def: $sgpr0_sgpr1
                                        ; implicit-def: $vgpr112
                                        ; implicit-def: $vgpr111
                                        ; implicit-def: $vgpr110
                                        ; implicit-def: $vgpr109
                                        ; implicit-def: $vgpr108
                                        ; implicit-def: $vgpr107
                                        ; implicit-def: $vgpr106
                                        ; implicit-def: $vgpr105
                                        ; implicit-def: $vgpr104
                                        ; implicit-def: $vgpr103
                                        ; implicit-def: $vgpr102
                                        ; implicit-def: $vgpr101
                                        ; implicit-def: $vgpr100
                                        ; implicit-def: $vgpr99
                                        ; implicit-def: $vgpr98
                                        ; implicit-def: $vgpr97
                                        ; implicit-def: $vgpr96
                                        ; implicit-def: $vgpr95
                                        ; implicit-def: $vgpr94
                                        ; implicit-def: $vgpr93
                                        ; implicit-def: $vgpr92
                                        ; implicit-def: $vgpr91
                                        ; implicit-def: $vgpr90
                                        ; implicit-def: $vgpr89
                                        ; implicit-def: $vgpr88
                                        ; implicit-def: $vgpr87
                                        ; implicit-def: $vgpr86
                                        ; implicit-def: $vgpr85
                                        ; implicit-def: $vgpr84
	s_branch .LBB833_80
.LBB833_74:
                                        ; implicit-def: $sgpr6
	s_branch .LBB833_88
.LBB833_75:
                                        ; implicit-def: $sgpr0_sgpr1
                                        ; implicit-def: $vgpr112
                                        ; implicit-def: $vgpr111
                                        ; implicit-def: $vgpr110
                                        ; implicit-def: $vgpr109
                                        ; implicit-def: $vgpr108
                                        ; implicit-def: $vgpr107
                                        ; implicit-def: $vgpr106
                                        ; implicit-def: $vgpr105
                                        ; implicit-def: $vgpr104
                                        ; implicit-def: $vgpr103
                                        ; implicit-def: $vgpr102
                                        ; implicit-def: $vgpr101
                                        ; implicit-def: $vgpr100
                                        ; implicit-def: $vgpr99
                                        ; implicit-def: $vgpr98
                                        ; implicit-def: $vgpr97
                                        ; implicit-def: $vgpr96
                                        ; implicit-def: $vgpr95
                                        ; implicit-def: $vgpr94
                                        ; implicit-def: $vgpr93
                                        ; implicit-def: $vgpr92
                                        ; implicit-def: $vgpr91
                                        ; implicit-def: $vgpr90
                                        ; implicit-def: $vgpr89
                                        ; implicit-def: $vgpr88
                                        ; implicit-def: $vgpr87
                                        ; implicit-def: $vgpr86
                                        ; implicit-def: $vgpr85
                                        ; implicit-def: $vgpr84
	s_cbranch_execz .LBB833_79
; %bb.76:
	s_waitcnt lgkmcnt(0)
	s_barrier
	s_and_saveexec_b64 s[0:1], s[2:3]
	s_cbranch_execz .LBB833_78
; %bb.77:
	s_waitcnt vmcnt(0)
	v_add_u32_e32 v18, -2, v19
	ds_read_u16 v18, v18
.LBB833_78:
	s_or_b64 exec, exec, s[0:1]
	v_and_b32_e32 v19, 0xffff0000, v1
	v_lshlrev_b32_e32 v51, 16, v1
	v_cmp_gt_u32_e32 vcc, s12, v20
	v_cmp_neq_f32_e64 s[0:1], v51, v19
	v_and_b32_e32 v19, 0xffff0000, v3
	s_and_b64 s[0:1], vcc, s[0:1]
	v_cmp_gt_u32_e32 vcc, s12, v21
	v_lshlrev_b32_e32 v52, 16, v3
	v_cmp_neq_f32_e64 s[4:5], v19, v51
	v_cndmask_b32_e64 v84, 0, 1, s[0:1]
	v_cmp_gt_u32_e64 s[0:1], s12, v22
	s_and_b64 s[4:5], vcc, s[4:5]
	v_cmp_neq_f32_e32 vcc, v52, v19
	v_and_b32_e32 v19, 0xffff0000, v2
	v_cndmask_b32_e64 v85, 0, 1, s[4:5]
	s_and_b64 s[0:1], s[0:1], vcc
	v_cmp_gt_u32_e32 vcc, s12, v23
	v_lshlrev_b32_e32 v51, 16, v2
	v_cmp_neq_f32_e64 s[4:5], v19, v52
	v_cndmask_b32_e64 v86, 0, 1, s[0:1]
	v_cmp_gt_u32_e64 s[0:1], s12, v24
	s_and_b64 s[4:5], vcc, s[4:5]
	v_cmp_neq_f32_e32 vcc, v51, v19
	v_and_b32_e32 v19, 0xffff0000, v5
	v_cndmask_b32_e64 v87, 0, 1, s[4:5]
	s_and_b64 s[0:1], s[0:1], vcc
	;; [unrolled: 10-line block ×13, first 2 shown]
	v_cmp_gt_u32_e32 vcc, s12, v49
	v_lshlrev_b32_e32 v51, 16, v16
	v_cmp_neq_f32_e64 s[4:5], v19, v52
	v_cndmask_b32_e64 v110, 0, 1, s[0:1]
	v_cmp_gt_u32_e64 s[0:1], s12, v48
	s_and_b64 s[4:5], vcc, s[4:5]
	v_cmp_neq_f32_e32 vcc, v51, v19
	s_and_b64 s[0:1], s[0:1], vcc
	s_waitcnt vmcnt(0) lgkmcnt(0)
	v_lshlrev_b32_e32 v18, 16, v18
	v_cndmask_b32_e64 v112, 0, 1, s[0:1]
	v_cmp_gt_u32_e32 vcc, s12, v28
	v_cmp_neq_f32_e64 s[0:1], v51, v18
	v_cndmask_b32_e64 v111, 0, 1, s[4:5]
	s_and_b64 s[0:1], vcc, s[0:1]
.LBB833_79:
	s_mov_b64 s[10:11], -1
	s_cbranch_execnz .LBB833_74
.LBB833_80:
	s_movk_i32 s0, 0xffc6
	s_waitcnt vmcnt(0)
	v_mad_i32_i24 v18, v0, s0, v50
	s_and_b64 vcc, exec, s[26:27]
	v_lshlrev_b32_e32 v63, 16, v1
	v_lshlrev_b32_e32 v62, 16, v3
	;; [unrolled: 1-line block ×15, first 2 shown]
	ds_write_b16_d16_hi v18, v1
	s_cbranch_vccz .LBB833_84
; %bb.81:
	v_and_b32_e32 v64, 0xffff0000, v1
	v_cmp_neq_f32_e32 vcc, v63, v64
	v_and_b32_e32 v64, 0xffff0000, v3
	s_waitcnt lgkmcnt(0)
	v_cndmask_b32_e64 v84, 0, 1, vcc
	v_cmp_neq_f32_e32 vcc, v64, v63
	s_barrier
	s_nop 0
	v_cndmask_b32_e64 v85, 0, 1, vcc
	v_cmp_neq_f32_e32 vcc, v62, v64
	v_and_b32_e32 v64, 0xffff0000, v2
                                        ; implicit-def: $sgpr0_sgpr1
	s_nop 0
	v_cndmask_b32_e64 v86, 0, 1, vcc
	v_cmp_neq_f32_e32 vcc, v64, v62
	s_nop 1
	v_cndmask_b32_e64 v87, 0, 1, vcc
	v_cmp_neq_f32_e32 vcc, v61, v64
	v_and_b32_e32 v64, 0xffff0000, v5
	s_nop 0
	v_cndmask_b32_e64 v88, 0, 1, vcc
	v_cmp_neq_f32_e32 vcc, v64, v61
	s_nop 1
	v_cndmask_b32_e64 v89, 0, 1, vcc
	v_cmp_neq_f32_e32 vcc, v60, v64
	v_and_b32_e32 v64, 0xffff0000, v4
	;; [unrolled: 7-line block ×12, first 2 shown]
	s_nop 0
	v_cndmask_b32_e64 v110, 0, 1, vcc
	v_cmp_neq_f32_e32 vcc, v64, v50
	s_nop 1
	v_cndmask_b32_e64 v111, 0, 1, vcc
	v_cmp_neq_f32_e32 vcc, v19, v64
	s_nop 1
	v_cndmask_b32_e64 v112, 0, 1, vcc
	s_and_saveexec_b64 s[4:5], s[2:3]
	s_xor_b64 s[4:5], exec, s[4:5]
	s_cbranch_execz .LBB833_83
; %bb.82:
	v_add_u32_e32 v64, -2, v18
	ds_read_u16 v64, v64
	s_or_b64 s[10:11], s[10:11], exec
	s_waitcnt lgkmcnt(0)
	v_lshlrev_b32_e32 v64, 16, v64
	v_cmp_neq_f32_e32 vcc, v19, v64
	s_and_b64 s[0:1], vcc, exec
.LBB833_83:
	s_or_b64 exec, exec, s[4:5]
	s_mov_b32 s6, 1
	s_branch .LBB833_88
.LBB833_84:
                                        ; implicit-def: $sgpr0_sgpr1
                                        ; implicit-def: $vgpr112
                                        ; implicit-def: $vgpr111
                                        ; implicit-def: $vgpr110
                                        ; implicit-def: $vgpr109
                                        ; implicit-def: $vgpr108
                                        ; implicit-def: $vgpr107
                                        ; implicit-def: $vgpr106
                                        ; implicit-def: $vgpr105
                                        ; implicit-def: $vgpr104
                                        ; implicit-def: $vgpr103
                                        ; implicit-def: $vgpr102
                                        ; implicit-def: $vgpr101
                                        ; implicit-def: $vgpr100
                                        ; implicit-def: $vgpr99
                                        ; implicit-def: $vgpr98
                                        ; implicit-def: $vgpr97
                                        ; implicit-def: $vgpr96
                                        ; implicit-def: $vgpr95
                                        ; implicit-def: $vgpr94
                                        ; implicit-def: $vgpr93
                                        ; implicit-def: $vgpr92
                                        ; implicit-def: $vgpr91
                                        ; implicit-def: $vgpr90
                                        ; implicit-def: $vgpr89
                                        ; implicit-def: $vgpr88
                                        ; implicit-def: $vgpr87
                                        ; implicit-def: $vgpr86
                                        ; implicit-def: $vgpr85
                                        ; implicit-def: $vgpr84
                                        ; implicit-def: $sgpr6
	s_cbranch_execz .LBB833_88
; %bb.85:
	v_and_b32_e32 v64, 0xffff0000, v1
	v_cmp_gt_u32_e32 vcc, s12, v20
	v_cmp_neq_f32_e64 s[0:1], v63, v64
	v_and_b32_e32 v64, 0xffff0000, v3
	s_and_b64 s[0:1], vcc, s[0:1]
	v_cmp_gt_u32_e32 vcc, s12, v21
	v_cmp_neq_f32_e64 s[4:5], v64, v63
	v_cndmask_b32_e64 v84, 0, 1, s[0:1]
	v_cmp_gt_u32_e64 s[0:1], s12, v22
	s_and_b64 s[4:5], vcc, s[4:5]
	v_cmp_neq_f32_e32 vcc, v62, v64
	v_and_b32_e32 v63, 0xffff0000, v2
	v_cndmask_b32_e64 v85, 0, 1, s[4:5]
	s_and_b64 s[0:1], s[0:1], vcc
	v_cmp_gt_u32_e32 vcc, s12, v23
	v_cmp_neq_f32_e64 s[4:5], v63, v62
	v_cndmask_b32_e64 v86, 0, 1, s[0:1]
	v_cmp_gt_u32_e64 s[0:1], s12, v24
	s_and_b64 s[4:5], vcc, s[4:5]
	v_cmp_neq_f32_e32 vcc, v61, v63
	v_and_b32_e32 v62, 0xffff0000, v5
	v_cndmask_b32_e64 v87, 0, 1, s[4:5]
	s_and_b64 s[0:1], s[0:1], vcc
	;; [unrolled: 9-line block ×13, first 2 shown]
	v_cmp_gt_u32_e32 vcc, s12, v49
	v_cmp_neq_f32_e64 s[4:5], v51, v50
	v_cndmask_b32_e64 v110, 0, 1, s[0:1]
	v_cmp_gt_u32_e64 s[0:1], s12, v48
	s_and_b64 s[4:5], vcc, s[4:5]
	v_cmp_neq_f32_e32 vcc, v19, v51
	s_and_b64 s[0:1], s[0:1], vcc
	v_cndmask_b32_e64 v111, 0, 1, s[4:5]
	v_cndmask_b32_e64 v112, 0, 1, s[0:1]
	s_waitcnt lgkmcnt(0)
	s_barrier
	s_waitcnt lgkmcnt(0)
                                        ; implicit-def: $sgpr0_sgpr1
	s_and_saveexec_b64 s[4:5], s[2:3]
	s_cbranch_execz .LBB833_87
; %bb.86:
	v_add_u32_e32 v18, -2, v18
	ds_read_u16 v18, v18
	v_cmp_gt_u32_e32 vcc, s12, v28
	s_or_b64 s[10:11], s[10:11], exec
	s_waitcnt lgkmcnt(0)
	v_lshlrev_b32_e32 v18, 16, v18
	v_cmp_neq_f32_e64 s[0:1], v19, v18
	s_and_b64 s[0:1], vcc, s[0:1]
	s_and_b64 s[0:1], s[0:1], exec
.LBB833_87:
	s_or_b64 exec, exec, s[4:5]
	s_mov_b32 s6, 1
.LBB833_88:
	v_mov_b32_e32 v113, s6
	s_and_saveexec_b64 s[2:3], s[10:11]
; %bb.89:
	v_cndmask_b32_e64 v113, 0, 1, s[0:1]
; %bb.90:
	s_or_b64 exec, exec, s[2:3]
	s_andn2_b64 vcc, exec, s[8:9]
	s_cbranch_vccnz .LBB833_92
; %bb.91:
	v_cmp_gt_u32_e32 vcc, s12, v28
	s_nop 1
	v_cndmask_b32_e32 v113, 0, v113, vcc
	v_cmp_gt_u32_e32 vcc, s12, v48
	s_nop 1
	v_cndmask_b32_e32 v112, 0, v112, vcc
	;; [unrolled: 3-line block ×30, first 2 shown]
.LBB833_92:
	v_and_b32_e32 v63, 0xff, v87
	v_and_b32_e32 v65, 0xff, v86
	s_waitcnt vmcnt(0)
	v_add_u32_sdwa v18, v85, v84 dst_sel:DWORD dst_unused:UNUSED_PAD src0_sel:BYTE_0 src1_sel:BYTE_0
	v_and_b32_e32 v59, 0xff, v89
	v_and_b32_e32 v61, 0xff, v88
	v_add3_u32 v18, v18, v65, v63
	v_and_b32_e32 v55, 0xff, v91
	v_and_b32_e32 v57, 0xff, v90
	v_add3_u32 v18, v18, v61, v59
	v_and_b32_e32 v51, 0xff, v93
	v_and_b32_e32 v53, 0xff, v92
	v_add3_u32 v18, v18, v57, v55
	v_and_b32_e32 v47, 0xff, v95
	v_and_b32_e32 v49, 0xff, v94
	v_add3_u32 v18, v18, v53, v51
	v_and_b32_e32 v44, 0xff, v97
	v_and_b32_e32 v45, 0xff, v96
	v_add3_u32 v18, v18, v49, v47
	v_and_b32_e32 v42, 0xff, v99
	v_and_b32_e32 v43, 0xff, v98
	v_add3_u32 v18, v18, v45, v44
	v_and_b32_e32 v40, 0xff, v101
	v_and_b32_e32 v41, 0xff, v100
	v_add3_u32 v18, v18, v43, v42
	v_and_b32_e32 v38, 0xff, v103
	v_and_b32_e32 v39, 0xff, v102
	v_add3_u32 v18, v18, v41, v40
	v_and_b32_e32 v36, 0xff, v105
	v_and_b32_e32 v37, 0xff, v104
	v_add3_u32 v18, v18, v39, v38
	v_and_b32_e32 v34, 0xff, v107
	v_and_b32_e32 v35, 0xff, v106
	v_add3_u32 v18, v18, v37, v36
	v_and_b32_e32 v32, 0xff, v109
	v_and_b32_e32 v33, 0xff, v108
	v_add3_u32 v18, v18, v35, v34
	v_and_b32_e32 v30, 0xff, v111
	v_and_b32_e32 v31, 0xff, v110
	v_add3_u32 v18, v18, v33, v32
	v_and_b32_e32 v28, 0xff, v113
	v_and_b32_e32 v29, 0xff, v112
	v_add3_u32 v18, v18, v31, v30
	v_add3_u32 v50, v18, v29, v28
	v_mbcnt_lo_u32_b32 v18, -1, 0
	v_mbcnt_hi_u32_b32 v46, -1, v18
	v_and_b32_e32 v18, 15, v46
	v_cmp_eq_u32_e64 s[14:15], 0, v18
	v_cmp_lt_u32_e64 s[12:13], 1, v18
	v_cmp_lt_u32_e64 s[10:11], 3, v18
	;; [unrolled: 1-line block ×3, first 2 shown]
	v_and_b32_e32 v18, 16, v46
	v_cmp_eq_u32_e64 s[6:7], 0, v18
	v_or_b32_e32 v18, 63, v0
	v_cmp_lt_u32_e64 s[2:3], 31, v46
	v_lshrrev_b32_e32 v48, 6, v0
	v_cmp_eq_u32_e64 s[4:5], v18, v0
	s_and_b64 vcc, exec, s[16:17]
	s_waitcnt lgkmcnt(0)
	s_barrier
	s_cbranch_vccz .LBB833_123
; %bb.93:
	v_mov_b32_dpp v18, v50 row_shr:1 row_mask:0xf bank_mask:0xf
	v_cndmask_b32_e64 v18, v18, 0, s[14:15]
	v_add_u32_e32 v18, v18, v50
	s_nop 1
	v_mov_b32_dpp v19, v18 row_shr:2 row_mask:0xf bank_mask:0xf
	v_cndmask_b32_e64 v19, 0, v19, s[12:13]
	v_add_u32_e32 v18, v18, v19
	s_nop 1
	;; [unrolled: 4-line block ×4, first 2 shown]
	v_mov_b32_dpp v19, v18 row_bcast:15 row_mask:0xf bank_mask:0xf
	v_cndmask_b32_e64 v19, v19, 0, s[6:7]
	v_add_u32_e32 v18, v18, v19
	s_nop 1
	v_mov_b32_dpp v19, v18 row_bcast:31 row_mask:0xf bank_mask:0xf
	v_cndmask_b32_e64 v19, 0, v19, s[2:3]
	v_add_u32_e32 v18, v18, v19
	s_and_saveexec_b64 s[0:1], s[4:5]
	s_cbranch_execz .LBB833_95
; %bb.94:
	v_lshlrev_b32_e32 v19, 2, v48
	ds_write_b32 v19, v18
.LBB833_95:
	s_or_b64 exec, exec, s[0:1]
	v_cmp_gt_u32_e32 vcc, 8, v0
	s_waitcnt lgkmcnt(0)
	s_barrier
	s_and_saveexec_b64 s[0:1], vcc
	s_cbranch_execz .LBB833_97
; %bb.96:
	v_lshlrev_b32_e32 v19, 2, v0
	ds_read_b32 v20, v19
	v_and_b32_e32 v21, 7, v46
	v_cmp_ne_u32_e32 vcc, 0, v21
	s_waitcnt lgkmcnt(0)
	v_mov_b32_dpp v22, v20 row_shr:1 row_mask:0xf bank_mask:0xf
	v_cndmask_b32_e32 v22, 0, v22, vcc
	v_add_u32_e32 v20, v22, v20
	v_cmp_lt_u32_e32 vcc, 1, v21
	s_nop 0
	v_mov_b32_dpp v22, v20 row_shr:2 row_mask:0xf bank_mask:0xf
	v_cndmask_b32_e32 v22, 0, v22, vcc
	v_add_u32_e32 v20, v20, v22
	v_cmp_lt_u32_e32 vcc, 3, v21
	s_nop 0
	v_mov_b32_dpp v22, v20 row_shr:4 row_mask:0xf bank_mask:0xf
	v_cndmask_b32_e32 v21, 0, v22, vcc
	v_add_u32_e32 v20, v20, v21
	ds_write_b32 v19, v20
.LBB833_97:
	s_or_b64 exec, exec, s[0:1]
	v_cmp_gt_u32_e32 vcc, 64, v0
	v_cmp_lt_u32_e64 s[0:1], 63, v0
	s_waitcnt lgkmcnt(0)
	s_barrier
	s_waitcnt lgkmcnt(0)
                                        ; implicit-def: $vgpr52
	s_and_saveexec_b64 s[16:17], s[0:1]
	s_cbranch_execz .LBB833_99
; %bb.98:
	v_lshl_add_u32 v19, v48, 2, -4
	ds_read_b32 v52, v19
	s_waitcnt lgkmcnt(0)
	v_add_u32_e32 v18, v52, v18
.LBB833_99:
	s_or_b64 exec, exec, s[16:17]
	v_add_u32_e32 v19, -1, v46
	v_and_b32_e32 v20, 64, v46
	v_cmp_lt_i32_e64 s[0:1], v19, v20
	v_cmp_eq_u32_e64 s[16:17], 0, v46
	s_nop 0
	v_cndmask_b32_e64 v19, v19, v46, s[0:1]
	v_lshlrev_b32_e32 v19, 2, v19
	ds_bpermute_b32 v54, v19, v18
	s_and_saveexec_b64 s[0:1], vcc
	s_cbranch_execz .LBB833_122
; %bb.100:
	v_mov_b32_e32 v27, 0
	ds_read_b32 v18, v27 offset:28
	s_and_saveexec_b64 s[30:31], s[16:17]
	s_cbranch_execz .LBB833_102
; %bb.101:
	s_add_i32 s34, s33, 64
	s_mov_b32 s35, 0
	s_lshl_b64 s[34:35], s[34:35], 3
	s_add_u32 s34, s28, s34
	v_mov_b32_e32 v19, 1
	s_addc_u32 s35, s29, s35
	s_waitcnt lgkmcnt(0)
	global_store_dwordx2 v27, v[18:19], s[34:35] sc1
.LBB833_102:
	s_or_b64 exec, exec, s[30:31]
	v_xad_u32 v20, v46, -1, s33
	v_add_u32_e32 v26, 64, v20
	v_lshl_add_u64 v[22:23], v[26:27], 3, s[28:29]
	global_load_dwordx2 v[24:25], v[22:23], off sc1
	s_waitcnt vmcnt(0)
	v_cmp_eq_u16_sdwa s[34:35], v25, v27 src0_sel:BYTE_0 src1_sel:DWORD
	s_and_saveexec_b64 s[30:31], s[34:35]
	s_cbranch_execz .LBB833_108
; %bb.103:
	s_mov_b32 s36, 1
	s_mov_b64 s[34:35], 0
	v_mov_b32_e32 v19, 0
.LBB833_104:                            ; =>This Loop Header: Depth=1
                                        ;     Child Loop BB833_105 Depth 2
	s_max_u32 s37, s36, 1
.LBB833_105:                            ;   Parent Loop BB833_104 Depth=1
                                        ; =>  This Inner Loop Header: Depth=2
	s_add_i32 s37, s37, -1
	s_cmp_eq_u32 s37, 0
	s_sleep 1
	s_cbranch_scc0 .LBB833_105
; %bb.106:                              ;   in Loop: Header=BB833_104 Depth=1
	global_load_dwordx2 v[24:25], v[22:23], off sc1
	s_cmp_lt_u32 s36, 32
	s_cselect_b64 s[38:39], -1, 0
	s_cmp_lg_u64 s[38:39], 0
	s_addc_u32 s36, s36, 0
	s_waitcnt vmcnt(0)
	v_cmp_ne_u16_sdwa s[38:39], v25, v19 src0_sel:BYTE_0 src1_sel:DWORD
	s_or_b64 s[34:35], s[38:39], s[34:35]
	s_andn2_b64 exec, exec, s[34:35]
	s_cbranch_execnz .LBB833_104
; %bb.107:
	s_or_b64 exec, exec, s[34:35]
.LBB833_108:
	s_or_b64 exec, exec, s[30:31]
	v_and_b32_e32 v58, 63, v46
	v_mov_b32_e32 v56, 2
	v_cmp_ne_u32_e32 vcc, 63, v58
	v_cmp_eq_u16_sdwa s[30:31], v25, v56 src0_sel:BYTE_0 src1_sel:DWORD
	v_lshlrev_b64 v[22:23], v46, -1
	v_addc_co_u32_e32 v26, vcc, 0, v46, vcc
	v_and_b32_e32 v19, s31, v23
	v_lshlrev_b32_e32 v60, 2, v26
	v_or_b32_e32 v19, 0x80000000, v19
	ds_bpermute_b32 v26, v60, v24
	v_and_b32_e32 v21, s30, v22
	v_ffbl_b32_e32 v19, v19
	v_add_u32_e32 v19, 32, v19
	v_ffbl_b32_e32 v21, v21
	v_min_u32_e32 v19, v21, v19
	v_cmp_lt_u32_e32 vcc, v58, v19
	v_add_u32_e32 v64, 2, v58
	v_add_u32_e32 v67, 4, v58
	s_waitcnt lgkmcnt(0)
	v_cndmask_b32_e32 v21, 0, v26, vcc
	v_cmp_gt_u32_e32 vcc, 62, v58
	v_add_u32_e32 v21, v21, v24
	v_add_u32_e32 v69, 8, v58
	v_cndmask_b32_e64 v24, 0, 1, vcc
	v_lshlrev_b32_e32 v24, 1, v24
	v_add_lshl_u32 v62, v24, v46, 2
	ds_bpermute_b32 v24, v62, v21
	v_cmp_le_u32_e32 vcc, v64, v19
	v_add_u32_e32 v71, 16, v58
	v_add_u32_e32 v73, 32, v58
	s_waitcnt lgkmcnt(0)
	v_cndmask_b32_e32 v24, 0, v24, vcc
	v_cmp_gt_u32_e32 vcc, 60, v58
	v_add_u32_e32 v21, v21, v24
	s_nop 0
	v_cndmask_b32_e64 v24, 0, 1, vcc
	v_lshlrev_b32_e32 v24, 2, v24
	v_add_lshl_u32 v66, v24, v46, 2
	ds_bpermute_b32 v24, v66, v21
	v_cmp_le_u32_e32 vcc, v67, v19
	s_waitcnt lgkmcnt(0)
	s_nop 0
	v_cndmask_b32_e32 v24, 0, v24, vcc
	v_cmp_gt_u32_e32 vcc, 56, v58
	v_add_u32_e32 v21, v21, v24
	s_nop 0
	v_cndmask_b32_e64 v24, 0, 1, vcc
	v_lshlrev_b32_e32 v24, 3, v24
	v_add_lshl_u32 v68, v24, v46, 2
	ds_bpermute_b32 v24, v68, v21
	v_cmp_le_u32_e32 vcc, v69, v19
	s_waitcnt lgkmcnt(0)
	s_nop 0
	;; [unrolled: 11-line block ×4, first 2 shown]
	v_cndmask_b32_e32 v19, 0, v24, vcc
	v_add_u32_e32 v24, v21, v19
	v_mov_b32_e32 v21, 0
	s_branch .LBB833_110
.LBB833_109:                            ;   in Loop: Header=BB833_110 Depth=1
	s_or_b64 exec, exec, s[30:31]
	v_cmp_eq_u16_sdwa s[30:31], v25, v56 src0_sel:BYTE_0 src1_sel:DWORD
	ds_bpermute_b32 v74, v60, v24
	v_subrev_u32_e32 v20, 64, v20
	v_and_b32_e32 v26, s31, v23
	v_or_b32_e32 v26, 0x80000000, v26
	v_and_b32_e32 v27, s30, v22
	v_ffbl_b32_e32 v26, v26
	v_add_u32_e32 v26, 32, v26
	v_ffbl_b32_e32 v27, v27
	v_min_u32_e32 v26, v27, v26
	v_cmp_lt_u32_e32 vcc, v58, v26
	s_waitcnt lgkmcnt(0)
	s_nop 0
	v_cndmask_b32_e32 v27, 0, v74, vcc
	v_add_u32_e32 v24, v27, v24
	ds_bpermute_b32 v27, v62, v24
	v_cmp_le_u32_e32 vcc, v64, v26
	s_waitcnt lgkmcnt(0)
	s_nop 0
	v_cndmask_b32_e32 v27, 0, v27, vcc
	v_add_u32_e32 v24, v24, v27
	ds_bpermute_b32 v27, v66, v24
	v_cmp_le_u32_e32 vcc, v67, v26
	;; [unrolled: 6-line block ×5, first 2 shown]
	s_waitcnt lgkmcnt(0)
	s_nop 0
	v_cndmask_b32_e32 v26, 0, v27, vcc
	v_add3_u32 v24, v26, v19, v24
.LBB833_110:                            ; =>This Loop Header: Depth=1
                                        ;     Child Loop BB833_113 Depth 2
                                        ;       Child Loop BB833_114 Depth 3
	v_cmp_ne_u16_sdwa s[30:31], v25, v56 src0_sel:BYTE_0 src1_sel:DWORD
	s_nop 1
	v_cndmask_b32_e64 v19, 0, 1, s[30:31]
	;;#ASMSTART
	;;#ASMEND
	s_nop 0
	v_cmp_ne_u32_e32 vcc, 0, v19
	s_cmp_lg_u64 vcc, exec
	v_mov_b32_e32 v19, v24
	s_cbranch_scc1 .LBB833_117
; %bb.111:                              ;   in Loop: Header=BB833_110 Depth=1
	v_lshl_add_u64 v[26:27], v[20:21], 3, s[28:29]
	global_load_dwordx2 v[24:25], v[26:27], off sc1
	s_waitcnt vmcnt(0)
	v_cmp_eq_u16_sdwa s[34:35], v25, v21 src0_sel:BYTE_0 src1_sel:DWORD
	s_and_saveexec_b64 s[30:31], s[34:35]
	s_cbranch_execz .LBB833_109
; %bb.112:                              ;   in Loop: Header=BB833_110 Depth=1
	s_mov_b32 s36, 1
	s_mov_b64 s[34:35], 0
.LBB833_113:                            ;   Parent Loop BB833_110 Depth=1
                                        ; =>  This Loop Header: Depth=2
                                        ;       Child Loop BB833_114 Depth 3
	s_max_u32 s37, s36, 1
.LBB833_114:                            ;   Parent Loop BB833_110 Depth=1
                                        ;     Parent Loop BB833_113 Depth=2
                                        ; =>    This Inner Loop Header: Depth=3
	s_add_i32 s37, s37, -1
	s_cmp_eq_u32 s37, 0
	s_sleep 1
	s_cbranch_scc0 .LBB833_114
; %bb.115:                              ;   in Loop: Header=BB833_113 Depth=2
	global_load_dwordx2 v[24:25], v[26:27], off sc1
	s_cmp_lt_u32 s36, 32
	s_cselect_b64 s[38:39], -1, 0
	s_cmp_lg_u64 s[38:39], 0
	s_addc_u32 s36, s36, 0
	s_waitcnt vmcnt(0)
	v_cmp_ne_u16_sdwa s[38:39], v25, v21 src0_sel:BYTE_0 src1_sel:DWORD
	s_or_b64 s[34:35], s[38:39], s[34:35]
	s_andn2_b64 exec, exec, s[34:35]
	s_cbranch_execnz .LBB833_113
; %bb.116:                              ;   in Loop: Header=BB833_110 Depth=1
	s_or_b64 exec, exec, s[34:35]
	s_branch .LBB833_109
.LBB833_117:                            ;   in Loop: Header=BB833_110 Depth=1
                                        ; implicit-def: $vgpr24
                                        ; implicit-def: $vgpr25
	s_cbranch_execz .LBB833_110
; %bb.118:
	s_and_saveexec_b64 s[30:31], s[16:17]
	s_cbranch_execz .LBB833_120
; %bb.119:
	s_add_i32 s34, s33, 64
	s_mov_b32 s35, 0
	s_lshl_b64 s[34:35], s[34:35], 3
	s_add_u32 s34, s28, s34
	v_add_u32_e32 v20, v19, v18
	v_mov_b32_e32 v21, 2
	s_addc_u32 s35, s29, s35
	v_mov_b32_e32 v22, 0
	global_store_dwordx2 v22, v[20:21], s[34:35] sc1
	ds_write_b64 v22, v[18:19] offset:30720
.LBB833_120:
	s_or_b64 exec, exec, s[30:31]
	s_and_b64 exec, exec, s[18:19]
	s_cbranch_execz .LBB833_122
; %bb.121:
	v_mov_b32_e32 v18, 0
	ds_write_b32 v18, v19 offset:28
.LBB833_122:
	s_or_b64 exec, exec, s[0:1]
	v_mov_b32_e32 v18, 0
	s_waitcnt lgkmcnt(0)
	s_barrier
	ds_read_b32 v20, v18 offset:28
	s_waitcnt lgkmcnt(0)
	s_barrier
	ds_read_b64 v[18:19], v18 offset:30720
	v_cndmask_b32_e64 v21, v54, v52, s[16:17]
	v_cndmask_b32_e64 v21, v21, 0, s[18:19]
	v_add_u32_e32 v76, v20, v21
	s_waitcnt lgkmcnt(0)
	v_mov_b32_e32 v20, v19
	s_branch .LBB833_133
.LBB833_123:
                                        ; implicit-def: $vgpr20
                                        ; implicit-def: $vgpr18
                                        ; implicit-def: $vgpr76
	s_cbranch_execz .LBB833_133
; %bb.124:
	s_nop 0
	v_mov_b32_dpp v18, v50 row_shr:1 row_mask:0xf bank_mask:0xf
	v_cndmask_b32_e64 v18, v18, 0, s[14:15]
	v_add_u32_e32 v18, v18, v50
	s_nop 1
	v_mov_b32_dpp v19, v18 row_shr:2 row_mask:0xf bank_mask:0xf
	v_cndmask_b32_e64 v19, 0, v19, s[12:13]
	v_add_u32_e32 v18, v18, v19
	;; [unrolled: 4-line block ×4, first 2 shown]
	s_nop 1
	v_mov_b32_dpp v19, v18 row_bcast:15 row_mask:0xf bank_mask:0xf
	v_cndmask_b32_e64 v19, v19, 0, s[6:7]
	v_add_u32_e32 v18, v18, v19
	s_nop 1
	v_mov_b32_dpp v19, v18 row_bcast:31 row_mask:0xf bank_mask:0xf
	v_cndmask_b32_e64 v19, 0, v19, s[2:3]
	v_add_u32_e32 v18, v18, v19
	s_and_saveexec_b64 s[0:1], s[4:5]
	s_cbranch_execz .LBB833_126
; %bb.125:
	v_lshlrev_b32_e32 v19, 2, v48
	ds_write_b32 v19, v18
.LBB833_126:
	s_or_b64 exec, exec, s[0:1]
	v_cmp_gt_u32_e32 vcc, 8, v0
	s_waitcnt lgkmcnt(0)
	s_barrier
	s_and_saveexec_b64 s[0:1], vcc
	s_cbranch_execz .LBB833_128
; %bb.127:
	v_lshlrev_b32_e32 v19, 2, v0
	ds_read_b32 v20, v19
	v_and_b32_e32 v21, 7, v46
	v_cmp_ne_u32_e32 vcc, 0, v21
	s_waitcnt lgkmcnt(0)
	v_mov_b32_dpp v22, v20 row_shr:1 row_mask:0xf bank_mask:0xf
	v_cndmask_b32_e32 v22, 0, v22, vcc
	v_add_u32_e32 v20, v22, v20
	v_cmp_lt_u32_e32 vcc, 1, v21
	s_nop 0
	v_mov_b32_dpp v22, v20 row_shr:2 row_mask:0xf bank_mask:0xf
	v_cndmask_b32_e32 v22, 0, v22, vcc
	v_add_u32_e32 v20, v20, v22
	v_cmp_lt_u32_e32 vcc, 3, v21
	s_nop 0
	v_mov_b32_dpp v22, v20 row_shr:4 row_mask:0xf bank_mask:0xf
	v_cndmask_b32_e32 v21, 0, v22, vcc
	v_add_u32_e32 v20, v20, v21
	ds_write_b32 v19, v20
.LBB833_128:
	s_or_b64 exec, exec, s[0:1]
	v_cmp_lt_u32_e32 vcc, 63, v0
	v_mov_b32_e32 v19, 0
	v_mov_b32_e32 v20, 0
	s_waitcnt lgkmcnt(0)
	s_barrier
	s_and_saveexec_b64 s[0:1], vcc
	s_cbranch_execz .LBB833_130
; %bb.129:
	v_lshl_add_u32 v20, v48, 2, -4
	ds_read_b32 v20, v20
.LBB833_130:
	s_or_b64 exec, exec, s[0:1]
	v_add_u32_e32 v21, -1, v46
	v_and_b32_e32 v22, 64, v46
	v_cmp_lt_i32_e32 vcc, v21, v22
	s_waitcnt lgkmcnt(0)
	v_add_u32_e32 v18, v20, v18
	v_cndmask_b32_e32 v21, v21, v46, vcc
	v_lshlrev_b32_e32 v21, 2, v21
	ds_bpermute_b32 v21, v21, v18
	ds_read_b32 v18, v19 offset:28
	s_and_saveexec_b64 s[0:1], s[18:19]
	s_cbranch_execz .LBB833_132
; %bb.131:
	v_mov_b32_e32 v22, 0
	v_mov_b32_e32 v19, 2
	s_waitcnt lgkmcnt(0)
	global_store_dwordx2 v22, v[18:19], s[28:29] offset:512 sc1
.LBB833_132:
	s_or_b64 exec, exec, s[0:1]
	v_cmp_eq_u32_e32 vcc, 0, v46
	s_waitcnt lgkmcnt(0)
	s_barrier
	v_cndmask_b32_e32 v19, v21, v20, vcc
	v_mov_b32_e32 v20, 0
	v_cndmask_b32_e64 v76, v19, 0, s[18:19]
.LBB833_133:
	v_add_u32_e32 v80, v76, v28
	v_add_u32_e32 v78, v80, v29
	;; [unrolled: 1-line block ×27, first 2 shown]
	s_movk_i32 s0, 0x201
	v_add_u32_e32 v24, v26, v65
	v_cmp_gt_u32_e32 vcc, s0, v18
	v_add_u32_sdwa v22, v24, v85 dst_sel:DWORD dst_unused:UNUSED_PAD src0_sel:DWORD src1_sel:BYTE_0
	s_mov_b64 s[0:1], -1
	s_cbranch_vccnz .LBB833_137
; %bb.134:
	s_and_b64 vcc, exec, s[0:1]
	s_cbranch_vccnz .LBB833_228
.LBB833_135:
	s_and_b64 s[0:1], s[18:19], s[22:23]
	s_and_saveexec_b64 s[2:3], s[0:1]
	s_cbranch_execnz .LBB833_302
.LBB833_136:
	s_endpgm
.LBB833_137:
	v_add_u32_e32 v19, v20, v18
	v_lshlrev_b64 v[82:83], 1, v[8:9]
	v_cmp_lt_u32_e32 vcc, v76, v19
	v_lshl_add_u64 v[82:83], s[24:25], 0, v[82:83]
	s_or_b64 s[2:3], s[26:27], vcc
	s_and_saveexec_b64 s[0:1], s[2:3]
	s_cbranch_execz .LBB833_140
; %bb.138:
	v_and_b32_e32 v21, 1, v113
	v_cmp_eq_u32_e32 vcc, 1, v21
	s_and_b64 exec, exec, vcc
	s_cbranch_execz .LBB833_140
; %bb.139:
	v_mov_b32_e32 v77, 0
	v_lshl_add_u64 v[114:115], v[76:77], 1, v[82:83]
	global_store_short v[114:115], v16, off
.LBB833_140:
	s_or_b64 exec, exec, s[0:1]
	v_cmp_lt_u32_e32 vcc, v80, v19
	s_or_b64 s[2:3], s[26:27], vcc
	s_and_saveexec_b64 s[0:1], s[2:3]
	s_cbranch_execz .LBB833_143
; %bb.141:
	v_and_b32_e32 v21, 1, v112
	v_cmp_eq_u32_e32 vcc, 1, v21
	s_and_b64 exec, exec, vcc
	s_cbranch_execz .LBB833_143
; %bb.142:
	v_mov_b32_e32 v81, 0
	v_lshl_add_u64 v[114:115], v[80:81], 1, v[82:83]
	global_store_short_d16_hi v[114:115], v16, off
.LBB833_143:
	s_or_b64 exec, exec, s[0:1]
	v_cmp_lt_u32_e32 vcc, v78, v19
	s_or_b64 s[2:3], s[26:27], vcc
	s_and_saveexec_b64 s[0:1], s[2:3]
	s_cbranch_execz .LBB833_146
; %bb.144:
	v_and_b32_e32 v21, 1, v111
	v_cmp_eq_u32_e32 vcc, 1, v21
	s_and_b64 exec, exec, vcc
	s_cbranch_execz .LBB833_146
; %bb.145:
	v_mov_b32_e32 v79, 0
	v_lshl_add_u64 v[114:115], v[78:79], 1, v[82:83]
	global_store_short v[114:115], v17, off
.LBB833_146:
	s_or_b64 exec, exec, s[0:1]
	v_cmp_lt_u32_e32 vcc, v74, v19
	s_or_b64 s[2:3], s[26:27], vcc
	s_and_saveexec_b64 s[0:1], s[2:3]
	s_cbranch_execz .LBB833_149
; %bb.147:
	v_and_b32_e32 v21, 1, v110
	v_cmp_eq_u32_e32 vcc, 1, v21
	s_and_b64 exec, exec, vcc
	s_cbranch_execz .LBB833_149
; %bb.148:
	v_mov_b32_e32 v75, 0
	v_lshl_add_u64 v[114:115], v[74:75], 1, v[82:83]
	global_store_short_d16_hi v[114:115], v17, off
.LBB833_149:
	s_or_b64 exec, exec, s[0:1]
	v_cmp_lt_u32_e32 vcc, v72, v19
	;; [unrolled: 30-line block ×14, first 2 shown]
	s_or_b64 s[2:3], s[26:27], vcc
	s_and_saveexec_b64 s[0:1], s[2:3]
	s_cbranch_execz .LBB833_224
; %bb.222:
	v_and_b32_e32 v21, 1, v85
	v_cmp_eq_u32_e32 vcc, 1, v21
	s_and_b64 exec, exec, vcc
	s_cbranch_execz .LBB833_224
; %bb.223:
	v_mov_b32_e32 v25, 0
	v_lshl_add_u64 v[114:115], v[24:25], 1, v[82:83]
	global_store_short v[114:115], v1, off
.LBB833_224:
	s_or_b64 exec, exec, s[0:1]
	v_cmp_lt_u32_e32 vcc, v22, v19
	s_or_b64 s[2:3], s[26:27], vcc
	s_and_saveexec_b64 s[0:1], s[2:3]
	s_cbranch_execz .LBB833_227
; %bb.225:
	v_and_b32_e32 v19, 1, v84
	v_cmp_eq_u32_e32 vcc, 1, v19
	s_and_b64 exec, exec, vcc
	s_cbranch_execz .LBB833_227
; %bb.226:
	v_mov_b32_e32 v23, 0
	v_lshl_add_u64 v[82:83], v[22:23], 1, v[82:83]
	global_store_short_d16_hi v[82:83], v1, off
.LBB833_227:
	s_or_b64 exec, exec, s[0:1]
	s_branch .LBB833_135
.LBB833_228:
	v_and_b32_e32 v19, 1, v113
	v_cmp_eq_u32_e32 vcc, 1, v19
	s_and_saveexec_b64 s[0:1], vcc
	s_cbranch_execz .LBB833_230
; %bb.229:
	v_sub_u32_e32 v19, v76, v20
	v_lshlrev_b32_e32 v19, 1, v19
	ds_write_b16 v19, v16
.LBB833_230:
	s_or_b64 exec, exec, s[0:1]
	v_and_b32_e32 v19, 1, v112
	v_cmp_eq_u32_e32 vcc, 1, v19
	s_and_saveexec_b64 s[0:1], vcc
	s_cbranch_execz .LBB833_232
; %bb.231:
	v_sub_u32_e32 v19, v80, v20
	v_lshlrev_b32_e32 v19, 1, v19
	ds_write_b16_d16_hi v19, v16
.LBB833_232:
	s_or_b64 exec, exec, s[0:1]
	v_and_b32_e32 v16, 1, v111
	v_cmp_eq_u32_e32 vcc, 1, v16
	s_and_saveexec_b64 s[0:1], vcc
	s_cbranch_execz .LBB833_234
; %bb.233:
	v_sub_u32_e32 v16, v78, v20
	v_lshlrev_b32_e32 v16, 1, v16
	ds_write_b16 v16, v17
.LBB833_234:
	s_or_b64 exec, exec, s[0:1]
	v_and_b32_e32 v16, 1, v110
	v_cmp_eq_u32_e32 vcc, 1, v16
	s_and_saveexec_b64 s[0:1], vcc
	s_cbranch_execz .LBB833_236
; %bb.235:
	v_sub_u32_e32 v16, v74, v20
	v_lshlrev_b32_e32 v16, 1, v16
	ds_write_b16_d16_hi v16, v17
.LBB833_236:
	s_or_b64 exec, exec, s[0:1]
	;; [unrolled: 20-line block ×15, first 2 shown]
	v_cmp_lt_u32_e32 vcc, v0, v18
	s_waitcnt lgkmcnt(0)
	s_barrier
	s_and_saveexec_b64 s[0:1], vcc
	s_cbranch_execz .LBB833_301
; %bb.289:
	v_mov_b32_e32 v21, 0
	v_lshlrev_b64 v[2:3], 1, v[8:9]
	v_lshl_add_u64 v[2:3], s[24:25], 0, v[2:3]
	v_lshlrev_b64 v[4:5], 1, v[20:21]
	v_xad_u32 v1, v0, -1, v18
	s_movk_i32 s2, 0x5ff
	v_lshl_add_u64 v[10:11], v[2:3], 0, v[4:5]
	v_cmp_lt_u32_e32 vcc, s2, v1
	s_mov_b64 s[4:5], -1
	s_and_saveexec_b64 s[2:3], vcc
	s_cbranch_execz .LBB833_298
; %bb.290:
	v_lshrrev_b32_e32 v14, 9, v1
	v_add_u32_e32 v4, -3, v14
	v_or_b32_e32 v3, 0x600, v0
	v_or_b32_e32 v2, 0x400, v0
	v_lshrrev_b32_e32 v5, 2, v4
	v_or_b32_e32 v1, 0x200, v0
	v_add_u32_e32 v16, 1, v5
	v_cmp_lt_u32_e32 vcc, 11, v4
	v_mov_b64_e32 v[6:7], v[2:3]
	v_lshlrev_b32_e32 v15, 1, v0
	v_mov_b64_e32 v[4:5], v[0:1]
	s_and_saveexec_b64 s[4:5], vcc
	s_cbranch_execz .LBB833_294
; %bb.291:
	v_mov_b64_e32 v[6:7], v[2:3]
	v_and_b32_e32 v17, 0x7ffffffc, v16
	s_mov_b32 s8, 0
	s_mov_b64 s[6:7], 0
	v_mov_b32_e32 v13, 0
	v_mov_b32_e32 v19, v15
	v_mov_b64_e32 v[4:5], v[0:1]
.LBB833_292:                            ; =>This Inner Loop Header: Depth=1
	v_mov_b32_e32 v12, v4
	ds_read_u16 v1, v19
	ds_read_u16 v46, v19 offset:1024
	ds_read_u16 v47, v19 offset:2048
	;; [unrolled: 1-line block ×7, first 2 shown]
	v_lshl_add_u64 v[38:39], v[12:13], 1, v[10:11]
	v_mov_b32_e32 v12, v5
	v_lshl_add_u64 v[40:41], v[12:13], 1, v[10:11]
	v_mov_b32_e32 v12, v6
	ds_read_u16 v53, v19 offset:8192
	ds_read_u16 v54, v19 offset:9216
	;; [unrolled: 1-line block ×8, first 2 shown]
	v_lshl_add_u64 v[42:43], v[12:13], 1, v[10:11]
	v_mov_b32_e32 v12, v7
	v_add_u32_e32 v2, 0x800, v7
	v_mov_b32_e32 v3, v13
	v_lshl_add_u64 v[44:45], v[12:13], 1, v[10:11]
	v_add_u32_e32 v12, 0x800, v4
	v_add_u32_e32 v22, 0x800, v6
	;; [unrolled: 1-line block ×3, first 2 shown]
	v_mov_b32_e32 v25, v13
	v_mov_b32_e32 v23, v13
	v_add_u32_e32 v17, -4, v17
	v_lshl_add_u64 v[2:3], v[2:3], 1, v[10:11]
	s_waitcnt lgkmcnt(14)
	global_store_short v[38:39], v1, off
	global_store_short v[40:41], v46, off
	s_waitcnt lgkmcnt(13)
	global_store_short v[42:43], v47, off
	s_waitcnt lgkmcnt(12)
	global_store_short v[44:45], v48, off
	v_lshl_add_u64 v[38:39], v[12:13], 1, v[10:11]
	v_add_u32_e32 v12, 0x1000, v4
	v_add_u32_e32 v26, 0x1000, v7
	;; [unrolled: 1-line block ×4, first 2 shown]
	v_mov_b32_e32 v31, v13
	v_mov_b32_e32 v29, v13
	;; [unrolled: 1-line block ×3, first 2 shown]
	s_add_i32 s8, s8, 16
	v_lshl_add_u64 v[24:25], v[24:25], 1, v[10:11]
	v_lshl_add_u64 v[22:23], v[22:23], 1, v[10:11]
	v_cmp_eq_u32_e32 vcc, 0, v17
	s_waitcnt lgkmcnt(11)
	global_store_short v[38:39], v49, off
	s_waitcnt lgkmcnt(10)
	global_store_short v[24:25], v50, off
	;; [unrolled: 2-line block ×4, first 2 shown]
	v_lshl_add_u64 v[2:3], v[12:13], 1, v[10:11]
	v_add_u32_e32 v12, 0x1800, v4
	v_add_u32_e32 v32, 0x1800, v7
	;; [unrolled: 1-line block ×4, first 2 shown]
	v_mov_b32_e32 v37, v13
	v_mov_b32_e32 v35, v13
	;; [unrolled: 1-line block ×3, first 2 shown]
	v_add_u32_e32 v19, 0x4000, v19
	v_lshl_add_u64 v[30:31], v[30:31], 1, v[10:11]
	v_lshl_add_u64 v[28:29], v[28:29], 1, v[10:11]
	;; [unrolled: 1-line block ×3, first 2 shown]
	v_add_u32_e32 v5, 0x2000, v5
	v_mov_b32_e32 v21, s8
	v_add_u32_e32 v6, 0x2000, v6
	s_or_b64 s[6:7], vcc, s[6:7]
	v_add_u32_e32 v7, 0x2000, v7
	v_add_u32_e32 v4, 0x2000, v4
	s_waitcnt lgkmcnt(7)
	global_store_short v[2:3], v53, off
	s_waitcnt lgkmcnt(6)
	global_store_short v[30:31], v54, off
	;; [unrolled: 2-line block ×4, first 2 shown]
	v_lshl_add_u64 v[2:3], v[12:13], 1, v[10:11]
	v_lshl_add_u64 v[36:37], v[36:37], 1, v[10:11]
	;; [unrolled: 1-line block ×4, first 2 shown]
	s_waitcnt lgkmcnt(3)
	global_store_short v[2:3], v57, off
	s_waitcnt lgkmcnt(2)
	global_store_short v[36:37], v58, off
	;; [unrolled: 2-line block ×4, first 2 shown]
	s_andn2_b64 exec, exec, s[6:7]
	s_cbranch_execnz .LBB833_292
; %bb.293:
	s_or_b64 exec, exec, s[6:7]
.LBB833_294:
	s_or_b64 exec, exec, s[4:5]
	v_and_b32_e32 v1, 3, v16
	v_cmp_ne_u32_e32 vcc, 0, v1
	s_and_saveexec_b64 s[4:5], vcc
	s_cbranch_execz .LBB833_297
; %bb.295:
	v_lshl_or_b32 v12, v21, 10, v15
	s_mov_b64 s[6:7], 0
	v_mov_b32_e32 v3, 0
.LBB833_296:                            ; =>This Inner Loop Header: Depth=1
	ds_read_u16 v13, v12
	ds_read_u16 v15, v12 offset:1024
	ds_read_u16 v19, v12 offset:2048
	ds_read_u16 v21, v12 offset:3072
	v_mov_b32_e32 v2, v4
	v_add_u32_e32 v1, -1, v1
	v_lshl_add_u64 v[16:17], v[2:3], 1, v[10:11]
	v_mov_b32_e32 v2, v5
	v_cmp_eq_u32_e32 vcc, 0, v1
	v_lshl_add_u64 v[22:23], v[2:3], 1, v[10:11]
	v_mov_b32_e32 v2, v6
	v_add_u32_e32 v4, 0x800, v4
	v_add_u32_e32 v12, 0x1000, v12
	;; [unrolled: 1-line block ×4, first 2 shown]
	s_or_b64 s[6:7], vcc, s[6:7]
	v_lshl_add_u64 v[24:25], v[2:3], 1, v[10:11]
	v_mov_b32_e32 v2, v7
	v_add_u32_e32 v7, 0x800, v7
	v_lshl_add_u64 v[26:27], v[2:3], 1, v[10:11]
	s_waitcnt lgkmcnt(3)
	global_store_short v[16:17], v13, off
	s_waitcnt lgkmcnt(2)
	global_store_short v[22:23], v15, off
	;; [unrolled: 2-line block ×4, first 2 shown]
	s_andn2_b64 exec, exec, s[6:7]
	s_cbranch_execnz .LBB833_296
.LBB833_297:
	s_or_b64 exec, exec, s[4:5]
	v_add_u32_e32 v1, 1, v14
	v_and_b32_e32 v2, 0xfffffc, v1
	v_cmp_ne_u32_e32 vcc, v1, v2
	v_lshl_or_b32 v0, v2, 9, v0
	s_orn2_b64 s[4:5], vcc, exec
.LBB833_298:
	s_or_b64 exec, exec, s[2:3]
	s_and_b64 exec, exec, s[4:5]
	s_cbranch_execz .LBB833_301
; %bb.299:
	v_lshlrev_b32_e32 v2, 1, v0
	s_mov_b64 s[2:3], 0
	v_mov_b32_e32 v1, 0
.LBB833_300:                            ; =>This Inner Loop Header: Depth=1
	ds_read_u16 v3, v2
	v_lshl_add_u64 v[4:5], v[0:1], 1, v[10:11]
	v_add_u32_e32 v0, 0x200, v0
	v_cmp_ge_u32_e32 vcc, v0, v18
	v_add_u32_e32 v2, 0x400, v2
	s_or_b64 s[2:3], vcc, s[2:3]
	s_waitcnt lgkmcnt(0)
	global_store_short v[4:5], v3, off
	s_andn2_b64 exec, exec, s[2:3]
	s_cbranch_execnz .LBB833_300
.LBB833_301:
	s_or_b64 exec, exec, s[0:1]
	s_and_b64 s[0:1], s[18:19], s[22:23]
	s_and_saveexec_b64 s[2:3], s[0:1]
	s_cbranch_execz .LBB833_136
.LBB833_302:
	v_mov_b32_e32 v19, 0
	v_lshl_add_u64 v[0:1], v[8:9], 0, v[18:19]
	v_mov_b32_e32 v21, v19
	v_lshl_add_u64 v[0:1], v[0:1], 0, v[20:21]
	global_store_dwordx2 v19, v[0:1], s[20:21]
	s_endpgm
	.section	.rodata,"a",@progbits
	.p2align	6, 0x0
	.amdhsa_kernel _ZN7rocprim17ROCPRIM_400000_NS6detail17trampoline_kernelINS0_14default_configENS1_25partition_config_selectorILNS1_17partition_subalgoE8EN3c108BFloat16ENS0_10empty_typeEbEEZZNS1_14partition_implILS5_8ELb0ES3_jPKS7_PS8_PKS8_NS0_5tupleIJPS7_S8_EEENSG_IJSD_SD_EEENS0_18inequality_wrapperIN6hipcub16HIPCUB_304000_NS8EqualityEEEPlJS8_EEE10hipError_tPvRmT3_T4_T5_T6_T7_T9_mT8_P12ihipStream_tbDpT10_ENKUlT_T0_E_clISt17integral_constantIbLb1EES19_EEDaS14_S15_EUlS14_E_NS1_11comp_targetILNS1_3genE5ELNS1_11target_archE942ELNS1_3gpuE9ELNS1_3repE0EEENS1_30default_config_static_selectorELNS0_4arch9wavefront6targetE1EEEvT1_
		.amdhsa_group_segment_fixed_size 30728
		.amdhsa_private_segment_fixed_size 0
		.amdhsa_kernarg_size 128
		.amdhsa_user_sgpr_count 2
		.amdhsa_user_sgpr_dispatch_ptr 0
		.amdhsa_user_sgpr_queue_ptr 0
		.amdhsa_user_sgpr_kernarg_segment_ptr 1
		.amdhsa_user_sgpr_dispatch_id 0
		.amdhsa_user_sgpr_kernarg_preload_length 0
		.amdhsa_user_sgpr_kernarg_preload_offset 0
		.amdhsa_user_sgpr_private_segment_size 0
		.amdhsa_uses_dynamic_stack 0
		.amdhsa_enable_private_segment 0
		.amdhsa_system_sgpr_workgroup_id_x 1
		.amdhsa_system_sgpr_workgroup_id_y 0
		.amdhsa_system_sgpr_workgroup_id_z 0
		.amdhsa_system_sgpr_workgroup_info 0
		.amdhsa_system_vgpr_workitem_id 0
		.amdhsa_next_free_vgpr 116
		.amdhsa_next_free_sgpr 40
		.amdhsa_accum_offset 116
		.amdhsa_reserve_vcc 1
		.amdhsa_float_round_mode_32 0
		.amdhsa_float_round_mode_16_64 0
		.amdhsa_float_denorm_mode_32 3
		.amdhsa_float_denorm_mode_16_64 3
		.amdhsa_dx10_clamp 1
		.amdhsa_ieee_mode 1
		.amdhsa_fp16_overflow 0
		.amdhsa_tg_split 0
		.amdhsa_exception_fp_ieee_invalid_op 0
		.amdhsa_exception_fp_denorm_src 0
		.amdhsa_exception_fp_ieee_div_zero 0
		.amdhsa_exception_fp_ieee_overflow 0
		.amdhsa_exception_fp_ieee_underflow 0
		.amdhsa_exception_fp_ieee_inexact 0
		.amdhsa_exception_int_div_zero 0
	.end_amdhsa_kernel
	.section	.text._ZN7rocprim17ROCPRIM_400000_NS6detail17trampoline_kernelINS0_14default_configENS1_25partition_config_selectorILNS1_17partition_subalgoE8EN3c108BFloat16ENS0_10empty_typeEbEEZZNS1_14partition_implILS5_8ELb0ES3_jPKS7_PS8_PKS8_NS0_5tupleIJPS7_S8_EEENSG_IJSD_SD_EEENS0_18inequality_wrapperIN6hipcub16HIPCUB_304000_NS8EqualityEEEPlJS8_EEE10hipError_tPvRmT3_T4_T5_T6_T7_T9_mT8_P12ihipStream_tbDpT10_ENKUlT_T0_E_clISt17integral_constantIbLb1EES19_EEDaS14_S15_EUlS14_E_NS1_11comp_targetILNS1_3genE5ELNS1_11target_archE942ELNS1_3gpuE9ELNS1_3repE0EEENS1_30default_config_static_selectorELNS0_4arch9wavefront6targetE1EEEvT1_,"axG",@progbits,_ZN7rocprim17ROCPRIM_400000_NS6detail17trampoline_kernelINS0_14default_configENS1_25partition_config_selectorILNS1_17partition_subalgoE8EN3c108BFloat16ENS0_10empty_typeEbEEZZNS1_14partition_implILS5_8ELb0ES3_jPKS7_PS8_PKS8_NS0_5tupleIJPS7_S8_EEENSG_IJSD_SD_EEENS0_18inequality_wrapperIN6hipcub16HIPCUB_304000_NS8EqualityEEEPlJS8_EEE10hipError_tPvRmT3_T4_T5_T6_T7_T9_mT8_P12ihipStream_tbDpT10_ENKUlT_T0_E_clISt17integral_constantIbLb1EES19_EEDaS14_S15_EUlS14_E_NS1_11comp_targetILNS1_3genE5ELNS1_11target_archE942ELNS1_3gpuE9ELNS1_3repE0EEENS1_30default_config_static_selectorELNS0_4arch9wavefront6targetE1EEEvT1_,comdat
.Lfunc_end833:
	.size	_ZN7rocprim17ROCPRIM_400000_NS6detail17trampoline_kernelINS0_14default_configENS1_25partition_config_selectorILNS1_17partition_subalgoE8EN3c108BFloat16ENS0_10empty_typeEbEEZZNS1_14partition_implILS5_8ELb0ES3_jPKS7_PS8_PKS8_NS0_5tupleIJPS7_S8_EEENSG_IJSD_SD_EEENS0_18inequality_wrapperIN6hipcub16HIPCUB_304000_NS8EqualityEEEPlJS8_EEE10hipError_tPvRmT3_T4_T5_T6_T7_T9_mT8_P12ihipStream_tbDpT10_ENKUlT_T0_E_clISt17integral_constantIbLb1EES19_EEDaS14_S15_EUlS14_E_NS1_11comp_targetILNS1_3genE5ELNS1_11target_archE942ELNS1_3gpuE9ELNS1_3repE0EEENS1_30default_config_static_selectorELNS0_4arch9wavefront6targetE1EEEvT1_, .Lfunc_end833-_ZN7rocprim17ROCPRIM_400000_NS6detail17trampoline_kernelINS0_14default_configENS1_25partition_config_selectorILNS1_17partition_subalgoE8EN3c108BFloat16ENS0_10empty_typeEbEEZZNS1_14partition_implILS5_8ELb0ES3_jPKS7_PS8_PKS8_NS0_5tupleIJPS7_S8_EEENSG_IJSD_SD_EEENS0_18inequality_wrapperIN6hipcub16HIPCUB_304000_NS8EqualityEEEPlJS8_EEE10hipError_tPvRmT3_T4_T5_T6_T7_T9_mT8_P12ihipStream_tbDpT10_ENKUlT_T0_E_clISt17integral_constantIbLb1EES19_EEDaS14_S15_EUlS14_E_NS1_11comp_targetILNS1_3genE5ELNS1_11target_archE942ELNS1_3gpuE9ELNS1_3repE0EEENS1_30default_config_static_selectorELNS0_4arch9wavefront6targetE1EEEvT1_
                                        ; -- End function
	.section	.AMDGPU.csdata,"",@progbits
; Kernel info:
; codeLenInByte = 13396
; NumSgprs: 46
; NumVgprs: 116
; NumAgprs: 0
; TotalNumVgprs: 116
; ScratchSize: 0
; MemoryBound: 0
; FloatMode: 240
; IeeeMode: 1
; LDSByteSize: 30728 bytes/workgroup (compile time only)
; SGPRBlocks: 5
; VGPRBlocks: 14
; NumSGPRsForWavesPerEU: 46
; NumVGPRsForWavesPerEU: 116
; AccumOffset: 116
; Occupancy: 4
; WaveLimiterHint : 1
; COMPUTE_PGM_RSRC2:SCRATCH_EN: 0
; COMPUTE_PGM_RSRC2:USER_SGPR: 2
; COMPUTE_PGM_RSRC2:TRAP_HANDLER: 0
; COMPUTE_PGM_RSRC2:TGID_X_EN: 1
; COMPUTE_PGM_RSRC2:TGID_Y_EN: 0
; COMPUTE_PGM_RSRC2:TGID_Z_EN: 0
; COMPUTE_PGM_RSRC2:TIDIG_COMP_CNT: 0
; COMPUTE_PGM_RSRC3_GFX90A:ACCUM_OFFSET: 28
; COMPUTE_PGM_RSRC3_GFX90A:TG_SPLIT: 0
	.section	.text._ZN7rocprim17ROCPRIM_400000_NS6detail17trampoline_kernelINS0_14default_configENS1_25partition_config_selectorILNS1_17partition_subalgoE8EN3c108BFloat16ENS0_10empty_typeEbEEZZNS1_14partition_implILS5_8ELb0ES3_jPKS7_PS8_PKS8_NS0_5tupleIJPS7_S8_EEENSG_IJSD_SD_EEENS0_18inequality_wrapperIN6hipcub16HIPCUB_304000_NS8EqualityEEEPlJS8_EEE10hipError_tPvRmT3_T4_T5_T6_T7_T9_mT8_P12ihipStream_tbDpT10_ENKUlT_T0_E_clISt17integral_constantIbLb1EES19_EEDaS14_S15_EUlS14_E_NS1_11comp_targetILNS1_3genE4ELNS1_11target_archE910ELNS1_3gpuE8ELNS1_3repE0EEENS1_30default_config_static_selectorELNS0_4arch9wavefront6targetE1EEEvT1_,"axG",@progbits,_ZN7rocprim17ROCPRIM_400000_NS6detail17trampoline_kernelINS0_14default_configENS1_25partition_config_selectorILNS1_17partition_subalgoE8EN3c108BFloat16ENS0_10empty_typeEbEEZZNS1_14partition_implILS5_8ELb0ES3_jPKS7_PS8_PKS8_NS0_5tupleIJPS7_S8_EEENSG_IJSD_SD_EEENS0_18inequality_wrapperIN6hipcub16HIPCUB_304000_NS8EqualityEEEPlJS8_EEE10hipError_tPvRmT3_T4_T5_T6_T7_T9_mT8_P12ihipStream_tbDpT10_ENKUlT_T0_E_clISt17integral_constantIbLb1EES19_EEDaS14_S15_EUlS14_E_NS1_11comp_targetILNS1_3genE4ELNS1_11target_archE910ELNS1_3gpuE8ELNS1_3repE0EEENS1_30default_config_static_selectorELNS0_4arch9wavefront6targetE1EEEvT1_,comdat
	.protected	_ZN7rocprim17ROCPRIM_400000_NS6detail17trampoline_kernelINS0_14default_configENS1_25partition_config_selectorILNS1_17partition_subalgoE8EN3c108BFloat16ENS0_10empty_typeEbEEZZNS1_14partition_implILS5_8ELb0ES3_jPKS7_PS8_PKS8_NS0_5tupleIJPS7_S8_EEENSG_IJSD_SD_EEENS0_18inequality_wrapperIN6hipcub16HIPCUB_304000_NS8EqualityEEEPlJS8_EEE10hipError_tPvRmT3_T4_T5_T6_T7_T9_mT8_P12ihipStream_tbDpT10_ENKUlT_T0_E_clISt17integral_constantIbLb1EES19_EEDaS14_S15_EUlS14_E_NS1_11comp_targetILNS1_3genE4ELNS1_11target_archE910ELNS1_3gpuE8ELNS1_3repE0EEENS1_30default_config_static_selectorELNS0_4arch9wavefront6targetE1EEEvT1_ ; -- Begin function _ZN7rocprim17ROCPRIM_400000_NS6detail17trampoline_kernelINS0_14default_configENS1_25partition_config_selectorILNS1_17partition_subalgoE8EN3c108BFloat16ENS0_10empty_typeEbEEZZNS1_14partition_implILS5_8ELb0ES3_jPKS7_PS8_PKS8_NS0_5tupleIJPS7_S8_EEENSG_IJSD_SD_EEENS0_18inequality_wrapperIN6hipcub16HIPCUB_304000_NS8EqualityEEEPlJS8_EEE10hipError_tPvRmT3_T4_T5_T6_T7_T9_mT8_P12ihipStream_tbDpT10_ENKUlT_T0_E_clISt17integral_constantIbLb1EES19_EEDaS14_S15_EUlS14_E_NS1_11comp_targetILNS1_3genE4ELNS1_11target_archE910ELNS1_3gpuE8ELNS1_3repE0EEENS1_30default_config_static_selectorELNS0_4arch9wavefront6targetE1EEEvT1_
	.globl	_ZN7rocprim17ROCPRIM_400000_NS6detail17trampoline_kernelINS0_14default_configENS1_25partition_config_selectorILNS1_17partition_subalgoE8EN3c108BFloat16ENS0_10empty_typeEbEEZZNS1_14partition_implILS5_8ELb0ES3_jPKS7_PS8_PKS8_NS0_5tupleIJPS7_S8_EEENSG_IJSD_SD_EEENS0_18inequality_wrapperIN6hipcub16HIPCUB_304000_NS8EqualityEEEPlJS8_EEE10hipError_tPvRmT3_T4_T5_T6_T7_T9_mT8_P12ihipStream_tbDpT10_ENKUlT_T0_E_clISt17integral_constantIbLb1EES19_EEDaS14_S15_EUlS14_E_NS1_11comp_targetILNS1_3genE4ELNS1_11target_archE910ELNS1_3gpuE8ELNS1_3repE0EEENS1_30default_config_static_selectorELNS0_4arch9wavefront6targetE1EEEvT1_
	.p2align	8
	.type	_ZN7rocprim17ROCPRIM_400000_NS6detail17trampoline_kernelINS0_14default_configENS1_25partition_config_selectorILNS1_17partition_subalgoE8EN3c108BFloat16ENS0_10empty_typeEbEEZZNS1_14partition_implILS5_8ELb0ES3_jPKS7_PS8_PKS8_NS0_5tupleIJPS7_S8_EEENSG_IJSD_SD_EEENS0_18inequality_wrapperIN6hipcub16HIPCUB_304000_NS8EqualityEEEPlJS8_EEE10hipError_tPvRmT3_T4_T5_T6_T7_T9_mT8_P12ihipStream_tbDpT10_ENKUlT_T0_E_clISt17integral_constantIbLb1EES19_EEDaS14_S15_EUlS14_E_NS1_11comp_targetILNS1_3genE4ELNS1_11target_archE910ELNS1_3gpuE8ELNS1_3repE0EEENS1_30default_config_static_selectorELNS0_4arch9wavefront6targetE1EEEvT1_,@function
_ZN7rocprim17ROCPRIM_400000_NS6detail17trampoline_kernelINS0_14default_configENS1_25partition_config_selectorILNS1_17partition_subalgoE8EN3c108BFloat16ENS0_10empty_typeEbEEZZNS1_14partition_implILS5_8ELb0ES3_jPKS7_PS8_PKS8_NS0_5tupleIJPS7_S8_EEENSG_IJSD_SD_EEENS0_18inequality_wrapperIN6hipcub16HIPCUB_304000_NS8EqualityEEEPlJS8_EEE10hipError_tPvRmT3_T4_T5_T6_T7_T9_mT8_P12ihipStream_tbDpT10_ENKUlT_T0_E_clISt17integral_constantIbLb1EES19_EEDaS14_S15_EUlS14_E_NS1_11comp_targetILNS1_3genE4ELNS1_11target_archE910ELNS1_3gpuE8ELNS1_3repE0EEENS1_30default_config_static_selectorELNS0_4arch9wavefront6targetE1EEEvT1_: ; @_ZN7rocprim17ROCPRIM_400000_NS6detail17trampoline_kernelINS0_14default_configENS1_25partition_config_selectorILNS1_17partition_subalgoE8EN3c108BFloat16ENS0_10empty_typeEbEEZZNS1_14partition_implILS5_8ELb0ES3_jPKS7_PS8_PKS8_NS0_5tupleIJPS7_S8_EEENSG_IJSD_SD_EEENS0_18inequality_wrapperIN6hipcub16HIPCUB_304000_NS8EqualityEEEPlJS8_EEE10hipError_tPvRmT3_T4_T5_T6_T7_T9_mT8_P12ihipStream_tbDpT10_ENKUlT_T0_E_clISt17integral_constantIbLb1EES19_EEDaS14_S15_EUlS14_E_NS1_11comp_targetILNS1_3genE4ELNS1_11target_archE910ELNS1_3gpuE8ELNS1_3repE0EEENS1_30default_config_static_selectorELNS0_4arch9wavefront6targetE1EEEvT1_
; %bb.0:
	.section	.rodata,"a",@progbits
	.p2align	6, 0x0
	.amdhsa_kernel _ZN7rocprim17ROCPRIM_400000_NS6detail17trampoline_kernelINS0_14default_configENS1_25partition_config_selectorILNS1_17partition_subalgoE8EN3c108BFloat16ENS0_10empty_typeEbEEZZNS1_14partition_implILS5_8ELb0ES3_jPKS7_PS8_PKS8_NS0_5tupleIJPS7_S8_EEENSG_IJSD_SD_EEENS0_18inequality_wrapperIN6hipcub16HIPCUB_304000_NS8EqualityEEEPlJS8_EEE10hipError_tPvRmT3_T4_T5_T6_T7_T9_mT8_P12ihipStream_tbDpT10_ENKUlT_T0_E_clISt17integral_constantIbLb1EES19_EEDaS14_S15_EUlS14_E_NS1_11comp_targetILNS1_3genE4ELNS1_11target_archE910ELNS1_3gpuE8ELNS1_3repE0EEENS1_30default_config_static_selectorELNS0_4arch9wavefront6targetE1EEEvT1_
		.amdhsa_group_segment_fixed_size 0
		.amdhsa_private_segment_fixed_size 0
		.amdhsa_kernarg_size 128
		.amdhsa_user_sgpr_count 2
		.amdhsa_user_sgpr_dispatch_ptr 0
		.amdhsa_user_sgpr_queue_ptr 0
		.amdhsa_user_sgpr_kernarg_segment_ptr 1
		.amdhsa_user_sgpr_dispatch_id 0
		.amdhsa_user_sgpr_kernarg_preload_length 0
		.amdhsa_user_sgpr_kernarg_preload_offset 0
		.amdhsa_user_sgpr_private_segment_size 0
		.amdhsa_uses_dynamic_stack 0
		.amdhsa_enable_private_segment 0
		.amdhsa_system_sgpr_workgroup_id_x 1
		.amdhsa_system_sgpr_workgroup_id_y 0
		.amdhsa_system_sgpr_workgroup_id_z 0
		.amdhsa_system_sgpr_workgroup_info 0
		.amdhsa_system_vgpr_workitem_id 0
		.amdhsa_next_free_vgpr 1
		.amdhsa_next_free_sgpr 0
		.amdhsa_accum_offset 4
		.amdhsa_reserve_vcc 0
		.amdhsa_float_round_mode_32 0
		.amdhsa_float_round_mode_16_64 0
		.amdhsa_float_denorm_mode_32 3
		.amdhsa_float_denorm_mode_16_64 3
		.amdhsa_dx10_clamp 1
		.amdhsa_ieee_mode 1
		.amdhsa_fp16_overflow 0
		.amdhsa_tg_split 0
		.amdhsa_exception_fp_ieee_invalid_op 0
		.amdhsa_exception_fp_denorm_src 0
		.amdhsa_exception_fp_ieee_div_zero 0
		.amdhsa_exception_fp_ieee_overflow 0
		.amdhsa_exception_fp_ieee_underflow 0
		.amdhsa_exception_fp_ieee_inexact 0
		.amdhsa_exception_int_div_zero 0
	.end_amdhsa_kernel
	.section	.text._ZN7rocprim17ROCPRIM_400000_NS6detail17trampoline_kernelINS0_14default_configENS1_25partition_config_selectorILNS1_17partition_subalgoE8EN3c108BFloat16ENS0_10empty_typeEbEEZZNS1_14partition_implILS5_8ELb0ES3_jPKS7_PS8_PKS8_NS0_5tupleIJPS7_S8_EEENSG_IJSD_SD_EEENS0_18inequality_wrapperIN6hipcub16HIPCUB_304000_NS8EqualityEEEPlJS8_EEE10hipError_tPvRmT3_T4_T5_T6_T7_T9_mT8_P12ihipStream_tbDpT10_ENKUlT_T0_E_clISt17integral_constantIbLb1EES19_EEDaS14_S15_EUlS14_E_NS1_11comp_targetILNS1_3genE4ELNS1_11target_archE910ELNS1_3gpuE8ELNS1_3repE0EEENS1_30default_config_static_selectorELNS0_4arch9wavefront6targetE1EEEvT1_,"axG",@progbits,_ZN7rocprim17ROCPRIM_400000_NS6detail17trampoline_kernelINS0_14default_configENS1_25partition_config_selectorILNS1_17partition_subalgoE8EN3c108BFloat16ENS0_10empty_typeEbEEZZNS1_14partition_implILS5_8ELb0ES3_jPKS7_PS8_PKS8_NS0_5tupleIJPS7_S8_EEENSG_IJSD_SD_EEENS0_18inequality_wrapperIN6hipcub16HIPCUB_304000_NS8EqualityEEEPlJS8_EEE10hipError_tPvRmT3_T4_T5_T6_T7_T9_mT8_P12ihipStream_tbDpT10_ENKUlT_T0_E_clISt17integral_constantIbLb1EES19_EEDaS14_S15_EUlS14_E_NS1_11comp_targetILNS1_3genE4ELNS1_11target_archE910ELNS1_3gpuE8ELNS1_3repE0EEENS1_30default_config_static_selectorELNS0_4arch9wavefront6targetE1EEEvT1_,comdat
.Lfunc_end834:
	.size	_ZN7rocprim17ROCPRIM_400000_NS6detail17trampoline_kernelINS0_14default_configENS1_25partition_config_selectorILNS1_17partition_subalgoE8EN3c108BFloat16ENS0_10empty_typeEbEEZZNS1_14partition_implILS5_8ELb0ES3_jPKS7_PS8_PKS8_NS0_5tupleIJPS7_S8_EEENSG_IJSD_SD_EEENS0_18inequality_wrapperIN6hipcub16HIPCUB_304000_NS8EqualityEEEPlJS8_EEE10hipError_tPvRmT3_T4_T5_T6_T7_T9_mT8_P12ihipStream_tbDpT10_ENKUlT_T0_E_clISt17integral_constantIbLb1EES19_EEDaS14_S15_EUlS14_E_NS1_11comp_targetILNS1_3genE4ELNS1_11target_archE910ELNS1_3gpuE8ELNS1_3repE0EEENS1_30default_config_static_selectorELNS0_4arch9wavefront6targetE1EEEvT1_, .Lfunc_end834-_ZN7rocprim17ROCPRIM_400000_NS6detail17trampoline_kernelINS0_14default_configENS1_25partition_config_selectorILNS1_17partition_subalgoE8EN3c108BFloat16ENS0_10empty_typeEbEEZZNS1_14partition_implILS5_8ELb0ES3_jPKS7_PS8_PKS8_NS0_5tupleIJPS7_S8_EEENSG_IJSD_SD_EEENS0_18inequality_wrapperIN6hipcub16HIPCUB_304000_NS8EqualityEEEPlJS8_EEE10hipError_tPvRmT3_T4_T5_T6_T7_T9_mT8_P12ihipStream_tbDpT10_ENKUlT_T0_E_clISt17integral_constantIbLb1EES19_EEDaS14_S15_EUlS14_E_NS1_11comp_targetILNS1_3genE4ELNS1_11target_archE910ELNS1_3gpuE8ELNS1_3repE0EEENS1_30default_config_static_selectorELNS0_4arch9wavefront6targetE1EEEvT1_
                                        ; -- End function
	.section	.AMDGPU.csdata,"",@progbits
; Kernel info:
; codeLenInByte = 0
; NumSgprs: 6
; NumVgprs: 0
; NumAgprs: 0
; TotalNumVgprs: 0
; ScratchSize: 0
; MemoryBound: 0
; FloatMode: 240
; IeeeMode: 1
; LDSByteSize: 0 bytes/workgroup (compile time only)
; SGPRBlocks: 0
; VGPRBlocks: 0
; NumSGPRsForWavesPerEU: 6
; NumVGPRsForWavesPerEU: 1
; AccumOffset: 4
; Occupancy: 8
; WaveLimiterHint : 0
; COMPUTE_PGM_RSRC2:SCRATCH_EN: 0
; COMPUTE_PGM_RSRC2:USER_SGPR: 2
; COMPUTE_PGM_RSRC2:TRAP_HANDLER: 0
; COMPUTE_PGM_RSRC2:TGID_X_EN: 1
; COMPUTE_PGM_RSRC2:TGID_Y_EN: 0
; COMPUTE_PGM_RSRC2:TGID_Z_EN: 0
; COMPUTE_PGM_RSRC2:TIDIG_COMP_CNT: 0
; COMPUTE_PGM_RSRC3_GFX90A:ACCUM_OFFSET: 0
; COMPUTE_PGM_RSRC3_GFX90A:TG_SPLIT: 0
	.section	.text._ZN7rocprim17ROCPRIM_400000_NS6detail17trampoline_kernelINS0_14default_configENS1_25partition_config_selectorILNS1_17partition_subalgoE8EN3c108BFloat16ENS0_10empty_typeEbEEZZNS1_14partition_implILS5_8ELb0ES3_jPKS7_PS8_PKS8_NS0_5tupleIJPS7_S8_EEENSG_IJSD_SD_EEENS0_18inequality_wrapperIN6hipcub16HIPCUB_304000_NS8EqualityEEEPlJS8_EEE10hipError_tPvRmT3_T4_T5_T6_T7_T9_mT8_P12ihipStream_tbDpT10_ENKUlT_T0_E_clISt17integral_constantIbLb1EES19_EEDaS14_S15_EUlS14_E_NS1_11comp_targetILNS1_3genE3ELNS1_11target_archE908ELNS1_3gpuE7ELNS1_3repE0EEENS1_30default_config_static_selectorELNS0_4arch9wavefront6targetE1EEEvT1_,"axG",@progbits,_ZN7rocprim17ROCPRIM_400000_NS6detail17trampoline_kernelINS0_14default_configENS1_25partition_config_selectorILNS1_17partition_subalgoE8EN3c108BFloat16ENS0_10empty_typeEbEEZZNS1_14partition_implILS5_8ELb0ES3_jPKS7_PS8_PKS8_NS0_5tupleIJPS7_S8_EEENSG_IJSD_SD_EEENS0_18inequality_wrapperIN6hipcub16HIPCUB_304000_NS8EqualityEEEPlJS8_EEE10hipError_tPvRmT3_T4_T5_T6_T7_T9_mT8_P12ihipStream_tbDpT10_ENKUlT_T0_E_clISt17integral_constantIbLb1EES19_EEDaS14_S15_EUlS14_E_NS1_11comp_targetILNS1_3genE3ELNS1_11target_archE908ELNS1_3gpuE7ELNS1_3repE0EEENS1_30default_config_static_selectorELNS0_4arch9wavefront6targetE1EEEvT1_,comdat
	.protected	_ZN7rocprim17ROCPRIM_400000_NS6detail17trampoline_kernelINS0_14default_configENS1_25partition_config_selectorILNS1_17partition_subalgoE8EN3c108BFloat16ENS0_10empty_typeEbEEZZNS1_14partition_implILS5_8ELb0ES3_jPKS7_PS8_PKS8_NS0_5tupleIJPS7_S8_EEENSG_IJSD_SD_EEENS0_18inequality_wrapperIN6hipcub16HIPCUB_304000_NS8EqualityEEEPlJS8_EEE10hipError_tPvRmT3_T4_T5_T6_T7_T9_mT8_P12ihipStream_tbDpT10_ENKUlT_T0_E_clISt17integral_constantIbLb1EES19_EEDaS14_S15_EUlS14_E_NS1_11comp_targetILNS1_3genE3ELNS1_11target_archE908ELNS1_3gpuE7ELNS1_3repE0EEENS1_30default_config_static_selectorELNS0_4arch9wavefront6targetE1EEEvT1_ ; -- Begin function _ZN7rocprim17ROCPRIM_400000_NS6detail17trampoline_kernelINS0_14default_configENS1_25partition_config_selectorILNS1_17partition_subalgoE8EN3c108BFloat16ENS0_10empty_typeEbEEZZNS1_14partition_implILS5_8ELb0ES3_jPKS7_PS8_PKS8_NS0_5tupleIJPS7_S8_EEENSG_IJSD_SD_EEENS0_18inequality_wrapperIN6hipcub16HIPCUB_304000_NS8EqualityEEEPlJS8_EEE10hipError_tPvRmT3_T4_T5_T6_T7_T9_mT8_P12ihipStream_tbDpT10_ENKUlT_T0_E_clISt17integral_constantIbLb1EES19_EEDaS14_S15_EUlS14_E_NS1_11comp_targetILNS1_3genE3ELNS1_11target_archE908ELNS1_3gpuE7ELNS1_3repE0EEENS1_30default_config_static_selectorELNS0_4arch9wavefront6targetE1EEEvT1_
	.globl	_ZN7rocprim17ROCPRIM_400000_NS6detail17trampoline_kernelINS0_14default_configENS1_25partition_config_selectorILNS1_17partition_subalgoE8EN3c108BFloat16ENS0_10empty_typeEbEEZZNS1_14partition_implILS5_8ELb0ES3_jPKS7_PS8_PKS8_NS0_5tupleIJPS7_S8_EEENSG_IJSD_SD_EEENS0_18inequality_wrapperIN6hipcub16HIPCUB_304000_NS8EqualityEEEPlJS8_EEE10hipError_tPvRmT3_T4_T5_T6_T7_T9_mT8_P12ihipStream_tbDpT10_ENKUlT_T0_E_clISt17integral_constantIbLb1EES19_EEDaS14_S15_EUlS14_E_NS1_11comp_targetILNS1_3genE3ELNS1_11target_archE908ELNS1_3gpuE7ELNS1_3repE0EEENS1_30default_config_static_selectorELNS0_4arch9wavefront6targetE1EEEvT1_
	.p2align	8
	.type	_ZN7rocprim17ROCPRIM_400000_NS6detail17trampoline_kernelINS0_14default_configENS1_25partition_config_selectorILNS1_17partition_subalgoE8EN3c108BFloat16ENS0_10empty_typeEbEEZZNS1_14partition_implILS5_8ELb0ES3_jPKS7_PS8_PKS8_NS0_5tupleIJPS7_S8_EEENSG_IJSD_SD_EEENS0_18inequality_wrapperIN6hipcub16HIPCUB_304000_NS8EqualityEEEPlJS8_EEE10hipError_tPvRmT3_T4_T5_T6_T7_T9_mT8_P12ihipStream_tbDpT10_ENKUlT_T0_E_clISt17integral_constantIbLb1EES19_EEDaS14_S15_EUlS14_E_NS1_11comp_targetILNS1_3genE3ELNS1_11target_archE908ELNS1_3gpuE7ELNS1_3repE0EEENS1_30default_config_static_selectorELNS0_4arch9wavefront6targetE1EEEvT1_,@function
_ZN7rocprim17ROCPRIM_400000_NS6detail17trampoline_kernelINS0_14default_configENS1_25partition_config_selectorILNS1_17partition_subalgoE8EN3c108BFloat16ENS0_10empty_typeEbEEZZNS1_14partition_implILS5_8ELb0ES3_jPKS7_PS8_PKS8_NS0_5tupleIJPS7_S8_EEENSG_IJSD_SD_EEENS0_18inequality_wrapperIN6hipcub16HIPCUB_304000_NS8EqualityEEEPlJS8_EEE10hipError_tPvRmT3_T4_T5_T6_T7_T9_mT8_P12ihipStream_tbDpT10_ENKUlT_T0_E_clISt17integral_constantIbLb1EES19_EEDaS14_S15_EUlS14_E_NS1_11comp_targetILNS1_3genE3ELNS1_11target_archE908ELNS1_3gpuE7ELNS1_3repE0EEENS1_30default_config_static_selectorELNS0_4arch9wavefront6targetE1EEEvT1_: ; @_ZN7rocprim17ROCPRIM_400000_NS6detail17trampoline_kernelINS0_14default_configENS1_25partition_config_selectorILNS1_17partition_subalgoE8EN3c108BFloat16ENS0_10empty_typeEbEEZZNS1_14partition_implILS5_8ELb0ES3_jPKS7_PS8_PKS8_NS0_5tupleIJPS7_S8_EEENSG_IJSD_SD_EEENS0_18inequality_wrapperIN6hipcub16HIPCUB_304000_NS8EqualityEEEPlJS8_EEE10hipError_tPvRmT3_T4_T5_T6_T7_T9_mT8_P12ihipStream_tbDpT10_ENKUlT_T0_E_clISt17integral_constantIbLb1EES19_EEDaS14_S15_EUlS14_E_NS1_11comp_targetILNS1_3genE3ELNS1_11target_archE908ELNS1_3gpuE7ELNS1_3repE0EEENS1_30default_config_static_selectorELNS0_4arch9wavefront6targetE1EEEvT1_
; %bb.0:
	.section	.rodata,"a",@progbits
	.p2align	6, 0x0
	.amdhsa_kernel _ZN7rocprim17ROCPRIM_400000_NS6detail17trampoline_kernelINS0_14default_configENS1_25partition_config_selectorILNS1_17partition_subalgoE8EN3c108BFloat16ENS0_10empty_typeEbEEZZNS1_14partition_implILS5_8ELb0ES3_jPKS7_PS8_PKS8_NS0_5tupleIJPS7_S8_EEENSG_IJSD_SD_EEENS0_18inequality_wrapperIN6hipcub16HIPCUB_304000_NS8EqualityEEEPlJS8_EEE10hipError_tPvRmT3_T4_T5_T6_T7_T9_mT8_P12ihipStream_tbDpT10_ENKUlT_T0_E_clISt17integral_constantIbLb1EES19_EEDaS14_S15_EUlS14_E_NS1_11comp_targetILNS1_3genE3ELNS1_11target_archE908ELNS1_3gpuE7ELNS1_3repE0EEENS1_30default_config_static_selectorELNS0_4arch9wavefront6targetE1EEEvT1_
		.amdhsa_group_segment_fixed_size 0
		.amdhsa_private_segment_fixed_size 0
		.amdhsa_kernarg_size 128
		.amdhsa_user_sgpr_count 2
		.amdhsa_user_sgpr_dispatch_ptr 0
		.amdhsa_user_sgpr_queue_ptr 0
		.amdhsa_user_sgpr_kernarg_segment_ptr 1
		.amdhsa_user_sgpr_dispatch_id 0
		.amdhsa_user_sgpr_kernarg_preload_length 0
		.amdhsa_user_sgpr_kernarg_preload_offset 0
		.amdhsa_user_sgpr_private_segment_size 0
		.amdhsa_uses_dynamic_stack 0
		.amdhsa_enable_private_segment 0
		.amdhsa_system_sgpr_workgroup_id_x 1
		.amdhsa_system_sgpr_workgroup_id_y 0
		.amdhsa_system_sgpr_workgroup_id_z 0
		.amdhsa_system_sgpr_workgroup_info 0
		.amdhsa_system_vgpr_workitem_id 0
		.amdhsa_next_free_vgpr 1
		.amdhsa_next_free_sgpr 0
		.amdhsa_accum_offset 4
		.amdhsa_reserve_vcc 0
		.amdhsa_float_round_mode_32 0
		.amdhsa_float_round_mode_16_64 0
		.amdhsa_float_denorm_mode_32 3
		.amdhsa_float_denorm_mode_16_64 3
		.amdhsa_dx10_clamp 1
		.amdhsa_ieee_mode 1
		.amdhsa_fp16_overflow 0
		.amdhsa_tg_split 0
		.amdhsa_exception_fp_ieee_invalid_op 0
		.amdhsa_exception_fp_denorm_src 0
		.amdhsa_exception_fp_ieee_div_zero 0
		.amdhsa_exception_fp_ieee_overflow 0
		.amdhsa_exception_fp_ieee_underflow 0
		.amdhsa_exception_fp_ieee_inexact 0
		.amdhsa_exception_int_div_zero 0
	.end_amdhsa_kernel
	.section	.text._ZN7rocprim17ROCPRIM_400000_NS6detail17trampoline_kernelINS0_14default_configENS1_25partition_config_selectorILNS1_17partition_subalgoE8EN3c108BFloat16ENS0_10empty_typeEbEEZZNS1_14partition_implILS5_8ELb0ES3_jPKS7_PS8_PKS8_NS0_5tupleIJPS7_S8_EEENSG_IJSD_SD_EEENS0_18inequality_wrapperIN6hipcub16HIPCUB_304000_NS8EqualityEEEPlJS8_EEE10hipError_tPvRmT3_T4_T5_T6_T7_T9_mT8_P12ihipStream_tbDpT10_ENKUlT_T0_E_clISt17integral_constantIbLb1EES19_EEDaS14_S15_EUlS14_E_NS1_11comp_targetILNS1_3genE3ELNS1_11target_archE908ELNS1_3gpuE7ELNS1_3repE0EEENS1_30default_config_static_selectorELNS0_4arch9wavefront6targetE1EEEvT1_,"axG",@progbits,_ZN7rocprim17ROCPRIM_400000_NS6detail17trampoline_kernelINS0_14default_configENS1_25partition_config_selectorILNS1_17partition_subalgoE8EN3c108BFloat16ENS0_10empty_typeEbEEZZNS1_14partition_implILS5_8ELb0ES3_jPKS7_PS8_PKS8_NS0_5tupleIJPS7_S8_EEENSG_IJSD_SD_EEENS0_18inequality_wrapperIN6hipcub16HIPCUB_304000_NS8EqualityEEEPlJS8_EEE10hipError_tPvRmT3_T4_T5_T6_T7_T9_mT8_P12ihipStream_tbDpT10_ENKUlT_T0_E_clISt17integral_constantIbLb1EES19_EEDaS14_S15_EUlS14_E_NS1_11comp_targetILNS1_3genE3ELNS1_11target_archE908ELNS1_3gpuE7ELNS1_3repE0EEENS1_30default_config_static_selectorELNS0_4arch9wavefront6targetE1EEEvT1_,comdat
.Lfunc_end835:
	.size	_ZN7rocprim17ROCPRIM_400000_NS6detail17trampoline_kernelINS0_14default_configENS1_25partition_config_selectorILNS1_17partition_subalgoE8EN3c108BFloat16ENS0_10empty_typeEbEEZZNS1_14partition_implILS5_8ELb0ES3_jPKS7_PS8_PKS8_NS0_5tupleIJPS7_S8_EEENSG_IJSD_SD_EEENS0_18inequality_wrapperIN6hipcub16HIPCUB_304000_NS8EqualityEEEPlJS8_EEE10hipError_tPvRmT3_T4_T5_T6_T7_T9_mT8_P12ihipStream_tbDpT10_ENKUlT_T0_E_clISt17integral_constantIbLb1EES19_EEDaS14_S15_EUlS14_E_NS1_11comp_targetILNS1_3genE3ELNS1_11target_archE908ELNS1_3gpuE7ELNS1_3repE0EEENS1_30default_config_static_selectorELNS0_4arch9wavefront6targetE1EEEvT1_, .Lfunc_end835-_ZN7rocprim17ROCPRIM_400000_NS6detail17trampoline_kernelINS0_14default_configENS1_25partition_config_selectorILNS1_17partition_subalgoE8EN3c108BFloat16ENS0_10empty_typeEbEEZZNS1_14partition_implILS5_8ELb0ES3_jPKS7_PS8_PKS8_NS0_5tupleIJPS7_S8_EEENSG_IJSD_SD_EEENS0_18inequality_wrapperIN6hipcub16HIPCUB_304000_NS8EqualityEEEPlJS8_EEE10hipError_tPvRmT3_T4_T5_T6_T7_T9_mT8_P12ihipStream_tbDpT10_ENKUlT_T0_E_clISt17integral_constantIbLb1EES19_EEDaS14_S15_EUlS14_E_NS1_11comp_targetILNS1_3genE3ELNS1_11target_archE908ELNS1_3gpuE7ELNS1_3repE0EEENS1_30default_config_static_selectorELNS0_4arch9wavefront6targetE1EEEvT1_
                                        ; -- End function
	.section	.AMDGPU.csdata,"",@progbits
; Kernel info:
; codeLenInByte = 0
; NumSgprs: 6
; NumVgprs: 0
; NumAgprs: 0
; TotalNumVgprs: 0
; ScratchSize: 0
; MemoryBound: 0
; FloatMode: 240
; IeeeMode: 1
; LDSByteSize: 0 bytes/workgroup (compile time only)
; SGPRBlocks: 0
; VGPRBlocks: 0
; NumSGPRsForWavesPerEU: 6
; NumVGPRsForWavesPerEU: 1
; AccumOffset: 4
; Occupancy: 8
; WaveLimiterHint : 0
; COMPUTE_PGM_RSRC2:SCRATCH_EN: 0
; COMPUTE_PGM_RSRC2:USER_SGPR: 2
; COMPUTE_PGM_RSRC2:TRAP_HANDLER: 0
; COMPUTE_PGM_RSRC2:TGID_X_EN: 1
; COMPUTE_PGM_RSRC2:TGID_Y_EN: 0
; COMPUTE_PGM_RSRC2:TGID_Z_EN: 0
; COMPUTE_PGM_RSRC2:TIDIG_COMP_CNT: 0
; COMPUTE_PGM_RSRC3_GFX90A:ACCUM_OFFSET: 0
; COMPUTE_PGM_RSRC3_GFX90A:TG_SPLIT: 0
	.section	.text._ZN7rocprim17ROCPRIM_400000_NS6detail17trampoline_kernelINS0_14default_configENS1_25partition_config_selectorILNS1_17partition_subalgoE8EN3c108BFloat16ENS0_10empty_typeEbEEZZNS1_14partition_implILS5_8ELb0ES3_jPKS7_PS8_PKS8_NS0_5tupleIJPS7_S8_EEENSG_IJSD_SD_EEENS0_18inequality_wrapperIN6hipcub16HIPCUB_304000_NS8EqualityEEEPlJS8_EEE10hipError_tPvRmT3_T4_T5_T6_T7_T9_mT8_P12ihipStream_tbDpT10_ENKUlT_T0_E_clISt17integral_constantIbLb1EES19_EEDaS14_S15_EUlS14_E_NS1_11comp_targetILNS1_3genE2ELNS1_11target_archE906ELNS1_3gpuE6ELNS1_3repE0EEENS1_30default_config_static_selectorELNS0_4arch9wavefront6targetE1EEEvT1_,"axG",@progbits,_ZN7rocprim17ROCPRIM_400000_NS6detail17trampoline_kernelINS0_14default_configENS1_25partition_config_selectorILNS1_17partition_subalgoE8EN3c108BFloat16ENS0_10empty_typeEbEEZZNS1_14partition_implILS5_8ELb0ES3_jPKS7_PS8_PKS8_NS0_5tupleIJPS7_S8_EEENSG_IJSD_SD_EEENS0_18inequality_wrapperIN6hipcub16HIPCUB_304000_NS8EqualityEEEPlJS8_EEE10hipError_tPvRmT3_T4_T5_T6_T7_T9_mT8_P12ihipStream_tbDpT10_ENKUlT_T0_E_clISt17integral_constantIbLb1EES19_EEDaS14_S15_EUlS14_E_NS1_11comp_targetILNS1_3genE2ELNS1_11target_archE906ELNS1_3gpuE6ELNS1_3repE0EEENS1_30default_config_static_selectorELNS0_4arch9wavefront6targetE1EEEvT1_,comdat
	.protected	_ZN7rocprim17ROCPRIM_400000_NS6detail17trampoline_kernelINS0_14default_configENS1_25partition_config_selectorILNS1_17partition_subalgoE8EN3c108BFloat16ENS0_10empty_typeEbEEZZNS1_14partition_implILS5_8ELb0ES3_jPKS7_PS8_PKS8_NS0_5tupleIJPS7_S8_EEENSG_IJSD_SD_EEENS0_18inequality_wrapperIN6hipcub16HIPCUB_304000_NS8EqualityEEEPlJS8_EEE10hipError_tPvRmT3_T4_T5_T6_T7_T9_mT8_P12ihipStream_tbDpT10_ENKUlT_T0_E_clISt17integral_constantIbLb1EES19_EEDaS14_S15_EUlS14_E_NS1_11comp_targetILNS1_3genE2ELNS1_11target_archE906ELNS1_3gpuE6ELNS1_3repE0EEENS1_30default_config_static_selectorELNS0_4arch9wavefront6targetE1EEEvT1_ ; -- Begin function _ZN7rocprim17ROCPRIM_400000_NS6detail17trampoline_kernelINS0_14default_configENS1_25partition_config_selectorILNS1_17partition_subalgoE8EN3c108BFloat16ENS0_10empty_typeEbEEZZNS1_14partition_implILS5_8ELb0ES3_jPKS7_PS8_PKS8_NS0_5tupleIJPS7_S8_EEENSG_IJSD_SD_EEENS0_18inequality_wrapperIN6hipcub16HIPCUB_304000_NS8EqualityEEEPlJS8_EEE10hipError_tPvRmT3_T4_T5_T6_T7_T9_mT8_P12ihipStream_tbDpT10_ENKUlT_T0_E_clISt17integral_constantIbLb1EES19_EEDaS14_S15_EUlS14_E_NS1_11comp_targetILNS1_3genE2ELNS1_11target_archE906ELNS1_3gpuE6ELNS1_3repE0EEENS1_30default_config_static_selectorELNS0_4arch9wavefront6targetE1EEEvT1_
	.globl	_ZN7rocprim17ROCPRIM_400000_NS6detail17trampoline_kernelINS0_14default_configENS1_25partition_config_selectorILNS1_17partition_subalgoE8EN3c108BFloat16ENS0_10empty_typeEbEEZZNS1_14partition_implILS5_8ELb0ES3_jPKS7_PS8_PKS8_NS0_5tupleIJPS7_S8_EEENSG_IJSD_SD_EEENS0_18inequality_wrapperIN6hipcub16HIPCUB_304000_NS8EqualityEEEPlJS8_EEE10hipError_tPvRmT3_T4_T5_T6_T7_T9_mT8_P12ihipStream_tbDpT10_ENKUlT_T0_E_clISt17integral_constantIbLb1EES19_EEDaS14_S15_EUlS14_E_NS1_11comp_targetILNS1_3genE2ELNS1_11target_archE906ELNS1_3gpuE6ELNS1_3repE0EEENS1_30default_config_static_selectorELNS0_4arch9wavefront6targetE1EEEvT1_
	.p2align	8
	.type	_ZN7rocprim17ROCPRIM_400000_NS6detail17trampoline_kernelINS0_14default_configENS1_25partition_config_selectorILNS1_17partition_subalgoE8EN3c108BFloat16ENS0_10empty_typeEbEEZZNS1_14partition_implILS5_8ELb0ES3_jPKS7_PS8_PKS8_NS0_5tupleIJPS7_S8_EEENSG_IJSD_SD_EEENS0_18inequality_wrapperIN6hipcub16HIPCUB_304000_NS8EqualityEEEPlJS8_EEE10hipError_tPvRmT3_T4_T5_T6_T7_T9_mT8_P12ihipStream_tbDpT10_ENKUlT_T0_E_clISt17integral_constantIbLb1EES19_EEDaS14_S15_EUlS14_E_NS1_11comp_targetILNS1_3genE2ELNS1_11target_archE906ELNS1_3gpuE6ELNS1_3repE0EEENS1_30default_config_static_selectorELNS0_4arch9wavefront6targetE1EEEvT1_,@function
_ZN7rocprim17ROCPRIM_400000_NS6detail17trampoline_kernelINS0_14default_configENS1_25partition_config_selectorILNS1_17partition_subalgoE8EN3c108BFloat16ENS0_10empty_typeEbEEZZNS1_14partition_implILS5_8ELb0ES3_jPKS7_PS8_PKS8_NS0_5tupleIJPS7_S8_EEENSG_IJSD_SD_EEENS0_18inequality_wrapperIN6hipcub16HIPCUB_304000_NS8EqualityEEEPlJS8_EEE10hipError_tPvRmT3_T4_T5_T6_T7_T9_mT8_P12ihipStream_tbDpT10_ENKUlT_T0_E_clISt17integral_constantIbLb1EES19_EEDaS14_S15_EUlS14_E_NS1_11comp_targetILNS1_3genE2ELNS1_11target_archE906ELNS1_3gpuE6ELNS1_3repE0EEENS1_30default_config_static_selectorELNS0_4arch9wavefront6targetE1EEEvT1_: ; @_ZN7rocprim17ROCPRIM_400000_NS6detail17trampoline_kernelINS0_14default_configENS1_25partition_config_selectorILNS1_17partition_subalgoE8EN3c108BFloat16ENS0_10empty_typeEbEEZZNS1_14partition_implILS5_8ELb0ES3_jPKS7_PS8_PKS8_NS0_5tupleIJPS7_S8_EEENSG_IJSD_SD_EEENS0_18inequality_wrapperIN6hipcub16HIPCUB_304000_NS8EqualityEEEPlJS8_EEE10hipError_tPvRmT3_T4_T5_T6_T7_T9_mT8_P12ihipStream_tbDpT10_ENKUlT_T0_E_clISt17integral_constantIbLb1EES19_EEDaS14_S15_EUlS14_E_NS1_11comp_targetILNS1_3genE2ELNS1_11target_archE906ELNS1_3gpuE6ELNS1_3repE0EEENS1_30default_config_static_selectorELNS0_4arch9wavefront6targetE1EEEvT1_
; %bb.0:
	.section	.rodata,"a",@progbits
	.p2align	6, 0x0
	.amdhsa_kernel _ZN7rocprim17ROCPRIM_400000_NS6detail17trampoline_kernelINS0_14default_configENS1_25partition_config_selectorILNS1_17partition_subalgoE8EN3c108BFloat16ENS0_10empty_typeEbEEZZNS1_14partition_implILS5_8ELb0ES3_jPKS7_PS8_PKS8_NS0_5tupleIJPS7_S8_EEENSG_IJSD_SD_EEENS0_18inequality_wrapperIN6hipcub16HIPCUB_304000_NS8EqualityEEEPlJS8_EEE10hipError_tPvRmT3_T4_T5_T6_T7_T9_mT8_P12ihipStream_tbDpT10_ENKUlT_T0_E_clISt17integral_constantIbLb1EES19_EEDaS14_S15_EUlS14_E_NS1_11comp_targetILNS1_3genE2ELNS1_11target_archE906ELNS1_3gpuE6ELNS1_3repE0EEENS1_30default_config_static_selectorELNS0_4arch9wavefront6targetE1EEEvT1_
		.amdhsa_group_segment_fixed_size 0
		.amdhsa_private_segment_fixed_size 0
		.amdhsa_kernarg_size 128
		.amdhsa_user_sgpr_count 2
		.amdhsa_user_sgpr_dispatch_ptr 0
		.amdhsa_user_sgpr_queue_ptr 0
		.amdhsa_user_sgpr_kernarg_segment_ptr 1
		.amdhsa_user_sgpr_dispatch_id 0
		.amdhsa_user_sgpr_kernarg_preload_length 0
		.amdhsa_user_sgpr_kernarg_preload_offset 0
		.amdhsa_user_sgpr_private_segment_size 0
		.amdhsa_uses_dynamic_stack 0
		.amdhsa_enable_private_segment 0
		.amdhsa_system_sgpr_workgroup_id_x 1
		.amdhsa_system_sgpr_workgroup_id_y 0
		.amdhsa_system_sgpr_workgroup_id_z 0
		.amdhsa_system_sgpr_workgroup_info 0
		.amdhsa_system_vgpr_workitem_id 0
		.amdhsa_next_free_vgpr 1
		.amdhsa_next_free_sgpr 0
		.amdhsa_accum_offset 4
		.amdhsa_reserve_vcc 0
		.amdhsa_float_round_mode_32 0
		.amdhsa_float_round_mode_16_64 0
		.amdhsa_float_denorm_mode_32 3
		.amdhsa_float_denorm_mode_16_64 3
		.amdhsa_dx10_clamp 1
		.amdhsa_ieee_mode 1
		.amdhsa_fp16_overflow 0
		.amdhsa_tg_split 0
		.amdhsa_exception_fp_ieee_invalid_op 0
		.amdhsa_exception_fp_denorm_src 0
		.amdhsa_exception_fp_ieee_div_zero 0
		.amdhsa_exception_fp_ieee_overflow 0
		.amdhsa_exception_fp_ieee_underflow 0
		.amdhsa_exception_fp_ieee_inexact 0
		.amdhsa_exception_int_div_zero 0
	.end_amdhsa_kernel
	.section	.text._ZN7rocprim17ROCPRIM_400000_NS6detail17trampoline_kernelINS0_14default_configENS1_25partition_config_selectorILNS1_17partition_subalgoE8EN3c108BFloat16ENS0_10empty_typeEbEEZZNS1_14partition_implILS5_8ELb0ES3_jPKS7_PS8_PKS8_NS0_5tupleIJPS7_S8_EEENSG_IJSD_SD_EEENS0_18inequality_wrapperIN6hipcub16HIPCUB_304000_NS8EqualityEEEPlJS8_EEE10hipError_tPvRmT3_T4_T5_T6_T7_T9_mT8_P12ihipStream_tbDpT10_ENKUlT_T0_E_clISt17integral_constantIbLb1EES19_EEDaS14_S15_EUlS14_E_NS1_11comp_targetILNS1_3genE2ELNS1_11target_archE906ELNS1_3gpuE6ELNS1_3repE0EEENS1_30default_config_static_selectorELNS0_4arch9wavefront6targetE1EEEvT1_,"axG",@progbits,_ZN7rocprim17ROCPRIM_400000_NS6detail17trampoline_kernelINS0_14default_configENS1_25partition_config_selectorILNS1_17partition_subalgoE8EN3c108BFloat16ENS0_10empty_typeEbEEZZNS1_14partition_implILS5_8ELb0ES3_jPKS7_PS8_PKS8_NS0_5tupleIJPS7_S8_EEENSG_IJSD_SD_EEENS0_18inequality_wrapperIN6hipcub16HIPCUB_304000_NS8EqualityEEEPlJS8_EEE10hipError_tPvRmT3_T4_T5_T6_T7_T9_mT8_P12ihipStream_tbDpT10_ENKUlT_T0_E_clISt17integral_constantIbLb1EES19_EEDaS14_S15_EUlS14_E_NS1_11comp_targetILNS1_3genE2ELNS1_11target_archE906ELNS1_3gpuE6ELNS1_3repE0EEENS1_30default_config_static_selectorELNS0_4arch9wavefront6targetE1EEEvT1_,comdat
.Lfunc_end836:
	.size	_ZN7rocprim17ROCPRIM_400000_NS6detail17trampoline_kernelINS0_14default_configENS1_25partition_config_selectorILNS1_17partition_subalgoE8EN3c108BFloat16ENS0_10empty_typeEbEEZZNS1_14partition_implILS5_8ELb0ES3_jPKS7_PS8_PKS8_NS0_5tupleIJPS7_S8_EEENSG_IJSD_SD_EEENS0_18inequality_wrapperIN6hipcub16HIPCUB_304000_NS8EqualityEEEPlJS8_EEE10hipError_tPvRmT3_T4_T5_T6_T7_T9_mT8_P12ihipStream_tbDpT10_ENKUlT_T0_E_clISt17integral_constantIbLb1EES19_EEDaS14_S15_EUlS14_E_NS1_11comp_targetILNS1_3genE2ELNS1_11target_archE906ELNS1_3gpuE6ELNS1_3repE0EEENS1_30default_config_static_selectorELNS0_4arch9wavefront6targetE1EEEvT1_, .Lfunc_end836-_ZN7rocprim17ROCPRIM_400000_NS6detail17trampoline_kernelINS0_14default_configENS1_25partition_config_selectorILNS1_17partition_subalgoE8EN3c108BFloat16ENS0_10empty_typeEbEEZZNS1_14partition_implILS5_8ELb0ES3_jPKS7_PS8_PKS8_NS0_5tupleIJPS7_S8_EEENSG_IJSD_SD_EEENS0_18inequality_wrapperIN6hipcub16HIPCUB_304000_NS8EqualityEEEPlJS8_EEE10hipError_tPvRmT3_T4_T5_T6_T7_T9_mT8_P12ihipStream_tbDpT10_ENKUlT_T0_E_clISt17integral_constantIbLb1EES19_EEDaS14_S15_EUlS14_E_NS1_11comp_targetILNS1_3genE2ELNS1_11target_archE906ELNS1_3gpuE6ELNS1_3repE0EEENS1_30default_config_static_selectorELNS0_4arch9wavefront6targetE1EEEvT1_
                                        ; -- End function
	.section	.AMDGPU.csdata,"",@progbits
; Kernel info:
; codeLenInByte = 0
; NumSgprs: 6
; NumVgprs: 0
; NumAgprs: 0
; TotalNumVgprs: 0
; ScratchSize: 0
; MemoryBound: 0
; FloatMode: 240
; IeeeMode: 1
; LDSByteSize: 0 bytes/workgroup (compile time only)
; SGPRBlocks: 0
; VGPRBlocks: 0
; NumSGPRsForWavesPerEU: 6
; NumVGPRsForWavesPerEU: 1
; AccumOffset: 4
; Occupancy: 8
; WaveLimiterHint : 0
; COMPUTE_PGM_RSRC2:SCRATCH_EN: 0
; COMPUTE_PGM_RSRC2:USER_SGPR: 2
; COMPUTE_PGM_RSRC2:TRAP_HANDLER: 0
; COMPUTE_PGM_RSRC2:TGID_X_EN: 1
; COMPUTE_PGM_RSRC2:TGID_Y_EN: 0
; COMPUTE_PGM_RSRC2:TGID_Z_EN: 0
; COMPUTE_PGM_RSRC2:TIDIG_COMP_CNT: 0
; COMPUTE_PGM_RSRC3_GFX90A:ACCUM_OFFSET: 0
; COMPUTE_PGM_RSRC3_GFX90A:TG_SPLIT: 0
	.section	.text._ZN7rocprim17ROCPRIM_400000_NS6detail17trampoline_kernelINS0_14default_configENS1_25partition_config_selectorILNS1_17partition_subalgoE8EN3c108BFloat16ENS0_10empty_typeEbEEZZNS1_14partition_implILS5_8ELb0ES3_jPKS7_PS8_PKS8_NS0_5tupleIJPS7_S8_EEENSG_IJSD_SD_EEENS0_18inequality_wrapperIN6hipcub16HIPCUB_304000_NS8EqualityEEEPlJS8_EEE10hipError_tPvRmT3_T4_T5_T6_T7_T9_mT8_P12ihipStream_tbDpT10_ENKUlT_T0_E_clISt17integral_constantIbLb1EES19_EEDaS14_S15_EUlS14_E_NS1_11comp_targetILNS1_3genE10ELNS1_11target_archE1200ELNS1_3gpuE4ELNS1_3repE0EEENS1_30default_config_static_selectorELNS0_4arch9wavefront6targetE1EEEvT1_,"axG",@progbits,_ZN7rocprim17ROCPRIM_400000_NS6detail17trampoline_kernelINS0_14default_configENS1_25partition_config_selectorILNS1_17partition_subalgoE8EN3c108BFloat16ENS0_10empty_typeEbEEZZNS1_14partition_implILS5_8ELb0ES3_jPKS7_PS8_PKS8_NS0_5tupleIJPS7_S8_EEENSG_IJSD_SD_EEENS0_18inequality_wrapperIN6hipcub16HIPCUB_304000_NS8EqualityEEEPlJS8_EEE10hipError_tPvRmT3_T4_T5_T6_T7_T9_mT8_P12ihipStream_tbDpT10_ENKUlT_T0_E_clISt17integral_constantIbLb1EES19_EEDaS14_S15_EUlS14_E_NS1_11comp_targetILNS1_3genE10ELNS1_11target_archE1200ELNS1_3gpuE4ELNS1_3repE0EEENS1_30default_config_static_selectorELNS0_4arch9wavefront6targetE1EEEvT1_,comdat
	.protected	_ZN7rocprim17ROCPRIM_400000_NS6detail17trampoline_kernelINS0_14default_configENS1_25partition_config_selectorILNS1_17partition_subalgoE8EN3c108BFloat16ENS0_10empty_typeEbEEZZNS1_14partition_implILS5_8ELb0ES3_jPKS7_PS8_PKS8_NS0_5tupleIJPS7_S8_EEENSG_IJSD_SD_EEENS0_18inequality_wrapperIN6hipcub16HIPCUB_304000_NS8EqualityEEEPlJS8_EEE10hipError_tPvRmT3_T4_T5_T6_T7_T9_mT8_P12ihipStream_tbDpT10_ENKUlT_T0_E_clISt17integral_constantIbLb1EES19_EEDaS14_S15_EUlS14_E_NS1_11comp_targetILNS1_3genE10ELNS1_11target_archE1200ELNS1_3gpuE4ELNS1_3repE0EEENS1_30default_config_static_selectorELNS0_4arch9wavefront6targetE1EEEvT1_ ; -- Begin function _ZN7rocprim17ROCPRIM_400000_NS6detail17trampoline_kernelINS0_14default_configENS1_25partition_config_selectorILNS1_17partition_subalgoE8EN3c108BFloat16ENS0_10empty_typeEbEEZZNS1_14partition_implILS5_8ELb0ES3_jPKS7_PS8_PKS8_NS0_5tupleIJPS7_S8_EEENSG_IJSD_SD_EEENS0_18inequality_wrapperIN6hipcub16HIPCUB_304000_NS8EqualityEEEPlJS8_EEE10hipError_tPvRmT3_T4_T5_T6_T7_T9_mT8_P12ihipStream_tbDpT10_ENKUlT_T0_E_clISt17integral_constantIbLb1EES19_EEDaS14_S15_EUlS14_E_NS1_11comp_targetILNS1_3genE10ELNS1_11target_archE1200ELNS1_3gpuE4ELNS1_3repE0EEENS1_30default_config_static_selectorELNS0_4arch9wavefront6targetE1EEEvT1_
	.globl	_ZN7rocprim17ROCPRIM_400000_NS6detail17trampoline_kernelINS0_14default_configENS1_25partition_config_selectorILNS1_17partition_subalgoE8EN3c108BFloat16ENS0_10empty_typeEbEEZZNS1_14partition_implILS5_8ELb0ES3_jPKS7_PS8_PKS8_NS0_5tupleIJPS7_S8_EEENSG_IJSD_SD_EEENS0_18inequality_wrapperIN6hipcub16HIPCUB_304000_NS8EqualityEEEPlJS8_EEE10hipError_tPvRmT3_T4_T5_T6_T7_T9_mT8_P12ihipStream_tbDpT10_ENKUlT_T0_E_clISt17integral_constantIbLb1EES19_EEDaS14_S15_EUlS14_E_NS1_11comp_targetILNS1_3genE10ELNS1_11target_archE1200ELNS1_3gpuE4ELNS1_3repE0EEENS1_30default_config_static_selectorELNS0_4arch9wavefront6targetE1EEEvT1_
	.p2align	8
	.type	_ZN7rocprim17ROCPRIM_400000_NS6detail17trampoline_kernelINS0_14default_configENS1_25partition_config_selectorILNS1_17partition_subalgoE8EN3c108BFloat16ENS0_10empty_typeEbEEZZNS1_14partition_implILS5_8ELb0ES3_jPKS7_PS8_PKS8_NS0_5tupleIJPS7_S8_EEENSG_IJSD_SD_EEENS0_18inequality_wrapperIN6hipcub16HIPCUB_304000_NS8EqualityEEEPlJS8_EEE10hipError_tPvRmT3_T4_T5_T6_T7_T9_mT8_P12ihipStream_tbDpT10_ENKUlT_T0_E_clISt17integral_constantIbLb1EES19_EEDaS14_S15_EUlS14_E_NS1_11comp_targetILNS1_3genE10ELNS1_11target_archE1200ELNS1_3gpuE4ELNS1_3repE0EEENS1_30default_config_static_selectorELNS0_4arch9wavefront6targetE1EEEvT1_,@function
_ZN7rocprim17ROCPRIM_400000_NS6detail17trampoline_kernelINS0_14default_configENS1_25partition_config_selectorILNS1_17partition_subalgoE8EN3c108BFloat16ENS0_10empty_typeEbEEZZNS1_14partition_implILS5_8ELb0ES3_jPKS7_PS8_PKS8_NS0_5tupleIJPS7_S8_EEENSG_IJSD_SD_EEENS0_18inequality_wrapperIN6hipcub16HIPCUB_304000_NS8EqualityEEEPlJS8_EEE10hipError_tPvRmT3_T4_T5_T6_T7_T9_mT8_P12ihipStream_tbDpT10_ENKUlT_T0_E_clISt17integral_constantIbLb1EES19_EEDaS14_S15_EUlS14_E_NS1_11comp_targetILNS1_3genE10ELNS1_11target_archE1200ELNS1_3gpuE4ELNS1_3repE0EEENS1_30default_config_static_selectorELNS0_4arch9wavefront6targetE1EEEvT1_: ; @_ZN7rocprim17ROCPRIM_400000_NS6detail17trampoline_kernelINS0_14default_configENS1_25partition_config_selectorILNS1_17partition_subalgoE8EN3c108BFloat16ENS0_10empty_typeEbEEZZNS1_14partition_implILS5_8ELb0ES3_jPKS7_PS8_PKS8_NS0_5tupleIJPS7_S8_EEENSG_IJSD_SD_EEENS0_18inequality_wrapperIN6hipcub16HIPCUB_304000_NS8EqualityEEEPlJS8_EEE10hipError_tPvRmT3_T4_T5_T6_T7_T9_mT8_P12ihipStream_tbDpT10_ENKUlT_T0_E_clISt17integral_constantIbLb1EES19_EEDaS14_S15_EUlS14_E_NS1_11comp_targetILNS1_3genE10ELNS1_11target_archE1200ELNS1_3gpuE4ELNS1_3repE0EEENS1_30default_config_static_selectorELNS0_4arch9wavefront6targetE1EEEvT1_
; %bb.0:
	.section	.rodata,"a",@progbits
	.p2align	6, 0x0
	.amdhsa_kernel _ZN7rocprim17ROCPRIM_400000_NS6detail17trampoline_kernelINS0_14default_configENS1_25partition_config_selectorILNS1_17partition_subalgoE8EN3c108BFloat16ENS0_10empty_typeEbEEZZNS1_14partition_implILS5_8ELb0ES3_jPKS7_PS8_PKS8_NS0_5tupleIJPS7_S8_EEENSG_IJSD_SD_EEENS0_18inequality_wrapperIN6hipcub16HIPCUB_304000_NS8EqualityEEEPlJS8_EEE10hipError_tPvRmT3_T4_T5_T6_T7_T9_mT8_P12ihipStream_tbDpT10_ENKUlT_T0_E_clISt17integral_constantIbLb1EES19_EEDaS14_S15_EUlS14_E_NS1_11comp_targetILNS1_3genE10ELNS1_11target_archE1200ELNS1_3gpuE4ELNS1_3repE0EEENS1_30default_config_static_selectorELNS0_4arch9wavefront6targetE1EEEvT1_
		.amdhsa_group_segment_fixed_size 0
		.amdhsa_private_segment_fixed_size 0
		.amdhsa_kernarg_size 128
		.amdhsa_user_sgpr_count 2
		.amdhsa_user_sgpr_dispatch_ptr 0
		.amdhsa_user_sgpr_queue_ptr 0
		.amdhsa_user_sgpr_kernarg_segment_ptr 1
		.amdhsa_user_sgpr_dispatch_id 0
		.amdhsa_user_sgpr_kernarg_preload_length 0
		.amdhsa_user_sgpr_kernarg_preload_offset 0
		.amdhsa_user_sgpr_private_segment_size 0
		.amdhsa_uses_dynamic_stack 0
		.amdhsa_enable_private_segment 0
		.amdhsa_system_sgpr_workgroup_id_x 1
		.amdhsa_system_sgpr_workgroup_id_y 0
		.amdhsa_system_sgpr_workgroup_id_z 0
		.amdhsa_system_sgpr_workgroup_info 0
		.amdhsa_system_vgpr_workitem_id 0
		.amdhsa_next_free_vgpr 1
		.amdhsa_next_free_sgpr 0
		.amdhsa_accum_offset 4
		.amdhsa_reserve_vcc 0
		.amdhsa_float_round_mode_32 0
		.amdhsa_float_round_mode_16_64 0
		.amdhsa_float_denorm_mode_32 3
		.amdhsa_float_denorm_mode_16_64 3
		.amdhsa_dx10_clamp 1
		.amdhsa_ieee_mode 1
		.amdhsa_fp16_overflow 0
		.amdhsa_tg_split 0
		.amdhsa_exception_fp_ieee_invalid_op 0
		.amdhsa_exception_fp_denorm_src 0
		.amdhsa_exception_fp_ieee_div_zero 0
		.amdhsa_exception_fp_ieee_overflow 0
		.amdhsa_exception_fp_ieee_underflow 0
		.amdhsa_exception_fp_ieee_inexact 0
		.amdhsa_exception_int_div_zero 0
	.end_amdhsa_kernel
	.section	.text._ZN7rocprim17ROCPRIM_400000_NS6detail17trampoline_kernelINS0_14default_configENS1_25partition_config_selectorILNS1_17partition_subalgoE8EN3c108BFloat16ENS0_10empty_typeEbEEZZNS1_14partition_implILS5_8ELb0ES3_jPKS7_PS8_PKS8_NS0_5tupleIJPS7_S8_EEENSG_IJSD_SD_EEENS0_18inequality_wrapperIN6hipcub16HIPCUB_304000_NS8EqualityEEEPlJS8_EEE10hipError_tPvRmT3_T4_T5_T6_T7_T9_mT8_P12ihipStream_tbDpT10_ENKUlT_T0_E_clISt17integral_constantIbLb1EES19_EEDaS14_S15_EUlS14_E_NS1_11comp_targetILNS1_3genE10ELNS1_11target_archE1200ELNS1_3gpuE4ELNS1_3repE0EEENS1_30default_config_static_selectorELNS0_4arch9wavefront6targetE1EEEvT1_,"axG",@progbits,_ZN7rocprim17ROCPRIM_400000_NS6detail17trampoline_kernelINS0_14default_configENS1_25partition_config_selectorILNS1_17partition_subalgoE8EN3c108BFloat16ENS0_10empty_typeEbEEZZNS1_14partition_implILS5_8ELb0ES3_jPKS7_PS8_PKS8_NS0_5tupleIJPS7_S8_EEENSG_IJSD_SD_EEENS0_18inequality_wrapperIN6hipcub16HIPCUB_304000_NS8EqualityEEEPlJS8_EEE10hipError_tPvRmT3_T4_T5_T6_T7_T9_mT8_P12ihipStream_tbDpT10_ENKUlT_T0_E_clISt17integral_constantIbLb1EES19_EEDaS14_S15_EUlS14_E_NS1_11comp_targetILNS1_3genE10ELNS1_11target_archE1200ELNS1_3gpuE4ELNS1_3repE0EEENS1_30default_config_static_selectorELNS0_4arch9wavefront6targetE1EEEvT1_,comdat
.Lfunc_end837:
	.size	_ZN7rocprim17ROCPRIM_400000_NS6detail17trampoline_kernelINS0_14default_configENS1_25partition_config_selectorILNS1_17partition_subalgoE8EN3c108BFloat16ENS0_10empty_typeEbEEZZNS1_14partition_implILS5_8ELb0ES3_jPKS7_PS8_PKS8_NS0_5tupleIJPS7_S8_EEENSG_IJSD_SD_EEENS0_18inequality_wrapperIN6hipcub16HIPCUB_304000_NS8EqualityEEEPlJS8_EEE10hipError_tPvRmT3_T4_T5_T6_T7_T9_mT8_P12ihipStream_tbDpT10_ENKUlT_T0_E_clISt17integral_constantIbLb1EES19_EEDaS14_S15_EUlS14_E_NS1_11comp_targetILNS1_3genE10ELNS1_11target_archE1200ELNS1_3gpuE4ELNS1_3repE0EEENS1_30default_config_static_selectorELNS0_4arch9wavefront6targetE1EEEvT1_, .Lfunc_end837-_ZN7rocprim17ROCPRIM_400000_NS6detail17trampoline_kernelINS0_14default_configENS1_25partition_config_selectorILNS1_17partition_subalgoE8EN3c108BFloat16ENS0_10empty_typeEbEEZZNS1_14partition_implILS5_8ELb0ES3_jPKS7_PS8_PKS8_NS0_5tupleIJPS7_S8_EEENSG_IJSD_SD_EEENS0_18inequality_wrapperIN6hipcub16HIPCUB_304000_NS8EqualityEEEPlJS8_EEE10hipError_tPvRmT3_T4_T5_T6_T7_T9_mT8_P12ihipStream_tbDpT10_ENKUlT_T0_E_clISt17integral_constantIbLb1EES19_EEDaS14_S15_EUlS14_E_NS1_11comp_targetILNS1_3genE10ELNS1_11target_archE1200ELNS1_3gpuE4ELNS1_3repE0EEENS1_30default_config_static_selectorELNS0_4arch9wavefront6targetE1EEEvT1_
                                        ; -- End function
	.section	.AMDGPU.csdata,"",@progbits
; Kernel info:
; codeLenInByte = 0
; NumSgprs: 6
; NumVgprs: 0
; NumAgprs: 0
; TotalNumVgprs: 0
; ScratchSize: 0
; MemoryBound: 0
; FloatMode: 240
; IeeeMode: 1
; LDSByteSize: 0 bytes/workgroup (compile time only)
; SGPRBlocks: 0
; VGPRBlocks: 0
; NumSGPRsForWavesPerEU: 6
; NumVGPRsForWavesPerEU: 1
; AccumOffset: 4
; Occupancy: 8
; WaveLimiterHint : 0
; COMPUTE_PGM_RSRC2:SCRATCH_EN: 0
; COMPUTE_PGM_RSRC2:USER_SGPR: 2
; COMPUTE_PGM_RSRC2:TRAP_HANDLER: 0
; COMPUTE_PGM_RSRC2:TGID_X_EN: 1
; COMPUTE_PGM_RSRC2:TGID_Y_EN: 0
; COMPUTE_PGM_RSRC2:TGID_Z_EN: 0
; COMPUTE_PGM_RSRC2:TIDIG_COMP_CNT: 0
; COMPUTE_PGM_RSRC3_GFX90A:ACCUM_OFFSET: 0
; COMPUTE_PGM_RSRC3_GFX90A:TG_SPLIT: 0
	.section	.text._ZN7rocprim17ROCPRIM_400000_NS6detail17trampoline_kernelINS0_14default_configENS1_25partition_config_selectorILNS1_17partition_subalgoE8EN3c108BFloat16ENS0_10empty_typeEbEEZZNS1_14partition_implILS5_8ELb0ES3_jPKS7_PS8_PKS8_NS0_5tupleIJPS7_S8_EEENSG_IJSD_SD_EEENS0_18inequality_wrapperIN6hipcub16HIPCUB_304000_NS8EqualityEEEPlJS8_EEE10hipError_tPvRmT3_T4_T5_T6_T7_T9_mT8_P12ihipStream_tbDpT10_ENKUlT_T0_E_clISt17integral_constantIbLb1EES19_EEDaS14_S15_EUlS14_E_NS1_11comp_targetILNS1_3genE9ELNS1_11target_archE1100ELNS1_3gpuE3ELNS1_3repE0EEENS1_30default_config_static_selectorELNS0_4arch9wavefront6targetE1EEEvT1_,"axG",@progbits,_ZN7rocprim17ROCPRIM_400000_NS6detail17trampoline_kernelINS0_14default_configENS1_25partition_config_selectorILNS1_17partition_subalgoE8EN3c108BFloat16ENS0_10empty_typeEbEEZZNS1_14partition_implILS5_8ELb0ES3_jPKS7_PS8_PKS8_NS0_5tupleIJPS7_S8_EEENSG_IJSD_SD_EEENS0_18inequality_wrapperIN6hipcub16HIPCUB_304000_NS8EqualityEEEPlJS8_EEE10hipError_tPvRmT3_T4_T5_T6_T7_T9_mT8_P12ihipStream_tbDpT10_ENKUlT_T0_E_clISt17integral_constantIbLb1EES19_EEDaS14_S15_EUlS14_E_NS1_11comp_targetILNS1_3genE9ELNS1_11target_archE1100ELNS1_3gpuE3ELNS1_3repE0EEENS1_30default_config_static_selectorELNS0_4arch9wavefront6targetE1EEEvT1_,comdat
	.protected	_ZN7rocprim17ROCPRIM_400000_NS6detail17trampoline_kernelINS0_14default_configENS1_25partition_config_selectorILNS1_17partition_subalgoE8EN3c108BFloat16ENS0_10empty_typeEbEEZZNS1_14partition_implILS5_8ELb0ES3_jPKS7_PS8_PKS8_NS0_5tupleIJPS7_S8_EEENSG_IJSD_SD_EEENS0_18inequality_wrapperIN6hipcub16HIPCUB_304000_NS8EqualityEEEPlJS8_EEE10hipError_tPvRmT3_T4_T5_T6_T7_T9_mT8_P12ihipStream_tbDpT10_ENKUlT_T0_E_clISt17integral_constantIbLb1EES19_EEDaS14_S15_EUlS14_E_NS1_11comp_targetILNS1_3genE9ELNS1_11target_archE1100ELNS1_3gpuE3ELNS1_3repE0EEENS1_30default_config_static_selectorELNS0_4arch9wavefront6targetE1EEEvT1_ ; -- Begin function _ZN7rocprim17ROCPRIM_400000_NS6detail17trampoline_kernelINS0_14default_configENS1_25partition_config_selectorILNS1_17partition_subalgoE8EN3c108BFloat16ENS0_10empty_typeEbEEZZNS1_14partition_implILS5_8ELb0ES3_jPKS7_PS8_PKS8_NS0_5tupleIJPS7_S8_EEENSG_IJSD_SD_EEENS0_18inequality_wrapperIN6hipcub16HIPCUB_304000_NS8EqualityEEEPlJS8_EEE10hipError_tPvRmT3_T4_T5_T6_T7_T9_mT8_P12ihipStream_tbDpT10_ENKUlT_T0_E_clISt17integral_constantIbLb1EES19_EEDaS14_S15_EUlS14_E_NS1_11comp_targetILNS1_3genE9ELNS1_11target_archE1100ELNS1_3gpuE3ELNS1_3repE0EEENS1_30default_config_static_selectorELNS0_4arch9wavefront6targetE1EEEvT1_
	.globl	_ZN7rocprim17ROCPRIM_400000_NS6detail17trampoline_kernelINS0_14default_configENS1_25partition_config_selectorILNS1_17partition_subalgoE8EN3c108BFloat16ENS0_10empty_typeEbEEZZNS1_14partition_implILS5_8ELb0ES3_jPKS7_PS8_PKS8_NS0_5tupleIJPS7_S8_EEENSG_IJSD_SD_EEENS0_18inequality_wrapperIN6hipcub16HIPCUB_304000_NS8EqualityEEEPlJS8_EEE10hipError_tPvRmT3_T4_T5_T6_T7_T9_mT8_P12ihipStream_tbDpT10_ENKUlT_T0_E_clISt17integral_constantIbLb1EES19_EEDaS14_S15_EUlS14_E_NS1_11comp_targetILNS1_3genE9ELNS1_11target_archE1100ELNS1_3gpuE3ELNS1_3repE0EEENS1_30default_config_static_selectorELNS0_4arch9wavefront6targetE1EEEvT1_
	.p2align	8
	.type	_ZN7rocprim17ROCPRIM_400000_NS6detail17trampoline_kernelINS0_14default_configENS1_25partition_config_selectorILNS1_17partition_subalgoE8EN3c108BFloat16ENS0_10empty_typeEbEEZZNS1_14partition_implILS5_8ELb0ES3_jPKS7_PS8_PKS8_NS0_5tupleIJPS7_S8_EEENSG_IJSD_SD_EEENS0_18inequality_wrapperIN6hipcub16HIPCUB_304000_NS8EqualityEEEPlJS8_EEE10hipError_tPvRmT3_T4_T5_T6_T7_T9_mT8_P12ihipStream_tbDpT10_ENKUlT_T0_E_clISt17integral_constantIbLb1EES19_EEDaS14_S15_EUlS14_E_NS1_11comp_targetILNS1_3genE9ELNS1_11target_archE1100ELNS1_3gpuE3ELNS1_3repE0EEENS1_30default_config_static_selectorELNS0_4arch9wavefront6targetE1EEEvT1_,@function
_ZN7rocprim17ROCPRIM_400000_NS6detail17trampoline_kernelINS0_14default_configENS1_25partition_config_selectorILNS1_17partition_subalgoE8EN3c108BFloat16ENS0_10empty_typeEbEEZZNS1_14partition_implILS5_8ELb0ES3_jPKS7_PS8_PKS8_NS0_5tupleIJPS7_S8_EEENSG_IJSD_SD_EEENS0_18inequality_wrapperIN6hipcub16HIPCUB_304000_NS8EqualityEEEPlJS8_EEE10hipError_tPvRmT3_T4_T5_T6_T7_T9_mT8_P12ihipStream_tbDpT10_ENKUlT_T0_E_clISt17integral_constantIbLb1EES19_EEDaS14_S15_EUlS14_E_NS1_11comp_targetILNS1_3genE9ELNS1_11target_archE1100ELNS1_3gpuE3ELNS1_3repE0EEENS1_30default_config_static_selectorELNS0_4arch9wavefront6targetE1EEEvT1_: ; @_ZN7rocprim17ROCPRIM_400000_NS6detail17trampoline_kernelINS0_14default_configENS1_25partition_config_selectorILNS1_17partition_subalgoE8EN3c108BFloat16ENS0_10empty_typeEbEEZZNS1_14partition_implILS5_8ELb0ES3_jPKS7_PS8_PKS8_NS0_5tupleIJPS7_S8_EEENSG_IJSD_SD_EEENS0_18inequality_wrapperIN6hipcub16HIPCUB_304000_NS8EqualityEEEPlJS8_EEE10hipError_tPvRmT3_T4_T5_T6_T7_T9_mT8_P12ihipStream_tbDpT10_ENKUlT_T0_E_clISt17integral_constantIbLb1EES19_EEDaS14_S15_EUlS14_E_NS1_11comp_targetILNS1_3genE9ELNS1_11target_archE1100ELNS1_3gpuE3ELNS1_3repE0EEENS1_30default_config_static_selectorELNS0_4arch9wavefront6targetE1EEEvT1_
; %bb.0:
	.section	.rodata,"a",@progbits
	.p2align	6, 0x0
	.amdhsa_kernel _ZN7rocprim17ROCPRIM_400000_NS6detail17trampoline_kernelINS0_14default_configENS1_25partition_config_selectorILNS1_17partition_subalgoE8EN3c108BFloat16ENS0_10empty_typeEbEEZZNS1_14partition_implILS5_8ELb0ES3_jPKS7_PS8_PKS8_NS0_5tupleIJPS7_S8_EEENSG_IJSD_SD_EEENS0_18inequality_wrapperIN6hipcub16HIPCUB_304000_NS8EqualityEEEPlJS8_EEE10hipError_tPvRmT3_T4_T5_T6_T7_T9_mT8_P12ihipStream_tbDpT10_ENKUlT_T0_E_clISt17integral_constantIbLb1EES19_EEDaS14_S15_EUlS14_E_NS1_11comp_targetILNS1_3genE9ELNS1_11target_archE1100ELNS1_3gpuE3ELNS1_3repE0EEENS1_30default_config_static_selectorELNS0_4arch9wavefront6targetE1EEEvT1_
		.amdhsa_group_segment_fixed_size 0
		.amdhsa_private_segment_fixed_size 0
		.amdhsa_kernarg_size 128
		.amdhsa_user_sgpr_count 2
		.amdhsa_user_sgpr_dispatch_ptr 0
		.amdhsa_user_sgpr_queue_ptr 0
		.amdhsa_user_sgpr_kernarg_segment_ptr 1
		.amdhsa_user_sgpr_dispatch_id 0
		.amdhsa_user_sgpr_kernarg_preload_length 0
		.amdhsa_user_sgpr_kernarg_preload_offset 0
		.amdhsa_user_sgpr_private_segment_size 0
		.amdhsa_uses_dynamic_stack 0
		.amdhsa_enable_private_segment 0
		.amdhsa_system_sgpr_workgroup_id_x 1
		.amdhsa_system_sgpr_workgroup_id_y 0
		.amdhsa_system_sgpr_workgroup_id_z 0
		.amdhsa_system_sgpr_workgroup_info 0
		.amdhsa_system_vgpr_workitem_id 0
		.amdhsa_next_free_vgpr 1
		.amdhsa_next_free_sgpr 0
		.amdhsa_accum_offset 4
		.amdhsa_reserve_vcc 0
		.amdhsa_float_round_mode_32 0
		.amdhsa_float_round_mode_16_64 0
		.amdhsa_float_denorm_mode_32 3
		.amdhsa_float_denorm_mode_16_64 3
		.amdhsa_dx10_clamp 1
		.amdhsa_ieee_mode 1
		.amdhsa_fp16_overflow 0
		.amdhsa_tg_split 0
		.amdhsa_exception_fp_ieee_invalid_op 0
		.amdhsa_exception_fp_denorm_src 0
		.amdhsa_exception_fp_ieee_div_zero 0
		.amdhsa_exception_fp_ieee_overflow 0
		.amdhsa_exception_fp_ieee_underflow 0
		.amdhsa_exception_fp_ieee_inexact 0
		.amdhsa_exception_int_div_zero 0
	.end_amdhsa_kernel
	.section	.text._ZN7rocprim17ROCPRIM_400000_NS6detail17trampoline_kernelINS0_14default_configENS1_25partition_config_selectorILNS1_17partition_subalgoE8EN3c108BFloat16ENS0_10empty_typeEbEEZZNS1_14partition_implILS5_8ELb0ES3_jPKS7_PS8_PKS8_NS0_5tupleIJPS7_S8_EEENSG_IJSD_SD_EEENS0_18inequality_wrapperIN6hipcub16HIPCUB_304000_NS8EqualityEEEPlJS8_EEE10hipError_tPvRmT3_T4_T5_T6_T7_T9_mT8_P12ihipStream_tbDpT10_ENKUlT_T0_E_clISt17integral_constantIbLb1EES19_EEDaS14_S15_EUlS14_E_NS1_11comp_targetILNS1_3genE9ELNS1_11target_archE1100ELNS1_3gpuE3ELNS1_3repE0EEENS1_30default_config_static_selectorELNS0_4arch9wavefront6targetE1EEEvT1_,"axG",@progbits,_ZN7rocprim17ROCPRIM_400000_NS6detail17trampoline_kernelINS0_14default_configENS1_25partition_config_selectorILNS1_17partition_subalgoE8EN3c108BFloat16ENS0_10empty_typeEbEEZZNS1_14partition_implILS5_8ELb0ES3_jPKS7_PS8_PKS8_NS0_5tupleIJPS7_S8_EEENSG_IJSD_SD_EEENS0_18inequality_wrapperIN6hipcub16HIPCUB_304000_NS8EqualityEEEPlJS8_EEE10hipError_tPvRmT3_T4_T5_T6_T7_T9_mT8_P12ihipStream_tbDpT10_ENKUlT_T0_E_clISt17integral_constantIbLb1EES19_EEDaS14_S15_EUlS14_E_NS1_11comp_targetILNS1_3genE9ELNS1_11target_archE1100ELNS1_3gpuE3ELNS1_3repE0EEENS1_30default_config_static_selectorELNS0_4arch9wavefront6targetE1EEEvT1_,comdat
.Lfunc_end838:
	.size	_ZN7rocprim17ROCPRIM_400000_NS6detail17trampoline_kernelINS0_14default_configENS1_25partition_config_selectorILNS1_17partition_subalgoE8EN3c108BFloat16ENS0_10empty_typeEbEEZZNS1_14partition_implILS5_8ELb0ES3_jPKS7_PS8_PKS8_NS0_5tupleIJPS7_S8_EEENSG_IJSD_SD_EEENS0_18inequality_wrapperIN6hipcub16HIPCUB_304000_NS8EqualityEEEPlJS8_EEE10hipError_tPvRmT3_T4_T5_T6_T7_T9_mT8_P12ihipStream_tbDpT10_ENKUlT_T0_E_clISt17integral_constantIbLb1EES19_EEDaS14_S15_EUlS14_E_NS1_11comp_targetILNS1_3genE9ELNS1_11target_archE1100ELNS1_3gpuE3ELNS1_3repE0EEENS1_30default_config_static_selectorELNS0_4arch9wavefront6targetE1EEEvT1_, .Lfunc_end838-_ZN7rocprim17ROCPRIM_400000_NS6detail17trampoline_kernelINS0_14default_configENS1_25partition_config_selectorILNS1_17partition_subalgoE8EN3c108BFloat16ENS0_10empty_typeEbEEZZNS1_14partition_implILS5_8ELb0ES3_jPKS7_PS8_PKS8_NS0_5tupleIJPS7_S8_EEENSG_IJSD_SD_EEENS0_18inequality_wrapperIN6hipcub16HIPCUB_304000_NS8EqualityEEEPlJS8_EEE10hipError_tPvRmT3_T4_T5_T6_T7_T9_mT8_P12ihipStream_tbDpT10_ENKUlT_T0_E_clISt17integral_constantIbLb1EES19_EEDaS14_S15_EUlS14_E_NS1_11comp_targetILNS1_3genE9ELNS1_11target_archE1100ELNS1_3gpuE3ELNS1_3repE0EEENS1_30default_config_static_selectorELNS0_4arch9wavefront6targetE1EEEvT1_
                                        ; -- End function
	.section	.AMDGPU.csdata,"",@progbits
; Kernel info:
; codeLenInByte = 0
; NumSgprs: 6
; NumVgprs: 0
; NumAgprs: 0
; TotalNumVgprs: 0
; ScratchSize: 0
; MemoryBound: 0
; FloatMode: 240
; IeeeMode: 1
; LDSByteSize: 0 bytes/workgroup (compile time only)
; SGPRBlocks: 0
; VGPRBlocks: 0
; NumSGPRsForWavesPerEU: 6
; NumVGPRsForWavesPerEU: 1
; AccumOffset: 4
; Occupancy: 8
; WaveLimiterHint : 0
; COMPUTE_PGM_RSRC2:SCRATCH_EN: 0
; COMPUTE_PGM_RSRC2:USER_SGPR: 2
; COMPUTE_PGM_RSRC2:TRAP_HANDLER: 0
; COMPUTE_PGM_RSRC2:TGID_X_EN: 1
; COMPUTE_PGM_RSRC2:TGID_Y_EN: 0
; COMPUTE_PGM_RSRC2:TGID_Z_EN: 0
; COMPUTE_PGM_RSRC2:TIDIG_COMP_CNT: 0
; COMPUTE_PGM_RSRC3_GFX90A:ACCUM_OFFSET: 0
; COMPUTE_PGM_RSRC3_GFX90A:TG_SPLIT: 0
	.section	.text._ZN7rocprim17ROCPRIM_400000_NS6detail17trampoline_kernelINS0_14default_configENS1_25partition_config_selectorILNS1_17partition_subalgoE8EN3c108BFloat16ENS0_10empty_typeEbEEZZNS1_14partition_implILS5_8ELb0ES3_jPKS7_PS8_PKS8_NS0_5tupleIJPS7_S8_EEENSG_IJSD_SD_EEENS0_18inequality_wrapperIN6hipcub16HIPCUB_304000_NS8EqualityEEEPlJS8_EEE10hipError_tPvRmT3_T4_T5_T6_T7_T9_mT8_P12ihipStream_tbDpT10_ENKUlT_T0_E_clISt17integral_constantIbLb1EES19_EEDaS14_S15_EUlS14_E_NS1_11comp_targetILNS1_3genE8ELNS1_11target_archE1030ELNS1_3gpuE2ELNS1_3repE0EEENS1_30default_config_static_selectorELNS0_4arch9wavefront6targetE1EEEvT1_,"axG",@progbits,_ZN7rocprim17ROCPRIM_400000_NS6detail17trampoline_kernelINS0_14default_configENS1_25partition_config_selectorILNS1_17partition_subalgoE8EN3c108BFloat16ENS0_10empty_typeEbEEZZNS1_14partition_implILS5_8ELb0ES3_jPKS7_PS8_PKS8_NS0_5tupleIJPS7_S8_EEENSG_IJSD_SD_EEENS0_18inequality_wrapperIN6hipcub16HIPCUB_304000_NS8EqualityEEEPlJS8_EEE10hipError_tPvRmT3_T4_T5_T6_T7_T9_mT8_P12ihipStream_tbDpT10_ENKUlT_T0_E_clISt17integral_constantIbLb1EES19_EEDaS14_S15_EUlS14_E_NS1_11comp_targetILNS1_3genE8ELNS1_11target_archE1030ELNS1_3gpuE2ELNS1_3repE0EEENS1_30default_config_static_selectorELNS0_4arch9wavefront6targetE1EEEvT1_,comdat
	.protected	_ZN7rocprim17ROCPRIM_400000_NS6detail17trampoline_kernelINS0_14default_configENS1_25partition_config_selectorILNS1_17partition_subalgoE8EN3c108BFloat16ENS0_10empty_typeEbEEZZNS1_14partition_implILS5_8ELb0ES3_jPKS7_PS8_PKS8_NS0_5tupleIJPS7_S8_EEENSG_IJSD_SD_EEENS0_18inequality_wrapperIN6hipcub16HIPCUB_304000_NS8EqualityEEEPlJS8_EEE10hipError_tPvRmT3_T4_T5_T6_T7_T9_mT8_P12ihipStream_tbDpT10_ENKUlT_T0_E_clISt17integral_constantIbLb1EES19_EEDaS14_S15_EUlS14_E_NS1_11comp_targetILNS1_3genE8ELNS1_11target_archE1030ELNS1_3gpuE2ELNS1_3repE0EEENS1_30default_config_static_selectorELNS0_4arch9wavefront6targetE1EEEvT1_ ; -- Begin function _ZN7rocprim17ROCPRIM_400000_NS6detail17trampoline_kernelINS0_14default_configENS1_25partition_config_selectorILNS1_17partition_subalgoE8EN3c108BFloat16ENS0_10empty_typeEbEEZZNS1_14partition_implILS5_8ELb0ES3_jPKS7_PS8_PKS8_NS0_5tupleIJPS7_S8_EEENSG_IJSD_SD_EEENS0_18inequality_wrapperIN6hipcub16HIPCUB_304000_NS8EqualityEEEPlJS8_EEE10hipError_tPvRmT3_T4_T5_T6_T7_T9_mT8_P12ihipStream_tbDpT10_ENKUlT_T0_E_clISt17integral_constantIbLb1EES19_EEDaS14_S15_EUlS14_E_NS1_11comp_targetILNS1_3genE8ELNS1_11target_archE1030ELNS1_3gpuE2ELNS1_3repE0EEENS1_30default_config_static_selectorELNS0_4arch9wavefront6targetE1EEEvT1_
	.globl	_ZN7rocprim17ROCPRIM_400000_NS6detail17trampoline_kernelINS0_14default_configENS1_25partition_config_selectorILNS1_17partition_subalgoE8EN3c108BFloat16ENS0_10empty_typeEbEEZZNS1_14partition_implILS5_8ELb0ES3_jPKS7_PS8_PKS8_NS0_5tupleIJPS7_S8_EEENSG_IJSD_SD_EEENS0_18inequality_wrapperIN6hipcub16HIPCUB_304000_NS8EqualityEEEPlJS8_EEE10hipError_tPvRmT3_T4_T5_T6_T7_T9_mT8_P12ihipStream_tbDpT10_ENKUlT_T0_E_clISt17integral_constantIbLb1EES19_EEDaS14_S15_EUlS14_E_NS1_11comp_targetILNS1_3genE8ELNS1_11target_archE1030ELNS1_3gpuE2ELNS1_3repE0EEENS1_30default_config_static_selectorELNS0_4arch9wavefront6targetE1EEEvT1_
	.p2align	8
	.type	_ZN7rocprim17ROCPRIM_400000_NS6detail17trampoline_kernelINS0_14default_configENS1_25partition_config_selectorILNS1_17partition_subalgoE8EN3c108BFloat16ENS0_10empty_typeEbEEZZNS1_14partition_implILS5_8ELb0ES3_jPKS7_PS8_PKS8_NS0_5tupleIJPS7_S8_EEENSG_IJSD_SD_EEENS0_18inequality_wrapperIN6hipcub16HIPCUB_304000_NS8EqualityEEEPlJS8_EEE10hipError_tPvRmT3_T4_T5_T6_T7_T9_mT8_P12ihipStream_tbDpT10_ENKUlT_T0_E_clISt17integral_constantIbLb1EES19_EEDaS14_S15_EUlS14_E_NS1_11comp_targetILNS1_3genE8ELNS1_11target_archE1030ELNS1_3gpuE2ELNS1_3repE0EEENS1_30default_config_static_selectorELNS0_4arch9wavefront6targetE1EEEvT1_,@function
_ZN7rocprim17ROCPRIM_400000_NS6detail17trampoline_kernelINS0_14default_configENS1_25partition_config_selectorILNS1_17partition_subalgoE8EN3c108BFloat16ENS0_10empty_typeEbEEZZNS1_14partition_implILS5_8ELb0ES3_jPKS7_PS8_PKS8_NS0_5tupleIJPS7_S8_EEENSG_IJSD_SD_EEENS0_18inequality_wrapperIN6hipcub16HIPCUB_304000_NS8EqualityEEEPlJS8_EEE10hipError_tPvRmT3_T4_T5_T6_T7_T9_mT8_P12ihipStream_tbDpT10_ENKUlT_T0_E_clISt17integral_constantIbLb1EES19_EEDaS14_S15_EUlS14_E_NS1_11comp_targetILNS1_3genE8ELNS1_11target_archE1030ELNS1_3gpuE2ELNS1_3repE0EEENS1_30default_config_static_selectorELNS0_4arch9wavefront6targetE1EEEvT1_: ; @_ZN7rocprim17ROCPRIM_400000_NS6detail17trampoline_kernelINS0_14default_configENS1_25partition_config_selectorILNS1_17partition_subalgoE8EN3c108BFloat16ENS0_10empty_typeEbEEZZNS1_14partition_implILS5_8ELb0ES3_jPKS7_PS8_PKS8_NS0_5tupleIJPS7_S8_EEENSG_IJSD_SD_EEENS0_18inequality_wrapperIN6hipcub16HIPCUB_304000_NS8EqualityEEEPlJS8_EEE10hipError_tPvRmT3_T4_T5_T6_T7_T9_mT8_P12ihipStream_tbDpT10_ENKUlT_T0_E_clISt17integral_constantIbLb1EES19_EEDaS14_S15_EUlS14_E_NS1_11comp_targetILNS1_3genE8ELNS1_11target_archE1030ELNS1_3gpuE2ELNS1_3repE0EEENS1_30default_config_static_selectorELNS0_4arch9wavefront6targetE1EEEvT1_
; %bb.0:
	.section	.rodata,"a",@progbits
	.p2align	6, 0x0
	.amdhsa_kernel _ZN7rocprim17ROCPRIM_400000_NS6detail17trampoline_kernelINS0_14default_configENS1_25partition_config_selectorILNS1_17partition_subalgoE8EN3c108BFloat16ENS0_10empty_typeEbEEZZNS1_14partition_implILS5_8ELb0ES3_jPKS7_PS8_PKS8_NS0_5tupleIJPS7_S8_EEENSG_IJSD_SD_EEENS0_18inequality_wrapperIN6hipcub16HIPCUB_304000_NS8EqualityEEEPlJS8_EEE10hipError_tPvRmT3_T4_T5_T6_T7_T9_mT8_P12ihipStream_tbDpT10_ENKUlT_T0_E_clISt17integral_constantIbLb1EES19_EEDaS14_S15_EUlS14_E_NS1_11comp_targetILNS1_3genE8ELNS1_11target_archE1030ELNS1_3gpuE2ELNS1_3repE0EEENS1_30default_config_static_selectorELNS0_4arch9wavefront6targetE1EEEvT1_
		.amdhsa_group_segment_fixed_size 0
		.amdhsa_private_segment_fixed_size 0
		.amdhsa_kernarg_size 128
		.amdhsa_user_sgpr_count 2
		.amdhsa_user_sgpr_dispatch_ptr 0
		.amdhsa_user_sgpr_queue_ptr 0
		.amdhsa_user_sgpr_kernarg_segment_ptr 1
		.amdhsa_user_sgpr_dispatch_id 0
		.amdhsa_user_sgpr_kernarg_preload_length 0
		.amdhsa_user_sgpr_kernarg_preload_offset 0
		.amdhsa_user_sgpr_private_segment_size 0
		.amdhsa_uses_dynamic_stack 0
		.amdhsa_enable_private_segment 0
		.amdhsa_system_sgpr_workgroup_id_x 1
		.amdhsa_system_sgpr_workgroup_id_y 0
		.amdhsa_system_sgpr_workgroup_id_z 0
		.amdhsa_system_sgpr_workgroup_info 0
		.amdhsa_system_vgpr_workitem_id 0
		.amdhsa_next_free_vgpr 1
		.amdhsa_next_free_sgpr 0
		.amdhsa_accum_offset 4
		.amdhsa_reserve_vcc 0
		.amdhsa_float_round_mode_32 0
		.amdhsa_float_round_mode_16_64 0
		.amdhsa_float_denorm_mode_32 3
		.amdhsa_float_denorm_mode_16_64 3
		.amdhsa_dx10_clamp 1
		.amdhsa_ieee_mode 1
		.amdhsa_fp16_overflow 0
		.amdhsa_tg_split 0
		.amdhsa_exception_fp_ieee_invalid_op 0
		.amdhsa_exception_fp_denorm_src 0
		.amdhsa_exception_fp_ieee_div_zero 0
		.amdhsa_exception_fp_ieee_overflow 0
		.amdhsa_exception_fp_ieee_underflow 0
		.amdhsa_exception_fp_ieee_inexact 0
		.amdhsa_exception_int_div_zero 0
	.end_amdhsa_kernel
	.section	.text._ZN7rocprim17ROCPRIM_400000_NS6detail17trampoline_kernelINS0_14default_configENS1_25partition_config_selectorILNS1_17partition_subalgoE8EN3c108BFloat16ENS0_10empty_typeEbEEZZNS1_14partition_implILS5_8ELb0ES3_jPKS7_PS8_PKS8_NS0_5tupleIJPS7_S8_EEENSG_IJSD_SD_EEENS0_18inequality_wrapperIN6hipcub16HIPCUB_304000_NS8EqualityEEEPlJS8_EEE10hipError_tPvRmT3_T4_T5_T6_T7_T9_mT8_P12ihipStream_tbDpT10_ENKUlT_T0_E_clISt17integral_constantIbLb1EES19_EEDaS14_S15_EUlS14_E_NS1_11comp_targetILNS1_3genE8ELNS1_11target_archE1030ELNS1_3gpuE2ELNS1_3repE0EEENS1_30default_config_static_selectorELNS0_4arch9wavefront6targetE1EEEvT1_,"axG",@progbits,_ZN7rocprim17ROCPRIM_400000_NS6detail17trampoline_kernelINS0_14default_configENS1_25partition_config_selectorILNS1_17partition_subalgoE8EN3c108BFloat16ENS0_10empty_typeEbEEZZNS1_14partition_implILS5_8ELb0ES3_jPKS7_PS8_PKS8_NS0_5tupleIJPS7_S8_EEENSG_IJSD_SD_EEENS0_18inequality_wrapperIN6hipcub16HIPCUB_304000_NS8EqualityEEEPlJS8_EEE10hipError_tPvRmT3_T4_T5_T6_T7_T9_mT8_P12ihipStream_tbDpT10_ENKUlT_T0_E_clISt17integral_constantIbLb1EES19_EEDaS14_S15_EUlS14_E_NS1_11comp_targetILNS1_3genE8ELNS1_11target_archE1030ELNS1_3gpuE2ELNS1_3repE0EEENS1_30default_config_static_selectorELNS0_4arch9wavefront6targetE1EEEvT1_,comdat
.Lfunc_end839:
	.size	_ZN7rocprim17ROCPRIM_400000_NS6detail17trampoline_kernelINS0_14default_configENS1_25partition_config_selectorILNS1_17partition_subalgoE8EN3c108BFloat16ENS0_10empty_typeEbEEZZNS1_14partition_implILS5_8ELb0ES3_jPKS7_PS8_PKS8_NS0_5tupleIJPS7_S8_EEENSG_IJSD_SD_EEENS0_18inequality_wrapperIN6hipcub16HIPCUB_304000_NS8EqualityEEEPlJS8_EEE10hipError_tPvRmT3_T4_T5_T6_T7_T9_mT8_P12ihipStream_tbDpT10_ENKUlT_T0_E_clISt17integral_constantIbLb1EES19_EEDaS14_S15_EUlS14_E_NS1_11comp_targetILNS1_3genE8ELNS1_11target_archE1030ELNS1_3gpuE2ELNS1_3repE0EEENS1_30default_config_static_selectorELNS0_4arch9wavefront6targetE1EEEvT1_, .Lfunc_end839-_ZN7rocprim17ROCPRIM_400000_NS6detail17trampoline_kernelINS0_14default_configENS1_25partition_config_selectorILNS1_17partition_subalgoE8EN3c108BFloat16ENS0_10empty_typeEbEEZZNS1_14partition_implILS5_8ELb0ES3_jPKS7_PS8_PKS8_NS0_5tupleIJPS7_S8_EEENSG_IJSD_SD_EEENS0_18inequality_wrapperIN6hipcub16HIPCUB_304000_NS8EqualityEEEPlJS8_EEE10hipError_tPvRmT3_T4_T5_T6_T7_T9_mT8_P12ihipStream_tbDpT10_ENKUlT_T0_E_clISt17integral_constantIbLb1EES19_EEDaS14_S15_EUlS14_E_NS1_11comp_targetILNS1_3genE8ELNS1_11target_archE1030ELNS1_3gpuE2ELNS1_3repE0EEENS1_30default_config_static_selectorELNS0_4arch9wavefront6targetE1EEEvT1_
                                        ; -- End function
	.section	.AMDGPU.csdata,"",@progbits
; Kernel info:
; codeLenInByte = 0
; NumSgprs: 6
; NumVgprs: 0
; NumAgprs: 0
; TotalNumVgprs: 0
; ScratchSize: 0
; MemoryBound: 0
; FloatMode: 240
; IeeeMode: 1
; LDSByteSize: 0 bytes/workgroup (compile time only)
; SGPRBlocks: 0
; VGPRBlocks: 0
; NumSGPRsForWavesPerEU: 6
; NumVGPRsForWavesPerEU: 1
; AccumOffset: 4
; Occupancy: 8
; WaveLimiterHint : 0
; COMPUTE_PGM_RSRC2:SCRATCH_EN: 0
; COMPUTE_PGM_RSRC2:USER_SGPR: 2
; COMPUTE_PGM_RSRC2:TRAP_HANDLER: 0
; COMPUTE_PGM_RSRC2:TGID_X_EN: 1
; COMPUTE_PGM_RSRC2:TGID_Y_EN: 0
; COMPUTE_PGM_RSRC2:TGID_Z_EN: 0
; COMPUTE_PGM_RSRC2:TIDIG_COMP_CNT: 0
; COMPUTE_PGM_RSRC3_GFX90A:ACCUM_OFFSET: 0
; COMPUTE_PGM_RSRC3_GFX90A:TG_SPLIT: 0
	.section	.text._ZN7rocprim17ROCPRIM_400000_NS6detail17trampoline_kernelINS0_14default_configENS1_25partition_config_selectorILNS1_17partition_subalgoE8EN3c108BFloat16ENS0_10empty_typeEbEEZZNS1_14partition_implILS5_8ELb0ES3_jPKS7_PS8_PKS8_NS0_5tupleIJPS7_S8_EEENSG_IJSD_SD_EEENS0_18inequality_wrapperIN6hipcub16HIPCUB_304000_NS8EqualityEEEPlJS8_EEE10hipError_tPvRmT3_T4_T5_T6_T7_T9_mT8_P12ihipStream_tbDpT10_ENKUlT_T0_E_clISt17integral_constantIbLb1EES18_IbLb0EEEEDaS14_S15_EUlS14_E_NS1_11comp_targetILNS1_3genE0ELNS1_11target_archE4294967295ELNS1_3gpuE0ELNS1_3repE0EEENS1_30default_config_static_selectorELNS0_4arch9wavefront6targetE1EEEvT1_,"axG",@progbits,_ZN7rocprim17ROCPRIM_400000_NS6detail17trampoline_kernelINS0_14default_configENS1_25partition_config_selectorILNS1_17partition_subalgoE8EN3c108BFloat16ENS0_10empty_typeEbEEZZNS1_14partition_implILS5_8ELb0ES3_jPKS7_PS8_PKS8_NS0_5tupleIJPS7_S8_EEENSG_IJSD_SD_EEENS0_18inequality_wrapperIN6hipcub16HIPCUB_304000_NS8EqualityEEEPlJS8_EEE10hipError_tPvRmT3_T4_T5_T6_T7_T9_mT8_P12ihipStream_tbDpT10_ENKUlT_T0_E_clISt17integral_constantIbLb1EES18_IbLb0EEEEDaS14_S15_EUlS14_E_NS1_11comp_targetILNS1_3genE0ELNS1_11target_archE4294967295ELNS1_3gpuE0ELNS1_3repE0EEENS1_30default_config_static_selectorELNS0_4arch9wavefront6targetE1EEEvT1_,comdat
	.protected	_ZN7rocprim17ROCPRIM_400000_NS6detail17trampoline_kernelINS0_14default_configENS1_25partition_config_selectorILNS1_17partition_subalgoE8EN3c108BFloat16ENS0_10empty_typeEbEEZZNS1_14partition_implILS5_8ELb0ES3_jPKS7_PS8_PKS8_NS0_5tupleIJPS7_S8_EEENSG_IJSD_SD_EEENS0_18inequality_wrapperIN6hipcub16HIPCUB_304000_NS8EqualityEEEPlJS8_EEE10hipError_tPvRmT3_T4_T5_T6_T7_T9_mT8_P12ihipStream_tbDpT10_ENKUlT_T0_E_clISt17integral_constantIbLb1EES18_IbLb0EEEEDaS14_S15_EUlS14_E_NS1_11comp_targetILNS1_3genE0ELNS1_11target_archE4294967295ELNS1_3gpuE0ELNS1_3repE0EEENS1_30default_config_static_selectorELNS0_4arch9wavefront6targetE1EEEvT1_ ; -- Begin function _ZN7rocprim17ROCPRIM_400000_NS6detail17trampoline_kernelINS0_14default_configENS1_25partition_config_selectorILNS1_17partition_subalgoE8EN3c108BFloat16ENS0_10empty_typeEbEEZZNS1_14partition_implILS5_8ELb0ES3_jPKS7_PS8_PKS8_NS0_5tupleIJPS7_S8_EEENSG_IJSD_SD_EEENS0_18inequality_wrapperIN6hipcub16HIPCUB_304000_NS8EqualityEEEPlJS8_EEE10hipError_tPvRmT3_T4_T5_T6_T7_T9_mT8_P12ihipStream_tbDpT10_ENKUlT_T0_E_clISt17integral_constantIbLb1EES18_IbLb0EEEEDaS14_S15_EUlS14_E_NS1_11comp_targetILNS1_3genE0ELNS1_11target_archE4294967295ELNS1_3gpuE0ELNS1_3repE0EEENS1_30default_config_static_selectorELNS0_4arch9wavefront6targetE1EEEvT1_
	.globl	_ZN7rocprim17ROCPRIM_400000_NS6detail17trampoline_kernelINS0_14default_configENS1_25partition_config_selectorILNS1_17partition_subalgoE8EN3c108BFloat16ENS0_10empty_typeEbEEZZNS1_14partition_implILS5_8ELb0ES3_jPKS7_PS8_PKS8_NS0_5tupleIJPS7_S8_EEENSG_IJSD_SD_EEENS0_18inequality_wrapperIN6hipcub16HIPCUB_304000_NS8EqualityEEEPlJS8_EEE10hipError_tPvRmT3_T4_T5_T6_T7_T9_mT8_P12ihipStream_tbDpT10_ENKUlT_T0_E_clISt17integral_constantIbLb1EES18_IbLb0EEEEDaS14_S15_EUlS14_E_NS1_11comp_targetILNS1_3genE0ELNS1_11target_archE4294967295ELNS1_3gpuE0ELNS1_3repE0EEENS1_30default_config_static_selectorELNS0_4arch9wavefront6targetE1EEEvT1_
	.p2align	8
	.type	_ZN7rocprim17ROCPRIM_400000_NS6detail17trampoline_kernelINS0_14default_configENS1_25partition_config_selectorILNS1_17partition_subalgoE8EN3c108BFloat16ENS0_10empty_typeEbEEZZNS1_14partition_implILS5_8ELb0ES3_jPKS7_PS8_PKS8_NS0_5tupleIJPS7_S8_EEENSG_IJSD_SD_EEENS0_18inequality_wrapperIN6hipcub16HIPCUB_304000_NS8EqualityEEEPlJS8_EEE10hipError_tPvRmT3_T4_T5_T6_T7_T9_mT8_P12ihipStream_tbDpT10_ENKUlT_T0_E_clISt17integral_constantIbLb1EES18_IbLb0EEEEDaS14_S15_EUlS14_E_NS1_11comp_targetILNS1_3genE0ELNS1_11target_archE4294967295ELNS1_3gpuE0ELNS1_3repE0EEENS1_30default_config_static_selectorELNS0_4arch9wavefront6targetE1EEEvT1_,@function
_ZN7rocprim17ROCPRIM_400000_NS6detail17trampoline_kernelINS0_14default_configENS1_25partition_config_selectorILNS1_17partition_subalgoE8EN3c108BFloat16ENS0_10empty_typeEbEEZZNS1_14partition_implILS5_8ELb0ES3_jPKS7_PS8_PKS8_NS0_5tupleIJPS7_S8_EEENSG_IJSD_SD_EEENS0_18inequality_wrapperIN6hipcub16HIPCUB_304000_NS8EqualityEEEPlJS8_EEE10hipError_tPvRmT3_T4_T5_T6_T7_T9_mT8_P12ihipStream_tbDpT10_ENKUlT_T0_E_clISt17integral_constantIbLb1EES18_IbLb0EEEEDaS14_S15_EUlS14_E_NS1_11comp_targetILNS1_3genE0ELNS1_11target_archE4294967295ELNS1_3gpuE0ELNS1_3repE0EEENS1_30default_config_static_selectorELNS0_4arch9wavefront6targetE1EEEvT1_: ; @_ZN7rocprim17ROCPRIM_400000_NS6detail17trampoline_kernelINS0_14default_configENS1_25partition_config_selectorILNS1_17partition_subalgoE8EN3c108BFloat16ENS0_10empty_typeEbEEZZNS1_14partition_implILS5_8ELb0ES3_jPKS7_PS8_PKS8_NS0_5tupleIJPS7_S8_EEENSG_IJSD_SD_EEENS0_18inequality_wrapperIN6hipcub16HIPCUB_304000_NS8EqualityEEEPlJS8_EEE10hipError_tPvRmT3_T4_T5_T6_T7_T9_mT8_P12ihipStream_tbDpT10_ENKUlT_T0_E_clISt17integral_constantIbLb1EES18_IbLb0EEEEDaS14_S15_EUlS14_E_NS1_11comp_targetILNS1_3genE0ELNS1_11target_archE4294967295ELNS1_3gpuE0ELNS1_3repE0EEENS1_30default_config_static_selectorELNS0_4arch9wavefront6targetE1EEEvT1_
; %bb.0:
	.section	.rodata,"a",@progbits
	.p2align	6, 0x0
	.amdhsa_kernel _ZN7rocprim17ROCPRIM_400000_NS6detail17trampoline_kernelINS0_14default_configENS1_25partition_config_selectorILNS1_17partition_subalgoE8EN3c108BFloat16ENS0_10empty_typeEbEEZZNS1_14partition_implILS5_8ELb0ES3_jPKS7_PS8_PKS8_NS0_5tupleIJPS7_S8_EEENSG_IJSD_SD_EEENS0_18inequality_wrapperIN6hipcub16HIPCUB_304000_NS8EqualityEEEPlJS8_EEE10hipError_tPvRmT3_T4_T5_T6_T7_T9_mT8_P12ihipStream_tbDpT10_ENKUlT_T0_E_clISt17integral_constantIbLb1EES18_IbLb0EEEEDaS14_S15_EUlS14_E_NS1_11comp_targetILNS1_3genE0ELNS1_11target_archE4294967295ELNS1_3gpuE0ELNS1_3repE0EEENS1_30default_config_static_selectorELNS0_4arch9wavefront6targetE1EEEvT1_
		.amdhsa_group_segment_fixed_size 0
		.amdhsa_private_segment_fixed_size 0
		.amdhsa_kernarg_size 112
		.amdhsa_user_sgpr_count 2
		.amdhsa_user_sgpr_dispatch_ptr 0
		.amdhsa_user_sgpr_queue_ptr 0
		.amdhsa_user_sgpr_kernarg_segment_ptr 1
		.amdhsa_user_sgpr_dispatch_id 0
		.amdhsa_user_sgpr_kernarg_preload_length 0
		.amdhsa_user_sgpr_kernarg_preload_offset 0
		.amdhsa_user_sgpr_private_segment_size 0
		.amdhsa_uses_dynamic_stack 0
		.amdhsa_enable_private_segment 0
		.amdhsa_system_sgpr_workgroup_id_x 1
		.amdhsa_system_sgpr_workgroup_id_y 0
		.amdhsa_system_sgpr_workgroup_id_z 0
		.amdhsa_system_sgpr_workgroup_info 0
		.amdhsa_system_vgpr_workitem_id 0
		.amdhsa_next_free_vgpr 1
		.amdhsa_next_free_sgpr 0
		.amdhsa_accum_offset 4
		.amdhsa_reserve_vcc 0
		.amdhsa_float_round_mode_32 0
		.amdhsa_float_round_mode_16_64 0
		.amdhsa_float_denorm_mode_32 3
		.amdhsa_float_denorm_mode_16_64 3
		.amdhsa_dx10_clamp 1
		.amdhsa_ieee_mode 1
		.amdhsa_fp16_overflow 0
		.amdhsa_tg_split 0
		.amdhsa_exception_fp_ieee_invalid_op 0
		.amdhsa_exception_fp_denorm_src 0
		.amdhsa_exception_fp_ieee_div_zero 0
		.amdhsa_exception_fp_ieee_overflow 0
		.amdhsa_exception_fp_ieee_underflow 0
		.amdhsa_exception_fp_ieee_inexact 0
		.amdhsa_exception_int_div_zero 0
	.end_amdhsa_kernel
	.section	.text._ZN7rocprim17ROCPRIM_400000_NS6detail17trampoline_kernelINS0_14default_configENS1_25partition_config_selectorILNS1_17partition_subalgoE8EN3c108BFloat16ENS0_10empty_typeEbEEZZNS1_14partition_implILS5_8ELb0ES3_jPKS7_PS8_PKS8_NS0_5tupleIJPS7_S8_EEENSG_IJSD_SD_EEENS0_18inequality_wrapperIN6hipcub16HIPCUB_304000_NS8EqualityEEEPlJS8_EEE10hipError_tPvRmT3_T4_T5_T6_T7_T9_mT8_P12ihipStream_tbDpT10_ENKUlT_T0_E_clISt17integral_constantIbLb1EES18_IbLb0EEEEDaS14_S15_EUlS14_E_NS1_11comp_targetILNS1_3genE0ELNS1_11target_archE4294967295ELNS1_3gpuE0ELNS1_3repE0EEENS1_30default_config_static_selectorELNS0_4arch9wavefront6targetE1EEEvT1_,"axG",@progbits,_ZN7rocprim17ROCPRIM_400000_NS6detail17trampoline_kernelINS0_14default_configENS1_25partition_config_selectorILNS1_17partition_subalgoE8EN3c108BFloat16ENS0_10empty_typeEbEEZZNS1_14partition_implILS5_8ELb0ES3_jPKS7_PS8_PKS8_NS0_5tupleIJPS7_S8_EEENSG_IJSD_SD_EEENS0_18inequality_wrapperIN6hipcub16HIPCUB_304000_NS8EqualityEEEPlJS8_EEE10hipError_tPvRmT3_T4_T5_T6_T7_T9_mT8_P12ihipStream_tbDpT10_ENKUlT_T0_E_clISt17integral_constantIbLb1EES18_IbLb0EEEEDaS14_S15_EUlS14_E_NS1_11comp_targetILNS1_3genE0ELNS1_11target_archE4294967295ELNS1_3gpuE0ELNS1_3repE0EEENS1_30default_config_static_selectorELNS0_4arch9wavefront6targetE1EEEvT1_,comdat
.Lfunc_end840:
	.size	_ZN7rocprim17ROCPRIM_400000_NS6detail17trampoline_kernelINS0_14default_configENS1_25partition_config_selectorILNS1_17partition_subalgoE8EN3c108BFloat16ENS0_10empty_typeEbEEZZNS1_14partition_implILS5_8ELb0ES3_jPKS7_PS8_PKS8_NS0_5tupleIJPS7_S8_EEENSG_IJSD_SD_EEENS0_18inequality_wrapperIN6hipcub16HIPCUB_304000_NS8EqualityEEEPlJS8_EEE10hipError_tPvRmT3_T4_T5_T6_T7_T9_mT8_P12ihipStream_tbDpT10_ENKUlT_T0_E_clISt17integral_constantIbLb1EES18_IbLb0EEEEDaS14_S15_EUlS14_E_NS1_11comp_targetILNS1_3genE0ELNS1_11target_archE4294967295ELNS1_3gpuE0ELNS1_3repE0EEENS1_30default_config_static_selectorELNS0_4arch9wavefront6targetE1EEEvT1_, .Lfunc_end840-_ZN7rocprim17ROCPRIM_400000_NS6detail17trampoline_kernelINS0_14default_configENS1_25partition_config_selectorILNS1_17partition_subalgoE8EN3c108BFloat16ENS0_10empty_typeEbEEZZNS1_14partition_implILS5_8ELb0ES3_jPKS7_PS8_PKS8_NS0_5tupleIJPS7_S8_EEENSG_IJSD_SD_EEENS0_18inequality_wrapperIN6hipcub16HIPCUB_304000_NS8EqualityEEEPlJS8_EEE10hipError_tPvRmT3_T4_T5_T6_T7_T9_mT8_P12ihipStream_tbDpT10_ENKUlT_T0_E_clISt17integral_constantIbLb1EES18_IbLb0EEEEDaS14_S15_EUlS14_E_NS1_11comp_targetILNS1_3genE0ELNS1_11target_archE4294967295ELNS1_3gpuE0ELNS1_3repE0EEENS1_30default_config_static_selectorELNS0_4arch9wavefront6targetE1EEEvT1_
                                        ; -- End function
	.section	.AMDGPU.csdata,"",@progbits
; Kernel info:
; codeLenInByte = 0
; NumSgprs: 6
; NumVgprs: 0
; NumAgprs: 0
; TotalNumVgprs: 0
; ScratchSize: 0
; MemoryBound: 0
; FloatMode: 240
; IeeeMode: 1
; LDSByteSize: 0 bytes/workgroup (compile time only)
; SGPRBlocks: 0
; VGPRBlocks: 0
; NumSGPRsForWavesPerEU: 6
; NumVGPRsForWavesPerEU: 1
; AccumOffset: 4
; Occupancy: 8
; WaveLimiterHint : 0
; COMPUTE_PGM_RSRC2:SCRATCH_EN: 0
; COMPUTE_PGM_RSRC2:USER_SGPR: 2
; COMPUTE_PGM_RSRC2:TRAP_HANDLER: 0
; COMPUTE_PGM_RSRC2:TGID_X_EN: 1
; COMPUTE_PGM_RSRC2:TGID_Y_EN: 0
; COMPUTE_PGM_RSRC2:TGID_Z_EN: 0
; COMPUTE_PGM_RSRC2:TIDIG_COMP_CNT: 0
; COMPUTE_PGM_RSRC3_GFX90A:ACCUM_OFFSET: 0
; COMPUTE_PGM_RSRC3_GFX90A:TG_SPLIT: 0
	.section	.text._ZN7rocprim17ROCPRIM_400000_NS6detail17trampoline_kernelINS0_14default_configENS1_25partition_config_selectorILNS1_17partition_subalgoE8EN3c108BFloat16ENS0_10empty_typeEbEEZZNS1_14partition_implILS5_8ELb0ES3_jPKS7_PS8_PKS8_NS0_5tupleIJPS7_S8_EEENSG_IJSD_SD_EEENS0_18inequality_wrapperIN6hipcub16HIPCUB_304000_NS8EqualityEEEPlJS8_EEE10hipError_tPvRmT3_T4_T5_T6_T7_T9_mT8_P12ihipStream_tbDpT10_ENKUlT_T0_E_clISt17integral_constantIbLb1EES18_IbLb0EEEEDaS14_S15_EUlS14_E_NS1_11comp_targetILNS1_3genE5ELNS1_11target_archE942ELNS1_3gpuE9ELNS1_3repE0EEENS1_30default_config_static_selectorELNS0_4arch9wavefront6targetE1EEEvT1_,"axG",@progbits,_ZN7rocprim17ROCPRIM_400000_NS6detail17trampoline_kernelINS0_14default_configENS1_25partition_config_selectorILNS1_17partition_subalgoE8EN3c108BFloat16ENS0_10empty_typeEbEEZZNS1_14partition_implILS5_8ELb0ES3_jPKS7_PS8_PKS8_NS0_5tupleIJPS7_S8_EEENSG_IJSD_SD_EEENS0_18inequality_wrapperIN6hipcub16HIPCUB_304000_NS8EqualityEEEPlJS8_EEE10hipError_tPvRmT3_T4_T5_T6_T7_T9_mT8_P12ihipStream_tbDpT10_ENKUlT_T0_E_clISt17integral_constantIbLb1EES18_IbLb0EEEEDaS14_S15_EUlS14_E_NS1_11comp_targetILNS1_3genE5ELNS1_11target_archE942ELNS1_3gpuE9ELNS1_3repE0EEENS1_30default_config_static_selectorELNS0_4arch9wavefront6targetE1EEEvT1_,comdat
	.protected	_ZN7rocprim17ROCPRIM_400000_NS6detail17trampoline_kernelINS0_14default_configENS1_25partition_config_selectorILNS1_17partition_subalgoE8EN3c108BFloat16ENS0_10empty_typeEbEEZZNS1_14partition_implILS5_8ELb0ES3_jPKS7_PS8_PKS8_NS0_5tupleIJPS7_S8_EEENSG_IJSD_SD_EEENS0_18inequality_wrapperIN6hipcub16HIPCUB_304000_NS8EqualityEEEPlJS8_EEE10hipError_tPvRmT3_T4_T5_T6_T7_T9_mT8_P12ihipStream_tbDpT10_ENKUlT_T0_E_clISt17integral_constantIbLb1EES18_IbLb0EEEEDaS14_S15_EUlS14_E_NS1_11comp_targetILNS1_3genE5ELNS1_11target_archE942ELNS1_3gpuE9ELNS1_3repE0EEENS1_30default_config_static_selectorELNS0_4arch9wavefront6targetE1EEEvT1_ ; -- Begin function _ZN7rocprim17ROCPRIM_400000_NS6detail17trampoline_kernelINS0_14default_configENS1_25partition_config_selectorILNS1_17partition_subalgoE8EN3c108BFloat16ENS0_10empty_typeEbEEZZNS1_14partition_implILS5_8ELb0ES3_jPKS7_PS8_PKS8_NS0_5tupleIJPS7_S8_EEENSG_IJSD_SD_EEENS0_18inequality_wrapperIN6hipcub16HIPCUB_304000_NS8EqualityEEEPlJS8_EEE10hipError_tPvRmT3_T4_T5_T6_T7_T9_mT8_P12ihipStream_tbDpT10_ENKUlT_T0_E_clISt17integral_constantIbLb1EES18_IbLb0EEEEDaS14_S15_EUlS14_E_NS1_11comp_targetILNS1_3genE5ELNS1_11target_archE942ELNS1_3gpuE9ELNS1_3repE0EEENS1_30default_config_static_selectorELNS0_4arch9wavefront6targetE1EEEvT1_
	.globl	_ZN7rocprim17ROCPRIM_400000_NS6detail17trampoline_kernelINS0_14default_configENS1_25partition_config_selectorILNS1_17partition_subalgoE8EN3c108BFloat16ENS0_10empty_typeEbEEZZNS1_14partition_implILS5_8ELb0ES3_jPKS7_PS8_PKS8_NS0_5tupleIJPS7_S8_EEENSG_IJSD_SD_EEENS0_18inequality_wrapperIN6hipcub16HIPCUB_304000_NS8EqualityEEEPlJS8_EEE10hipError_tPvRmT3_T4_T5_T6_T7_T9_mT8_P12ihipStream_tbDpT10_ENKUlT_T0_E_clISt17integral_constantIbLb1EES18_IbLb0EEEEDaS14_S15_EUlS14_E_NS1_11comp_targetILNS1_3genE5ELNS1_11target_archE942ELNS1_3gpuE9ELNS1_3repE0EEENS1_30default_config_static_selectorELNS0_4arch9wavefront6targetE1EEEvT1_
	.p2align	8
	.type	_ZN7rocprim17ROCPRIM_400000_NS6detail17trampoline_kernelINS0_14default_configENS1_25partition_config_selectorILNS1_17partition_subalgoE8EN3c108BFloat16ENS0_10empty_typeEbEEZZNS1_14partition_implILS5_8ELb0ES3_jPKS7_PS8_PKS8_NS0_5tupleIJPS7_S8_EEENSG_IJSD_SD_EEENS0_18inequality_wrapperIN6hipcub16HIPCUB_304000_NS8EqualityEEEPlJS8_EEE10hipError_tPvRmT3_T4_T5_T6_T7_T9_mT8_P12ihipStream_tbDpT10_ENKUlT_T0_E_clISt17integral_constantIbLb1EES18_IbLb0EEEEDaS14_S15_EUlS14_E_NS1_11comp_targetILNS1_3genE5ELNS1_11target_archE942ELNS1_3gpuE9ELNS1_3repE0EEENS1_30default_config_static_selectorELNS0_4arch9wavefront6targetE1EEEvT1_,@function
_ZN7rocprim17ROCPRIM_400000_NS6detail17trampoline_kernelINS0_14default_configENS1_25partition_config_selectorILNS1_17partition_subalgoE8EN3c108BFloat16ENS0_10empty_typeEbEEZZNS1_14partition_implILS5_8ELb0ES3_jPKS7_PS8_PKS8_NS0_5tupleIJPS7_S8_EEENSG_IJSD_SD_EEENS0_18inequality_wrapperIN6hipcub16HIPCUB_304000_NS8EqualityEEEPlJS8_EEE10hipError_tPvRmT3_T4_T5_T6_T7_T9_mT8_P12ihipStream_tbDpT10_ENKUlT_T0_E_clISt17integral_constantIbLb1EES18_IbLb0EEEEDaS14_S15_EUlS14_E_NS1_11comp_targetILNS1_3genE5ELNS1_11target_archE942ELNS1_3gpuE9ELNS1_3repE0EEENS1_30default_config_static_selectorELNS0_4arch9wavefront6targetE1EEEvT1_: ; @_ZN7rocprim17ROCPRIM_400000_NS6detail17trampoline_kernelINS0_14default_configENS1_25partition_config_selectorILNS1_17partition_subalgoE8EN3c108BFloat16ENS0_10empty_typeEbEEZZNS1_14partition_implILS5_8ELb0ES3_jPKS7_PS8_PKS8_NS0_5tupleIJPS7_S8_EEENSG_IJSD_SD_EEENS0_18inequality_wrapperIN6hipcub16HIPCUB_304000_NS8EqualityEEEPlJS8_EEE10hipError_tPvRmT3_T4_T5_T6_T7_T9_mT8_P12ihipStream_tbDpT10_ENKUlT_T0_E_clISt17integral_constantIbLb1EES18_IbLb0EEEEDaS14_S15_EUlS14_E_NS1_11comp_targetILNS1_3genE5ELNS1_11target_archE942ELNS1_3gpuE9ELNS1_3repE0EEENS1_30default_config_static_selectorELNS0_4arch9wavefront6targetE1EEEvT1_
; %bb.0:
	s_load_dwordx2 s[8:9], s[0:1], 0x50
	s_load_dwordx4 s[4:7], s[0:1], 0x8
	s_load_dwordx4 s[20:23], s[0:1], 0x40
	s_load_dword s3, s[0:1], 0x68
	s_waitcnt lgkmcnt(0)
	v_mov_b32_e32 v3, s9
	s_lshl_b64 s[10:11], s[6:7], 1
	s_add_u32 s12, s4, s10
	s_mul_i32 s9, s3, 0x3c00
	s_addc_u32 s13, s5, s11
	s_add_i32 s10, s3, -1
	s_add_i32 s3, s9, s6
	s_sub_i32 s3, s8, s3
	v_mov_b32_e32 v2, s8
	s_add_u32 s8, s6, s9
	s_addc_u32 s9, s7, 0
	s_cmp_eq_u32 s2, s10
	s_load_dwordx2 s[22:23], s[22:23], 0x0
	v_cmp_ge_u64_e32 vcc, s[8:9], v[2:3]
	s_cselect_b64 s[24:25], -1, 0
	s_mul_i32 s4, s2, 0x3c00
	s_mov_b32 s5, 0
	s_and_b64 s[8:9], s[24:25], vcc
	s_xor_b64 s[26:27], s[8:9], -1
	s_lshl_b64 s[4:5], s[4:5], 1
	s_add_u32 s4, s12, s4
	s_mov_b64 s[10:11], -1
	s_addc_u32 s5, s13, s5
	s_and_b64 vcc, exec, s[26:27]
	s_cbranch_vccz .LBB841_2
; %bb.1:
	v_lshlrev_b32_e32 v2, 1, v0
	v_mov_b32_e32 v3, 0
	v_lshl_add_u64 v[4:5], s[4:5], 0, v[2:3]
	v_add_co_u32_e32 v6, vcc, 0x1000, v4
	global_load_ushort v1, v2, s[4:5]
	global_load_ushort v3, v2, s[4:5] offset:1024
	global_load_ushort v10, v2, s[4:5] offset:2048
	;; [unrolled: 1-line block ×3, first 2 shown]
	v_addc_co_u32_e32 v7, vcc, 0, v5, vcc
	v_add_co_u32_e32 v8, vcc, 0x2000, v4
	s_mov_b64 s[10:11], 0
	s_nop 0
	v_addc_co_u32_e32 v9, vcc, 0, v5, vcc
	global_load_ushort v12, v[6:7], off
	global_load_ushort v13, v[6:7], off offset:1024
	global_load_ushort v14, v[6:7], off offset:2048
	global_load_ushort v15, v[6:7], off offset:3072
	global_load_ushort v16, v[8:9], off
	global_load_ushort v17, v[8:9], off offset:1024
	global_load_ushort v18, v[8:9], off offset:2048
	;; [unrolled: 1-line block ×3, first 2 shown]
	v_add_co_u32_e32 v6, vcc, 0x3000, v4
	s_nop 1
	v_addc_co_u32_e32 v7, vcc, 0, v5, vcc
	v_add_co_u32_e32 v8, vcc, 0x4000, v4
	s_nop 1
	v_addc_co_u32_e32 v9, vcc, 0, v5, vcc
	global_load_ushort v20, v[6:7], off
	global_load_ushort v21, v[6:7], off offset:1024
	global_load_ushort v22, v[6:7], off offset:2048
	;; [unrolled: 1-line block ×3, first 2 shown]
	global_load_ushort v24, v[8:9], off
	global_load_ushort v25, v[8:9], off offset:1024
	global_load_ushort v26, v[8:9], off offset:2048
	;; [unrolled: 1-line block ×3, first 2 shown]
	v_add_co_u32_e32 v6, vcc, 0x5000, v4
	s_nop 1
	v_addc_co_u32_e32 v7, vcc, 0, v5, vcc
	v_add_co_u32_e32 v8, vcc, 0x6000, v4
	s_nop 1
	v_addc_co_u32_e32 v9, vcc, 0, v5, vcc
	v_add_co_u32_e32 v4, vcc, 0x7000, v4
	global_load_ushort v28, v[6:7], off
	global_load_ushort v29, v[6:7], off offset:1024
	global_load_ushort v30, v[6:7], off offset:2048
	;; [unrolled: 1-line block ×3, first 2 shown]
	global_load_ushort v32, v[8:9], off
	global_load_ushort v33, v[8:9], off offset:1024
	global_load_ushort v34, v[8:9], off offset:2048
	;; [unrolled: 1-line block ×3, first 2 shown]
	v_addc_co_u32_e32 v5, vcc, 0, v5, vcc
	global_load_ushort v6, v[4:5], off
	global_load_ushort v7, v[4:5], off offset:1024
	s_waitcnt vmcnt(29)
	ds_write_b16 v2, v1
	s_waitcnt vmcnt(28)
	ds_write_b16 v2, v3 offset:1024
	s_waitcnt vmcnt(27)
	ds_write_b16 v2, v10 offset:2048
	;; [unrolled: 2-line block ×29, first 2 shown]
	s_waitcnt lgkmcnt(0)
	s_barrier
.LBB841_2:
	s_andn2_b64 vcc, exec, s[10:11]
	s_addk_i32 s3, 0x3c00
	s_cbranch_vccnz .LBB841_64
; %bb.3:
	v_cmp_gt_u32_e32 vcc, s3, v0
                                        ; implicit-def: $vgpr1
	s_and_saveexec_b64 s[10:11], vcc
	s_cbranch_execz .LBB841_5
; %bb.4:
	v_lshlrev_b32_e32 v1, 1, v0
	global_load_ushort v1, v1, s[4:5]
.LBB841_5:
	s_or_b64 exec, exec, s[10:11]
	v_or_b32_e32 v2, 0x200, v0
	v_cmp_gt_u32_e32 vcc, s3, v2
                                        ; implicit-def: $vgpr2
	s_and_saveexec_b64 s[10:11], vcc
	s_cbranch_execz .LBB841_7
; %bb.6:
	v_lshlrev_b32_e32 v2, 1, v0
	global_load_ushort v2, v2, s[4:5] offset:1024
.LBB841_7:
	s_or_b64 exec, exec, s[10:11]
	v_or_b32_e32 v3, 0x400, v0
	v_cmp_gt_u32_e32 vcc, s3, v3
                                        ; implicit-def: $vgpr3
	s_and_saveexec_b64 s[10:11], vcc
	s_cbranch_execz .LBB841_9
; %bb.8:
	v_lshlrev_b32_e32 v3, 1, v0
	global_load_ushort v3, v3, s[4:5] offset:2048
.LBB841_9:
	s_or_b64 exec, exec, s[10:11]
	v_or_b32_e32 v4, 0x600, v0
	v_cmp_gt_u32_e32 vcc, s3, v4
                                        ; implicit-def: $vgpr4
	s_and_saveexec_b64 s[10:11], vcc
	s_cbranch_execz .LBB841_11
; %bb.10:
	v_lshlrev_b32_e32 v4, 1, v0
	global_load_ushort v4, v4, s[4:5] offset:3072
.LBB841_11:
	s_or_b64 exec, exec, s[10:11]
	v_or_b32_e32 v6, 0x800, v0
	v_cmp_gt_u32_e32 vcc, s3, v6
                                        ; implicit-def: $vgpr5
	s_and_saveexec_b64 s[10:11], vcc
	s_cbranch_execz .LBB841_13
; %bb.12:
	v_lshlrev_b32_e32 v5, 1, v6
	global_load_ushort v5, v5, s[4:5]
.LBB841_13:
	s_or_b64 exec, exec, s[10:11]
	v_or_b32_e32 v7, 0xa00, v0
	v_cmp_gt_u32_e32 vcc, s3, v7
                                        ; implicit-def: $vgpr6
	s_and_saveexec_b64 s[10:11], vcc
	s_cbranch_execz .LBB841_15
; %bb.14:
	v_lshlrev_b32_e32 v6, 1, v7
	global_load_ushort v6, v6, s[4:5]
.LBB841_15:
	s_or_b64 exec, exec, s[10:11]
	v_or_b32_e32 v8, 0xc00, v0
	v_cmp_gt_u32_e32 vcc, s3, v8
                                        ; implicit-def: $vgpr7
	s_and_saveexec_b64 s[10:11], vcc
	s_cbranch_execz .LBB841_17
; %bb.16:
	v_lshlrev_b32_e32 v7, 1, v8
	global_load_ushort v7, v7, s[4:5]
.LBB841_17:
	s_or_b64 exec, exec, s[10:11]
	v_or_b32_e32 v9, 0xe00, v0
	v_cmp_gt_u32_e32 vcc, s3, v9
                                        ; implicit-def: $vgpr8
	s_and_saveexec_b64 s[10:11], vcc
	s_cbranch_execz .LBB841_19
; %bb.18:
	v_lshlrev_b32_e32 v8, 1, v9
	global_load_ushort v8, v8, s[4:5]
.LBB841_19:
	s_or_b64 exec, exec, s[10:11]
	v_or_b32_e32 v10, 0x1000, v0
	v_cmp_gt_u32_e32 vcc, s3, v10
                                        ; implicit-def: $vgpr9
	s_and_saveexec_b64 s[10:11], vcc
	s_cbranch_execz .LBB841_21
; %bb.20:
	v_lshlrev_b32_e32 v9, 1, v10
	global_load_ushort v9, v9, s[4:5]
.LBB841_21:
	s_or_b64 exec, exec, s[10:11]
	v_or_b32_e32 v11, 0x1200, v0
	v_cmp_gt_u32_e32 vcc, s3, v11
                                        ; implicit-def: $vgpr10
	s_and_saveexec_b64 s[10:11], vcc
	s_cbranch_execz .LBB841_23
; %bb.22:
	v_lshlrev_b32_e32 v10, 1, v11
	global_load_ushort v10, v10, s[4:5]
.LBB841_23:
	s_or_b64 exec, exec, s[10:11]
	v_or_b32_e32 v12, 0x1400, v0
	v_cmp_gt_u32_e32 vcc, s3, v12
                                        ; implicit-def: $vgpr11
	s_and_saveexec_b64 s[10:11], vcc
	s_cbranch_execz .LBB841_25
; %bb.24:
	v_lshlrev_b32_e32 v11, 1, v12
	global_load_ushort v11, v11, s[4:5]
.LBB841_25:
	s_or_b64 exec, exec, s[10:11]
	v_or_b32_e32 v13, 0x1600, v0
	v_cmp_gt_u32_e32 vcc, s3, v13
                                        ; implicit-def: $vgpr12
	s_and_saveexec_b64 s[10:11], vcc
	s_cbranch_execz .LBB841_27
; %bb.26:
	v_lshlrev_b32_e32 v12, 1, v13
	global_load_ushort v12, v12, s[4:5]
.LBB841_27:
	s_or_b64 exec, exec, s[10:11]
	v_or_b32_e32 v14, 0x1800, v0
	v_cmp_gt_u32_e32 vcc, s3, v14
                                        ; implicit-def: $vgpr13
	s_and_saveexec_b64 s[10:11], vcc
	s_cbranch_execz .LBB841_29
; %bb.28:
	v_lshlrev_b32_e32 v13, 1, v14
	global_load_ushort v13, v13, s[4:5]
.LBB841_29:
	s_or_b64 exec, exec, s[10:11]
	v_or_b32_e32 v15, 0x1a00, v0
	v_cmp_gt_u32_e32 vcc, s3, v15
                                        ; implicit-def: $vgpr14
	s_and_saveexec_b64 s[10:11], vcc
	s_cbranch_execz .LBB841_31
; %bb.30:
	v_lshlrev_b32_e32 v14, 1, v15
	global_load_ushort v14, v14, s[4:5]
.LBB841_31:
	s_or_b64 exec, exec, s[10:11]
	v_or_b32_e32 v16, 0x1c00, v0
	v_cmp_gt_u32_e32 vcc, s3, v16
                                        ; implicit-def: $vgpr15
	s_and_saveexec_b64 s[10:11], vcc
	s_cbranch_execz .LBB841_33
; %bb.32:
	v_lshlrev_b32_e32 v15, 1, v16
	global_load_ushort v15, v15, s[4:5]
.LBB841_33:
	s_or_b64 exec, exec, s[10:11]
	v_or_b32_e32 v17, 0x1e00, v0
	v_cmp_gt_u32_e32 vcc, s3, v17
                                        ; implicit-def: $vgpr16
	s_and_saveexec_b64 s[10:11], vcc
	s_cbranch_execz .LBB841_35
; %bb.34:
	v_lshlrev_b32_e32 v16, 1, v17
	global_load_ushort v16, v16, s[4:5]
.LBB841_35:
	s_or_b64 exec, exec, s[10:11]
	v_or_b32_e32 v18, 0x2000, v0
	v_cmp_gt_u32_e32 vcc, s3, v18
                                        ; implicit-def: $vgpr17
	s_and_saveexec_b64 s[10:11], vcc
	s_cbranch_execz .LBB841_37
; %bb.36:
	v_lshlrev_b32_e32 v17, 1, v18
	global_load_ushort v17, v17, s[4:5]
.LBB841_37:
	s_or_b64 exec, exec, s[10:11]
	v_or_b32_e32 v19, 0x2200, v0
	v_cmp_gt_u32_e32 vcc, s3, v19
                                        ; implicit-def: $vgpr18
	s_and_saveexec_b64 s[10:11], vcc
	s_cbranch_execz .LBB841_39
; %bb.38:
	v_lshlrev_b32_e32 v18, 1, v19
	global_load_ushort v18, v18, s[4:5]
.LBB841_39:
	s_or_b64 exec, exec, s[10:11]
	v_or_b32_e32 v20, 0x2400, v0
	v_cmp_gt_u32_e32 vcc, s3, v20
                                        ; implicit-def: $vgpr19
	s_and_saveexec_b64 s[10:11], vcc
	s_cbranch_execz .LBB841_41
; %bb.40:
	v_lshlrev_b32_e32 v19, 1, v20
	global_load_ushort v19, v19, s[4:5]
.LBB841_41:
	s_or_b64 exec, exec, s[10:11]
	v_or_b32_e32 v21, 0x2600, v0
	v_cmp_gt_u32_e32 vcc, s3, v21
                                        ; implicit-def: $vgpr20
	s_and_saveexec_b64 s[10:11], vcc
	s_cbranch_execz .LBB841_43
; %bb.42:
	v_lshlrev_b32_e32 v20, 1, v21
	global_load_ushort v20, v20, s[4:5]
.LBB841_43:
	s_or_b64 exec, exec, s[10:11]
	v_or_b32_e32 v22, 0x2800, v0
	v_cmp_gt_u32_e32 vcc, s3, v22
                                        ; implicit-def: $vgpr21
	s_and_saveexec_b64 s[10:11], vcc
	s_cbranch_execz .LBB841_45
; %bb.44:
	v_lshlrev_b32_e32 v21, 1, v22
	global_load_ushort v21, v21, s[4:5]
.LBB841_45:
	s_or_b64 exec, exec, s[10:11]
	v_or_b32_e32 v23, 0x2a00, v0
	v_cmp_gt_u32_e32 vcc, s3, v23
                                        ; implicit-def: $vgpr22
	s_and_saveexec_b64 s[10:11], vcc
	s_cbranch_execz .LBB841_47
; %bb.46:
	v_lshlrev_b32_e32 v22, 1, v23
	global_load_ushort v22, v22, s[4:5]
.LBB841_47:
	s_or_b64 exec, exec, s[10:11]
	v_or_b32_e32 v24, 0x2c00, v0
	v_cmp_gt_u32_e32 vcc, s3, v24
                                        ; implicit-def: $vgpr23
	s_and_saveexec_b64 s[10:11], vcc
	s_cbranch_execz .LBB841_49
; %bb.48:
	v_lshlrev_b32_e32 v23, 1, v24
	global_load_ushort v23, v23, s[4:5]
.LBB841_49:
	s_or_b64 exec, exec, s[10:11]
	v_or_b32_e32 v25, 0x2e00, v0
	v_cmp_gt_u32_e32 vcc, s3, v25
                                        ; implicit-def: $vgpr24
	s_and_saveexec_b64 s[10:11], vcc
	s_cbranch_execz .LBB841_51
; %bb.50:
	v_lshlrev_b32_e32 v24, 1, v25
	global_load_ushort v24, v24, s[4:5]
.LBB841_51:
	s_or_b64 exec, exec, s[10:11]
	v_or_b32_e32 v26, 0x3000, v0
	v_cmp_gt_u32_e32 vcc, s3, v26
                                        ; implicit-def: $vgpr25
	s_and_saveexec_b64 s[10:11], vcc
	s_cbranch_execz .LBB841_53
; %bb.52:
	v_lshlrev_b32_e32 v25, 1, v26
	global_load_ushort v25, v25, s[4:5]
.LBB841_53:
	s_or_b64 exec, exec, s[10:11]
	v_or_b32_e32 v27, 0x3200, v0
	v_cmp_gt_u32_e32 vcc, s3, v27
                                        ; implicit-def: $vgpr26
	s_and_saveexec_b64 s[10:11], vcc
	s_cbranch_execz .LBB841_55
; %bb.54:
	v_lshlrev_b32_e32 v26, 1, v27
	global_load_ushort v26, v26, s[4:5]
.LBB841_55:
	s_or_b64 exec, exec, s[10:11]
	v_or_b32_e32 v28, 0x3400, v0
	v_cmp_gt_u32_e32 vcc, s3, v28
                                        ; implicit-def: $vgpr27
	s_and_saveexec_b64 s[10:11], vcc
	s_cbranch_execz .LBB841_57
; %bb.56:
	v_lshlrev_b32_e32 v27, 1, v28
	global_load_ushort v27, v27, s[4:5]
.LBB841_57:
	s_or_b64 exec, exec, s[10:11]
	v_or_b32_e32 v29, 0x3600, v0
	v_cmp_gt_u32_e32 vcc, s3, v29
                                        ; implicit-def: $vgpr28
	s_and_saveexec_b64 s[10:11], vcc
	s_cbranch_execz .LBB841_59
; %bb.58:
	v_lshlrev_b32_e32 v28, 1, v29
	global_load_ushort v28, v28, s[4:5]
.LBB841_59:
	s_or_b64 exec, exec, s[10:11]
	v_or_b32_e32 v30, 0x3800, v0
	v_cmp_gt_u32_e32 vcc, s3, v30
                                        ; implicit-def: $vgpr29
	s_and_saveexec_b64 s[10:11], vcc
	s_cbranch_execz .LBB841_61
; %bb.60:
	v_lshlrev_b32_e32 v29, 1, v30
	global_load_ushort v29, v29, s[4:5]
.LBB841_61:
	s_or_b64 exec, exec, s[10:11]
	v_or_b32_e32 v31, 0x3a00, v0
	v_cmp_gt_u32_e32 vcc, s3, v31
                                        ; implicit-def: $vgpr30
	s_and_saveexec_b64 s[10:11], vcc
	s_cbranch_execz .LBB841_63
; %bb.62:
	v_lshlrev_b32_e32 v30, 1, v31
	global_load_ushort v30, v30, s[4:5]
.LBB841_63:
	s_or_b64 exec, exec, s[10:11]
	v_lshlrev_b32_e32 v31, 1, v0
	s_waitcnt vmcnt(0)
	ds_write_b16 v31, v1
	ds_write_b16 v31, v2 offset:1024
	ds_write_b16 v31, v3 offset:2048
	;; [unrolled: 1-line block ×29, first 2 shown]
	s_waitcnt lgkmcnt(0)
	s_barrier
.LBB841_64:
	v_mul_u32_u24_e32 v24, 30, v0
	v_lshlrev_b32_e32 v46, 1, v24
	s_waitcnt lgkmcnt(0)
	ds_read2_b32 v[14:15], v46 offset1:1
	ds_read2_b32 v[12:13], v46 offset0:2 offset1:3
	ds_read2_b32 v[10:11], v46 offset0:4 offset1:5
	ds_read2_b32 v[8:9], v46 offset0:6 offset1:7
	ds_read_b32 v1, v46 offset:56
	ds_read2_b32 v[2:3], v46 offset0:12 offset1:13
	ds_read2_b32 v[4:5], v46 offset0:10 offset1:11
	ds_read2_b32 v[6:7], v46 offset0:8 offset1:9
	s_cmp_lg_u32 s2, 0
	s_cselect_b64 s[16:17], -1, 0
	s_cmp_lg_u64 s[6:7], 0
	s_cselect_b64 s[6:7], -1, 0
	s_or_b64 s[6:7], s[16:17], s[6:7]
	v_mad_u32_u24 v16, v0, 30, 29
	v_mad_u32_u24 v17, v0, 30, 28
	;; [unrolled: 1-line block ×8, first 2 shown]
	v_or_b32_e32 v44, 1, v24
	v_mad_u32_u24 v45, v0, 30, 2
	v_mad_u32_u24 v43, v0, 30, 3
	;; [unrolled: 1-line block ×20, first 2 shown]
	s_mov_b64 s[10:11], 0
	s_and_b64 vcc, exec, s[6:7]
	s_waitcnt lgkmcnt(0)
	s_barrier
	s_cbranch_vccz .LBB841_69
; %bb.65:
	v_mov_b32_e32 v47, 0
	global_load_ushort v47, v47, s[4:5] offset:-2
	v_lshlrev_b32_e32 v48, 1, v0
	s_and_b64 vcc, exec, s[26:27]
	ds_write_b16_d16_hi v48, v1
	s_cbranch_vccz .LBB841_71
; %bb.66:
	v_cmp_ne_u32_e32 vcc, 0, v0
	s_waitcnt vmcnt(0)
	v_mov_b32_e32 v49, v47
	s_waitcnt lgkmcnt(0)
	s_barrier
	s_and_saveexec_b64 s[4:5], vcc
	s_cbranch_execz .LBB841_68
; %bb.67:
	v_add_u32_e32 v49, -2, v48
	ds_read_u16 v49, v49
.LBB841_68:
	s_or_b64 exec, exec, s[4:5]
	v_and_b32_e32 v50, 0xffff0000, v1
	v_lshlrev_b32_e32 v51, 16, v1
	v_cmp_neq_f32_e32 vcc, v51, v50
	v_and_b32_e32 v50, 0xffff0000, v3
	v_lshlrev_b32_e32 v52, 16, v3
	v_cndmask_b32_e64 v80, 0, 1, vcc
	v_cmp_neq_f32_e32 vcc, v50, v51
	v_lshlrev_b32_e32 v51, 16, v2
	s_waitcnt lgkmcnt(0)
	v_lshlrev_b32_e32 v49, 16, v49
	v_cndmask_b32_e64 v81, 0, 1, vcc
	v_cmp_neq_f32_e32 vcc, v52, v50
	v_and_b32_e32 v50, 0xffff0000, v2
	s_nop 0
	v_cndmask_b32_e64 v82, 0, 1, vcc
	v_cmp_neq_f32_e32 vcc, v50, v52
	v_lshlrev_b32_e32 v52, 16, v5
	s_nop 0
	v_cndmask_b32_e64 v83, 0, 1, vcc
	v_cmp_neq_f32_e32 vcc, v51, v50
	v_and_b32_e32 v50, 0xffff0000, v5
	s_nop 0
	v_cndmask_b32_e64 v84, 0, 1, vcc
	v_cmp_neq_f32_e32 vcc, v50, v51
	v_lshlrev_b32_e32 v51, 16, v4
	s_nop 0
	v_cndmask_b32_e64 v85, 0, 1, vcc
	v_cmp_neq_f32_e32 vcc, v52, v50
	v_and_b32_e32 v50, 0xffff0000, v4
	s_nop 0
	v_cndmask_b32_e64 v86, 0, 1, vcc
	v_cmp_neq_f32_e32 vcc, v50, v52
	v_lshlrev_b32_e32 v52, 16, v7
	s_nop 0
	v_cndmask_b32_e64 v87, 0, 1, vcc
	v_cmp_neq_f32_e32 vcc, v51, v50
	v_and_b32_e32 v50, 0xffff0000, v7
	s_nop 0
	v_cndmask_b32_e64 v88, 0, 1, vcc
	v_cmp_neq_f32_e32 vcc, v50, v51
	v_lshlrev_b32_e32 v51, 16, v6
	s_nop 0
	v_cndmask_b32_e64 v89, 0, 1, vcc
	v_cmp_neq_f32_e32 vcc, v52, v50
	v_and_b32_e32 v50, 0xffff0000, v6
	s_nop 0
	v_cndmask_b32_e64 v90, 0, 1, vcc
	v_cmp_neq_f32_e32 vcc, v50, v52
	v_lshlrev_b32_e32 v52, 16, v9
	s_nop 0
	v_cndmask_b32_e64 v91, 0, 1, vcc
	v_cmp_neq_f32_e32 vcc, v51, v50
	v_and_b32_e32 v50, 0xffff0000, v9
	s_nop 0
	v_cndmask_b32_e64 v92, 0, 1, vcc
	v_cmp_neq_f32_e32 vcc, v50, v51
	v_lshlrev_b32_e32 v51, 16, v8
	s_nop 0
	v_cndmask_b32_e64 v93, 0, 1, vcc
	v_cmp_neq_f32_e32 vcc, v52, v50
	v_and_b32_e32 v50, 0xffff0000, v8
	s_nop 0
	v_cndmask_b32_e64 v94, 0, 1, vcc
	v_cmp_neq_f32_e32 vcc, v50, v52
	v_lshlrev_b32_e32 v52, 16, v11
	s_nop 0
	v_cndmask_b32_e64 v95, 0, 1, vcc
	v_cmp_neq_f32_e32 vcc, v51, v50
	v_and_b32_e32 v50, 0xffff0000, v11
	s_nop 0
	v_cndmask_b32_e64 v96, 0, 1, vcc
	v_cmp_neq_f32_e32 vcc, v50, v51
	v_lshlrev_b32_e32 v51, 16, v10
	s_nop 0
	v_cndmask_b32_e64 v97, 0, 1, vcc
	v_cmp_neq_f32_e32 vcc, v52, v50
	v_and_b32_e32 v50, 0xffff0000, v10
	s_nop 0
	v_cndmask_b32_e64 v98, 0, 1, vcc
	v_cmp_neq_f32_e32 vcc, v50, v52
	v_lshlrev_b32_e32 v52, 16, v13
	s_nop 0
	v_cndmask_b32_e64 v99, 0, 1, vcc
	v_cmp_neq_f32_e32 vcc, v51, v50
	v_and_b32_e32 v50, 0xffff0000, v13
	s_nop 0
	v_cndmask_b32_e64 v100, 0, 1, vcc
	v_cmp_neq_f32_e32 vcc, v50, v51
	v_lshlrev_b32_e32 v51, 16, v12
	s_nop 0
	v_cndmask_b32_e64 v101, 0, 1, vcc
	v_cmp_neq_f32_e32 vcc, v52, v50
	v_and_b32_e32 v50, 0xffff0000, v12
	s_nop 0
	v_cndmask_b32_e64 v102, 0, 1, vcc
	v_cmp_neq_f32_e32 vcc, v50, v52
	v_lshlrev_b32_e32 v52, 16, v15
	s_nop 0
	v_cndmask_b32_e64 v103, 0, 1, vcc
	v_cmp_neq_f32_e32 vcc, v51, v50
	v_and_b32_e32 v50, 0xffff0000, v15
	s_nop 0
	v_cndmask_b32_e64 v104, 0, 1, vcc
	v_cmp_neq_f32_e32 vcc, v50, v51
	v_lshlrev_b32_e32 v51, 16, v14
	v_cmp_neq_f32_e64 s[4:5], v51, v49
	v_cndmask_b32_e64 v105, 0, 1, vcc
	v_cmp_neq_f32_e32 vcc, v52, v50
	v_and_b32_e32 v50, 0xffff0000, v14
	s_nop 0
	v_cndmask_b32_e64 v106, 0, 1, vcc
	v_cmp_neq_f32_e32 vcc, v50, v52
	s_nop 1
	v_cndmask_b32_e64 v107, 0, 1, vcc
	v_cmp_neq_f32_e32 vcc, v51, v50
	s_nop 1
	v_cndmask_b32_e64 v108, 0, 1, vcc
	s_branch .LBB841_75
.LBB841_69:
                                        ; implicit-def: $sgpr4_sgpr5
                                        ; implicit-def: $vgpr108
                                        ; implicit-def: $vgpr107
                                        ; implicit-def: $vgpr106
                                        ; implicit-def: $vgpr105
                                        ; implicit-def: $vgpr104
                                        ; implicit-def: $vgpr103
                                        ; implicit-def: $vgpr102
                                        ; implicit-def: $vgpr101
                                        ; implicit-def: $vgpr100
                                        ; implicit-def: $vgpr99
                                        ; implicit-def: $vgpr98
                                        ; implicit-def: $vgpr97
                                        ; implicit-def: $vgpr96
                                        ; implicit-def: $vgpr95
                                        ; implicit-def: $vgpr94
                                        ; implicit-def: $vgpr93
                                        ; implicit-def: $vgpr92
                                        ; implicit-def: $vgpr91
                                        ; implicit-def: $vgpr90
                                        ; implicit-def: $vgpr89
                                        ; implicit-def: $vgpr88
                                        ; implicit-def: $vgpr87
                                        ; implicit-def: $vgpr86
                                        ; implicit-def: $vgpr85
                                        ; implicit-def: $vgpr84
                                        ; implicit-def: $vgpr83
                                        ; implicit-def: $vgpr82
                                        ; implicit-def: $vgpr81
                                        ; implicit-def: $vgpr80
	s_branch .LBB841_76
.LBB841_70:
                                        ; implicit-def: $sgpr12
	s_branch .LBB841_84
.LBB841_71:
                                        ; implicit-def: $sgpr4_sgpr5
                                        ; implicit-def: $vgpr108
                                        ; implicit-def: $vgpr107
                                        ; implicit-def: $vgpr106
                                        ; implicit-def: $vgpr105
                                        ; implicit-def: $vgpr104
                                        ; implicit-def: $vgpr103
                                        ; implicit-def: $vgpr102
                                        ; implicit-def: $vgpr101
                                        ; implicit-def: $vgpr100
                                        ; implicit-def: $vgpr99
                                        ; implicit-def: $vgpr98
                                        ; implicit-def: $vgpr97
                                        ; implicit-def: $vgpr96
                                        ; implicit-def: $vgpr95
                                        ; implicit-def: $vgpr94
                                        ; implicit-def: $vgpr93
                                        ; implicit-def: $vgpr92
                                        ; implicit-def: $vgpr91
                                        ; implicit-def: $vgpr90
                                        ; implicit-def: $vgpr89
                                        ; implicit-def: $vgpr88
                                        ; implicit-def: $vgpr87
                                        ; implicit-def: $vgpr86
                                        ; implicit-def: $vgpr85
                                        ; implicit-def: $vgpr84
                                        ; implicit-def: $vgpr83
                                        ; implicit-def: $vgpr82
                                        ; implicit-def: $vgpr81
                                        ; implicit-def: $vgpr80
	s_cbranch_execz .LBB841_75
; %bb.72:
	v_cmp_ne_u32_e32 vcc, 0, v0
	s_waitcnt lgkmcnt(0)
	s_barrier
	s_and_saveexec_b64 s[4:5], vcc
	s_cbranch_execz .LBB841_74
; %bb.73:
	s_waitcnt vmcnt(0)
	v_add_u32_e32 v47, -2, v48
	ds_read_u16 v47, v47
.LBB841_74:
	s_or_b64 exec, exec, s[4:5]
	v_and_b32_e32 v48, 0xffff0000, v1
	v_lshlrev_b32_e32 v49, 16, v1
	v_cmp_gt_u32_e32 vcc, s3, v16
	v_cmp_neq_f32_e64 s[4:5], v49, v48
	v_and_b32_e32 v48, 0xffff0000, v3
	s_and_b64 s[4:5], vcc, s[4:5]
	v_cmp_gt_u32_e32 vcc, s3, v17
	v_lshlrev_b32_e32 v50, 16, v3
	v_cmp_neq_f32_e64 s[6:7], v48, v49
	v_cndmask_b32_e64 v80, 0, 1, s[4:5]
	v_cmp_gt_u32_e64 s[4:5], s3, v18
	s_and_b64 s[6:7], vcc, s[6:7]
	v_cmp_neq_f32_e32 vcc, v50, v48
	v_and_b32_e32 v48, 0xffff0000, v2
	v_cndmask_b32_e64 v81, 0, 1, s[6:7]
	s_and_b64 s[4:5], s[4:5], vcc
	v_cmp_gt_u32_e32 vcc, s3, v19
	v_lshlrev_b32_e32 v49, 16, v2
	v_cmp_neq_f32_e64 s[6:7], v48, v50
	v_cndmask_b32_e64 v82, 0, 1, s[4:5]
	v_cmp_gt_u32_e64 s[4:5], s3, v20
	s_and_b64 s[6:7], vcc, s[6:7]
	v_cmp_neq_f32_e32 vcc, v49, v48
	v_and_b32_e32 v48, 0xffff0000, v5
	v_cndmask_b32_e64 v83, 0, 1, s[6:7]
	s_and_b64 s[4:5], s[4:5], vcc
	;; [unrolled: 10-line block ×13, first 2 shown]
	v_cmp_gt_u32_e32 vcc, s3, v45
	v_lshlrev_b32_e32 v49, 16, v14
	v_cmp_neq_f32_e64 s[6:7], v48, v50
	v_cndmask_b32_e64 v106, 0, 1, s[4:5]
	v_cmp_gt_u32_e64 s[4:5], s3, v44
	s_and_b64 s[6:7], vcc, s[6:7]
	v_cmp_neq_f32_e32 vcc, v49, v48
	s_and_b64 s[4:5], s[4:5], vcc
	s_waitcnt vmcnt(0) lgkmcnt(0)
	v_lshlrev_b32_e32 v47, 16, v47
	v_cndmask_b32_e64 v108, 0, 1, s[4:5]
	v_cmp_gt_u32_e32 vcc, s3, v24
	v_cmp_neq_f32_e64 s[4:5], v49, v47
	v_cndmask_b32_e64 v107, 0, 1, s[6:7]
	s_and_b64 s[4:5], vcc, s[4:5]
.LBB841_75:
	s_mov_b64 s[10:11], -1
	s_cbranch_execnz .LBB841_70
.LBB841_76:
	s_movk_i32 s4, 0xffc6
	v_mad_i32_i24 v46, v0, s4, v46
	s_and_b64 vcc, exec, s[26:27]
	v_lshlrev_b32_e32 v61, 16, v1
	v_lshlrev_b32_e32 v60, 16, v3
	;; [unrolled: 1-line block ×14, first 2 shown]
	s_waitcnt vmcnt(0)
	v_lshlrev_b32_e32 v47, 16, v14
	ds_write_b16_d16_hi v46, v1
	s_cbranch_vccz .LBB841_80
; %bb.77:
	v_and_b32_e32 v62, 0xffff0000, v1
	v_cmp_neq_f32_e32 vcc, v61, v62
	v_and_b32_e32 v62, 0xffff0000, v3
	s_waitcnt lgkmcnt(0)
	v_cndmask_b32_e64 v80, 0, 1, vcc
	v_cmp_neq_f32_e32 vcc, v62, v61
	s_barrier
	s_nop 0
	v_cndmask_b32_e64 v81, 0, 1, vcc
	v_cmp_neq_f32_e32 vcc, v60, v62
	v_and_b32_e32 v62, 0xffff0000, v2
                                        ; implicit-def: $sgpr4_sgpr5
	s_nop 0
	v_cndmask_b32_e64 v82, 0, 1, vcc
	v_cmp_neq_f32_e32 vcc, v62, v60
	s_nop 1
	v_cndmask_b32_e64 v83, 0, 1, vcc
	v_cmp_neq_f32_e32 vcc, v59, v62
	v_and_b32_e32 v62, 0xffff0000, v5
	s_nop 0
	v_cndmask_b32_e64 v84, 0, 1, vcc
	v_cmp_neq_f32_e32 vcc, v62, v59
	s_nop 1
	v_cndmask_b32_e64 v85, 0, 1, vcc
	v_cmp_neq_f32_e32 vcc, v58, v62
	v_and_b32_e32 v62, 0xffff0000, v4
	;; [unrolled: 7-line block ×12, first 2 shown]
	s_nop 0
	v_cndmask_b32_e64 v106, 0, 1, vcc
	v_cmp_neq_f32_e32 vcc, v62, v48
	s_nop 1
	v_cndmask_b32_e64 v107, 0, 1, vcc
	v_cmp_neq_f32_e32 vcc, v47, v62
	s_nop 1
	v_cndmask_b32_e64 v108, 0, 1, vcc
	v_cmp_ne_u32_e32 vcc, 0, v0
	s_and_saveexec_b64 s[6:7], vcc
	s_xor_b64 s[6:7], exec, s[6:7]
	s_cbranch_execz .LBB841_79
; %bb.78:
	v_add_u32_e32 v62, -2, v46
	ds_read_u16 v62, v62
	s_or_b64 s[10:11], s[10:11], exec
	s_waitcnt lgkmcnt(0)
	v_lshlrev_b32_e32 v62, 16, v62
	v_cmp_neq_f32_e32 vcc, v47, v62
	s_and_b64 s[4:5], vcc, exec
.LBB841_79:
	s_or_b64 exec, exec, s[6:7]
	s_mov_b32 s12, 1
	s_branch .LBB841_84
.LBB841_80:
                                        ; implicit-def: $sgpr4_sgpr5
                                        ; implicit-def: $vgpr108
                                        ; implicit-def: $vgpr107
                                        ; implicit-def: $vgpr106
                                        ; implicit-def: $vgpr105
                                        ; implicit-def: $vgpr104
                                        ; implicit-def: $vgpr103
                                        ; implicit-def: $vgpr102
                                        ; implicit-def: $vgpr101
                                        ; implicit-def: $vgpr100
                                        ; implicit-def: $vgpr99
                                        ; implicit-def: $vgpr98
                                        ; implicit-def: $vgpr97
                                        ; implicit-def: $vgpr96
                                        ; implicit-def: $vgpr95
                                        ; implicit-def: $vgpr94
                                        ; implicit-def: $vgpr93
                                        ; implicit-def: $vgpr92
                                        ; implicit-def: $vgpr91
                                        ; implicit-def: $vgpr90
                                        ; implicit-def: $vgpr89
                                        ; implicit-def: $vgpr88
                                        ; implicit-def: $vgpr87
                                        ; implicit-def: $vgpr86
                                        ; implicit-def: $vgpr85
                                        ; implicit-def: $vgpr84
                                        ; implicit-def: $vgpr83
                                        ; implicit-def: $vgpr82
                                        ; implicit-def: $vgpr81
                                        ; implicit-def: $vgpr80
                                        ; implicit-def: $sgpr12
	s_cbranch_execz .LBB841_84
; %bb.81:
	v_and_b32_e32 v62, 0xffff0000, v1
	v_cmp_gt_u32_e32 vcc, s3, v16
	v_cmp_neq_f32_e64 s[4:5], v61, v62
	v_and_b32_e32 v62, 0xffff0000, v3
	s_and_b64 s[4:5], vcc, s[4:5]
	v_cmp_gt_u32_e32 vcc, s3, v17
	v_cmp_neq_f32_e64 s[6:7], v62, v61
	v_cndmask_b32_e64 v80, 0, 1, s[4:5]
	v_cmp_gt_u32_e64 s[4:5], s3, v18
	s_and_b64 s[6:7], vcc, s[6:7]
	v_cmp_neq_f32_e32 vcc, v60, v62
	v_and_b32_e32 v61, 0xffff0000, v2
	v_cndmask_b32_e64 v81, 0, 1, s[6:7]
	s_and_b64 s[4:5], s[4:5], vcc
	v_cmp_gt_u32_e32 vcc, s3, v19
	v_cmp_neq_f32_e64 s[6:7], v61, v60
	v_cndmask_b32_e64 v82, 0, 1, s[4:5]
	v_cmp_gt_u32_e64 s[4:5], s3, v20
	s_and_b64 s[6:7], vcc, s[6:7]
	v_cmp_neq_f32_e32 vcc, v59, v61
	v_and_b32_e32 v60, 0xffff0000, v5
	v_cndmask_b32_e64 v83, 0, 1, s[6:7]
	s_and_b64 s[4:5], s[4:5], vcc
	;; [unrolled: 9-line block ×13, first 2 shown]
	v_cmp_gt_u32_e32 vcc, s3, v45
	v_cmp_neq_f32_e64 s[6:7], v49, v48
	v_cndmask_b32_e64 v106, 0, 1, s[4:5]
	v_cmp_gt_u32_e64 s[4:5], s3, v44
	s_and_b64 s[6:7], vcc, s[6:7]
	v_cmp_neq_f32_e32 vcc, v47, v49
	s_and_b64 s[4:5], s[4:5], vcc
	v_cndmask_b32_e64 v107, 0, 1, s[6:7]
	v_cndmask_b32_e64 v108, 0, 1, s[4:5]
	v_cmp_ne_u32_e32 vcc, 0, v0
	s_waitcnt lgkmcnt(0)
	s_barrier
	s_waitcnt lgkmcnt(0)
                                        ; implicit-def: $sgpr4_sgpr5
	s_and_saveexec_b64 s[6:7], vcc
	s_cbranch_execz .LBB841_83
; %bb.82:
	v_add_u32_e32 v46, -2, v46
	ds_read_u16 v46, v46
	v_cmp_gt_u32_e32 vcc, s3, v24
	s_or_b64 s[10:11], s[10:11], exec
	s_waitcnt lgkmcnt(0)
	v_lshlrev_b32_e32 v46, 16, v46
	v_cmp_neq_f32_e64 s[4:5], v47, v46
	s_and_b64 s[4:5], vcc, s[4:5]
	s_and_b64 s[4:5], s[4:5], exec
.LBB841_83:
	s_or_b64 exec, exec, s[6:7]
	s_mov_b32 s12, 1
.LBB841_84:
	v_mov_b32_e32 v109, s12
	s_and_saveexec_b64 s[6:7], s[10:11]
; %bb.85:
	v_cndmask_b32_e64 v109, 0, 1, s[4:5]
; %bb.86:
	s_or_b64 exec, exec, s[6:7]
	s_load_dwordx2 s[28:29], s[0:1], 0x60
	s_andn2_b64 vcc, exec, s[8:9]
	s_cbranch_vccnz .LBB841_88
; %bb.87:
	v_cmp_gt_u32_e32 vcc, s3, v24
	s_nop 1
	v_cndmask_b32_e32 v109, 0, v109, vcc
	v_cmp_gt_u32_e32 vcc, s3, v44
	s_nop 1
	v_cndmask_b32_e32 v108, 0, v108, vcc
	v_cmp_gt_u32_e32 vcc, s3, v45
	s_nop 1
	v_cndmask_b32_e32 v107, 0, v107, vcc
	v_cmp_gt_u32_e32 vcc, s3, v43
	s_nop 1
	v_cndmask_b32_e32 v106, 0, v106, vcc
	v_cmp_gt_u32_e32 vcc, s3, v42
	s_nop 1
	v_cndmask_b32_e32 v105, 0, v105, vcc
	v_cmp_gt_u32_e32 vcc, s3, v40
	s_nop 1
	v_cndmask_b32_e32 v104, 0, v104, vcc
	v_cmp_gt_u32_e32 vcc, s3, v41
	s_nop 1
	v_cndmask_b32_e32 v103, 0, v103, vcc
	v_cmp_gt_u32_e32 vcc, s3, v39
	s_nop 1
	v_cndmask_b32_e32 v102, 0, v102, vcc
	v_cmp_gt_u32_e32 vcc, s3, v38
	s_nop 1
	v_cndmask_b32_e32 v101, 0, v101, vcc
	v_cmp_gt_u32_e32 vcc, s3, v34
	s_nop 1
	v_cndmask_b32_e32 v100, 0, v100, vcc
	v_cmp_gt_u32_e32 vcc, s3, v35
	s_nop 1
	v_cndmask_b32_e32 v99, 0, v99, vcc
	v_cmp_gt_u32_e32 vcc, s3, v31
	s_nop 1
	v_cndmask_b32_e32 v98, 0, v98, vcc
	v_cmp_gt_u32_e32 vcc, s3, v28
	s_nop 1
	v_cndmask_b32_e32 v97, 0, v97, vcc
	v_cmp_gt_u32_e32 vcc, s3, v25
	s_nop 1
	v_cndmask_b32_e32 v96, 0, v96, vcc
	v_cmp_gt_u32_e32 vcc, s3, v36
	s_nop 1
	v_cndmask_b32_e32 v95, 0, v95, vcc
	v_cmp_gt_u32_e32 vcc, s3, v32
	s_nop 1
	v_cndmask_b32_e32 v94, 0, v94, vcc
	v_cmp_gt_u32_e32 vcc, s3, v29
	s_nop 1
	v_cndmask_b32_e32 v93, 0, v93, vcc
	v_cmp_gt_u32_e32 vcc, s3, v26
	s_nop 1
	v_cndmask_b32_e32 v92, 0, v92, vcc
	v_cmp_gt_u32_e32 vcc, s3, v37
	s_nop 1
	v_cndmask_b32_e32 v91, 0, v91, vcc
	v_cmp_gt_u32_e32 vcc, s3, v33
	s_nop 1
	v_cndmask_b32_e32 v90, 0, v90, vcc
	v_cmp_gt_u32_e32 vcc, s3, v30
	s_nop 1
	v_cndmask_b32_e32 v89, 0, v89, vcc
	v_cmp_gt_u32_e32 vcc, s3, v27
	s_nop 1
	v_cndmask_b32_e32 v88, 0, v88, vcc
	v_cmp_gt_u32_e32 vcc, s3, v23
	s_nop 1
	v_cndmask_b32_e32 v87, 0, v87, vcc
	v_cmp_gt_u32_e32 vcc, s3, v22
	s_nop 1
	v_cndmask_b32_e32 v86, 0, v86, vcc
	v_cmp_gt_u32_e32 vcc, s3, v21
	s_nop 1
	v_cndmask_b32_e32 v85, 0, v85, vcc
	v_cmp_gt_u32_e32 vcc, s3, v20
	s_nop 1
	v_cndmask_b32_e32 v84, 0, v84, vcc
	v_cmp_gt_u32_e32 vcc, s3, v19
	s_nop 1
	v_cndmask_b32_e32 v83, 0, v83, vcc
	v_cmp_gt_u32_e32 vcc, s3, v18
	s_nop 1
	v_cndmask_b32_e32 v82, 0, v82, vcc
	v_cmp_gt_u32_e32 vcc, s3, v17
	s_nop 1
	v_cndmask_b32_e32 v81, 0, v81, vcc
	v_cmp_gt_u32_e32 vcc, s3, v16
	s_nop 1
	v_cndmask_b32_e32 v80, 0, v80, vcc
.LBB841_88:
	v_and_b32_e32 v61, 0xff, v83
	v_and_b32_e32 v63, 0xff, v82
	v_add_u32_sdwa v16, v81, v80 dst_sel:DWORD dst_unused:UNUSED_PAD src0_sel:BYTE_0 src1_sel:BYTE_0
	v_and_b32_e32 v57, 0xff, v85
	v_and_b32_e32 v59, 0xff, v84
	v_add3_u32 v16, v16, v63, v61
	v_and_b32_e32 v53, 0xff, v87
	v_and_b32_e32 v55, 0xff, v86
	v_add3_u32 v16, v16, v59, v57
	;; [unrolled: 3-line block ×3, first 2 shown]
	v_and_b32_e32 v45, 0xff, v91
	s_waitcnt vmcnt(0)
	v_and_b32_e32 v47, 0xff, v90
	v_add3_u32 v16, v16, v51, v49
	v_and_b32_e32 v42, 0xff, v93
	v_and_b32_e32 v43, 0xff, v92
	v_add3_u32 v16, v16, v47, v45
	v_and_b32_e32 v40, 0xff, v95
	;; [unrolled: 3-line block ×9, first 2 shown]
	v_and_b32_e32 v27, 0xff, v108
	v_add3_u32 v16, v16, v29, v28
	v_add3_u32 v48, v16, v27, v26
	v_mbcnt_lo_u32_b32 v16, -1, 0
	v_mbcnt_hi_u32_b32 v44, -1, v16
	v_and_b32_e32 v16, 15, v44
	v_cmp_eq_u32_e64 s[14:15], 0, v16
	v_cmp_lt_u32_e64 s[12:13], 1, v16
	v_cmp_lt_u32_e64 s[10:11], 3, v16
	;; [unrolled: 1-line block ×3, first 2 shown]
	v_and_b32_e32 v16, 16, v44
	v_cmp_eq_u32_e64 s[6:7], 0, v16
	v_or_b32_e32 v16, 63, v0
	v_cmp_lt_u32_e64 s[18:19], 31, v44
	v_lshrrev_b32_e32 v46, 6, v0
	v_cmp_eq_u32_e64 s[4:5], v16, v0
	s_and_b64 vcc, exec, s[16:17]
	s_waitcnt lgkmcnt(0)
	s_barrier
	s_cbranch_vccz .LBB841_119
; %bb.89:
	v_mov_b32_dpp v16, v48 row_shr:1 row_mask:0xf bank_mask:0xf
	v_cndmask_b32_e64 v16, v16, 0, s[14:15]
	v_add_u32_e32 v16, v16, v48
	s_nop 1
	v_mov_b32_dpp v17, v16 row_shr:2 row_mask:0xf bank_mask:0xf
	v_cndmask_b32_e64 v17, 0, v17, s[12:13]
	v_add_u32_e32 v16, v16, v17
	s_nop 1
	;; [unrolled: 4-line block ×4, first 2 shown]
	v_mov_b32_dpp v17, v16 row_bcast:15 row_mask:0xf bank_mask:0xf
	v_cndmask_b32_e64 v17, v17, 0, s[6:7]
	v_add_u32_e32 v16, v16, v17
	s_nop 1
	v_mov_b32_dpp v17, v16 row_bcast:31 row_mask:0xf bank_mask:0xf
	v_cndmask_b32_e64 v17, 0, v17, s[18:19]
	v_add_u32_e32 v16, v16, v17
	s_and_saveexec_b64 s[16:17], s[4:5]
	s_cbranch_execz .LBB841_91
; %bb.90:
	v_lshlrev_b32_e32 v17, 2, v46
	ds_write_b32 v17, v16
.LBB841_91:
	s_or_b64 exec, exec, s[16:17]
	v_cmp_gt_u32_e32 vcc, 8, v0
	s_waitcnt lgkmcnt(0)
	s_barrier
	s_and_saveexec_b64 s[16:17], vcc
	s_cbranch_execz .LBB841_93
; %bb.92:
	v_lshlrev_b32_e32 v17, 2, v0
	ds_read_b32 v18, v17
	v_and_b32_e32 v19, 7, v44
	v_cmp_ne_u32_e32 vcc, 0, v19
	s_waitcnt lgkmcnt(0)
	v_mov_b32_dpp v20, v18 row_shr:1 row_mask:0xf bank_mask:0xf
	v_cndmask_b32_e32 v20, 0, v20, vcc
	v_add_u32_e32 v18, v20, v18
	v_cmp_lt_u32_e32 vcc, 1, v19
	s_nop 0
	v_mov_b32_dpp v20, v18 row_shr:2 row_mask:0xf bank_mask:0xf
	v_cndmask_b32_e32 v20, 0, v20, vcc
	v_add_u32_e32 v18, v18, v20
	v_cmp_lt_u32_e32 vcc, 3, v19
	s_nop 0
	v_mov_b32_dpp v20, v18 row_shr:4 row_mask:0xf bank_mask:0xf
	v_cndmask_b32_e32 v19, 0, v20, vcc
	v_add_u32_e32 v18, v18, v19
	ds_write_b32 v17, v18
.LBB841_93:
	s_or_b64 exec, exec, s[16:17]
	v_cmp_gt_u32_e32 vcc, 64, v0
	v_cmp_lt_u32_e64 s[16:17], 63, v0
	s_waitcnt lgkmcnt(0)
	s_barrier
	s_waitcnt lgkmcnt(0)
                                        ; implicit-def: $vgpr50
	s_and_saveexec_b64 s[30:31], s[16:17]
	s_cbranch_execz .LBB841_95
; %bb.94:
	v_lshl_add_u32 v17, v46, 2, -4
	ds_read_b32 v50, v17
	s_waitcnt lgkmcnt(0)
	v_add_u32_e32 v16, v50, v16
.LBB841_95:
	s_or_b64 exec, exec, s[30:31]
	v_add_u32_e32 v17, -1, v44
	v_and_b32_e32 v18, 64, v44
	v_cmp_lt_i32_e64 s[16:17], v17, v18
	s_nop 1
	v_cndmask_b32_e64 v17, v17, v44, s[16:17]
	v_lshlrev_b32_e32 v17, 2, v17
	ds_bpermute_b32 v52, v17, v16
	v_cmp_eq_u32_e64 s[16:17], 0, v44
	s_and_saveexec_b64 s[30:31], vcc
	s_cbranch_execz .LBB841_118
; %bb.96:
	v_mov_b32_e32 v25, 0
	ds_read_b32 v16, v25 offset:28
	s_and_saveexec_b64 s[34:35], s[16:17]
	s_cbranch_execz .LBB841_98
; %bb.97:
	s_add_i32 s36, s2, 64
	s_mov_b32 s37, 0
	s_lshl_b64 s[36:37], s[36:37], 3
	s_add_u32 s36, s28, s36
	v_mov_b32_e32 v17, 1
	s_addc_u32 s37, s29, s37
	s_waitcnt lgkmcnt(0)
	global_store_dwordx2 v25, v[16:17], s[36:37] sc1
.LBB841_98:
	s_or_b64 exec, exec, s[34:35]
	v_xad_u32 v18, v44, -1, s2
	v_add_u32_e32 v24, 64, v18
	v_lshl_add_u64 v[20:21], v[24:25], 3, s[28:29]
	global_load_dwordx2 v[22:23], v[20:21], off sc1
	s_waitcnt vmcnt(0)
	v_cmp_eq_u16_sdwa s[36:37], v23, v25 src0_sel:BYTE_0 src1_sel:DWORD
	s_and_saveexec_b64 s[34:35], s[36:37]
	s_cbranch_execz .LBB841_104
; %bb.99:
	s_mov_b32 s3, 1
	s_mov_b64 s[36:37], 0
	v_mov_b32_e32 v17, 0
.LBB841_100:                            ; =>This Loop Header: Depth=1
                                        ;     Child Loop BB841_101 Depth 2
	s_max_u32 s33, s3, 1
.LBB841_101:                            ;   Parent Loop BB841_100 Depth=1
                                        ; =>  This Inner Loop Header: Depth=2
	s_add_i32 s33, s33, -1
	s_cmp_eq_u32 s33, 0
	s_sleep 1
	s_cbranch_scc0 .LBB841_101
; %bb.102:                              ;   in Loop: Header=BB841_100 Depth=1
	global_load_dwordx2 v[22:23], v[20:21], off sc1
	s_cmp_lt_u32 s3, 32
	s_cselect_b64 s[38:39], -1, 0
	s_cmp_lg_u64 s[38:39], 0
	s_addc_u32 s3, s3, 0
	s_waitcnt vmcnt(0)
	v_cmp_ne_u16_sdwa s[38:39], v23, v17 src0_sel:BYTE_0 src1_sel:DWORD
	s_or_b64 s[36:37], s[38:39], s[36:37]
	s_andn2_b64 exec, exec, s[36:37]
	s_cbranch_execnz .LBB841_100
; %bb.103:
	s_or_b64 exec, exec, s[36:37]
.LBB841_104:
	s_or_b64 exec, exec, s[34:35]
	v_and_b32_e32 v56, 63, v44
	v_mov_b32_e32 v54, 2
	v_cmp_ne_u32_e32 vcc, 63, v56
	v_cmp_eq_u16_sdwa s[34:35], v23, v54 src0_sel:BYTE_0 src1_sel:DWORD
	v_lshlrev_b64 v[20:21], v44, -1
	v_addc_co_u32_e32 v24, vcc, 0, v44, vcc
	v_and_b32_e32 v17, s35, v21
	v_lshlrev_b32_e32 v58, 2, v24
	v_or_b32_e32 v17, 0x80000000, v17
	ds_bpermute_b32 v24, v58, v22
	v_and_b32_e32 v19, s34, v20
	v_ffbl_b32_e32 v17, v17
	v_add_u32_e32 v17, 32, v17
	v_ffbl_b32_e32 v19, v19
	v_min_u32_e32 v17, v19, v17
	v_cmp_lt_u32_e32 vcc, v56, v17
	v_add_u32_e32 v62, 2, v56
	v_add_u32_e32 v65, 4, v56
	s_waitcnt lgkmcnt(0)
	v_cndmask_b32_e32 v19, 0, v24, vcc
	v_cmp_gt_u32_e32 vcc, 62, v56
	v_add_u32_e32 v19, v19, v22
	v_add_u32_e32 v67, 8, v56
	v_cndmask_b32_e64 v22, 0, 1, vcc
	v_lshlrev_b32_e32 v22, 1, v22
	v_add_lshl_u32 v60, v22, v44, 2
	ds_bpermute_b32 v22, v60, v19
	v_cmp_le_u32_e32 vcc, v62, v17
	v_add_u32_e32 v69, 16, v56
	v_add_u32_e32 v71, 32, v56
	s_waitcnt lgkmcnt(0)
	v_cndmask_b32_e32 v22, 0, v22, vcc
	v_cmp_gt_u32_e32 vcc, 60, v56
	v_add_u32_e32 v19, v19, v22
	s_nop 0
	v_cndmask_b32_e64 v22, 0, 1, vcc
	v_lshlrev_b32_e32 v22, 2, v22
	v_add_lshl_u32 v64, v22, v44, 2
	ds_bpermute_b32 v22, v64, v19
	v_cmp_le_u32_e32 vcc, v65, v17
	s_waitcnt lgkmcnt(0)
	s_nop 0
	v_cndmask_b32_e32 v22, 0, v22, vcc
	v_cmp_gt_u32_e32 vcc, 56, v56
	v_add_u32_e32 v19, v19, v22
	s_nop 0
	v_cndmask_b32_e64 v22, 0, 1, vcc
	v_lshlrev_b32_e32 v22, 3, v22
	v_add_lshl_u32 v66, v22, v44, 2
	ds_bpermute_b32 v22, v66, v19
	v_cmp_le_u32_e32 vcc, v67, v17
	s_waitcnt lgkmcnt(0)
	s_nop 0
	;; [unrolled: 11-line block ×4, first 2 shown]
	v_cndmask_b32_e32 v17, 0, v22, vcc
	v_add_u32_e32 v22, v19, v17
	v_mov_b32_e32 v19, 0
	s_branch .LBB841_106
.LBB841_105:                            ;   in Loop: Header=BB841_106 Depth=1
	s_or_b64 exec, exec, s[34:35]
	v_cmp_eq_u16_sdwa s[34:35], v23, v54 src0_sel:BYTE_0 src1_sel:DWORD
	ds_bpermute_b32 v72, v58, v22
	v_subrev_u32_e32 v18, 64, v18
	v_and_b32_e32 v24, s35, v21
	v_or_b32_e32 v24, 0x80000000, v24
	v_and_b32_e32 v25, s34, v20
	v_ffbl_b32_e32 v24, v24
	v_add_u32_e32 v24, 32, v24
	v_ffbl_b32_e32 v25, v25
	v_min_u32_e32 v24, v25, v24
	v_cmp_lt_u32_e32 vcc, v56, v24
	s_waitcnt lgkmcnt(0)
	s_nop 0
	v_cndmask_b32_e32 v25, 0, v72, vcc
	v_add_u32_e32 v22, v25, v22
	ds_bpermute_b32 v25, v60, v22
	v_cmp_le_u32_e32 vcc, v62, v24
	s_waitcnt lgkmcnt(0)
	s_nop 0
	v_cndmask_b32_e32 v25, 0, v25, vcc
	v_add_u32_e32 v22, v22, v25
	ds_bpermute_b32 v25, v64, v22
	v_cmp_le_u32_e32 vcc, v65, v24
	;; [unrolled: 6-line block ×5, first 2 shown]
	s_waitcnt lgkmcnt(0)
	s_nop 0
	v_cndmask_b32_e32 v24, 0, v25, vcc
	v_add3_u32 v22, v24, v17, v22
.LBB841_106:                            ; =>This Loop Header: Depth=1
                                        ;     Child Loop BB841_109 Depth 2
                                        ;       Child Loop BB841_110 Depth 3
	v_cmp_ne_u16_sdwa s[34:35], v23, v54 src0_sel:BYTE_0 src1_sel:DWORD
	s_nop 1
	v_cndmask_b32_e64 v17, 0, 1, s[34:35]
	;;#ASMSTART
	;;#ASMEND
	s_nop 0
	v_cmp_ne_u32_e32 vcc, 0, v17
	s_cmp_lg_u64 vcc, exec
	v_mov_b32_e32 v17, v22
	s_cbranch_scc1 .LBB841_113
; %bb.107:                              ;   in Loop: Header=BB841_106 Depth=1
	v_lshl_add_u64 v[24:25], v[18:19], 3, s[28:29]
	global_load_dwordx2 v[22:23], v[24:25], off sc1
	s_waitcnt vmcnt(0)
	v_cmp_eq_u16_sdwa s[36:37], v23, v19 src0_sel:BYTE_0 src1_sel:DWORD
	s_and_saveexec_b64 s[34:35], s[36:37]
	s_cbranch_execz .LBB841_105
; %bb.108:                              ;   in Loop: Header=BB841_106 Depth=1
	s_mov_b32 s3, 1
	s_mov_b64 s[36:37], 0
.LBB841_109:                            ;   Parent Loop BB841_106 Depth=1
                                        ; =>  This Loop Header: Depth=2
                                        ;       Child Loop BB841_110 Depth 3
	s_max_u32 s33, s3, 1
.LBB841_110:                            ;   Parent Loop BB841_106 Depth=1
                                        ;     Parent Loop BB841_109 Depth=2
                                        ; =>    This Inner Loop Header: Depth=3
	s_add_i32 s33, s33, -1
	s_cmp_eq_u32 s33, 0
	s_sleep 1
	s_cbranch_scc0 .LBB841_110
; %bb.111:                              ;   in Loop: Header=BB841_109 Depth=2
	global_load_dwordx2 v[22:23], v[24:25], off sc1
	s_cmp_lt_u32 s3, 32
	s_cselect_b64 s[38:39], -1, 0
	s_cmp_lg_u64 s[38:39], 0
	s_addc_u32 s3, s3, 0
	s_waitcnt vmcnt(0)
	v_cmp_ne_u16_sdwa s[38:39], v23, v19 src0_sel:BYTE_0 src1_sel:DWORD
	s_or_b64 s[36:37], s[38:39], s[36:37]
	s_andn2_b64 exec, exec, s[36:37]
	s_cbranch_execnz .LBB841_109
; %bb.112:                              ;   in Loop: Header=BB841_106 Depth=1
	s_or_b64 exec, exec, s[36:37]
	s_branch .LBB841_105
.LBB841_113:                            ;   in Loop: Header=BB841_106 Depth=1
                                        ; implicit-def: $vgpr22
                                        ; implicit-def: $vgpr23
	s_cbranch_execz .LBB841_106
; %bb.114:
	s_and_saveexec_b64 s[34:35], s[16:17]
	s_cbranch_execz .LBB841_116
; %bb.115:
	s_add_i32 s2, s2, 64
	s_mov_b32 s3, 0
	s_lshl_b64 s[2:3], s[2:3], 3
	s_add_u32 s2, s28, s2
	v_add_u32_e32 v18, v17, v16
	v_mov_b32_e32 v19, 2
	s_addc_u32 s3, s29, s3
	v_mov_b32_e32 v20, 0
	global_store_dwordx2 v20, v[18:19], s[2:3] sc1
	ds_write_b64 v20, v[16:17] offset:30720
.LBB841_116:
	s_or_b64 exec, exec, s[34:35]
	v_cmp_eq_u32_e32 vcc, 0, v0
	s_and_b64 exec, exec, vcc
	s_cbranch_execz .LBB841_118
; %bb.117:
	v_mov_b32_e32 v16, 0
	ds_write_b32 v16, v17 offset:28
.LBB841_118:
	s_or_b64 exec, exec, s[30:31]
	v_mov_b32_e32 v16, 0
	s_waitcnt lgkmcnt(0)
	s_barrier
	ds_read_b32 v19, v16 offset:28
	s_waitcnt lgkmcnt(0)
	s_barrier
	ds_read_b64 v[16:17], v16 offset:30720
	v_cndmask_b32_e64 v18, v52, v50, s[16:17]
	v_cmp_ne_u32_e32 vcc, 0, v0
	s_nop 1
	v_cndmask_b32_e32 v18, 0, v18, vcc
	v_add_u32_e32 v72, v19, v18
	s_waitcnt lgkmcnt(0)
	v_mov_b32_e32 v18, v17
	s_load_dwordx2 s[2:3], s[0:1], 0x28
	s_branch .LBB841_129
.LBB841_119:
                                        ; implicit-def: $vgpr18
                                        ; implicit-def: $vgpr16
                                        ; implicit-def: $vgpr72
	s_load_dwordx2 s[2:3], s[0:1], 0x28
	s_cbranch_execz .LBB841_129
; %bb.120:
	v_mov_b32_dpp v16, v48 row_shr:1 row_mask:0xf bank_mask:0xf
	v_cndmask_b32_e64 v16, v16, 0, s[14:15]
	v_add_u32_e32 v16, v16, v48
	s_nop 1
	v_mov_b32_dpp v17, v16 row_shr:2 row_mask:0xf bank_mask:0xf
	v_cndmask_b32_e64 v17, 0, v17, s[12:13]
	v_add_u32_e32 v16, v16, v17
	s_nop 1
	;; [unrolled: 4-line block ×4, first 2 shown]
	v_mov_b32_dpp v17, v16 row_bcast:15 row_mask:0xf bank_mask:0xf
	v_cndmask_b32_e64 v17, v17, 0, s[6:7]
	v_add_u32_e32 v16, v16, v17
	s_nop 1
	v_mov_b32_dpp v17, v16 row_bcast:31 row_mask:0xf bank_mask:0xf
	v_cndmask_b32_e64 v17, 0, v17, s[18:19]
	v_add_u32_e32 v16, v16, v17
	s_and_saveexec_b64 s[0:1], s[4:5]
	s_cbranch_execz .LBB841_122
; %bb.121:
	v_lshlrev_b32_e32 v17, 2, v46
	ds_write_b32 v17, v16
.LBB841_122:
	s_or_b64 exec, exec, s[0:1]
	v_cmp_gt_u32_e32 vcc, 8, v0
	s_waitcnt lgkmcnt(0)
	s_barrier
	s_and_saveexec_b64 s[0:1], vcc
	s_cbranch_execz .LBB841_124
; %bb.123:
	v_lshlrev_b32_e32 v17, 2, v0
	ds_read_b32 v18, v17
	v_and_b32_e32 v19, 7, v44
	v_cmp_ne_u32_e32 vcc, 0, v19
	s_waitcnt lgkmcnt(0)
	v_mov_b32_dpp v20, v18 row_shr:1 row_mask:0xf bank_mask:0xf
	v_cndmask_b32_e32 v20, 0, v20, vcc
	v_add_u32_e32 v18, v20, v18
	v_cmp_lt_u32_e32 vcc, 1, v19
	s_nop 0
	v_mov_b32_dpp v20, v18 row_shr:2 row_mask:0xf bank_mask:0xf
	v_cndmask_b32_e32 v20, 0, v20, vcc
	v_add_u32_e32 v18, v18, v20
	v_cmp_lt_u32_e32 vcc, 3, v19
	s_nop 0
	v_mov_b32_dpp v20, v18 row_shr:4 row_mask:0xf bank_mask:0xf
	v_cndmask_b32_e32 v19, 0, v20, vcc
	v_add_u32_e32 v18, v18, v19
	ds_write_b32 v17, v18
.LBB841_124:
	s_or_b64 exec, exec, s[0:1]
	v_cmp_lt_u32_e32 vcc, 63, v0
	v_mov_b32_e32 v17, 0
	v_mov_b32_e32 v18, 0
	s_waitcnt lgkmcnt(0)
	s_barrier
	s_and_saveexec_b64 s[0:1], vcc
	s_cbranch_execz .LBB841_126
; %bb.125:
	v_lshl_add_u32 v18, v46, 2, -4
	ds_read_b32 v18, v18
.LBB841_126:
	s_or_b64 exec, exec, s[0:1]
	v_add_u32_e32 v19, -1, v44
	v_and_b32_e32 v20, 64, v44
	v_cmp_lt_i32_e32 vcc, v19, v20
	s_waitcnt lgkmcnt(0)
	v_add_u32_e32 v16, v18, v16
	v_cndmask_b32_e32 v19, v19, v44, vcc
	v_lshlrev_b32_e32 v19, 2, v19
	ds_bpermute_b32 v19, v19, v16
	ds_read_b32 v16, v17 offset:28
	v_cmp_eq_u32_e32 vcc, 0, v0
	s_and_saveexec_b64 s[0:1], vcc
	s_cbranch_execz .LBB841_128
; %bb.127:
	v_mov_b32_e32 v20, 0
	v_mov_b32_e32 v17, 2
	s_waitcnt lgkmcnt(0)
	global_store_dwordx2 v20, v[16:17], s[28:29] offset:512 sc1
.LBB841_128:
	s_or_b64 exec, exec, s[0:1]
	v_cmp_eq_u32_e64 s[0:1], 0, v44
	s_waitcnt lgkmcnt(0)
	s_barrier
	v_cndmask_b32_e64 v17, v19, v18, s[0:1]
	v_mov_b32_e32 v18, 0
	v_cndmask_b32_e64 v72, v17, 0, vcc
.LBB841_129:
	v_add_u32_e32 v78, v72, v26
	v_add_u32_e32 v76, v78, v27
	;; [unrolled: 1-line block ×27, first 2 shown]
	s_movk_i32 s0, 0x201
	v_add_u32_e32 v22, v24, v63
	v_cmp_gt_u32_e32 vcc, s0, v16
	v_add_u32_sdwa v20, v22, v81 dst_sel:DWORD dst_unused:UNUSED_PAD src0_sel:DWORD src1_sel:BYTE_0
	s_mov_b64 s[0:1], -1
	s_cbranch_vccnz .LBB841_133
; %bb.130:
	s_and_b64 vcc, exec, s[0:1]
	s_cbranch_vccnz .LBB841_224
.LBB841_131:
	v_cmp_eq_u32_e32 vcc, 0, v0
	s_and_b64 s[0:1], vcc, s[24:25]
	s_waitcnt lgkmcnt(0)
	s_and_saveexec_b64 s[2:3], s[0:1]
	s_cbranch_execnz .LBB841_298
.LBB841_132:
	s_endpgm
.LBB841_133:
	v_add_u32_e32 v17, v18, v16
	s_lshl_b64 s[0:1], s[22:23], 1
	s_waitcnt lgkmcnt(0)
	s_add_u32 s0, s2, s0
	v_cmp_lt_u32_e32 vcc, v72, v17
	s_addc_u32 s1, s3, s1
	s_or_b64 s[6:7], s[26:27], vcc
	s_and_saveexec_b64 s[4:5], s[6:7]
	s_cbranch_execz .LBB841_136
; %bb.134:
	v_and_b32_e32 v19, 1, v109
	v_cmp_eq_u32_e32 vcc, 1, v19
	s_and_b64 exec, exec, vcc
	s_cbranch_execz .LBB841_136
; %bb.135:
	v_mov_b32_e32 v73, 0
	v_lshl_add_u64 v[110:111], v[72:73], 1, s[0:1]
	global_store_short v[110:111], v14, off
.LBB841_136:
	s_or_b64 exec, exec, s[4:5]
	v_cmp_lt_u32_e32 vcc, v78, v17
	s_or_b64 s[6:7], s[26:27], vcc
	s_and_saveexec_b64 s[4:5], s[6:7]
	s_cbranch_execz .LBB841_139
; %bb.137:
	v_and_b32_e32 v19, 1, v108
	v_cmp_eq_u32_e32 vcc, 1, v19
	s_and_b64 exec, exec, vcc
	s_cbranch_execz .LBB841_139
; %bb.138:
	v_mov_b32_e32 v79, 0
	v_lshl_add_u64 v[110:111], v[78:79], 1, s[0:1]
	global_store_short_d16_hi v[110:111], v14, off
.LBB841_139:
	s_or_b64 exec, exec, s[4:5]
	v_cmp_lt_u32_e32 vcc, v76, v17
	s_or_b64 s[6:7], s[26:27], vcc
	s_and_saveexec_b64 s[4:5], s[6:7]
	s_cbranch_execz .LBB841_142
; %bb.140:
	v_and_b32_e32 v19, 1, v107
	v_cmp_eq_u32_e32 vcc, 1, v19
	s_and_b64 exec, exec, vcc
	s_cbranch_execz .LBB841_142
; %bb.141:
	v_mov_b32_e32 v77, 0
	v_lshl_add_u64 v[110:111], v[76:77], 1, s[0:1]
	global_store_short v[110:111], v15, off
.LBB841_142:
	s_or_b64 exec, exec, s[4:5]
	v_cmp_lt_u32_e32 vcc, v74, v17
	s_or_b64 s[6:7], s[26:27], vcc
	s_and_saveexec_b64 s[4:5], s[6:7]
	s_cbranch_execz .LBB841_145
; %bb.143:
	v_and_b32_e32 v19, 1, v106
	v_cmp_eq_u32_e32 vcc, 1, v19
	s_and_b64 exec, exec, vcc
	s_cbranch_execz .LBB841_145
; %bb.144:
	v_mov_b32_e32 v75, 0
	v_lshl_add_u64 v[110:111], v[74:75], 1, s[0:1]
	global_store_short_d16_hi v[110:111], v15, off
.LBB841_145:
	s_or_b64 exec, exec, s[4:5]
	v_cmp_lt_u32_e32 vcc, v70, v17
	;; [unrolled: 30-line block ×14, first 2 shown]
	s_or_b64 s[6:7], s[26:27], vcc
	s_and_saveexec_b64 s[4:5], s[6:7]
	s_cbranch_execz .LBB841_220
; %bb.218:
	v_and_b32_e32 v19, 1, v81
	v_cmp_eq_u32_e32 vcc, 1, v19
	s_and_b64 exec, exec, vcc
	s_cbranch_execz .LBB841_220
; %bb.219:
	v_mov_b32_e32 v23, 0
	v_lshl_add_u64 v[110:111], v[22:23], 1, s[0:1]
	global_store_short v[110:111], v1, off
.LBB841_220:
	s_or_b64 exec, exec, s[4:5]
	v_cmp_lt_u32_e32 vcc, v20, v17
	s_or_b64 s[6:7], s[26:27], vcc
	s_and_saveexec_b64 s[4:5], s[6:7]
	s_cbranch_execz .LBB841_223
; %bb.221:
	v_and_b32_e32 v17, 1, v80
	v_cmp_eq_u32_e32 vcc, 1, v17
	s_and_b64 exec, exec, vcc
	s_cbranch_execz .LBB841_223
; %bb.222:
	v_mov_b32_e32 v21, 0
	v_lshl_add_u64 v[110:111], v[20:21], 1, s[0:1]
	global_store_short_d16_hi v[110:111], v1, off
.LBB841_223:
	s_or_b64 exec, exec, s[4:5]
	s_branch .LBB841_131
.LBB841_224:
	v_and_b32_e32 v17, 1, v109
	v_cmp_eq_u32_e32 vcc, 1, v17
	s_and_saveexec_b64 s[0:1], vcc
	s_cbranch_execz .LBB841_226
; %bb.225:
	v_sub_u32_e32 v17, v72, v18
	v_lshlrev_b32_e32 v17, 1, v17
	ds_write_b16 v17, v14
.LBB841_226:
	s_or_b64 exec, exec, s[0:1]
	v_and_b32_e32 v17, 1, v108
	v_cmp_eq_u32_e32 vcc, 1, v17
	s_and_saveexec_b64 s[0:1], vcc
	s_cbranch_execz .LBB841_228
; %bb.227:
	v_sub_u32_e32 v17, v78, v18
	v_lshlrev_b32_e32 v17, 1, v17
	ds_write_b16_d16_hi v17, v14
.LBB841_228:
	s_or_b64 exec, exec, s[0:1]
	v_and_b32_e32 v14, 1, v107
	v_cmp_eq_u32_e32 vcc, 1, v14
	s_and_saveexec_b64 s[0:1], vcc
	s_cbranch_execz .LBB841_230
; %bb.229:
	v_sub_u32_e32 v14, v76, v18
	v_lshlrev_b32_e32 v14, 1, v14
	ds_write_b16 v14, v15
.LBB841_230:
	s_or_b64 exec, exec, s[0:1]
	v_and_b32_e32 v14, 1, v106
	v_cmp_eq_u32_e32 vcc, 1, v14
	s_and_saveexec_b64 s[0:1], vcc
	s_cbranch_execz .LBB841_232
; %bb.231:
	v_sub_u32_e32 v14, v74, v18
	v_lshlrev_b32_e32 v14, 1, v14
	ds_write_b16_d16_hi v14, v15
.LBB841_232:
	s_or_b64 exec, exec, s[0:1]
	;; [unrolled: 20-line block ×15, first 2 shown]
	v_cmp_lt_u32_e32 vcc, v0, v16
	s_waitcnt lgkmcnt(0)
	s_barrier
	s_and_saveexec_b64 s[0:1], vcc
	s_cbranch_execz .LBB841_297
; %bb.285:
	s_lshl_b64 s[4:5], s[22:23], 1
	v_mov_b32_e32 v19, 0
	s_add_u32 s2, s2, s4
	s_addc_u32 s3, s3, s5
	v_lshlrev_b64 v[2:3], 1, v[18:19]
	v_lshl_add_u64 v[8:9], s[2:3], 0, v[2:3]
	v_xad_u32 v1, v0, -1, v16
	s_movk_i32 s2, 0x5ff
	v_cmp_lt_u32_e32 vcc, s2, v1
	s_mov_b64 s[4:5], -1
	v_mov_b32_e32 v2, v0
	s_and_saveexec_b64 s[2:3], vcc
	s_cbranch_execz .LBB841_294
; %bb.286:
	v_lshrrev_b32_e32 v12, 9, v1
	v_add_u32_e32 v4, -3, v12
	v_or_b32_e32 v3, 0x600, v0
	v_or_b32_e32 v2, 0x400, v0
	v_lshrrev_b32_e32 v5, 2, v4
	v_or_b32_e32 v1, 0x200, v0
	v_add_u32_e32 v14, 1, v5
	v_cmp_lt_u32_e32 vcc, 11, v4
	v_mov_b64_e32 v[6:7], v[2:3]
	v_lshlrev_b32_e32 v13, 1, v0
	v_mov_b64_e32 v[4:5], v[0:1]
	s_and_saveexec_b64 s[4:5], vcc
	s_cbranch_execz .LBB841_290
; %bb.287:
	v_mov_b64_e32 v[6:7], v[2:3]
	v_and_b32_e32 v15, 0x7ffffffc, v14
	s_mov_b32 s8, 0
	s_mov_b64 s[6:7], 0
	v_mov_b32_e32 v11, 0
	v_mov_b32_e32 v17, v13
	v_mov_b64_e32 v[4:5], v[0:1]
.LBB841_288:                            ; =>This Inner Loop Header: Depth=1
	v_mov_b32_e32 v10, v4
	ds_read_u16 v1, v17
	ds_read_u16 v44, v17 offset:1024
	ds_read_u16 v45, v17 offset:2048
	;; [unrolled: 1-line block ×7, first 2 shown]
	v_lshl_add_u64 v[36:37], v[10:11], 1, v[8:9]
	v_mov_b32_e32 v10, v5
	v_lshl_add_u64 v[38:39], v[10:11], 1, v[8:9]
	v_mov_b32_e32 v10, v6
	ds_read_u16 v51, v17 offset:8192
	ds_read_u16 v52, v17 offset:9216
	;; [unrolled: 1-line block ×8, first 2 shown]
	v_lshl_add_u64 v[40:41], v[10:11], 1, v[8:9]
	v_mov_b32_e32 v10, v7
	v_add_u32_e32 v2, 0x800, v7
	v_mov_b32_e32 v3, v11
	v_lshl_add_u64 v[42:43], v[10:11], 1, v[8:9]
	v_add_u32_e32 v10, 0x800, v4
	v_add_u32_e32 v20, 0x800, v6
	;; [unrolled: 1-line block ×3, first 2 shown]
	v_mov_b32_e32 v23, v11
	v_mov_b32_e32 v21, v11
	v_add_u32_e32 v15, -4, v15
	v_lshl_add_u64 v[2:3], v[2:3], 1, v[8:9]
	s_waitcnt lgkmcnt(14)
	global_store_short v[36:37], v1, off
	global_store_short v[38:39], v44, off
	s_waitcnt lgkmcnt(13)
	global_store_short v[40:41], v45, off
	s_waitcnt lgkmcnt(12)
	global_store_short v[42:43], v46, off
	v_lshl_add_u64 v[36:37], v[10:11], 1, v[8:9]
	v_add_u32_e32 v10, 0x1000, v4
	v_add_u32_e32 v24, 0x1000, v7
	;; [unrolled: 1-line block ×4, first 2 shown]
	v_mov_b32_e32 v29, v11
	v_mov_b32_e32 v27, v11
	v_mov_b32_e32 v25, v11
	s_add_i32 s8, s8, 16
	v_lshl_add_u64 v[22:23], v[22:23], 1, v[8:9]
	v_lshl_add_u64 v[20:21], v[20:21], 1, v[8:9]
	v_cmp_eq_u32_e32 vcc, 0, v15
	s_waitcnt lgkmcnt(11)
	global_store_short v[36:37], v47, off
	s_waitcnt lgkmcnt(10)
	global_store_short v[22:23], v48, off
	;; [unrolled: 2-line block ×4, first 2 shown]
	v_lshl_add_u64 v[2:3], v[10:11], 1, v[8:9]
	v_add_u32_e32 v10, 0x1800, v4
	v_add_u32_e32 v30, 0x1800, v7
	;; [unrolled: 1-line block ×4, first 2 shown]
	v_mov_b32_e32 v35, v11
	v_mov_b32_e32 v33, v11
	;; [unrolled: 1-line block ×3, first 2 shown]
	v_add_u32_e32 v17, 0x4000, v17
	v_lshl_add_u64 v[28:29], v[28:29], 1, v[8:9]
	v_lshl_add_u64 v[26:27], v[26:27], 1, v[8:9]
	;; [unrolled: 1-line block ×3, first 2 shown]
	v_add_u32_e32 v5, 0x2000, v5
	v_mov_b32_e32 v19, s8
	v_add_u32_e32 v6, 0x2000, v6
	s_or_b64 s[6:7], vcc, s[6:7]
	v_add_u32_e32 v7, 0x2000, v7
	v_add_u32_e32 v4, 0x2000, v4
	s_waitcnt lgkmcnt(7)
	global_store_short v[2:3], v51, off
	s_waitcnt lgkmcnt(6)
	global_store_short v[28:29], v52, off
	;; [unrolled: 2-line block ×4, first 2 shown]
	v_lshl_add_u64 v[2:3], v[10:11], 1, v[8:9]
	v_lshl_add_u64 v[34:35], v[34:35], 1, v[8:9]
	;; [unrolled: 1-line block ×4, first 2 shown]
	s_waitcnt lgkmcnt(3)
	global_store_short v[2:3], v55, off
	s_waitcnt lgkmcnt(2)
	global_store_short v[34:35], v56, off
	;; [unrolled: 2-line block ×4, first 2 shown]
	s_andn2_b64 exec, exec, s[6:7]
	s_cbranch_execnz .LBB841_288
; %bb.289:
	s_or_b64 exec, exec, s[6:7]
.LBB841_290:
	s_or_b64 exec, exec, s[4:5]
	v_and_b32_e32 v1, 3, v14
	v_cmp_ne_u32_e32 vcc, 0, v1
	s_and_saveexec_b64 s[4:5], vcc
	s_cbranch_execz .LBB841_293
; %bb.291:
	v_lshl_or_b32 v10, v19, 10, v13
	s_mov_b64 s[6:7], 0
	v_mov_b32_e32 v3, 0
.LBB841_292:                            ; =>This Inner Loop Header: Depth=1
	ds_read_u16 v11, v10
	ds_read_u16 v13, v10 offset:1024
	ds_read_u16 v17, v10 offset:2048
	;; [unrolled: 1-line block ×3, first 2 shown]
	v_mov_b32_e32 v2, v4
	v_add_u32_e32 v1, -1, v1
	v_lshl_add_u64 v[14:15], v[2:3], 1, v[8:9]
	v_mov_b32_e32 v2, v5
	v_cmp_eq_u32_e32 vcc, 0, v1
	v_lshl_add_u64 v[20:21], v[2:3], 1, v[8:9]
	v_mov_b32_e32 v2, v6
	v_add_u32_e32 v4, 0x800, v4
	v_add_u32_e32 v10, 0x1000, v10
	;; [unrolled: 1-line block ×4, first 2 shown]
	s_or_b64 s[6:7], vcc, s[6:7]
	v_lshl_add_u64 v[22:23], v[2:3], 1, v[8:9]
	v_mov_b32_e32 v2, v7
	v_add_u32_e32 v7, 0x800, v7
	v_lshl_add_u64 v[24:25], v[2:3], 1, v[8:9]
	s_waitcnt lgkmcnt(3)
	global_store_short v[14:15], v11, off
	s_waitcnt lgkmcnt(2)
	global_store_short v[20:21], v13, off
	s_waitcnt lgkmcnt(1)
	global_store_short v[22:23], v17, off
	s_waitcnt lgkmcnt(0)
	global_store_short v[24:25], v19, off
	s_andn2_b64 exec, exec, s[6:7]
	s_cbranch_execnz .LBB841_292
.LBB841_293:
	s_or_b64 exec, exec, s[4:5]
	v_add_u32_e32 v1, 1, v12
	v_and_b32_e32 v3, 0xfffffc, v1
	v_cmp_ne_u32_e32 vcc, v1, v3
	v_lshl_or_b32 v2, v3, 9, v0
	s_orn2_b64 s[4:5], vcc, exec
.LBB841_294:
	s_or_b64 exec, exec, s[2:3]
	s_and_b64 exec, exec, s[4:5]
	s_cbranch_execz .LBB841_297
; %bb.295:
	v_lshlrev_b32_e32 v1, 1, v2
	s_mov_b64 s[2:3], 0
	v_mov_b32_e32 v3, 0
.LBB841_296:                            ; =>This Inner Loop Header: Depth=1
	ds_read_u16 v6, v1
	v_lshl_add_u64 v[4:5], v[2:3], 1, v[8:9]
	v_add_u32_e32 v2, 0x200, v2
	v_cmp_ge_u32_e32 vcc, v2, v16
	v_add_u32_e32 v1, 0x400, v1
	s_or_b64 s[2:3], vcc, s[2:3]
	s_waitcnt lgkmcnt(0)
	global_store_short v[4:5], v6, off
	s_andn2_b64 exec, exec, s[2:3]
	s_cbranch_execnz .LBB841_296
.LBB841_297:
	s_or_b64 exec, exec, s[0:1]
	v_cmp_eq_u32_e32 vcc, 0, v0
	s_and_b64 s[0:1], vcc, s[24:25]
	s_and_saveexec_b64 s[2:3], s[0:1]
	s_cbranch_execz .LBB841_132
.LBB841_298:
	v_mov_b32_e32 v17, 0
	v_lshl_add_u64 v[0:1], s[22:23], 0, v[16:17]
	v_mov_b32_e32 v19, v17
	v_lshl_add_u64 v[0:1], v[0:1], 0, v[18:19]
	global_store_dwordx2 v17, v[0:1], s[20:21]
	s_endpgm
	.section	.rodata,"a",@progbits
	.p2align	6, 0x0
	.amdhsa_kernel _ZN7rocprim17ROCPRIM_400000_NS6detail17trampoline_kernelINS0_14default_configENS1_25partition_config_selectorILNS1_17partition_subalgoE8EN3c108BFloat16ENS0_10empty_typeEbEEZZNS1_14partition_implILS5_8ELb0ES3_jPKS7_PS8_PKS8_NS0_5tupleIJPS7_S8_EEENSG_IJSD_SD_EEENS0_18inequality_wrapperIN6hipcub16HIPCUB_304000_NS8EqualityEEEPlJS8_EEE10hipError_tPvRmT3_T4_T5_T6_T7_T9_mT8_P12ihipStream_tbDpT10_ENKUlT_T0_E_clISt17integral_constantIbLb1EES18_IbLb0EEEEDaS14_S15_EUlS14_E_NS1_11comp_targetILNS1_3genE5ELNS1_11target_archE942ELNS1_3gpuE9ELNS1_3repE0EEENS1_30default_config_static_selectorELNS0_4arch9wavefront6targetE1EEEvT1_
		.amdhsa_group_segment_fixed_size 30728
		.amdhsa_private_segment_fixed_size 0
		.amdhsa_kernarg_size 112
		.amdhsa_user_sgpr_count 2
		.amdhsa_user_sgpr_dispatch_ptr 0
		.amdhsa_user_sgpr_queue_ptr 0
		.amdhsa_user_sgpr_kernarg_segment_ptr 1
		.amdhsa_user_sgpr_dispatch_id 0
		.amdhsa_user_sgpr_kernarg_preload_length 0
		.amdhsa_user_sgpr_kernarg_preload_offset 0
		.amdhsa_user_sgpr_private_segment_size 0
		.amdhsa_uses_dynamic_stack 0
		.amdhsa_enable_private_segment 0
		.amdhsa_system_sgpr_workgroup_id_x 1
		.amdhsa_system_sgpr_workgroup_id_y 0
		.amdhsa_system_sgpr_workgroup_id_z 0
		.amdhsa_system_sgpr_workgroup_info 0
		.amdhsa_system_vgpr_workitem_id 0
		.amdhsa_next_free_vgpr 112
		.amdhsa_next_free_sgpr 40
		.amdhsa_accum_offset 112
		.amdhsa_reserve_vcc 1
		.amdhsa_float_round_mode_32 0
		.amdhsa_float_round_mode_16_64 0
		.amdhsa_float_denorm_mode_32 3
		.amdhsa_float_denorm_mode_16_64 3
		.amdhsa_dx10_clamp 1
		.amdhsa_ieee_mode 1
		.amdhsa_fp16_overflow 0
		.amdhsa_tg_split 0
		.amdhsa_exception_fp_ieee_invalid_op 0
		.amdhsa_exception_fp_denorm_src 0
		.amdhsa_exception_fp_ieee_div_zero 0
		.amdhsa_exception_fp_ieee_overflow 0
		.amdhsa_exception_fp_ieee_underflow 0
		.amdhsa_exception_fp_ieee_inexact 0
		.amdhsa_exception_int_div_zero 0
	.end_amdhsa_kernel
	.section	.text._ZN7rocprim17ROCPRIM_400000_NS6detail17trampoline_kernelINS0_14default_configENS1_25partition_config_selectorILNS1_17partition_subalgoE8EN3c108BFloat16ENS0_10empty_typeEbEEZZNS1_14partition_implILS5_8ELb0ES3_jPKS7_PS8_PKS8_NS0_5tupleIJPS7_S8_EEENSG_IJSD_SD_EEENS0_18inequality_wrapperIN6hipcub16HIPCUB_304000_NS8EqualityEEEPlJS8_EEE10hipError_tPvRmT3_T4_T5_T6_T7_T9_mT8_P12ihipStream_tbDpT10_ENKUlT_T0_E_clISt17integral_constantIbLb1EES18_IbLb0EEEEDaS14_S15_EUlS14_E_NS1_11comp_targetILNS1_3genE5ELNS1_11target_archE942ELNS1_3gpuE9ELNS1_3repE0EEENS1_30default_config_static_selectorELNS0_4arch9wavefront6targetE1EEEvT1_,"axG",@progbits,_ZN7rocprim17ROCPRIM_400000_NS6detail17trampoline_kernelINS0_14default_configENS1_25partition_config_selectorILNS1_17partition_subalgoE8EN3c108BFloat16ENS0_10empty_typeEbEEZZNS1_14partition_implILS5_8ELb0ES3_jPKS7_PS8_PKS8_NS0_5tupleIJPS7_S8_EEENSG_IJSD_SD_EEENS0_18inequality_wrapperIN6hipcub16HIPCUB_304000_NS8EqualityEEEPlJS8_EEE10hipError_tPvRmT3_T4_T5_T6_T7_T9_mT8_P12ihipStream_tbDpT10_ENKUlT_T0_E_clISt17integral_constantIbLb1EES18_IbLb0EEEEDaS14_S15_EUlS14_E_NS1_11comp_targetILNS1_3genE5ELNS1_11target_archE942ELNS1_3gpuE9ELNS1_3repE0EEENS1_30default_config_static_selectorELNS0_4arch9wavefront6targetE1EEEvT1_,comdat
.Lfunc_end841:
	.size	_ZN7rocprim17ROCPRIM_400000_NS6detail17trampoline_kernelINS0_14default_configENS1_25partition_config_selectorILNS1_17partition_subalgoE8EN3c108BFloat16ENS0_10empty_typeEbEEZZNS1_14partition_implILS5_8ELb0ES3_jPKS7_PS8_PKS8_NS0_5tupleIJPS7_S8_EEENSG_IJSD_SD_EEENS0_18inequality_wrapperIN6hipcub16HIPCUB_304000_NS8EqualityEEEPlJS8_EEE10hipError_tPvRmT3_T4_T5_T6_T7_T9_mT8_P12ihipStream_tbDpT10_ENKUlT_T0_E_clISt17integral_constantIbLb1EES18_IbLb0EEEEDaS14_S15_EUlS14_E_NS1_11comp_targetILNS1_3genE5ELNS1_11target_archE942ELNS1_3gpuE9ELNS1_3repE0EEENS1_30default_config_static_selectorELNS0_4arch9wavefront6targetE1EEEvT1_, .Lfunc_end841-_ZN7rocprim17ROCPRIM_400000_NS6detail17trampoline_kernelINS0_14default_configENS1_25partition_config_selectorILNS1_17partition_subalgoE8EN3c108BFloat16ENS0_10empty_typeEbEEZZNS1_14partition_implILS5_8ELb0ES3_jPKS7_PS8_PKS8_NS0_5tupleIJPS7_S8_EEENSG_IJSD_SD_EEENS0_18inequality_wrapperIN6hipcub16HIPCUB_304000_NS8EqualityEEEPlJS8_EEE10hipError_tPvRmT3_T4_T5_T6_T7_T9_mT8_P12ihipStream_tbDpT10_ENKUlT_T0_E_clISt17integral_constantIbLb1EES18_IbLb0EEEEDaS14_S15_EUlS14_E_NS1_11comp_targetILNS1_3genE5ELNS1_11target_archE942ELNS1_3gpuE9ELNS1_3repE0EEENS1_30default_config_static_selectorELNS0_4arch9wavefront6targetE1EEEvT1_
                                        ; -- End function
	.section	.AMDGPU.csdata,"",@progbits
; Kernel info:
; codeLenInByte = 12928
; NumSgprs: 46
; NumVgprs: 112
; NumAgprs: 0
; TotalNumVgprs: 112
; ScratchSize: 0
; MemoryBound: 0
; FloatMode: 240
; IeeeMode: 1
; LDSByteSize: 30728 bytes/workgroup (compile time only)
; SGPRBlocks: 5
; VGPRBlocks: 13
; NumSGPRsForWavesPerEU: 46
; NumVGPRsForWavesPerEU: 112
; AccumOffset: 112
; Occupancy: 4
; WaveLimiterHint : 1
; COMPUTE_PGM_RSRC2:SCRATCH_EN: 0
; COMPUTE_PGM_RSRC2:USER_SGPR: 2
; COMPUTE_PGM_RSRC2:TRAP_HANDLER: 0
; COMPUTE_PGM_RSRC2:TGID_X_EN: 1
; COMPUTE_PGM_RSRC2:TGID_Y_EN: 0
; COMPUTE_PGM_RSRC2:TGID_Z_EN: 0
; COMPUTE_PGM_RSRC2:TIDIG_COMP_CNT: 0
; COMPUTE_PGM_RSRC3_GFX90A:ACCUM_OFFSET: 27
; COMPUTE_PGM_RSRC3_GFX90A:TG_SPLIT: 0
	.section	.text._ZN7rocprim17ROCPRIM_400000_NS6detail17trampoline_kernelINS0_14default_configENS1_25partition_config_selectorILNS1_17partition_subalgoE8EN3c108BFloat16ENS0_10empty_typeEbEEZZNS1_14partition_implILS5_8ELb0ES3_jPKS7_PS8_PKS8_NS0_5tupleIJPS7_S8_EEENSG_IJSD_SD_EEENS0_18inequality_wrapperIN6hipcub16HIPCUB_304000_NS8EqualityEEEPlJS8_EEE10hipError_tPvRmT3_T4_T5_T6_T7_T9_mT8_P12ihipStream_tbDpT10_ENKUlT_T0_E_clISt17integral_constantIbLb1EES18_IbLb0EEEEDaS14_S15_EUlS14_E_NS1_11comp_targetILNS1_3genE4ELNS1_11target_archE910ELNS1_3gpuE8ELNS1_3repE0EEENS1_30default_config_static_selectorELNS0_4arch9wavefront6targetE1EEEvT1_,"axG",@progbits,_ZN7rocprim17ROCPRIM_400000_NS6detail17trampoline_kernelINS0_14default_configENS1_25partition_config_selectorILNS1_17partition_subalgoE8EN3c108BFloat16ENS0_10empty_typeEbEEZZNS1_14partition_implILS5_8ELb0ES3_jPKS7_PS8_PKS8_NS0_5tupleIJPS7_S8_EEENSG_IJSD_SD_EEENS0_18inequality_wrapperIN6hipcub16HIPCUB_304000_NS8EqualityEEEPlJS8_EEE10hipError_tPvRmT3_T4_T5_T6_T7_T9_mT8_P12ihipStream_tbDpT10_ENKUlT_T0_E_clISt17integral_constantIbLb1EES18_IbLb0EEEEDaS14_S15_EUlS14_E_NS1_11comp_targetILNS1_3genE4ELNS1_11target_archE910ELNS1_3gpuE8ELNS1_3repE0EEENS1_30default_config_static_selectorELNS0_4arch9wavefront6targetE1EEEvT1_,comdat
	.protected	_ZN7rocprim17ROCPRIM_400000_NS6detail17trampoline_kernelINS0_14default_configENS1_25partition_config_selectorILNS1_17partition_subalgoE8EN3c108BFloat16ENS0_10empty_typeEbEEZZNS1_14partition_implILS5_8ELb0ES3_jPKS7_PS8_PKS8_NS0_5tupleIJPS7_S8_EEENSG_IJSD_SD_EEENS0_18inequality_wrapperIN6hipcub16HIPCUB_304000_NS8EqualityEEEPlJS8_EEE10hipError_tPvRmT3_T4_T5_T6_T7_T9_mT8_P12ihipStream_tbDpT10_ENKUlT_T0_E_clISt17integral_constantIbLb1EES18_IbLb0EEEEDaS14_S15_EUlS14_E_NS1_11comp_targetILNS1_3genE4ELNS1_11target_archE910ELNS1_3gpuE8ELNS1_3repE0EEENS1_30default_config_static_selectorELNS0_4arch9wavefront6targetE1EEEvT1_ ; -- Begin function _ZN7rocprim17ROCPRIM_400000_NS6detail17trampoline_kernelINS0_14default_configENS1_25partition_config_selectorILNS1_17partition_subalgoE8EN3c108BFloat16ENS0_10empty_typeEbEEZZNS1_14partition_implILS5_8ELb0ES3_jPKS7_PS8_PKS8_NS0_5tupleIJPS7_S8_EEENSG_IJSD_SD_EEENS0_18inequality_wrapperIN6hipcub16HIPCUB_304000_NS8EqualityEEEPlJS8_EEE10hipError_tPvRmT3_T4_T5_T6_T7_T9_mT8_P12ihipStream_tbDpT10_ENKUlT_T0_E_clISt17integral_constantIbLb1EES18_IbLb0EEEEDaS14_S15_EUlS14_E_NS1_11comp_targetILNS1_3genE4ELNS1_11target_archE910ELNS1_3gpuE8ELNS1_3repE0EEENS1_30default_config_static_selectorELNS0_4arch9wavefront6targetE1EEEvT1_
	.globl	_ZN7rocprim17ROCPRIM_400000_NS6detail17trampoline_kernelINS0_14default_configENS1_25partition_config_selectorILNS1_17partition_subalgoE8EN3c108BFloat16ENS0_10empty_typeEbEEZZNS1_14partition_implILS5_8ELb0ES3_jPKS7_PS8_PKS8_NS0_5tupleIJPS7_S8_EEENSG_IJSD_SD_EEENS0_18inequality_wrapperIN6hipcub16HIPCUB_304000_NS8EqualityEEEPlJS8_EEE10hipError_tPvRmT3_T4_T5_T6_T7_T9_mT8_P12ihipStream_tbDpT10_ENKUlT_T0_E_clISt17integral_constantIbLb1EES18_IbLb0EEEEDaS14_S15_EUlS14_E_NS1_11comp_targetILNS1_3genE4ELNS1_11target_archE910ELNS1_3gpuE8ELNS1_3repE0EEENS1_30default_config_static_selectorELNS0_4arch9wavefront6targetE1EEEvT1_
	.p2align	8
	.type	_ZN7rocprim17ROCPRIM_400000_NS6detail17trampoline_kernelINS0_14default_configENS1_25partition_config_selectorILNS1_17partition_subalgoE8EN3c108BFloat16ENS0_10empty_typeEbEEZZNS1_14partition_implILS5_8ELb0ES3_jPKS7_PS8_PKS8_NS0_5tupleIJPS7_S8_EEENSG_IJSD_SD_EEENS0_18inequality_wrapperIN6hipcub16HIPCUB_304000_NS8EqualityEEEPlJS8_EEE10hipError_tPvRmT3_T4_T5_T6_T7_T9_mT8_P12ihipStream_tbDpT10_ENKUlT_T0_E_clISt17integral_constantIbLb1EES18_IbLb0EEEEDaS14_S15_EUlS14_E_NS1_11comp_targetILNS1_3genE4ELNS1_11target_archE910ELNS1_3gpuE8ELNS1_3repE0EEENS1_30default_config_static_selectorELNS0_4arch9wavefront6targetE1EEEvT1_,@function
_ZN7rocprim17ROCPRIM_400000_NS6detail17trampoline_kernelINS0_14default_configENS1_25partition_config_selectorILNS1_17partition_subalgoE8EN3c108BFloat16ENS0_10empty_typeEbEEZZNS1_14partition_implILS5_8ELb0ES3_jPKS7_PS8_PKS8_NS0_5tupleIJPS7_S8_EEENSG_IJSD_SD_EEENS0_18inequality_wrapperIN6hipcub16HIPCUB_304000_NS8EqualityEEEPlJS8_EEE10hipError_tPvRmT3_T4_T5_T6_T7_T9_mT8_P12ihipStream_tbDpT10_ENKUlT_T0_E_clISt17integral_constantIbLb1EES18_IbLb0EEEEDaS14_S15_EUlS14_E_NS1_11comp_targetILNS1_3genE4ELNS1_11target_archE910ELNS1_3gpuE8ELNS1_3repE0EEENS1_30default_config_static_selectorELNS0_4arch9wavefront6targetE1EEEvT1_: ; @_ZN7rocprim17ROCPRIM_400000_NS6detail17trampoline_kernelINS0_14default_configENS1_25partition_config_selectorILNS1_17partition_subalgoE8EN3c108BFloat16ENS0_10empty_typeEbEEZZNS1_14partition_implILS5_8ELb0ES3_jPKS7_PS8_PKS8_NS0_5tupleIJPS7_S8_EEENSG_IJSD_SD_EEENS0_18inequality_wrapperIN6hipcub16HIPCUB_304000_NS8EqualityEEEPlJS8_EEE10hipError_tPvRmT3_T4_T5_T6_T7_T9_mT8_P12ihipStream_tbDpT10_ENKUlT_T0_E_clISt17integral_constantIbLb1EES18_IbLb0EEEEDaS14_S15_EUlS14_E_NS1_11comp_targetILNS1_3genE4ELNS1_11target_archE910ELNS1_3gpuE8ELNS1_3repE0EEENS1_30default_config_static_selectorELNS0_4arch9wavefront6targetE1EEEvT1_
; %bb.0:
	.section	.rodata,"a",@progbits
	.p2align	6, 0x0
	.amdhsa_kernel _ZN7rocprim17ROCPRIM_400000_NS6detail17trampoline_kernelINS0_14default_configENS1_25partition_config_selectorILNS1_17partition_subalgoE8EN3c108BFloat16ENS0_10empty_typeEbEEZZNS1_14partition_implILS5_8ELb0ES3_jPKS7_PS8_PKS8_NS0_5tupleIJPS7_S8_EEENSG_IJSD_SD_EEENS0_18inequality_wrapperIN6hipcub16HIPCUB_304000_NS8EqualityEEEPlJS8_EEE10hipError_tPvRmT3_T4_T5_T6_T7_T9_mT8_P12ihipStream_tbDpT10_ENKUlT_T0_E_clISt17integral_constantIbLb1EES18_IbLb0EEEEDaS14_S15_EUlS14_E_NS1_11comp_targetILNS1_3genE4ELNS1_11target_archE910ELNS1_3gpuE8ELNS1_3repE0EEENS1_30default_config_static_selectorELNS0_4arch9wavefront6targetE1EEEvT1_
		.amdhsa_group_segment_fixed_size 0
		.amdhsa_private_segment_fixed_size 0
		.amdhsa_kernarg_size 112
		.amdhsa_user_sgpr_count 2
		.amdhsa_user_sgpr_dispatch_ptr 0
		.amdhsa_user_sgpr_queue_ptr 0
		.amdhsa_user_sgpr_kernarg_segment_ptr 1
		.amdhsa_user_sgpr_dispatch_id 0
		.amdhsa_user_sgpr_kernarg_preload_length 0
		.amdhsa_user_sgpr_kernarg_preload_offset 0
		.amdhsa_user_sgpr_private_segment_size 0
		.amdhsa_uses_dynamic_stack 0
		.amdhsa_enable_private_segment 0
		.amdhsa_system_sgpr_workgroup_id_x 1
		.amdhsa_system_sgpr_workgroup_id_y 0
		.amdhsa_system_sgpr_workgroup_id_z 0
		.amdhsa_system_sgpr_workgroup_info 0
		.amdhsa_system_vgpr_workitem_id 0
		.amdhsa_next_free_vgpr 1
		.amdhsa_next_free_sgpr 0
		.amdhsa_accum_offset 4
		.amdhsa_reserve_vcc 0
		.amdhsa_float_round_mode_32 0
		.amdhsa_float_round_mode_16_64 0
		.amdhsa_float_denorm_mode_32 3
		.amdhsa_float_denorm_mode_16_64 3
		.amdhsa_dx10_clamp 1
		.amdhsa_ieee_mode 1
		.amdhsa_fp16_overflow 0
		.amdhsa_tg_split 0
		.amdhsa_exception_fp_ieee_invalid_op 0
		.amdhsa_exception_fp_denorm_src 0
		.amdhsa_exception_fp_ieee_div_zero 0
		.amdhsa_exception_fp_ieee_overflow 0
		.amdhsa_exception_fp_ieee_underflow 0
		.amdhsa_exception_fp_ieee_inexact 0
		.amdhsa_exception_int_div_zero 0
	.end_amdhsa_kernel
	.section	.text._ZN7rocprim17ROCPRIM_400000_NS6detail17trampoline_kernelINS0_14default_configENS1_25partition_config_selectorILNS1_17partition_subalgoE8EN3c108BFloat16ENS0_10empty_typeEbEEZZNS1_14partition_implILS5_8ELb0ES3_jPKS7_PS8_PKS8_NS0_5tupleIJPS7_S8_EEENSG_IJSD_SD_EEENS0_18inequality_wrapperIN6hipcub16HIPCUB_304000_NS8EqualityEEEPlJS8_EEE10hipError_tPvRmT3_T4_T5_T6_T7_T9_mT8_P12ihipStream_tbDpT10_ENKUlT_T0_E_clISt17integral_constantIbLb1EES18_IbLb0EEEEDaS14_S15_EUlS14_E_NS1_11comp_targetILNS1_3genE4ELNS1_11target_archE910ELNS1_3gpuE8ELNS1_3repE0EEENS1_30default_config_static_selectorELNS0_4arch9wavefront6targetE1EEEvT1_,"axG",@progbits,_ZN7rocprim17ROCPRIM_400000_NS6detail17trampoline_kernelINS0_14default_configENS1_25partition_config_selectorILNS1_17partition_subalgoE8EN3c108BFloat16ENS0_10empty_typeEbEEZZNS1_14partition_implILS5_8ELb0ES3_jPKS7_PS8_PKS8_NS0_5tupleIJPS7_S8_EEENSG_IJSD_SD_EEENS0_18inequality_wrapperIN6hipcub16HIPCUB_304000_NS8EqualityEEEPlJS8_EEE10hipError_tPvRmT3_T4_T5_T6_T7_T9_mT8_P12ihipStream_tbDpT10_ENKUlT_T0_E_clISt17integral_constantIbLb1EES18_IbLb0EEEEDaS14_S15_EUlS14_E_NS1_11comp_targetILNS1_3genE4ELNS1_11target_archE910ELNS1_3gpuE8ELNS1_3repE0EEENS1_30default_config_static_selectorELNS0_4arch9wavefront6targetE1EEEvT1_,comdat
.Lfunc_end842:
	.size	_ZN7rocprim17ROCPRIM_400000_NS6detail17trampoline_kernelINS0_14default_configENS1_25partition_config_selectorILNS1_17partition_subalgoE8EN3c108BFloat16ENS0_10empty_typeEbEEZZNS1_14partition_implILS5_8ELb0ES3_jPKS7_PS8_PKS8_NS0_5tupleIJPS7_S8_EEENSG_IJSD_SD_EEENS0_18inequality_wrapperIN6hipcub16HIPCUB_304000_NS8EqualityEEEPlJS8_EEE10hipError_tPvRmT3_T4_T5_T6_T7_T9_mT8_P12ihipStream_tbDpT10_ENKUlT_T0_E_clISt17integral_constantIbLb1EES18_IbLb0EEEEDaS14_S15_EUlS14_E_NS1_11comp_targetILNS1_3genE4ELNS1_11target_archE910ELNS1_3gpuE8ELNS1_3repE0EEENS1_30default_config_static_selectorELNS0_4arch9wavefront6targetE1EEEvT1_, .Lfunc_end842-_ZN7rocprim17ROCPRIM_400000_NS6detail17trampoline_kernelINS0_14default_configENS1_25partition_config_selectorILNS1_17partition_subalgoE8EN3c108BFloat16ENS0_10empty_typeEbEEZZNS1_14partition_implILS5_8ELb0ES3_jPKS7_PS8_PKS8_NS0_5tupleIJPS7_S8_EEENSG_IJSD_SD_EEENS0_18inequality_wrapperIN6hipcub16HIPCUB_304000_NS8EqualityEEEPlJS8_EEE10hipError_tPvRmT3_T4_T5_T6_T7_T9_mT8_P12ihipStream_tbDpT10_ENKUlT_T0_E_clISt17integral_constantIbLb1EES18_IbLb0EEEEDaS14_S15_EUlS14_E_NS1_11comp_targetILNS1_3genE4ELNS1_11target_archE910ELNS1_3gpuE8ELNS1_3repE0EEENS1_30default_config_static_selectorELNS0_4arch9wavefront6targetE1EEEvT1_
                                        ; -- End function
	.section	.AMDGPU.csdata,"",@progbits
; Kernel info:
; codeLenInByte = 0
; NumSgprs: 6
; NumVgprs: 0
; NumAgprs: 0
; TotalNumVgprs: 0
; ScratchSize: 0
; MemoryBound: 0
; FloatMode: 240
; IeeeMode: 1
; LDSByteSize: 0 bytes/workgroup (compile time only)
; SGPRBlocks: 0
; VGPRBlocks: 0
; NumSGPRsForWavesPerEU: 6
; NumVGPRsForWavesPerEU: 1
; AccumOffset: 4
; Occupancy: 8
; WaveLimiterHint : 0
; COMPUTE_PGM_RSRC2:SCRATCH_EN: 0
; COMPUTE_PGM_RSRC2:USER_SGPR: 2
; COMPUTE_PGM_RSRC2:TRAP_HANDLER: 0
; COMPUTE_PGM_RSRC2:TGID_X_EN: 1
; COMPUTE_PGM_RSRC2:TGID_Y_EN: 0
; COMPUTE_PGM_RSRC2:TGID_Z_EN: 0
; COMPUTE_PGM_RSRC2:TIDIG_COMP_CNT: 0
; COMPUTE_PGM_RSRC3_GFX90A:ACCUM_OFFSET: 0
; COMPUTE_PGM_RSRC3_GFX90A:TG_SPLIT: 0
	.section	.text._ZN7rocprim17ROCPRIM_400000_NS6detail17trampoline_kernelINS0_14default_configENS1_25partition_config_selectorILNS1_17partition_subalgoE8EN3c108BFloat16ENS0_10empty_typeEbEEZZNS1_14partition_implILS5_8ELb0ES3_jPKS7_PS8_PKS8_NS0_5tupleIJPS7_S8_EEENSG_IJSD_SD_EEENS0_18inequality_wrapperIN6hipcub16HIPCUB_304000_NS8EqualityEEEPlJS8_EEE10hipError_tPvRmT3_T4_T5_T6_T7_T9_mT8_P12ihipStream_tbDpT10_ENKUlT_T0_E_clISt17integral_constantIbLb1EES18_IbLb0EEEEDaS14_S15_EUlS14_E_NS1_11comp_targetILNS1_3genE3ELNS1_11target_archE908ELNS1_3gpuE7ELNS1_3repE0EEENS1_30default_config_static_selectorELNS0_4arch9wavefront6targetE1EEEvT1_,"axG",@progbits,_ZN7rocprim17ROCPRIM_400000_NS6detail17trampoline_kernelINS0_14default_configENS1_25partition_config_selectorILNS1_17partition_subalgoE8EN3c108BFloat16ENS0_10empty_typeEbEEZZNS1_14partition_implILS5_8ELb0ES3_jPKS7_PS8_PKS8_NS0_5tupleIJPS7_S8_EEENSG_IJSD_SD_EEENS0_18inequality_wrapperIN6hipcub16HIPCUB_304000_NS8EqualityEEEPlJS8_EEE10hipError_tPvRmT3_T4_T5_T6_T7_T9_mT8_P12ihipStream_tbDpT10_ENKUlT_T0_E_clISt17integral_constantIbLb1EES18_IbLb0EEEEDaS14_S15_EUlS14_E_NS1_11comp_targetILNS1_3genE3ELNS1_11target_archE908ELNS1_3gpuE7ELNS1_3repE0EEENS1_30default_config_static_selectorELNS0_4arch9wavefront6targetE1EEEvT1_,comdat
	.protected	_ZN7rocprim17ROCPRIM_400000_NS6detail17trampoline_kernelINS0_14default_configENS1_25partition_config_selectorILNS1_17partition_subalgoE8EN3c108BFloat16ENS0_10empty_typeEbEEZZNS1_14partition_implILS5_8ELb0ES3_jPKS7_PS8_PKS8_NS0_5tupleIJPS7_S8_EEENSG_IJSD_SD_EEENS0_18inequality_wrapperIN6hipcub16HIPCUB_304000_NS8EqualityEEEPlJS8_EEE10hipError_tPvRmT3_T4_T5_T6_T7_T9_mT8_P12ihipStream_tbDpT10_ENKUlT_T0_E_clISt17integral_constantIbLb1EES18_IbLb0EEEEDaS14_S15_EUlS14_E_NS1_11comp_targetILNS1_3genE3ELNS1_11target_archE908ELNS1_3gpuE7ELNS1_3repE0EEENS1_30default_config_static_selectorELNS0_4arch9wavefront6targetE1EEEvT1_ ; -- Begin function _ZN7rocprim17ROCPRIM_400000_NS6detail17trampoline_kernelINS0_14default_configENS1_25partition_config_selectorILNS1_17partition_subalgoE8EN3c108BFloat16ENS0_10empty_typeEbEEZZNS1_14partition_implILS5_8ELb0ES3_jPKS7_PS8_PKS8_NS0_5tupleIJPS7_S8_EEENSG_IJSD_SD_EEENS0_18inequality_wrapperIN6hipcub16HIPCUB_304000_NS8EqualityEEEPlJS8_EEE10hipError_tPvRmT3_T4_T5_T6_T7_T9_mT8_P12ihipStream_tbDpT10_ENKUlT_T0_E_clISt17integral_constantIbLb1EES18_IbLb0EEEEDaS14_S15_EUlS14_E_NS1_11comp_targetILNS1_3genE3ELNS1_11target_archE908ELNS1_3gpuE7ELNS1_3repE0EEENS1_30default_config_static_selectorELNS0_4arch9wavefront6targetE1EEEvT1_
	.globl	_ZN7rocprim17ROCPRIM_400000_NS6detail17trampoline_kernelINS0_14default_configENS1_25partition_config_selectorILNS1_17partition_subalgoE8EN3c108BFloat16ENS0_10empty_typeEbEEZZNS1_14partition_implILS5_8ELb0ES3_jPKS7_PS8_PKS8_NS0_5tupleIJPS7_S8_EEENSG_IJSD_SD_EEENS0_18inequality_wrapperIN6hipcub16HIPCUB_304000_NS8EqualityEEEPlJS8_EEE10hipError_tPvRmT3_T4_T5_T6_T7_T9_mT8_P12ihipStream_tbDpT10_ENKUlT_T0_E_clISt17integral_constantIbLb1EES18_IbLb0EEEEDaS14_S15_EUlS14_E_NS1_11comp_targetILNS1_3genE3ELNS1_11target_archE908ELNS1_3gpuE7ELNS1_3repE0EEENS1_30default_config_static_selectorELNS0_4arch9wavefront6targetE1EEEvT1_
	.p2align	8
	.type	_ZN7rocprim17ROCPRIM_400000_NS6detail17trampoline_kernelINS0_14default_configENS1_25partition_config_selectorILNS1_17partition_subalgoE8EN3c108BFloat16ENS0_10empty_typeEbEEZZNS1_14partition_implILS5_8ELb0ES3_jPKS7_PS8_PKS8_NS0_5tupleIJPS7_S8_EEENSG_IJSD_SD_EEENS0_18inequality_wrapperIN6hipcub16HIPCUB_304000_NS8EqualityEEEPlJS8_EEE10hipError_tPvRmT3_T4_T5_T6_T7_T9_mT8_P12ihipStream_tbDpT10_ENKUlT_T0_E_clISt17integral_constantIbLb1EES18_IbLb0EEEEDaS14_S15_EUlS14_E_NS1_11comp_targetILNS1_3genE3ELNS1_11target_archE908ELNS1_3gpuE7ELNS1_3repE0EEENS1_30default_config_static_selectorELNS0_4arch9wavefront6targetE1EEEvT1_,@function
_ZN7rocprim17ROCPRIM_400000_NS6detail17trampoline_kernelINS0_14default_configENS1_25partition_config_selectorILNS1_17partition_subalgoE8EN3c108BFloat16ENS0_10empty_typeEbEEZZNS1_14partition_implILS5_8ELb0ES3_jPKS7_PS8_PKS8_NS0_5tupleIJPS7_S8_EEENSG_IJSD_SD_EEENS0_18inequality_wrapperIN6hipcub16HIPCUB_304000_NS8EqualityEEEPlJS8_EEE10hipError_tPvRmT3_T4_T5_T6_T7_T9_mT8_P12ihipStream_tbDpT10_ENKUlT_T0_E_clISt17integral_constantIbLb1EES18_IbLb0EEEEDaS14_S15_EUlS14_E_NS1_11comp_targetILNS1_3genE3ELNS1_11target_archE908ELNS1_3gpuE7ELNS1_3repE0EEENS1_30default_config_static_selectorELNS0_4arch9wavefront6targetE1EEEvT1_: ; @_ZN7rocprim17ROCPRIM_400000_NS6detail17trampoline_kernelINS0_14default_configENS1_25partition_config_selectorILNS1_17partition_subalgoE8EN3c108BFloat16ENS0_10empty_typeEbEEZZNS1_14partition_implILS5_8ELb0ES3_jPKS7_PS8_PKS8_NS0_5tupleIJPS7_S8_EEENSG_IJSD_SD_EEENS0_18inequality_wrapperIN6hipcub16HIPCUB_304000_NS8EqualityEEEPlJS8_EEE10hipError_tPvRmT3_T4_T5_T6_T7_T9_mT8_P12ihipStream_tbDpT10_ENKUlT_T0_E_clISt17integral_constantIbLb1EES18_IbLb0EEEEDaS14_S15_EUlS14_E_NS1_11comp_targetILNS1_3genE3ELNS1_11target_archE908ELNS1_3gpuE7ELNS1_3repE0EEENS1_30default_config_static_selectorELNS0_4arch9wavefront6targetE1EEEvT1_
; %bb.0:
	.section	.rodata,"a",@progbits
	.p2align	6, 0x0
	.amdhsa_kernel _ZN7rocprim17ROCPRIM_400000_NS6detail17trampoline_kernelINS0_14default_configENS1_25partition_config_selectorILNS1_17partition_subalgoE8EN3c108BFloat16ENS0_10empty_typeEbEEZZNS1_14partition_implILS5_8ELb0ES3_jPKS7_PS8_PKS8_NS0_5tupleIJPS7_S8_EEENSG_IJSD_SD_EEENS0_18inequality_wrapperIN6hipcub16HIPCUB_304000_NS8EqualityEEEPlJS8_EEE10hipError_tPvRmT3_T4_T5_T6_T7_T9_mT8_P12ihipStream_tbDpT10_ENKUlT_T0_E_clISt17integral_constantIbLb1EES18_IbLb0EEEEDaS14_S15_EUlS14_E_NS1_11comp_targetILNS1_3genE3ELNS1_11target_archE908ELNS1_3gpuE7ELNS1_3repE0EEENS1_30default_config_static_selectorELNS0_4arch9wavefront6targetE1EEEvT1_
		.amdhsa_group_segment_fixed_size 0
		.amdhsa_private_segment_fixed_size 0
		.amdhsa_kernarg_size 112
		.amdhsa_user_sgpr_count 2
		.amdhsa_user_sgpr_dispatch_ptr 0
		.amdhsa_user_sgpr_queue_ptr 0
		.amdhsa_user_sgpr_kernarg_segment_ptr 1
		.amdhsa_user_sgpr_dispatch_id 0
		.amdhsa_user_sgpr_kernarg_preload_length 0
		.amdhsa_user_sgpr_kernarg_preload_offset 0
		.amdhsa_user_sgpr_private_segment_size 0
		.amdhsa_uses_dynamic_stack 0
		.amdhsa_enable_private_segment 0
		.amdhsa_system_sgpr_workgroup_id_x 1
		.amdhsa_system_sgpr_workgroup_id_y 0
		.amdhsa_system_sgpr_workgroup_id_z 0
		.amdhsa_system_sgpr_workgroup_info 0
		.amdhsa_system_vgpr_workitem_id 0
		.amdhsa_next_free_vgpr 1
		.amdhsa_next_free_sgpr 0
		.amdhsa_accum_offset 4
		.amdhsa_reserve_vcc 0
		.amdhsa_float_round_mode_32 0
		.amdhsa_float_round_mode_16_64 0
		.amdhsa_float_denorm_mode_32 3
		.amdhsa_float_denorm_mode_16_64 3
		.amdhsa_dx10_clamp 1
		.amdhsa_ieee_mode 1
		.amdhsa_fp16_overflow 0
		.amdhsa_tg_split 0
		.amdhsa_exception_fp_ieee_invalid_op 0
		.amdhsa_exception_fp_denorm_src 0
		.amdhsa_exception_fp_ieee_div_zero 0
		.amdhsa_exception_fp_ieee_overflow 0
		.amdhsa_exception_fp_ieee_underflow 0
		.amdhsa_exception_fp_ieee_inexact 0
		.amdhsa_exception_int_div_zero 0
	.end_amdhsa_kernel
	.section	.text._ZN7rocprim17ROCPRIM_400000_NS6detail17trampoline_kernelINS0_14default_configENS1_25partition_config_selectorILNS1_17partition_subalgoE8EN3c108BFloat16ENS0_10empty_typeEbEEZZNS1_14partition_implILS5_8ELb0ES3_jPKS7_PS8_PKS8_NS0_5tupleIJPS7_S8_EEENSG_IJSD_SD_EEENS0_18inequality_wrapperIN6hipcub16HIPCUB_304000_NS8EqualityEEEPlJS8_EEE10hipError_tPvRmT3_T4_T5_T6_T7_T9_mT8_P12ihipStream_tbDpT10_ENKUlT_T0_E_clISt17integral_constantIbLb1EES18_IbLb0EEEEDaS14_S15_EUlS14_E_NS1_11comp_targetILNS1_3genE3ELNS1_11target_archE908ELNS1_3gpuE7ELNS1_3repE0EEENS1_30default_config_static_selectorELNS0_4arch9wavefront6targetE1EEEvT1_,"axG",@progbits,_ZN7rocprim17ROCPRIM_400000_NS6detail17trampoline_kernelINS0_14default_configENS1_25partition_config_selectorILNS1_17partition_subalgoE8EN3c108BFloat16ENS0_10empty_typeEbEEZZNS1_14partition_implILS5_8ELb0ES3_jPKS7_PS8_PKS8_NS0_5tupleIJPS7_S8_EEENSG_IJSD_SD_EEENS0_18inequality_wrapperIN6hipcub16HIPCUB_304000_NS8EqualityEEEPlJS8_EEE10hipError_tPvRmT3_T4_T5_T6_T7_T9_mT8_P12ihipStream_tbDpT10_ENKUlT_T0_E_clISt17integral_constantIbLb1EES18_IbLb0EEEEDaS14_S15_EUlS14_E_NS1_11comp_targetILNS1_3genE3ELNS1_11target_archE908ELNS1_3gpuE7ELNS1_3repE0EEENS1_30default_config_static_selectorELNS0_4arch9wavefront6targetE1EEEvT1_,comdat
.Lfunc_end843:
	.size	_ZN7rocprim17ROCPRIM_400000_NS6detail17trampoline_kernelINS0_14default_configENS1_25partition_config_selectorILNS1_17partition_subalgoE8EN3c108BFloat16ENS0_10empty_typeEbEEZZNS1_14partition_implILS5_8ELb0ES3_jPKS7_PS8_PKS8_NS0_5tupleIJPS7_S8_EEENSG_IJSD_SD_EEENS0_18inequality_wrapperIN6hipcub16HIPCUB_304000_NS8EqualityEEEPlJS8_EEE10hipError_tPvRmT3_T4_T5_T6_T7_T9_mT8_P12ihipStream_tbDpT10_ENKUlT_T0_E_clISt17integral_constantIbLb1EES18_IbLb0EEEEDaS14_S15_EUlS14_E_NS1_11comp_targetILNS1_3genE3ELNS1_11target_archE908ELNS1_3gpuE7ELNS1_3repE0EEENS1_30default_config_static_selectorELNS0_4arch9wavefront6targetE1EEEvT1_, .Lfunc_end843-_ZN7rocprim17ROCPRIM_400000_NS6detail17trampoline_kernelINS0_14default_configENS1_25partition_config_selectorILNS1_17partition_subalgoE8EN3c108BFloat16ENS0_10empty_typeEbEEZZNS1_14partition_implILS5_8ELb0ES3_jPKS7_PS8_PKS8_NS0_5tupleIJPS7_S8_EEENSG_IJSD_SD_EEENS0_18inequality_wrapperIN6hipcub16HIPCUB_304000_NS8EqualityEEEPlJS8_EEE10hipError_tPvRmT3_T4_T5_T6_T7_T9_mT8_P12ihipStream_tbDpT10_ENKUlT_T0_E_clISt17integral_constantIbLb1EES18_IbLb0EEEEDaS14_S15_EUlS14_E_NS1_11comp_targetILNS1_3genE3ELNS1_11target_archE908ELNS1_3gpuE7ELNS1_3repE0EEENS1_30default_config_static_selectorELNS0_4arch9wavefront6targetE1EEEvT1_
                                        ; -- End function
	.section	.AMDGPU.csdata,"",@progbits
; Kernel info:
; codeLenInByte = 0
; NumSgprs: 6
; NumVgprs: 0
; NumAgprs: 0
; TotalNumVgprs: 0
; ScratchSize: 0
; MemoryBound: 0
; FloatMode: 240
; IeeeMode: 1
; LDSByteSize: 0 bytes/workgroup (compile time only)
; SGPRBlocks: 0
; VGPRBlocks: 0
; NumSGPRsForWavesPerEU: 6
; NumVGPRsForWavesPerEU: 1
; AccumOffset: 4
; Occupancy: 8
; WaveLimiterHint : 0
; COMPUTE_PGM_RSRC2:SCRATCH_EN: 0
; COMPUTE_PGM_RSRC2:USER_SGPR: 2
; COMPUTE_PGM_RSRC2:TRAP_HANDLER: 0
; COMPUTE_PGM_RSRC2:TGID_X_EN: 1
; COMPUTE_PGM_RSRC2:TGID_Y_EN: 0
; COMPUTE_PGM_RSRC2:TGID_Z_EN: 0
; COMPUTE_PGM_RSRC2:TIDIG_COMP_CNT: 0
; COMPUTE_PGM_RSRC3_GFX90A:ACCUM_OFFSET: 0
; COMPUTE_PGM_RSRC3_GFX90A:TG_SPLIT: 0
	.section	.text._ZN7rocprim17ROCPRIM_400000_NS6detail17trampoline_kernelINS0_14default_configENS1_25partition_config_selectorILNS1_17partition_subalgoE8EN3c108BFloat16ENS0_10empty_typeEbEEZZNS1_14partition_implILS5_8ELb0ES3_jPKS7_PS8_PKS8_NS0_5tupleIJPS7_S8_EEENSG_IJSD_SD_EEENS0_18inequality_wrapperIN6hipcub16HIPCUB_304000_NS8EqualityEEEPlJS8_EEE10hipError_tPvRmT3_T4_T5_T6_T7_T9_mT8_P12ihipStream_tbDpT10_ENKUlT_T0_E_clISt17integral_constantIbLb1EES18_IbLb0EEEEDaS14_S15_EUlS14_E_NS1_11comp_targetILNS1_3genE2ELNS1_11target_archE906ELNS1_3gpuE6ELNS1_3repE0EEENS1_30default_config_static_selectorELNS0_4arch9wavefront6targetE1EEEvT1_,"axG",@progbits,_ZN7rocprim17ROCPRIM_400000_NS6detail17trampoline_kernelINS0_14default_configENS1_25partition_config_selectorILNS1_17partition_subalgoE8EN3c108BFloat16ENS0_10empty_typeEbEEZZNS1_14partition_implILS5_8ELb0ES3_jPKS7_PS8_PKS8_NS0_5tupleIJPS7_S8_EEENSG_IJSD_SD_EEENS0_18inequality_wrapperIN6hipcub16HIPCUB_304000_NS8EqualityEEEPlJS8_EEE10hipError_tPvRmT3_T4_T5_T6_T7_T9_mT8_P12ihipStream_tbDpT10_ENKUlT_T0_E_clISt17integral_constantIbLb1EES18_IbLb0EEEEDaS14_S15_EUlS14_E_NS1_11comp_targetILNS1_3genE2ELNS1_11target_archE906ELNS1_3gpuE6ELNS1_3repE0EEENS1_30default_config_static_selectorELNS0_4arch9wavefront6targetE1EEEvT1_,comdat
	.protected	_ZN7rocprim17ROCPRIM_400000_NS6detail17trampoline_kernelINS0_14default_configENS1_25partition_config_selectorILNS1_17partition_subalgoE8EN3c108BFloat16ENS0_10empty_typeEbEEZZNS1_14partition_implILS5_8ELb0ES3_jPKS7_PS8_PKS8_NS0_5tupleIJPS7_S8_EEENSG_IJSD_SD_EEENS0_18inequality_wrapperIN6hipcub16HIPCUB_304000_NS8EqualityEEEPlJS8_EEE10hipError_tPvRmT3_T4_T5_T6_T7_T9_mT8_P12ihipStream_tbDpT10_ENKUlT_T0_E_clISt17integral_constantIbLb1EES18_IbLb0EEEEDaS14_S15_EUlS14_E_NS1_11comp_targetILNS1_3genE2ELNS1_11target_archE906ELNS1_3gpuE6ELNS1_3repE0EEENS1_30default_config_static_selectorELNS0_4arch9wavefront6targetE1EEEvT1_ ; -- Begin function _ZN7rocprim17ROCPRIM_400000_NS6detail17trampoline_kernelINS0_14default_configENS1_25partition_config_selectorILNS1_17partition_subalgoE8EN3c108BFloat16ENS0_10empty_typeEbEEZZNS1_14partition_implILS5_8ELb0ES3_jPKS7_PS8_PKS8_NS0_5tupleIJPS7_S8_EEENSG_IJSD_SD_EEENS0_18inequality_wrapperIN6hipcub16HIPCUB_304000_NS8EqualityEEEPlJS8_EEE10hipError_tPvRmT3_T4_T5_T6_T7_T9_mT8_P12ihipStream_tbDpT10_ENKUlT_T0_E_clISt17integral_constantIbLb1EES18_IbLb0EEEEDaS14_S15_EUlS14_E_NS1_11comp_targetILNS1_3genE2ELNS1_11target_archE906ELNS1_3gpuE6ELNS1_3repE0EEENS1_30default_config_static_selectorELNS0_4arch9wavefront6targetE1EEEvT1_
	.globl	_ZN7rocprim17ROCPRIM_400000_NS6detail17trampoline_kernelINS0_14default_configENS1_25partition_config_selectorILNS1_17partition_subalgoE8EN3c108BFloat16ENS0_10empty_typeEbEEZZNS1_14partition_implILS5_8ELb0ES3_jPKS7_PS8_PKS8_NS0_5tupleIJPS7_S8_EEENSG_IJSD_SD_EEENS0_18inequality_wrapperIN6hipcub16HIPCUB_304000_NS8EqualityEEEPlJS8_EEE10hipError_tPvRmT3_T4_T5_T6_T7_T9_mT8_P12ihipStream_tbDpT10_ENKUlT_T0_E_clISt17integral_constantIbLb1EES18_IbLb0EEEEDaS14_S15_EUlS14_E_NS1_11comp_targetILNS1_3genE2ELNS1_11target_archE906ELNS1_3gpuE6ELNS1_3repE0EEENS1_30default_config_static_selectorELNS0_4arch9wavefront6targetE1EEEvT1_
	.p2align	8
	.type	_ZN7rocprim17ROCPRIM_400000_NS6detail17trampoline_kernelINS0_14default_configENS1_25partition_config_selectorILNS1_17partition_subalgoE8EN3c108BFloat16ENS0_10empty_typeEbEEZZNS1_14partition_implILS5_8ELb0ES3_jPKS7_PS8_PKS8_NS0_5tupleIJPS7_S8_EEENSG_IJSD_SD_EEENS0_18inequality_wrapperIN6hipcub16HIPCUB_304000_NS8EqualityEEEPlJS8_EEE10hipError_tPvRmT3_T4_T5_T6_T7_T9_mT8_P12ihipStream_tbDpT10_ENKUlT_T0_E_clISt17integral_constantIbLb1EES18_IbLb0EEEEDaS14_S15_EUlS14_E_NS1_11comp_targetILNS1_3genE2ELNS1_11target_archE906ELNS1_3gpuE6ELNS1_3repE0EEENS1_30default_config_static_selectorELNS0_4arch9wavefront6targetE1EEEvT1_,@function
_ZN7rocprim17ROCPRIM_400000_NS6detail17trampoline_kernelINS0_14default_configENS1_25partition_config_selectorILNS1_17partition_subalgoE8EN3c108BFloat16ENS0_10empty_typeEbEEZZNS1_14partition_implILS5_8ELb0ES3_jPKS7_PS8_PKS8_NS0_5tupleIJPS7_S8_EEENSG_IJSD_SD_EEENS0_18inequality_wrapperIN6hipcub16HIPCUB_304000_NS8EqualityEEEPlJS8_EEE10hipError_tPvRmT3_T4_T5_T6_T7_T9_mT8_P12ihipStream_tbDpT10_ENKUlT_T0_E_clISt17integral_constantIbLb1EES18_IbLb0EEEEDaS14_S15_EUlS14_E_NS1_11comp_targetILNS1_3genE2ELNS1_11target_archE906ELNS1_3gpuE6ELNS1_3repE0EEENS1_30default_config_static_selectorELNS0_4arch9wavefront6targetE1EEEvT1_: ; @_ZN7rocprim17ROCPRIM_400000_NS6detail17trampoline_kernelINS0_14default_configENS1_25partition_config_selectorILNS1_17partition_subalgoE8EN3c108BFloat16ENS0_10empty_typeEbEEZZNS1_14partition_implILS5_8ELb0ES3_jPKS7_PS8_PKS8_NS0_5tupleIJPS7_S8_EEENSG_IJSD_SD_EEENS0_18inequality_wrapperIN6hipcub16HIPCUB_304000_NS8EqualityEEEPlJS8_EEE10hipError_tPvRmT3_T4_T5_T6_T7_T9_mT8_P12ihipStream_tbDpT10_ENKUlT_T0_E_clISt17integral_constantIbLb1EES18_IbLb0EEEEDaS14_S15_EUlS14_E_NS1_11comp_targetILNS1_3genE2ELNS1_11target_archE906ELNS1_3gpuE6ELNS1_3repE0EEENS1_30default_config_static_selectorELNS0_4arch9wavefront6targetE1EEEvT1_
; %bb.0:
	.section	.rodata,"a",@progbits
	.p2align	6, 0x0
	.amdhsa_kernel _ZN7rocprim17ROCPRIM_400000_NS6detail17trampoline_kernelINS0_14default_configENS1_25partition_config_selectorILNS1_17partition_subalgoE8EN3c108BFloat16ENS0_10empty_typeEbEEZZNS1_14partition_implILS5_8ELb0ES3_jPKS7_PS8_PKS8_NS0_5tupleIJPS7_S8_EEENSG_IJSD_SD_EEENS0_18inequality_wrapperIN6hipcub16HIPCUB_304000_NS8EqualityEEEPlJS8_EEE10hipError_tPvRmT3_T4_T5_T6_T7_T9_mT8_P12ihipStream_tbDpT10_ENKUlT_T0_E_clISt17integral_constantIbLb1EES18_IbLb0EEEEDaS14_S15_EUlS14_E_NS1_11comp_targetILNS1_3genE2ELNS1_11target_archE906ELNS1_3gpuE6ELNS1_3repE0EEENS1_30default_config_static_selectorELNS0_4arch9wavefront6targetE1EEEvT1_
		.amdhsa_group_segment_fixed_size 0
		.amdhsa_private_segment_fixed_size 0
		.amdhsa_kernarg_size 112
		.amdhsa_user_sgpr_count 2
		.amdhsa_user_sgpr_dispatch_ptr 0
		.amdhsa_user_sgpr_queue_ptr 0
		.amdhsa_user_sgpr_kernarg_segment_ptr 1
		.amdhsa_user_sgpr_dispatch_id 0
		.amdhsa_user_sgpr_kernarg_preload_length 0
		.amdhsa_user_sgpr_kernarg_preload_offset 0
		.amdhsa_user_sgpr_private_segment_size 0
		.amdhsa_uses_dynamic_stack 0
		.amdhsa_enable_private_segment 0
		.amdhsa_system_sgpr_workgroup_id_x 1
		.amdhsa_system_sgpr_workgroup_id_y 0
		.amdhsa_system_sgpr_workgroup_id_z 0
		.amdhsa_system_sgpr_workgroup_info 0
		.amdhsa_system_vgpr_workitem_id 0
		.amdhsa_next_free_vgpr 1
		.amdhsa_next_free_sgpr 0
		.amdhsa_accum_offset 4
		.amdhsa_reserve_vcc 0
		.amdhsa_float_round_mode_32 0
		.amdhsa_float_round_mode_16_64 0
		.amdhsa_float_denorm_mode_32 3
		.amdhsa_float_denorm_mode_16_64 3
		.amdhsa_dx10_clamp 1
		.amdhsa_ieee_mode 1
		.amdhsa_fp16_overflow 0
		.amdhsa_tg_split 0
		.amdhsa_exception_fp_ieee_invalid_op 0
		.amdhsa_exception_fp_denorm_src 0
		.amdhsa_exception_fp_ieee_div_zero 0
		.amdhsa_exception_fp_ieee_overflow 0
		.amdhsa_exception_fp_ieee_underflow 0
		.amdhsa_exception_fp_ieee_inexact 0
		.amdhsa_exception_int_div_zero 0
	.end_amdhsa_kernel
	.section	.text._ZN7rocprim17ROCPRIM_400000_NS6detail17trampoline_kernelINS0_14default_configENS1_25partition_config_selectorILNS1_17partition_subalgoE8EN3c108BFloat16ENS0_10empty_typeEbEEZZNS1_14partition_implILS5_8ELb0ES3_jPKS7_PS8_PKS8_NS0_5tupleIJPS7_S8_EEENSG_IJSD_SD_EEENS0_18inequality_wrapperIN6hipcub16HIPCUB_304000_NS8EqualityEEEPlJS8_EEE10hipError_tPvRmT3_T4_T5_T6_T7_T9_mT8_P12ihipStream_tbDpT10_ENKUlT_T0_E_clISt17integral_constantIbLb1EES18_IbLb0EEEEDaS14_S15_EUlS14_E_NS1_11comp_targetILNS1_3genE2ELNS1_11target_archE906ELNS1_3gpuE6ELNS1_3repE0EEENS1_30default_config_static_selectorELNS0_4arch9wavefront6targetE1EEEvT1_,"axG",@progbits,_ZN7rocprim17ROCPRIM_400000_NS6detail17trampoline_kernelINS0_14default_configENS1_25partition_config_selectorILNS1_17partition_subalgoE8EN3c108BFloat16ENS0_10empty_typeEbEEZZNS1_14partition_implILS5_8ELb0ES3_jPKS7_PS8_PKS8_NS0_5tupleIJPS7_S8_EEENSG_IJSD_SD_EEENS0_18inequality_wrapperIN6hipcub16HIPCUB_304000_NS8EqualityEEEPlJS8_EEE10hipError_tPvRmT3_T4_T5_T6_T7_T9_mT8_P12ihipStream_tbDpT10_ENKUlT_T0_E_clISt17integral_constantIbLb1EES18_IbLb0EEEEDaS14_S15_EUlS14_E_NS1_11comp_targetILNS1_3genE2ELNS1_11target_archE906ELNS1_3gpuE6ELNS1_3repE0EEENS1_30default_config_static_selectorELNS0_4arch9wavefront6targetE1EEEvT1_,comdat
.Lfunc_end844:
	.size	_ZN7rocprim17ROCPRIM_400000_NS6detail17trampoline_kernelINS0_14default_configENS1_25partition_config_selectorILNS1_17partition_subalgoE8EN3c108BFloat16ENS0_10empty_typeEbEEZZNS1_14partition_implILS5_8ELb0ES3_jPKS7_PS8_PKS8_NS0_5tupleIJPS7_S8_EEENSG_IJSD_SD_EEENS0_18inequality_wrapperIN6hipcub16HIPCUB_304000_NS8EqualityEEEPlJS8_EEE10hipError_tPvRmT3_T4_T5_T6_T7_T9_mT8_P12ihipStream_tbDpT10_ENKUlT_T0_E_clISt17integral_constantIbLb1EES18_IbLb0EEEEDaS14_S15_EUlS14_E_NS1_11comp_targetILNS1_3genE2ELNS1_11target_archE906ELNS1_3gpuE6ELNS1_3repE0EEENS1_30default_config_static_selectorELNS0_4arch9wavefront6targetE1EEEvT1_, .Lfunc_end844-_ZN7rocprim17ROCPRIM_400000_NS6detail17trampoline_kernelINS0_14default_configENS1_25partition_config_selectorILNS1_17partition_subalgoE8EN3c108BFloat16ENS0_10empty_typeEbEEZZNS1_14partition_implILS5_8ELb0ES3_jPKS7_PS8_PKS8_NS0_5tupleIJPS7_S8_EEENSG_IJSD_SD_EEENS0_18inequality_wrapperIN6hipcub16HIPCUB_304000_NS8EqualityEEEPlJS8_EEE10hipError_tPvRmT3_T4_T5_T6_T7_T9_mT8_P12ihipStream_tbDpT10_ENKUlT_T0_E_clISt17integral_constantIbLb1EES18_IbLb0EEEEDaS14_S15_EUlS14_E_NS1_11comp_targetILNS1_3genE2ELNS1_11target_archE906ELNS1_3gpuE6ELNS1_3repE0EEENS1_30default_config_static_selectorELNS0_4arch9wavefront6targetE1EEEvT1_
                                        ; -- End function
	.section	.AMDGPU.csdata,"",@progbits
; Kernel info:
; codeLenInByte = 0
; NumSgprs: 6
; NumVgprs: 0
; NumAgprs: 0
; TotalNumVgprs: 0
; ScratchSize: 0
; MemoryBound: 0
; FloatMode: 240
; IeeeMode: 1
; LDSByteSize: 0 bytes/workgroup (compile time only)
; SGPRBlocks: 0
; VGPRBlocks: 0
; NumSGPRsForWavesPerEU: 6
; NumVGPRsForWavesPerEU: 1
; AccumOffset: 4
; Occupancy: 8
; WaveLimiterHint : 0
; COMPUTE_PGM_RSRC2:SCRATCH_EN: 0
; COMPUTE_PGM_RSRC2:USER_SGPR: 2
; COMPUTE_PGM_RSRC2:TRAP_HANDLER: 0
; COMPUTE_PGM_RSRC2:TGID_X_EN: 1
; COMPUTE_PGM_RSRC2:TGID_Y_EN: 0
; COMPUTE_PGM_RSRC2:TGID_Z_EN: 0
; COMPUTE_PGM_RSRC2:TIDIG_COMP_CNT: 0
; COMPUTE_PGM_RSRC3_GFX90A:ACCUM_OFFSET: 0
; COMPUTE_PGM_RSRC3_GFX90A:TG_SPLIT: 0
	.section	.text._ZN7rocprim17ROCPRIM_400000_NS6detail17trampoline_kernelINS0_14default_configENS1_25partition_config_selectorILNS1_17partition_subalgoE8EN3c108BFloat16ENS0_10empty_typeEbEEZZNS1_14partition_implILS5_8ELb0ES3_jPKS7_PS8_PKS8_NS0_5tupleIJPS7_S8_EEENSG_IJSD_SD_EEENS0_18inequality_wrapperIN6hipcub16HIPCUB_304000_NS8EqualityEEEPlJS8_EEE10hipError_tPvRmT3_T4_T5_T6_T7_T9_mT8_P12ihipStream_tbDpT10_ENKUlT_T0_E_clISt17integral_constantIbLb1EES18_IbLb0EEEEDaS14_S15_EUlS14_E_NS1_11comp_targetILNS1_3genE10ELNS1_11target_archE1200ELNS1_3gpuE4ELNS1_3repE0EEENS1_30default_config_static_selectorELNS0_4arch9wavefront6targetE1EEEvT1_,"axG",@progbits,_ZN7rocprim17ROCPRIM_400000_NS6detail17trampoline_kernelINS0_14default_configENS1_25partition_config_selectorILNS1_17partition_subalgoE8EN3c108BFloat16ENS0_10empty_typeEbEEZZNS1_14partition_implILS5_8ELb0ES3_jPKS7_PS8_PKS8_NS0_5tupleIJPS7_S8_EEENSG_IJSD_SD_EEENS0_18inequality_wrapperIN6hipcub16HIPCUB_304000_NS8EqualityEEEPlJS8_EEE10hipError_tPvRmT3_T4_T5_T6_T7_T9_mT8_P12ihipStream_tbDpT10_ENKUlT_T0_E_clISt17integral_constantIbLb1EES18_IbLb0EEEEDaS14_S15_EUlS14_E_NS1_11comp_targetILNS1_3genE10ELNS1_11target_archE1200ELNS1_3gpuE4ELNS1_3repE0EEENS1_30default_config_static_selectorELNS0_4arch9wavefront6targetE1EEEvT1_,comdat
	.protected	_ZN7rocprim17ROCPRIM_400000_NS6detail17trampoline_kernelINS0_14default_configENS1_25partition_config_selectorILNS1_17partition_subalgoE8EN3c108BFloat16ENS0_10empty_typeEbEEZZNS1_14partition_implILS5_8ELb0ES3_jPKS7_PS8_PKS8_NS0_5tupleIJPS7_S8_EEENSG_IJSD_SD_EEENS0_18inequality_wrapperIN6hipcub16HIPCUB_304000_NS8EqualityEEEPlJS8_EEE10hipError_tPvRmT3_T4_T5_T6_T7_T9_mT8_P12ihipStream_tbDpT10_ENKUlT_T0_E_clISt17integral_constantIbLb1EES18_IbLb0EEEEDaS14_S15_EUlS14_E_NS1_11comp_targetILNS1_3genE10ELNS1_11target_archE1200ELNS1_3gpuE4ELNS1_3repE0EEENS1_30default_config_static_selectorELNS0_4arch9wavefront6targetE1EEEvT1_ ; -- Begin function _ZN7rocprim17ROCPRIM_400000_NS6detail17trampoline_kernelINS0_14default_configENS1_25partition_config_selectorILNS1_17partition_subalgoE8EN3c108BFloat16ENS0_10empty_typeEbEEZZNS1_14partition_implILS5_8ELb0ES3_jPKS7_PS8_PKS8_NS0_5tupleIJPS7_S8_EEENSG_IJSD_SD_EEENS0_18inequality_wrapperIN6hipcub16HIPCUB_304000_NS8EqualityEEEPlJS8_EEE10hipError_tPvRmT3_T4_T5_T6_T7_T9_mT8_P12ihipStream_tbDpT10_ENKUlT_T0_E_clISt17integral_constantIbLb1EES18_IbLb0EEEEDaS14_S15_EUlS14_E_NS1_11comp_targetILNS1_3genE10ELNS1_11target_archE1200ELNS1_3gpuE4ELNS1_3repE0EEENS1_30default_config_static_selectorELNS0_4arch9wavefront6targetE1EEEvT1_
	.globl	_ZN7rocprim17ROCPRIM_400000_NS6detail17trampoline_kernelINS0_14default_configENS1_25partition_config_selectorILNS1_17partition_subalgoE8EN3c108BFloat16ENS0_10empty_typeEbEEZZNS1_14partition_implILS5_8ELb0ES3_jPKS7_PS8_PKS8_NS0_5tupleIJPS7_S8_EEENSG_IJSD_SD_EEENS0_18inequality_wrapperIN6hipcub16HIPCUB_304000_NS8EqualityEEEPlJS8_EEE10hipError_tPvRmT3_T4_T5_T6_T7_T9_mT8_P12ihipStream_tbDpT10_ENKUlT_T0_E_clISt17integral_constantIbLb1EES18_IbLb0EEEEDaS14_S15_EUlS14_E_NS1_11comp_targetILNS1_3genE10ELNS1_11target_archE1200ELNS1_3gpuE4ELNS1_3repE0EEENS1_30default_config_static_selectorELNS0_4arch9wavefront6targetE1EEEvT1_
	.p2align	8
	.type	_ZN7rocprim17ROCPRIM_400000_NS6detail17trampoline_kernelINS0_14default_configENS1_25partition_config_selectorILNS1_17partition_subalgoE8EN3c108BFloat16ENS0_10empty_typeEbEEZZNS1_14partition_implILS5_8ELb0ES3_jPKS7_PS8_PKS8_NS0_5tupleIJPS7_S8_EEENSG_IJSD_SD_EEENS0_18inequality_wrapperIN6hipcub16HIPCUB_304000_NS8EqualityEEEPlJS8_EEE10hipError_tPvRmT3_T4_T5_T6_T7_T9_mT8_P12ihipStream_tbDpT10_ENKUlT_T0_E_clISt17integral_constantIbLb1EES18_IbLb0EEEEDaS14_S15_EUlS14_E_NS1_11comp_targetILNS1_3genE10ELNS1_11target_archE1200ELNS1_3gpuE4ELNS1_3repE0EEENS1_30default_config_static_selectorELNS0_4arch9wavefront6targetE1EEEvT1_,@function
_ZN7rocprim17ROCPRIM_400000_NS6detail17trampoline_kernelINS0_14default_configENS1_25partition_config_selectorILNS1_17partition_subalgoE8EN3c108BFloat16ENS0_10empty_typeEbEEZZNS1_14partition_implILS5_8ELb0ES3_jPKS7_PS8_PKS8_NS0_5tupleIJPS7_S8_EEENSG_IJSD_SD_EEENS0_18inequality_wrapperIN6hipcub16HIPCUB_304000_NS8EqualityEEEPlJS8_EEE10hipError_tPvRmT3_T4_T5_T6_T7_T9_mT8_P12ihipStream_tbDpT10_ENKUlT_T0_E_clISt17integral_constantIbLb1EES18_IbLb0EEEEDaS14_S15_EUlS14_E_NS1_11comp_targetILNS1_3genE10ELNS1_11target_archE1200ELNS1_3gpuE4ELNS1_3repE0EEENS1_30default_config_static_selectorELNS0_4arch9wavefront6targetE1EEEvT1_: ; @_ZN7rocprim17ROCPRIM_400000_NS6detail17trampoline_kernelINS0_14default_configENS1_25partition_config_selectorILNS1_17partition_subalgoE8EN3c108BFloat16ENS0_10empty_typeEbEEZZNS1_14partition_implILS5_8ELb0ES3_jPKS7_PS8_PKS8_NS0_5tupleIJPS7_S8_EEENSG_IJSD_SD_EEENS0_18inequality_wrapperIN6hipcub16HIPCUB_304000_NS8EqualityEEEPlJS8_EEE10hipError_tPvRmT3_T4_T5_T6_T7_T9_mT8_P12ihipStream_tbDpT10_ENKUlT_T0_E_clISt17integral_constantIbLb1EES18_IbLb0EEEEDaS14_S15_EUlS14_E_NS1_11comp_targetILNS1_3genE10ELNS1_11target_archE1200ELNS1_3gpuE4ELNS1_3repE0EEENS1_30default_config_static_selectorELNS0_4arch9wavefront6targetE1EEEvT1_
; %bb.0:
	.section	.rodata,"a",@progbits
	.p2align	6, 0x0
	.amdhsa_kernel _ZN7rocprim17ROCPRIM_400000_NS6detail17trampoline_kernelINS0_14default_configENS1_25partition_config_selectorILNS1_17partition_subalgoE8EN3c108BFloat16ENS0_10empty_typeEbEEZZNS1_14partition_implILS5_8ELb0ES3_jPKS7_PS8_PKS8_NS0_5tupleIJPS7_S8_EEENSG_IJSD_SD_EEENS0_18inequality_wrapperIN6hipcub16HIPCUB_304000_NS8EqualityEEEPlJS8_EEE10hipError_tPvRmT3_T4_T5_T6_T7_T9_mT8_P12ihipStream_tbDpT10_ENKUlT_T0_E_clISt17integral_constantIbLb1EES18_IbLb0EEEEDaS14_S15_EUlS14_E_NS1_11comp_targetILNS1_3genE10ELNS1_11target_archE1200ELNS1_3gpuE4ELNS1_3repE0EEENS1_30default_config_static_selectorELNS0_4arch9wavefront6targetE1EEEvT1_
		.amdhsa_group_segment_fixed_size 0
		.amdhsa_private_segment_fixed_size 0
		.amdhsa_kernarg_size 112
		.amdhsa_user_sgpr_count 2
		.amdhsa_user_sgpr_dispatch_ptr 0
		.amdhsa_user_sgpr_queue_ptr 0
		.amdhsa_user_sgpr_kernarg_segment_ptr 1
		.amdhsa_user_sgpr_dispatch_id 0
		.amdhsa_user_sgpr_kernarg_preload_length 0
		.amdhsa_user_sgpr_kernarg_preload_offset 0
		.amdhsa_user_sgpr_private_segment_size 0
		.amdhsa_uses_dynamic_stack 0
		.amdhsa_enable_private_segment 0
		.amdhsa_system_sgpr_workgroup_id_x 1
		.amdhsa_system_sgpr_workgroup_id_y 0
		.amdhsa_system_sgpr_workgroup_id_z 0
		.amdhsa_system_sgpr_workgroup_info 0
		.amdhsa_system_vgpr_workitem_id 0
		.amdhsa_next_free_vgpr 1
		.amdhsa_next_free_sgpr 0
		.amdhsa_accum_offset 4
		.amdhsa_reserve_vcc 0
		.amdhsa_float_round_mode_32 0
		.amdhsa_float_round_mode_16_64 0
		.amdhsa_float_denorm_mode_32 3
		.amdhsa_float_denorm_mode_16_64 3
		.amdhsa_dx10_clamp 1
		.amdhsa_ieee_mode 1
		.amdhsa_fp16_overflow 0
		.amdhsa_tg_split 0
		.amdhsa_exception_fp_ieee_invalid_op 0
		.amdhsa_exception_fp_denorm_src 0
		.amdhsa_exception_fp_ieee_div_zero 0
		.amdhsa_exception_fp_ieee_overflow 0
		.amdhsa_exception_fp_ieee_underflow 0
		.amdhsa_exception_fp_ieee_inexact 0
		.amdhsa_exception_int_div_zero 0
	.end_amdhsa_kernel
	.section	.text._ZN7rocprim17ROCPRIM_400000_NS6detail17trampoline_kernelINS0_14default_configENS1_25partition_config_selectorILNS1_17partition_subalgoE8EN3c108BFloat16ENS0_10empty_typeEbEEZZNS1_14partition_implILS5_8ELb0ES3_jPKS7_PS8_PKS8_NS0_5tupleIJPS7_S8_EEENSG_IJSD_SD_EEENS0_18inequality_wrapperIN6hipcub16HIPCUB_304000_NS8EqualityEEEPlJS8_EEE10hipError_tPvRmT3_T4_T5_T6_T7_T9_mT8_P12ihipStream_tbDpT10_ENKUlT_T0_E_clISt17integral_constantIbLb1EES18_IbLb0EEEEDaS14_S15_EUlS14_E_NS1_11comp_targetILNS1_3genE10ELNS1_11target_archE1200ELNS1_3gpuE4ELNS1_3repE0EEENS1_30default_config_static_selectorELNS0_4arch9wavefront6targetE1EEEvT1_,"axG",@progbits,_ZN7rocprim17ROCPRIM_400000_NS6detail17trampoline_kernelINS0_14default_configENS1_25partition_config_selectorILNS1_17partition_subalgoE8EN3c108BFloat16ENS0_10empty_typeEbEEZZNS1_14partition_implILS5_8ELb0ES3_jPKS7_PS8_PKS8_NS0_5tupleIJPS7_S8_EEENSG_IJSD_SD_EEENS0_18inequality_wrapperIN6hipcub16HIPCUB_304000_NS8EqualityEEEPlJS8_EEE10hipError_tPvRmT3_T4_T5_T6_T7_T9_mT8_P12ihipStream_tbDpT10_ENKUlT_T0_E_clISt17integral_constantIbLb1EES18_IbLb0EEEEDaS14_S15_EUlS14_E_NS1_11comp_targetILNS1_3genE10ELNS1_11target_archE1200ELNS1_3gpuE4ELNS1_3repE0EEENS1_30default_config_static_selectorELNS0_4arch9wavefront6targetE1EEEvT1_,comdat
.Lfunc_end845:
	.size	_ZN7rocprim17ROCPRIM_400000_NS6detail17trampoline_kernelINS0_14default_configENS1_25partition_config_selectorILNS1_17partition_subalgoE8EN3c108BFloat16ENS0_10empty_typeEbEEZZNS1_14partition_implILS5_8ELb0ES3_jPKS7_PS8_PKS8_NS0_5tupleIJPS7_S8_EEENSG_IJSD_SD_EEENS0_18inequality_wrapperIN6hipcub16HIPCUB_304000_NS8EqualityEEEPlJS8_EEE10hipError_tPvRmT3_T4_T5_T6_T7_T9_mT8_P12ihipStream_tbDpT10_ENKUlT_T0_E_clISt17integral_constantIbLb1EES18_IbLb0EEEEDaS14_S15_EUlS14_E_NS1_11comp_targetILNS1_3genE10ELNS1_11target_archE1200ELNS1_3gpuE4ELNS1_3repE0EEENS1_30default_config_static_selectorELNS0_4arch9wavefront6targetE1EEEvT1_, .Lfunc_end845-_ZN7rocprim17ROCPRIM_400000_NS6detail17trampoline_kernelINS0_14default_configENS1_25partition_config_selectorILNS1_17partition_subalgoE8EN3c108BFloat16ENS0_10empty_typeEbEEZZNS1_14partition_implILS5_8ELb0ES3_jPKS7_PS8_PKS8_NS0_5tupleIJPS7_S8_EEENSG_IJSD_SD_EEENS0_18inequality_wrapperIN6hipcub16HIPCUB_304000_NS8EqualityEEEPlJS8_EEE10hipError_tPvRmT3_T4_T5_T6_T7_T9_mT8_P12ihipStream_tbDpT10_ENKUlT_T0_E_clISt17integral_constantIbLb1EES18_IbLb0EEEEDaS14_S15_EUlS14_E_NS1_11comp_targetILNS1_3genE10ELNS1_11target_archE1200ELNS1_3gpuE4ELNS1_3repE0EEENS1_30default_config_static_selectorELNS0_4arch9wavefront6targetE1EEEvT1_
                                        ; -- End function
	.section	.AMDGPU.csdata,"",@progbits
; Kernel info:
; codeLenInByte = 0
; NumSgprs: 6
; NumVgprs: 0
; NumAgprs: 0
; TotalNumVgprs: 0
; ScratchSize: 0
; MemoryBound: 0
; FloatMode: 240
; IeeeMode: 1
; LDSByteSize: 0 bytes/workgroup (compile time only)
; SGPRBlocks: 0
; VGPRBlocks: 0
; NumSGPRsForWavesPerEU: 6
; NumVGPRsForWavesPerEU: 1
; AccumOffset: 4
; Occupancy: 8
; WaveLimiterHint : 0
; COMPUTE_PGM_RSRC2:SCRATCH_EN: 0
; COMPUTE_PGM_RSRC2:USER_SGPR: 2
; COMPUTE_PGM_RSRC2:TRAP_HANDLER: 0
; COMPUTE_PGM_RSRC2:TGID_X_EN: 1
; COMPUTE_PGM_RSRC2:TGID_Y_EN: 0
; COMPUTE_PGM_RSRC2:TGID_Z_EN: 0
; COMPUTE_PGM_RSRC2:TIDIG_COMP_CNT: 0
; COMPUTE_PGM_RSRC3_GFX90A:ACCUM_OFFSET: 0
; COMPUTE_PGM_RSRC3_GFX90A:TG_SPLIT: 0
	.section	.text._ZN7rocprim17ROCPRIM_400000_NS6detail17trampoline_kernelINS0_14default_configENS1_25partition_config_selectorILNS1_17partition_subalgoE8EN3c108BFloat16ENS0_10empty_typeEbEEZZNS1_14partition_implILS5_8ELb0ES3_jPKS7_PS8_PKS8_NS0_5tupleIJPS7_S8_EEENSG_IJSD_SD_EEENS0_18inequality_wrapperIN6hipcub16HIPCUB_304000_NS8EqualityEEEPlJS8_EEE10hipError_tPvRmT3_T4_T5_T6_T7_T9_mT8_P12ihipStream_tbDpT10_ENKUlT_T0_E_clISt17integral_constantIbLb1EES18_IbLb0EEEEDaS14_S15_EUlS14_E_NS1_11comp_targetILNS1_3genE9ELNS1_11target_archE1100ELNS1_3gpuE3ELNS1_3repE0EEENS1_30default_config_static_selectorELNS0_4arch9wavefront6targetE1EEEvT1_,"axG",@progbits,_ZN7rocprim17ROCPRIM_400000_NS6detail17trampoline_kernelINS0_14default_configENS1_25partition_config_selectorILNS1_17partition_subalgoE8EN3c108BFloat16ENS0_10empty_typeEbEEZZNS1_14partition_implILS5_8ELb0ES3_jPKS7_PS8_PKS8_NS0_5tupleIJPS7_S8_EEENSG_IJSD_SD_EEENS0_18inequality_wrapperIN6hipcub16HIPCUB_304000_NS8EqualityEEEPlJS8_EEE10hipError_tPvRmT3_T4_T5_T6_T7_T9_mT8_P12ihipStream_tbDpT10_ENKUlT_T0_E_clISt17integral_constantIbLb1EES18_IbLb0EEEEDaS14_S15_EUlS14_E_NS1_11comp_targetILNS1_3genE9ELNS1_11target_archE1100ELNS1_3gpuE3ELNS1_3repE0EEENS1_30default_config_static_selectorELNS0_4arch9wavefront6targetE1EEEvT1_,comdat
	.protected	_ZN7rocprim17ROCPRIM_400000_NS6detail17trampoline_kernelINS0_14default_configENS1_25partition_config_selectorILNS1_17partition_subalgoE8EN3c108BFloat16ENS0_10empty_typeEbEEZZNS1_14partition_implILS5_8ELb0ES3_jPKS7_PS8_PKS8_NS0_5tupleIJPS7_S8_EEENSG_IJSD_SD_EEENS0_18inequality_wrapperIN6hipcub16HIPCUB_304000_NS8EqualityEEEPlJS8_EEE10hipError_tPvRmT3_T4_T5_T6_T7_T9_mT8_P12ihipStream_tbDpT10_ENKUlT_T0_E_clISt17integral_constantIbLb1EES18_IbLb0EEEEDaS14_S15_EUlS14_E_NS1_11comp_targetILNS1_3genE9ELNS1_11target_archE1100ELNS1_3gpuE3ELNS1_3repE0EEENS1_30default_config_static_selectorELNS0_4arch9wavefront6targetE1EEEvT1_ ; -- Begin function _ZN7rocprim17ROCPRIM_400000_NS6detail17trampoline_kernelINS0_14default_configENS1_25partition_config_selectorILNS1_17partition_subalgoE8EN3c108BFloat16ENS0_10empty_typeEbEEZZNS1_14partition_implILS5_8ELb0ES3_jPKS7_PS8_PKS8_NS0_5tupleIJPS7_S8_EEENSG_IJSD_SD_EEENS0_18inequality_wrapperIN6hipcub16HIPCUB_304000_NS8EqualityEEEPlJS8_EEE10hipError_tPvRmT3_T4_T5_T6_T7_T9_mT8_P12ihipStream_tbDpT10_ENKUlT_T0_E_clISt17integral_constantIbLb1EES18_IbLb0EEEEDaS14_S15_EUlS14_E_NS1_11comp_targetILNS1_3genE9ELNS1_11target_archE1100ELNS1_3gpuE3ELNS1_3repE0EEENS1_30default_config_static_selectorELNS0_4arch9wavefront6targetE1EEEvT1_
	.globl	_ZN7rocprim17ROCPRIM_400000_NS6detail17trampoline_kernelINS0_14default_configENS1_25partition_config_selectorILNS1_17partition_subalgoE8EN3c108BFloat16ENS0_10empty_typeEbEEZZNS1_14partition_implILS5_8ELb0ES3_jPKS7_PS8_PKS8_NS0_5tupleIJPS7_S8_EEENSG_IJSD_SD_EEENS0_18inequality_wrapperIN6hipcub16HIPCUB_304000_NS8EqualityEEEPlJS8_EEE10hipError_tPvRmT3_T4_T5_T6_T7_T9_mT8_P12ihipStream_tbDpT10_ENKUlT_T0_E_clISt17integral_constantIbLb1EES18_IbLb0EEEEDaS14_S15_EUlS14_E_NS1_11comp_targetILNS1_3genE9ELNS1_11target_archE1100ELNS1_3gpuE3ELNS1_3repE0EEENS1_30default_config_static_selectorELNS0_4arch9wavefront6targetE1EEEvT1_
	.p2align	8
	.type	_ZN7rocprim17ROCPRIM_400000_NS6detail17trampoline_kernelINS0_14default_configENS1_25partition_config_selectorILNS1_17partition_subalgoE8EN3c108BFloat16ENS0_10empty_typeEbEEZZNS1_14partition_implILS5_8ELb0ES3_jPKS7_PS8_PKS8_NS0_5tupleIJPS7_S8_EEENSG_IJSD_SD_EEENS0_18inequality_wrapperIN6hipcub16HIPCUB_304000_NS8EqualityEEEPlJS8_EEE10hipError_tPvRmT3_T4_T5_T6_T7_T9_mT8_P12ihipStream_tbDpT10_ENKUlT_T0_E_clISt17integral_constantIbLb1EES18_IbLb0EEEEDaS14_S15_EUlS14_E_NS1_11comp_targetILNS1_3genE9ELNS1_11target_archE1100ELNS1_3gpuE3ELNS1_3repE0EEENS1_30default_config_static_selectorELNS0_4arch9wavefront6targetE1EEEvT1_,@function
_ZN7rocprim17ROCPRIM_400000_NS6detail17trampoline_kernelINS0_14default_configENS1_25partition_config_selectorILNS1_17partition_subalgoE8EN3c108BFloat16ENS0_10empty_typeEbEEZZNS1_14partition_implILS5_8ELb0ES3_jPKS7_PS8_PKS8_NS0_5tupleIJPS7_S8_EEENSG_IJSD_SD_EEENS0_18inequality_wrapperIN6hipcub16HIPCUB_304000_NS8EqualityEEEPlJS8_EEE10hipError_tPvRmT3_T4_T5_T6_T7_T9_mT8_P12ihipStream_tbDpT10_ENKUlT_T0_E_clISt17integral_constantIbLb1EES18_IbLb0EEEEDaS14_S15_EUlS14_E_NS1_11comp_targetILNS1_3genE9ELNS1_11target_archE1100ELNS1_3gpuE3ELNS1_3repE0EEENS1_30default_config_static_selectorELNS0_4arch9wavefront6targetE1EEEvT1_: ; @_ZN7rocprim17ROCPRIM_400000_NS6detail17trampoline_kernelINS0_14default_configENS1_25partition_config_selectorILNS1_17partition_subalgoE8EN3c108BFloat16ENS0_10empty_typeEbEEZZNS1_14partition_implILS5_8ELb0ES3_jPKS7_PS8_PKS8_NS0_5tupleIJPS7_S8_EEENSG_IJSD_SD_EEENS0_18inequality_wrapperIN6hipcub16HIPCUB_304000_NS8EqualityEEEPlJS8_EEE10hipError_tPvRmT3_T4_T5_T6_T7_T9_mT8_P12ihipStream_tbDpT10_ENKUlT_T0_E_clISt17integral_constantIbLb1EES18_IbLb0EEEEDaS14_S15_EUlS14_E_NS1_11comp_targetILNS1_3genE9ELNS1_11target_archE1100ELNS1_3gpuE3ELNS1_3repE0EEENS1_30default_config_static_selectorELNS0_4arch9wavefront6targetE1EEEvT1_
; %bb.0:
	.section	.rodata,"a",@progbits
	.p2align	6, 0x0
	.amdhsa_kernel _ZN7rocprim17ROCPRIM_400000_NS6detail17trampoline_kernelINS0_14default_configENS1_25partition_config_selectorILNS1_17partition_subalgoE8EN3c108BFloat16ENS0_10empty_typeEbEEZZNS1_14partition_implILS5_8ELb0ES3_jPKS7_PS8_PKS8_NS0_5tupleIJPS7_S8_EEENSG_IJSD_SD_EEENS0_18inequality_wrapperIN6hipcub16HIPCUB_304000_NS8EqualityEEEPlJS8_EEE10hipError_tPvRmT3_T4_T5_T6_T7_T9_mT8_P12ihipStream_tbDpT10_ENKUlT_T0_E_clISt17integral_constantIbLb1EES18_IbLb0EEEEDaS14_S15_EUlS14_E_NS1_11comp_targetILNS1_3genE9ELNS1_11target_archE1100ELNS1_3gpuE3ELNS1_3repE0EEENS1_30default_config_static_selectorELNS0_4arch9wavefront6targetE1EEEvT1_
		.amdhsa_group_segment_fixed_size 0
		.amdhsa_private_segment_fixed_size 0
		.amdhsa_kernarg_size 112
		.amdhsa_user_sgpr_count 2
		.amdhsa_user_sgpr_dispatch_ptr 0
		.amdhsa_user_sgpr_queue_ptr 0
		.amdhsa_user_sgpr_kernarg_segment_ptr 1
		.amdhsa_user_sgpr_dispatch_id 0
		.amdhsa_user_sgpr_kernarg_preload_length 0
		.amdhsa_user_sgpr_kernarg_preload_offset 0
		.amdhsa_user_sgpr_private_segment_size 0
		.amdhsa_uses_dynamic_stack 0
		.amdhsa_enable_private_segment 0
		.amdhsa_system_sgpr_workgroup_id_x 1
		.amdhsa_system_sgpr_workgroup_id_y 0
		.amdhsa_system_sgpr_workgroup_id_z 0
		.amdhsa_system_sgpr_workgroup_info 0
		.amdhsa_system_vgpr_workitem_id 0
		.amdhsa_next_free_vgpr 1
		.amdhsa_next_free_sgpr 0
		.amdhsa_accum_offset 4
		.amdhsa_reserve_vcc 0
		.amdhsa_float_round_mode_32 0
		.amdhsa_float_round_mode_16_64 0
		.amdhsa_float_denorm_mode_32 3
		.amdhsa_float_denorm_mode_16_64 3
		.amdhsa_dx10_clamp 1
		.amdhsa_ieee_mode 1
		.amdhsa_fp16_overflow 0
		.amdhsa_tg_split 0
		.amdhsa_exception_fp_ieee_invalid_op 0
		.amdhsa_exception_fp_denorm_src 0
		.amdhsa_exception_fp_ieee_div_zero 0
		.amdhsa_exception_fp_ieee_overflow 0
		.amdhsa_exception_fp_ieee_underflow 0
		.amdhsa_exception_fp_ieee_inexact 0
		.amdhsa_exception_int_div_zero 0
	.end_amdhsa_kernel
	.section	.text._ZN7rocprim17ROCPRIM_400000_NS6detail17trampoline_kernelINS0_14default_configENS1_25partition_config_selectorILNS1_17partition_subalgoE8EN3c108BFloat16ENS0_10empty_typeEbEEZZNS1_14partition_implILS5_8ELb0ES3_jPKS7_PS8_PKS8_NS0_5tupleIJPS7_S8_EEENSG_IJSD_SD_EEENS0_18inequality_wrapperIN6hipcub16HIPCUB_304000_NS8EqualityEEEPlJS8_EEE10hipError_tPvRmT3_T4_T5_T6_T7_T9_mT8_P12ihipStream_tbDpT10_ENKUlT_T0_E_clISt17integral_constantIbLb1EES18_IbLb0EEEEDaS14_S15_EUlS14_E_NS1_11comp_targetILNS1_3genE9ELNS1_11target_archE1100ELNS1_3gpuE3ELNS1_3repE0EEENS1_30default_config_static_selectorELNS0_4arch9wavefront6targetE1EEEvT1_,"axG",@progbits,_ZN7rocprim17ROCPRIM_400000_NS6detail17trampoline_kernelINS0_14default_configENS1_25partition_config_selectorILNS1_17partition_subalgoE8EN3c108BFloat16ENS0_10empty_typeEbEEZZNS1_14partition_implILS5_8ELb0ES3_jPKS7_PS8_PKS8_NS0_5tupleIJPS7_S8_EEENSG_IJSD_SD_EEENS0_18inequality_wrapperIN6hipcub16HIPCUB_304000_NS8EqualityEEEPlJS8_EEE10hipError_tPvRmT3_T4_T5_T6_T7_T9_mT8_P12ihipStream_tbDpT10_ENKUlT_T0_E_clISt17integral_constantIbLb1EES18_IbLb0EEEEDaS14_S15_EUlS14_E_NS1_11comp_targetILNS1_3genE9ELNS1_11target_archE1100ELNS1_3gpuE3ELNS1_3repE0EEENS1_30default_config_static_selectorELNS0_4arch9wavefront6targetE1EEEvT1_,comdat
.Lfunc_end846:
	.size	_ZN7rocprim17ROCPRIM_400000_NS6detail17trampoline_kernelINS0_14default_configENS1_25partition_config_selectorILNS1_17partition_subalgoE8EN3c108BFloat16ENS0_10empty_typeEbEEZZNS1_14partition_implILS5_8ELb0ES3_jPKS7_PS8_PKS8_NS0_5tupleIJPS7_S8_EEENSG_IJSD_SD_EEENS0_18inequality_wrapperIN6hipcub16HIPCUB_304000_NS8EqualityEEEPlJS8_EEE10hipError_tPvRmT3_T4_T5_T6_T7_T9_mT8_P12ihipStream_tbDpT10_ENKUlT_T0_E_clISt17integral_constantIbLb1EES18_IbLb0EEEEDaS14_S15_EUlS14_E_NS1_11comp_targetILNS1_3genE9ELNS1_11target_archE1100ELNS1_3gpuE3ELNS1_3repE0EEENS1_30default_config_static_selectorELNS0_4arch9wavefront6targetE1EEEvT1_, .Lfunc_end846-_ZN7rocprim17ROCPRIM_400000_NS6detail17trampoline_kernelINS0_14default_configENS1_25partition_config_selectorILNS1_17partition_subalgoE8EN3c108BFloat16ENS0_10empty_typeEbEEZZNS1_14partition_implILS5_8ELb0ES3_jPKS7_PS8_PKS8_NS0_5tupleIJPS7_S8_EEENSG_IJSD_SD_EEENS0_18inequality_wrapperIN6hipcub16HIPCUB_304000_NS8EqualityEEEPlJS8_EEE10hipError_tPvRmT3_T4_T5_T6_T7_T9_mT8_P12ihipStream_tbDpT10_ENKUlT_T0_E_clISt17integral_constantIbLb1EES18_IbLb0EEEEDaS14_S15_EUlS14_E_NS1_11comp_targetILNS1_3genE9ELNS1_11target_archE1100ELNS1_3gpuE3ELNS1_3repE0EEENS1_30default_config_static_selectorELNS0_4arch9wavefront6targetE1EEEvT1_
                                        ; -- End function
	.section	.AMDGPU.csdata,"",@progbits
; Kernel info:
; codeLenInByte = 0
; NumSgprs: 6
; NumVgprs: 0
; NumAgprs: 0
; TotalNumVgprs: 0
; ScratchSize: 0
; MemoryBound: 0
; FloatMode: 240
; IeeeMode: 1
; LDSByteSize: 0 bytes/workgroup (compile time only)
; SGPRBlocks: 0
; VGPRBlocks: 0
; NumSGPRsForWavesPerEU: 6
; NumVGPRsForWavesPerEU: 1
; AccumOffset: 4
; Occupancy: 8
; WaveLimiterHint : 0
; COMPUTE_PGM_RSRC2:SCRATCH_EN: 0
; COMPUTE_PGM_RSRC2:USER_SGPR: 2
; COMPUTE_PGM_RSRC2:TRAP_HANDLER: 0
; COMPUTE_PGM_RSRC2:TGID_X_EN: 1
; COMPUTE_PGM_RSRC2:TGID_Y_EN: 0
; COMPUTE_PGM_RSRC2:TGID_Z_EN: 0
; COMPUTE_PGM_RSRC2:TIDIG_COMP_CNT: 0
; COMPUTE_PGM_RSRC3_GFX90A:ACCUM_OFFSET: 0
; COMPUTE_PGM_RSRC3_GFX90A:TG_SPLIT: 0
	.section	.text._ZN7rocprim17ROCPRIM_400000_NS6detail17trampoline_kernelINS0_14default_configENS1_25partition_config_selectorILNS1_17partition_subalgoE8EN3c108BFloat16ENS0_10empty_typeEbEEZZNS1_14partition_implILS5_8ELb0ES3_jPKS7_PS8_PKS8_NS0_5tupleIJPS7_S8_EEENSG_IJSD_SD_EEENS0_18inequality_wrapperIN6hipcub16HIPCUB_304000_NS8EqualityEEEPlJS8_EEE10hipError_tPvRmT3_T4_T5_T6_T7_T9_mT8_P12ihipStream_tbDpT10_ENKUlT_T0_E_clISt17integral_constantIbLb1EES18_IbLb0EEEEDaS14_S15_EUlS14_E_NS1_11comp_targetILNS1_3genE8ELNS1_11target_archE1030ELNS1_3gpuE2ELNS1_3repE0EEENS1_30default_config_static_selectorELNS0_4arch9wavefront6targetE1EEEvT1_,"axG",@progbits,_ZN7rocprim17ROCPRIM_400000_NS6detail17trampoline_kernelINS0_14default_configENS1_25partition_config_selectorILNS1_17partition_subalgoE8EN3c108BFloat16ENS0_10empty_typeEbEEZZNS1_14partition_implILS5_8ELb0ES3_jPKS7_PS8_PKS8_NS0_5tupleIJPS7_S8_EEENSG_IJSD_SD_EEENS0_18inequality_wrapperIN6hipcub16HIPCUB_304000_NS8EqualityEEEPlJS8_EEE10hipError_tPvRmT3_T4_T5_T6_T7_T9_mT8_P12ihipStream_tbDpT10_ENKUlT_T0_E_clISt17integral_constantIbLb1EES18_IbLb0EEEEDaS14_S15_EUlS14_E_NS1_11comp_targetILNS1_3genE8ELNS1_11target_archE1030ELNS1_3gpuE2ELNS1_3repE0EEENS1_30default_config_static_selectorELNS0_4arch9wavefront6targetE1EEEvT1_,comdat
	.protected	_ZN7rocprim17ROCPRIM_400000_NS6detail17trampoline_kernelINS0_14default_configENS1_25partition_config_selectorILNS1_17partition_subalgoE8EN3c108BFloat16ENS0_10empty_typeEbEEZZNS1_14partition_implILS5_8ELb0ES3_jPKS7_PS8_PKS8_NS0_5tupleIJPS7_S8_EEENSG_IJSD_SD_EEENS0_18inequality_wrapperIN6hipcub16HIPCUB_304000_NS8EqualityEEEPlJS8_EEE10hipError_tPvRmT3_T4_T5_T6_T7_T9_mT8_P12ihipStream_tbDpT10_ENKUlT_T0_E_clISt17integral_constantIbLb1EES18_IbLb0EEEEDaS14_S15_EUlS14_E_NS1_11comp_targetILNS1_3genE8ELNS1_11target_archE1030ELNS1_3gpuE2ELNS1_3repE0EEENS1_30default_config_static_selectorELNS0_4arch9wavefront6targetE1EEEvT1_ ; -- Begin function _ZN7rocprim17ROCPRIM_400000_NS6detail17trampoline_kernelINS0_14default_configENS1_25partition_config_selectorILNS1_17partition_subalgoE8EN3c108BFloat16ENS0_10empty_typeEbEEZZNS1_14partition_implILS5_8ELb0ES3_jPKS7_PS8_PKS8_NS0_5tupleIJPS7_S8_EEENSG_IJSD_SD_EEENS0_18inequality_wrapperIN6hipcub16HIPCUB_304000_NS8EqualityEEEPlJS8_EEE10hipError_tPvRmT3_T4_T5_T6_T7_T9_mT8_P12ihipStream_tbDpT10_ENKUlT_T0_E_clISt17integral_constantIbLb1EES18_IbLb0EEEEDaS14_S15_EUlS14_E_NS1_11comp_targetILNS1_3genE8ELNS1_11target_archE1030ELNS1_3gpuE2ELNS1_3repE0EEENS1_30default_config_static_selectorELNS0_4arch9wavefront6targetE1EEEvT1_
	.globl	_ZN7rocprim17ROCPRIM_400000_NS6detail17trampoline_kernelINS0_14default_configENS1_25partition_config_selectorILNS1_17partition_subalgoE8EN3c108BFloat16ENS0_10empty_typeEbEEZZNS1_14partition_implILS5_8ELb0ES3_jPKS7_PS8_PKS8_NS0_5tupleIJPS7_S8_EEENSG_IJSD_SD_EEENS0_18inequality_wrapperIN6hipcub16HIPCUB_304000_NS8EqualityEEEPlJS8_EEE10hipError_tPvRmT3_T4_T5_T6_T7_T9_mT8_P12ihipStream_tbDpT10_ENKUlT_T0_E_clISt17integral_constantIbLb1EES18_IbLb0EEEEDaS14_S15_EUlS14_E_NS1_11comp_targetILNS1_3genE8ELNS1_11target_archE1030ELNS1_3gpuE2ELNS1_3repE0EEENS1_30default_config_static_selectorELNS0_4arch9wavefront6targetE1EEEvT1_
	.p2align	8
	.type	_ZN7rocprim17ROCPRIM_400000_NS6detail17trampoline_kernelINS0_14default_configENS1_25partition_config_selectorILNS1_17partition_subalgoE8EN3c108BFloat16ENS0_10empty_typeEbEEZZNS1_14partition_implILS5_8ELb0ES3_jPKS7_PS8_PKS8_NS0_5tupleIJPS7_S8_EEENSG_IJSD_SD_EEENS0_18inequality_wrapperIN6hipcub16HIPCUB_304000_NS8EqualityEEEPlJS8_EEE10hipError_tPvRmT3_T4_T5_T6_T7_T9_mT8_P12ihipStream_tbDpT10_ENKUlT_T0_E_clISt17integral_constantIbLb1EES18_IbLb0EEEEDaS14_S15_EUlS14_E_NS1_11comp_targetILNS1_3genE8ELNS1_11target_archE1030ELNS1_3gpuE2ELNS1_3repE0EEENS1_30default_config_static_selectorELNS0_4arch9wavefront6targetE1EEEvT1_,@function
_ZN7rocprim17ROCPRIM_400000_NS6detail17trampoline_kernelINS0_14default_configENS1_25partition_config_selectorILNS1_17partition_subalgoE8EN3c108BFloat16ENS0_10empty_typeEbEEZZNS1_14partition_implILS5_8ELb0ES3_jPKS7_PS8_PKS8_NS0_5tupleIJPS7_S8_EEENSG_IJSD_SD_EEENS0_18inequality_wrapperIN6hipcub16HIPCUB_304000_NS8EqualityEEEPlJS8_EEE10hipError_tPvRmT3_T4_T5_T6_T7_T9_mT8_P12ihipStream_tbDpT10_ENKUlT_T0_E_clISt17integral_constantIbLb1EES18_IbLb0EEEEDaS14_S15_EUlS14_E_NS1_11comp_targetILNS1_3genE8ELNS1_11target_archE1030ELNS1_3gpuE2ELNS1_3repE0EEENS1_30default_config_static_selectorELNS0_4arch9wavefront6targetE1EEEvT1_: ; @_ZN7rocprim17ROCPRIM_400000_NS6detail17trampoline_kernelINS0_14default_configENS1_25partition_config_selectorILNS1_17partition_subalgoE8EN3c108BFloat16ENS0_10empty_typeEbEEZZNS1_14partition_implILS5_8ELb0ES3_jPKS7_PS8_PKS8_NS0_5tupleIJPS7_S8_EEENSG_IJSD_SD_EEENS0_18inequality_wrapperIN6hipcub16HIPCUB_304000_NS8EqualityEEEPlJS8_EEE10hipError_tPvRmT3_T4_T5_T6_T7_T9_mT8_P12ihipStream_tbDpT10_ENKUlT_T0_E_clISt17integral_constantIbLb1EES18_IbLb0EEEEDaS14_S15_EUlS14_E_NS1_11comp_targetILNS1_3genE8ELNS1_11target_archE1030ELNS1_3gpuE2ELNS1_3repE0EEENS1_30default_config_static_selectorELNS0_4arch9wavefront6targetE1EEEvT1_
; %bb.0:
	.section	.rodata,"a",@progbits
	.p2align	6, 0x0
	.amdhsa_kernel _ZN7rocprim17ROCPRIM_400000_NS6detail17trampoline_kernelINS0_14default_configENS1_25partition_config_selectorILNS1_17partition_subalgoE8EN3c108BFloat16ENS0_10empty_typeEbEEZZNS1_14partition_implILS5_8ELb0ES3_jPKS7_PS8_PKS8_NS0_5tupleIJPS7_S8_EEENSG_IJSD_SD_EEENS0_18inequality_wrapperIN6hipcub16HIPCUB_304000_NS8EqualityEEEPlJS8_EEE10hipError_tPvRmT3_T4_T5_T6_T7_T9_mT8_P12ihipStream_tbDpT10_ENKUlT_T0_E_clISt17integral_constantIbLb1EES18_IbLb0EEEEDaS14_S15_EUlS14_E_NS1_11comp_targetILNS1_3genE8ELNS1_11target_archE1030ELNS1_3gpuE2ELNS1_3repE0EEENS1_30default_config_static_selectorELNS0_4arch9wavefront6targetE1EEEvT1_
		.amdhsa_group_segment_fixed_size 0
		.amdhsa_private_segment_fixed_size 0
		.amdhsa_kernarg_size 112
		.amdhsa_user_sgpr_count 2
		.amdhsa_user_sgpr_dispatch_ptr 0
		.amdhsa_user_sgpr_queue_ptr 0
		.amdhsa_user_sgpr_kernarg_segment_ptr 1
		.amdhsa_user_sgpr_dispatch_id 0
		.amdhsa_user_sgpr_kernarg_preload_length 0
		.amdhsa_user_sgpr_kernarg_preload_offset 0
		.amdhsa_user_sgpr_private_segment_size 0
		.amdhsa_uses_dynamic_stack 0
		.amdhsa_enable_private_segment 0
		.amdhsa_system_sgpr_workgroup_id_x 1
		.amdhsa_system_sgpr_workgroup_id_y 0
		.amdhsa_system_sgpr_workgroup_id_z 0
		.amdhsa_system_sgpr_workgroup_info 0
		.amdhsa_system_vgpr_workitem_id 0
		.amdhsa_next_free_vgpr 1
		.amdhsa_next_free_sgpr 0
		.amdhsa_accum_offset 4
		.amdhsa_reserve_vcc 0
		.amdhsa_float_round_mode_32 0
		.amdhsa_float_round_mode_16_64 0
		.amdhsa_float_denorm_mode_32 3
		.amdhsa_float_denorm_mode_16_64 3
		.amdhsa_dx10_clamp 1
		.amdhsa_ieee_mode 1
		.amdhsa_fp16_overflow 0
		.amdhsa_tg_split 0
		.amdhsa_exception_fp_ieee_invalid_op 0
		.amdhsa_exception_fp_denorm_src 0
		.amdhsa_exception_fp_ieee_div_zero 0
		.amdhsa_exception_fp_ieee_overflow 0
		.amdhsa_exception_fp_ieee_underflow 0
		.amdhsa_exception_fp_ieee_inexact 0
		.amdhsa_exception_int_div_zero 0
	.end_amdhsa_kernel
	.section	.text._ZN7rocprim17ROCPRIM_400000_NS6detail17trampoline_kernelINS0_14default_configENS1_25partition_config_selectorILNS1_17partition_subalgoE8EN3c108BFloat16ENS0_10empty_typeEbEEZZNS1_14partition_implILS5_8ELb0ES3_jPKS7_PS8_PKS8_NS0_5tupleIJPS7_S8_EEENSG_IJSD_SD_EEENS0_18inequality_wrapperIN6hipcub16HIPCUB_304000_NS8EqualityEEEPlJS8_EEE10hipError_tPvRmT3_T4_T5_T6_T7_T9_mT8_P12ihipStream_tbDpT10_ENKUlT_T0_E_clISt17integral_constantIbLb1EES18_IbLb0EEEEDaS14_S15_EUlS14_E_NS1_11comp_targetILNS1_3genE8ELNS1_11target_archE1030ELNS1_3gpuE2ELNS1_3repE0EEENS1_30default_config_static_selectorELNS0_4arch9wavefront6targetE1EEEvT1_,"axG",@progbits,_ZN7rocprim17ROCPRIM_400000_NS6detail17trampoline_kernelINS0_14default_configENS1_25partition_config_selectorILNS1_17partition_subalgoE8EN3c108BFloat16ENS0_10empty_typeEbEEZZNS1_14partition_implILS5_8ELb0ES3_jPKS7_PS8_PKS8_NS0_5tupleIJPS7_S8_EEENSG_IJSD_SD_EEENS0_18inequality_wrapperIN6hipcub16HIPCUB_304000_NS8EqualityEEEPlJS8_EEE10hipError_tPvRmT3_T4_T5_T6_T7_T9_mT8_P12ihipStream_tbDpT10_ENKUlT_T0_E_clISt17integral_constantIbLb1EES18_IbLb0EEEEDaS14_S15_EUlS14_E_NS1_11comp_targetILNS1_3genE8ELNS1_11target_archE1030ELNS1_3gpuE2ELNS1_3repE0EEENS1_30default_config_static_selectorELNS0_4arch9wavefront6targetE1EEEvT1_,comdat
.Lfunc_end847:
	.size	_ZN7rocprim17ROCPRIM_400000_NS6detail17trampoline_kernelINS0_14default_configENS1_25partition_config_selectorILNS1_17partition_subalgoE8EN3c108BFloat16ENS0_10empty_typeEbEEZZNS1_14partition_implILS5_8ELb0ES3_jPKS7_PS8_PKS8_NS0_5tupleIJPS7_S8_EEENSG_IJSD_SD_EEENS0_18inequality_wrapperIN6hipcub16HIPCUB_304000_NS8EqualityEEEPlJS8_EEE10hipError_tPvRmT3_T4_T5_T6_T7_T9_mT8_P12ihipStream_tbDpT10_ENKUlT_T0_E_clISt17integral_constantIbLb1EES18_IbLb0EEEEDaS14_S15_EUlS14_E_NS1_11comp_targetILNS1_3genE8ELNS1_11target_archE1030ELNS1_3gpuE2ELNS1_3repE0EEENS1_30default_config_static_selectorELNS0_4arch9wavefront6targetE1EEEvT1_, .Lfunc_end847-_ZN7rocprim17ROCPRIM_400000_NS6detail17trampoline_kernelINS0_14default_configENS1_25partition_config_selectorILNS1_17partition_subalgoE8EN3c108BFloat16ENS0_10empty_typeEbEEZZNS1_14partition_implILS5_8ELb0ES3_jPKS7_PS8_PKS8_NS0_5tupleIJPS7_S8_EEENSG_IJSD_SD_EEENS0_18inequality_wrapperIN6hipcub16HIPCUB_304000_NS8EqualityEEEPlJS8_EEE10hipError_tPvRmT3_T4_T5_T6_T7_T9_mT8_P12ihipStream_tbDpT10_ENKUlT_T0_E_clISt17integral_constantIbLb1EES18_IbLb0EEEEDaS14_S15_EUlS14_E_NS1_11comp_targetILNS1_3genE8ELNS1_11target_archE1030ELNS1_3gpuE2ELNS1_3repE0EEENS1_30default_config_static_selectorELNS0_4arch9wavefront6targetE1EEEvT1_
                                        ; -- End function
	.section	.AMDGPU.csdata,"",@progbits
; Kernel info:
; codeLenInByte = 0
; NumSgprs: 6
; NumVgprs: 0
; NumAgprs: 0
; TotalNumVgprs: 0
; ScratchSize: 0
; MemoryBound: 0
; FloatMode: 240
; IeeeMode: 1
; LDSByteSize: 0 bytes/workgroup (compile time only)
; SGPRBlocks: 0
; VGPRBlocks: 0
; NumSGPRsForWavesPerEU: 6
; NumVGPRsForWavesPerEU: 1
; AccumOffset: 4
; Occupancy: 8
; WaveLimiterHint : 0
; COMPUTE_PGM_RSRC2:SCRATCH_EN: 0
; COMPUTE_PGM_RSRC2:USER_SGPR: 2
; COMPUTE_PGM_RSRC2:TRAP_HANDLER: 0
; COMPUTE_PGM_RSRC2:TGID_X_EN: 1
; COMPUTE_PGM_RSRC2:TGID_Y_EN: 0
; COMPUTE_PGM_RSRC2:TGID_Z_EN: 0
; COMPUTE_PGM_RSRC2:TIDIG_COMP_CNT: 0
; COMPUTE_PGM_RSRC3_GFX90A:ACCUM_OFFSET: 0
; COMPUTE_PGM_RSRC3_GFX90A:TG_SPLIT: 0
	.section	.text._ZN7rocprim17ROCPRIM_400000_NS6detail17trampoline_kernelINS0_14default_configENS1_25partition_config_selectorILNS1_17partition_subalgoE8EN3c108BFloat16ENS0_10empty_typeEbEEZZNS1_14partition_implILS5_8ELb0ES3_jPKS7_PS8_PKS8_NS0_5tupleIJPS7_S8_EEENSG_IJSD_SD_EEENS0_18inequality_wrapperIN6hipcub16HIPCUB_304000_NS8EqualityEEEPlJS8_EEE10hipError_tPvRmT3_T4_T5_T6_T7_T9_mT8_P12ihipStream_tbDpT10_ENKUlT_T0_E_clISt17integral_constantIbLb0EES18_IbLb1EEEEDaS14_S15_EUlS14_E_NS1_11comp_targetILNS1_3genE0ELNS1_11target_archE4294967295ELNS1_3gpuE0ELNS1_3repE0EEENS1_30default_config_static_selectorELNS0_4arch9wavefront6targetE1EEEvT1_,"axG",@progbits,_ZN7rocprim17ROCPRIM_400000_NS6detail17trampoline_kernelINS0_14default_configENS1_25partition_config_selectorILNS1_17partition_subalgoE8EN3c108BFloat16ENS0_10empty_typeEbEEZZNS1_14partition_implILS5_8ELb0ES3_jPKS7_PS8_PKS8_NS0_5tupleIJPS7_S8_EEENSG_IJSD_SD_EEENS0_18inequality_wrapperIN6hipcub16HIPCUB_304000_NS8EqualityEEEPlJS8_EEE10hipError_tPvRmT3_T4_T5_T6_T7_T9_mT8_P12ihipStream_tbDpT10_ENKUlT_T0_E_clISt17integral_constantIbLb0EES18_IbLb1EEEEDaS14_S15_EUlS14_E_NS1_11comp_targetILNS1_3genE0ELNS1_11target_archE4294967295ELNS1_3gpuE0ELNS1_3repE0EEENS1_30default_config_static_selectorELNS0_4arch9wavefront6targetE1EEEvT1_,comdat
	.protected	_ZN7rocprim17ROCPRIM_400000_NS6detail17trampoline_kernelINS0_14default_configENS1_25partition_config_selectorILNS1_17partition_subalgoE8EN3c108BFloat16ENS0_10empty_typeEbEEZZNS1_14partition_implILS5_8ELb0ES3_jPKS7_PS8_PKS8_NS0_5tupleIJPS7_S8_EEENSG_IJSD_SD_EEENS0_18inequality_wrapperIN6hipcub16HIPCUB_304000_NS8EqualityEEEPlJS8_EEE10hipError_tPvRmT3_T4_T5_T6_T7_T9_mT8_P12ihipStream_tbDpT10_ENKUlT_T0_E_clISt17integral_constantIbLb0EES18_IbLb1EEEEDaS14_S15_EUlS14_E_NS1_11comp_targetILNS1_3genE0ELNS1_11target_archE4294967295ELNS1_3gpuE0ELNS1_3repE0EEENS1_30default_config_static_selectorELNS0_4arch9wavefront6targetE1EEEvT1_ ; -- Begin function _ZN7rocprim17ROCPRIM_400000_NS6detail17trampoline_kernelINS0_14default_configENS1_25partition_config_selectorILNS1_17partition_subalgoE8EN3c108BFloat16ENS0_10empty_typeEbEEZZNS1_14partition_implILS5_8ELb0ES3_jPKS7_PS8_PKS8_NS0_5tupleIJPS7_S8_EEENSG_IJSD_SD_EEENS0_18inequality_wrapperIN6hipcub16HIPCUB_304000_NS8EqualityEEEPlJS8_EEE10hipError_tPvRmT3_T4_T5_T6_T7_T9_mT8_P12ihipStream_tbDpT10_ENKUlT_T0_E_clISt17integral_constantIbLb0EES18_IbLb1EEEEDaS14_S15_EUlS14_E_NS1_11comp_targetILNS1_3genE0ELNS1_11target_archE4294967295ELNS1_3gpuE0ELNS1_3repE0EEENS1_30default_config_static_selectorELNS0_4arch9wavefront6targetE1EEEvT1_
	.globl	_ZN7rocprim17ROCPRIM_400000_NS6detail17trampoline_kernelINS0_14default_configENS1_25partition_config_selectorILNS1_17partition_subalgoE8EN3c108BFloat16ENS0_10empty_typeEbEEZZNS1_14partition_implILS5_8ELb0ES3_jPKS7_PS8_PKS8_NS0_5tupleIJPS7_S8_EEENSG_IJSD_SD_EEENS0_18inequality_wrapperIN6hipcub16HIPCUB_304000_NS8EqualityEEEPlJS8_EEE10hipError_tPvRmT3_T4_T5_T6_T7_T9_mT8_P12ihipStream_tbDpT10_ENKUlT_T0_E_clISt17integral_constantIbLb0EES18_IbLb1EEEEDaS14_S15_EUlS14_E_NS1_11comp_targetILNS1_3genE0ELNS1_11target_archE4294967295ELNS1_3gpuE0ELNS1_3repE0EEENS1_30default_config_static_selectorELNS0_4arch9wavefront6targetE1EEEvT1_
	.p2align	8
	.type	_ZN7rocprim17ROCPRIM_400000_NS6detail17trampoline_kernelINS0_14default_configENS1_25partition_config_selectorILNS1_17partition_subalgoE8EN3c108BFloat16ENS0_10empty_typeEbEEZZNS1_14partition_implILS5_8ELb0ES3_jPKS7_PS8_PKS8_NS0_5tupleIJPS7_S8_EEENSG_IJSD_SD_EEENS0_18inequality_wrapperIN6hipcub16HIPCUB_304000_NS8EqualityEEEPlJS8_EEE10hipError_tPvRmT3_T4_T5_T6_T7_T9_mT8_P12ihipStream_tbDpT10_ENKUlT_T0_E_clISt17integral_constantIbLb0EES18_IbLb1EEEEDaS14_S15_EUlS14_E_NS1_11comp_targetILNS1_3genE0ELNS1_11target_archE4294967295ELNS1_3gpuE0ELNS1_3repE0EEENS1_30default_config_static_selectorELNS0_4arch9wavefront6targetE1EEEvT1_,@function
_ZN7rocprim17ROCPRIM_400000_NS6detail17trampoline_kernelINS0_14default_configENS1_25partition_config_selectorILNS1_17partition_subalgoE8EN3c108BFloat16ENS0_10empty_typeEbEEZZNS1_14partition_implILS5_8ELb0ES3_jPKS7_PS8_PKS8_NS0_5tupleIJPS7_S8_EEENSG_IJSD_SD_EEENS0_18inequality_wrapperIN6hipcub16HIPCUB_304000_NS8EqualityEEEPlJS8_EEE10hipError_tPvRmT3_T4_T5_T6_T7_T9_mT8_P12ihipStream_tbDpT10_ENKUlT_T0_E_clISt17integral_constantIbLb0EES18_IbLb1EEEEDaS14_S15_EUlS14_E_NS1_11comp_targetILNS1_3genE0ELNS1_11target_archE4294967295ELNS1_3gpuE0ELNS1_3repE0EEENS1_30default_config_static_selectorELNS0_4arch9wavefront6targetE1EEEvT1_: ; @_ZN7rocprim17ROCPRIM_400000_NS6detail17trampoline_kernelINS0_14default_configENS1_25partition_config_selectorILNS1_17partition_subalgoE8EN3c108BFloat16ENS0_10empty_typeEbEEZZNS1_14partition_implILS5_8ELb0ES3_jPKS7_PS8_PKS8_NS0_5tupleIJPS7_S8_EEENSG_IJSD_SD_EEENS0_18inequality_wrapperIN6hipcub16HIPCUB_304000_NS8EqualityEEEPlJS8_EEE10hipError_tPvRmT3_T4_T5_T6_T7_T9_mT8_P12ihipStream_tbDpT10_ENKUlT_T0_E_clISt17integral_constantIbLb0EES18_IbLb1EEEEDaS14_S15_EUlS14_E_NS1_11comp_targetILNS1_3genE0ELNS1_11target_archE4294967295ELNS1_3gpuE0ELNS1_3repE0EEENS1_30default_config_static_selectorELNS0_4arch9wavefront6targetE1EEEvT1_
; %bb.0:
	.section	.rodata,"a",@progbits
	.p2align	6, 0x0
	.amdhsa_kernel _ZN7rocprim17ROCPRIM_400000_NS6detail17trampoline_kernelINS0_14default_configENS1_25partition_config_selectorILNS1_17partition_subalgoE8EN3c108BFloat16ENS0_10empty_typeEbEEZZNS1_14partition_implILS5_8ELb0ES3_jPKS7_PS8_PKS8_NS0_5tupleIJPS7_S8_EEENSG_IJSD_SD_EEENS0_18inequality_wrapperIN6hipcub16HIPCUB_304000_NS8EqualityEEEPlJS8_EEE10hipError_tPvRmT3_T4_T5_T6_T7_T9_mT8_P12ihipStream_tbDpT10_ENKUlT_T0_E_clISt17integral_constantIbLb0EES18_IbLb1EEEEDaS14_S15_EUlS14_E_NS1_11comp_targetILNS1_3genE0ELNS1_11target_archE4294967295ELNS1_3gpuE0ELNS1_3repE0EEENS1_30default_config_static_selectorELNS0_4arch9wavefront6targetE1EEEvT1_
		.amdhsa_group_segment_fixed_size 0
		.amdhsa_private_segment_fixed_size 0
		.amdhsa_kernarg_size 128
		.amdhsa_user_sgpr_count 2
		.amdhsa_user_sgpr_dispatch_ptr 0
		.amdhsa_user_sgpr_queue_ptr 0
		.amdhsa_user_sgpr_kernarg_segment_ptr 1
		.amdhsa_user_sgpr_dispatch_id 0
		.amdhsa_user_sgpr_kernarg_preload_length 0
		.amdhsa_user_sgpr_kernarg_preload_offset 0
		.amdhsa_user_sgpr_private_segment_size 0
		.amdhsa_uses_dynamic_stack 0
		.amdhsa_enable_private_segment 0
		.amdhsa_system_sgpr_workgroup_id_x 1
		.amdhsa_system_sgpr_workgroup_id_y 0
		.amdhsa_system_sgpr_workgroup_id_z 0
		.amdhsa_system_sgpr_workgroup_info 0
		.amdhsa_system_vgpr_workitem_id 0
		.amdhsa_next_free_vgpr 1
		.amdhsa_next_free_sgpr 0
		.amdhsa_accum_offset 4
		.amdhsa_reserve_vcc 0
		.amdhsa_float_round_mode_32 0
		.amdhsa_float_round_mode_16_64 0
		.amdhsa_float_denorm_mode_32 3
		.amdhsa_float_denorm_mode_16_64 3
		.amdhsa_dx10_clamp 1
		.amdhsa_ieee_mode 1
		.amdhsa_fp16_overflow 0
		.amdhsa_tg_split 0
		.amdhsa_exception_fp_ieee_invalid_op 0
		.amdhsa_exception_fp_denorm_src 0
		.amdhsa_exception_fp_ieee_div_zero 0
		.amdhsa_exception_fp_ieee_overflow 0
		.amdhsa_exception_fp_ieee_underflow 0
		.amdhsa_exception_fp_ieee_inexact 0
		.amdhsa_exception_int_div_zero 0
	.end_amdhsa_kernel
	.section	.text._ZN7rocprim17ROCPRIM_400000_NS6detail17trampoline_kernelINS0_14default_configENS1_25partition_config_selectorILNS1_17partition_subalgoE8EN3c108BFloat16ENS0_10empty_typeEbEEZZNS1_14partition_implILS5_8ELb0ES3_jPKS7_PS8_PKS8_NS0_5tupleIJPS7_S8_EEENSG_IJSD_SD_EEENS0_18inequality_wrapperIN6hipcub16HIPCUB_304000_NS8EqualityEEEPlJS8_EEE10hipError_tPvRmT3_T4_T5_T6_T7_T9_mT8_P12ihipStream_tbDpT10_ENKUlT_T0_E_clISt17integral_constantIbLb0EES18_IbLb1EEEEDaS14_S15_EUlS14_E_NS1_11comp_targetILNS1_3genE0ELNS1_11target_archE4294967295ELNS1_3gpuE0ELNS1_3repE0EEENS1_30default_config_static_selectorELNS0_4arch9wavefront6targetE1EEEvT1_,"axG",@progbits,_ZN7rocprim17ROCPRIM_400000_NS6detail17trampoline_kernelINS0_14default_configENS1_25partition_config_selectorILNS1_17partition_subalgoE8EN3c108BFloat16ENS0_10empty_typeEbEEZZNS1_14partition_implILS5_8ELb0ES3_jPKS7_PS8_PKS8_NS0_5tupleIJPS7_S8_EEENSG_IJSD_SD_EEENS0_18inequality_wrapperIN6hipcub16HIPCUB_304000_NS8EqualityEEEPlJS8_EEE10hipError_tPvRmT3_T4_T5_T6_T7_T9_mT8_P12ihipStream_tbDpT10_ENKUlT_T0_E_clISt17integral_constantIbLb0EES18_IbLb1EEEEDaS14_S15_EUlS14_E_NS1_11comp_targetILNS1_3genE0ELNS1_11target_archE4294967295ELNS1_3gpuE0ELNS1_3repE0EEENS1_30default_config_static_selectorELNS0_4arch9wavefront6targetE1EEEvT1_,comdat
.Lfunc_end848:
	.size	_ZN7rocprim17ROCPRIM_400000_NS6detail17trampoline_kernelINS0_14default_configENS1_25partition_config_selectorILNS1_17partition_subalgoE8EN3c108BFloat16ENS0_10empty_typeEbEEZZNS1_14partition_implILS5_8ELb0ES3_jPKS7_PS8_PKS8_NS0_5tupleIJPS7_S8_EEENSG_IJSD_SD_EEENS0_18inequality_wrapperIN6hipcub16HIPCUB_304000_NS8EqualityEEEPlJS8_EEE10hipError_tPvRmT3_T4_T5_T6_T7_T9_mT8_P12ihipStream_tbDpT10_ENKUlT_T0_E_clISt17integral_constantIbLb0EES18_IbLb1EEEEDaS14_S15_EUlS14_E_NS1_11comp_targetILNS1_3genE0ELNS1_11target_archE4294967295ELNS1_3gpuE0ELNS1_3repE0EEENS1_30default_config_static_selectorELNS0_4arch9wavefront6targetE1EEEvT1_, .Lfunc_end848-_ZN7rocprim17ROCPRIM_400000_NS6detail17trampoline_kernelINS0_14default_configENS1_25partition_config_selectorILNS1_17partition_subalgoE8EN3c108BFloat16ENS0_10empty_typeEbEEZZNS1_14partition_implILS5_8ELb0ES3_jPKS7_PS8_PKS8_NS0_5tupleIJPS7_S8_EEENSG_IJSD_SD_EEENS0_18inequality_wrapperIN6hipcub16HIPCUB_304000_NS8EqualityEEEPlJS8_EEE10hipError_tPvRmT3_T4_T5_T6_T7_T9_mT8_P12ihipStream_tbDpT10_ENKUlT_T0_E_clISt17integral_constantIbLb0EES18_IbLb1EEEEDaS14_S15_EUlS14_E_NS1_11comp_targetILNS1_3genE0ELNS1_11target_archE4294967295ELNS1_3gpuE0ELNS1_3repE0EEENS1_30default_config_static_selectorELNS0_4arch9wavefront6targetE1EEEvT1_
                                        ; -- End function
	.section	.AMDGPU.csdata,"",@progbits
; Kernel info:
; codeLenInByte = 0
; NumSgprs: 6
; NumVgprs: 0
; NumAgprs: 0
; TotalNumVgprs: 0
; ScratchSize: 0
; MemoryBound: 0
; FloatMode: 240
; IeeeMode: 1
; LDSByteSize: 0 bytes/workgroup (compile time only)
; SGPRBlocks: 0
; VGPRBlocks: 0
; NumSGPRsForWavesPerEU: 6
; NumVGPRsForWavesPerEU: 1
; AccumOffset: 4
; Occupancy: 8
; WaveLimiterHint : 0
; COMPUTE_PGM_RSRC2:SCRATCH_EN: 0
; COMPUTE_PGM_RSRC2:USER_SGPR: 2
; COMPUTE_PGM_RSRC2:TRAP_HANDLER: 0
; COMPUTE_PGM_RSRC2:TGID_X_EN: 1
; COMPUTE_PGM_RSRC2:TGID_Y_EN: 0
; COMPUTE_PGM_RSRC2:TGID_Z_EN: 0
; COMPUTE_PGM_RSRC2:TIDIG_COMP_CNT: 0
; COMPUTE_PGM_RSRC3_GFX90A:ACCUM_OFFSET: 0
; COMPUTE_PGM_RSRC3_GFX90A:TG_SPLIT: 0
	.section	.text._ZN7rocprim17ROCPRIM_400000_NS6detail17trampoline_kernelINS0_14default_configENS1_25partition_config_selectorILNS1_17partition_subalgoE8EN3c108BFloat16ENS0_10empty_typeEbEEZZNS1_14partition_implILS5_8ELb0ES3_jPKS7_PS8_PKS8_NS0_5tupleIJPS7_S8_EEENSG_IJSD_SD_EEENS0_18inequality_wrapperIN6hipcub16HIPCUB_304000_NS8EqualityEEEPlJS8_EEE10hipError_tPvRmT3_T4_T5_T6_T7_T9_mT8_P12ihipStream_tbDpT10_ENKUlT_T0_E_clISt17integral_constantIbLb0EES18_IbLb1EEEEDaS14_S15_EUlS14_E_NS1_11comp_targetILNS1_3genE5ELNS1_11target_archE942ELNS1_3gpuE9ELNS1_3repE0EEENS1_30default_config_static_selectorELNS0_4arch9wavefront6targetE1EEEvT1_,"axG",@progbits,_ZN7rocprim17ROCPRIM_400000_NS6detail17trampoline_kernelINS0_14default_configENS1_25partition_config_selectorILNS1_17partition_subalgoE8EN3c108BFloat16ENS0_10empty_typeEbEEZZNS1_14partition_implILS5_8ELb0ES3_jPKS7_PS8_PKS8_NS0_5tupleIJPS7_S8_EEENSG_IJSD_SD_EEENS0_18inequality_wrapperIN6hipcub16HIPCUB_304000_NS8EqualityEEEPlJS8_EEE10hipError_tPvRmT3_T4_T5_T6_T7_T9_mT8_P12ihipStream_tbDpT10_ENKUlT_T0_E_clISt17integral_constantIbLb0EES18_IbLb1EEEEDaS14_S15_EUlS14_E_NS1_11comp_targetILNS1_3genE5ELNS1_11target_archE942ELNS1_3gpuE9ELNS1_3repE0EEENS1_30default_config_static_selectorELNS0_4arch9wavefront6targetE1EEEvT1_,comdat
	.protected	_ZN7rocprim17ROCPRIM_400000_NS6detail17trampoline_kernelINS0_14default_configENS1_25partition_config_selectorILNS1_17partition_subalgoE8EN3c108BFloat16ENS0_10empty_typeEbEEZZNS1_14partition_implILS5_8ELb0ES3_jPKS7_PS8_PKS8_NS0_5tupleIJPS7_S8_EEENSG_IJSD_SD_EEENS0_18inequality_wrapperIN6hipcub16HIPCUB_304000_NS8EqualityEEEPlJS8_EEE10hipError_tPvRmT3_T4_T5_T6_T7_T9_mT8_P12ihipStream_tbDpT10_ENKUlT_T0_E_clISt17integral_constantIbLb0EES18_IbLb1EEEEDaS14_S15_EUlS14_E_NS1_11comp_targetILNS1_3genE5ELNS1_11target_archE942ELNS1_3gpuE9ELNS1_3repE0EEENS1_30default_config_static_selectorELNS0_4arch9wavefront6targetE1EEEvT1_ ; -- Begin function _ZN7rocprim17ROCPRIM_400000_NS6detail17trampoline_kernelINS0_14default_configENS1_25partition_config_selectorILNS1_17partition_subalgoE8EN3c108BFloat16ENS0_10empty_typeEbEEZZNS1_14partition_implILS5_8ELb0ES3_jPKS7_PS8_PKS8_NS0_5tupleIJPS7_S8_EEENSG_IJSD_SD_EEENS0_18inequality_wrapperIN6hipcub16HIPCUB_304000_NS8EqualityEEEPlJS8_EEE10hipError_tPvRmT3_T4_T5_T6_T7_T9_mT8_P12ihipStream_tbDpT10_ENKUlT_T0_E_clISt17integral_constantIbLb0EES18_IbLb1EEEEDaS14_S15_EUlS14_E_NS1_11comp_targetILNS1_3genE5ELNS1_11target_archE942ELNS1_3gpuE9ELNS1_3repE0EEENS1_30default_config_static_selectorELNS0_4arch9wavefront6targetE1EEEvT1_
	.globl	_ZN7rocprim17ROCPRIM_400000_NS6detail17trampoline_kernelINS0_14default_configENS1_25partition_config_selectorILNS1_17partition_subalgoE8EN3c108BFloat16ENS0_10empty_typeEbEEZZNS1_14partition_implILS5_8ELb0ES3_jPKS7_PS8_PKS8_NS0_5tupleIJPS7_S8_EEENSG_IJSD_SD_EEENS0_18inequality_wrapperIN6hipcub16HIPCUB_304000_NS8EqualityEEEPlJS8_EEE10hipError_tPvRmT3_T4_T5_T6_T7_T9_mT8_P12ihipStream_tbDpT10_ENKUlT_T0_E_clISt17integral_constantIbLb0EES18_IbLb1EEEEDaS14_S15_EUlS14_E_NS1_11comp_targetILNS1_3genE5ELNS1_11target_archE942ELNS1_3gpuE9ELNS1_3repE0EEENS1_30default_config_static_selectorELNS0_4arch9wavefront6targetE1EEEvT1_
	.p2align	8
	.type	_ZN7rocprim17ROCPRIM_400000_NS6detail17trampoline_kernelINS0_14default_configENS1_25partition_config_selectorILNS1_17partition_subalgoE8EN3c108BFloat16ENS0_10empty_typeEbEEZZNS1_14partition_implILS5_8ELb0ES3_jPKS7_PS8_PKS8_NS0_5tupleIJPS7_S8_EEENSG_IJSD_SD_EEENS0_18inequality_wrapperIN6hipcub16HIPCUB_304000_NS8EqualityEEEPlJS8_EEE10hipError_tPvRmT3_T4_T5_T6_T7_T9_mT8_P12ihipStream_tbDpT10_ENKUlT_T0_E_clISt17integral_constantIbLb0EES18_IbLb1EEEEDaS14_S15_EUlS14_E_NS1_11comp_targetILNS1_3genE5ELNS1_11target_archE942ELNS1_3gpuE9ELNS1_3repE0EEENS1_30default_config_static_selectorELNS0_4arch9wavefront6targetE1EEEvT1_,@function
_ZN7rocprim17ROCPRIM_400000_NS6detail17trampoline_kernelINS0_14default_configENS1_25partition_config_selectorILNS1_17partition_subalgoE8EN3c108BFloat16ENS0_10empty_typeEbEEZZNS1_14partition_implILS5_8ELb0ES3_jPKS7_PS8_PKS8_NS0_5tupleIJPS7_S8_EEENSG_IJSD_SD_EEENS0_18inequality_wrapperIN6hipcub16HIPCUB_304000_NS8EqualityEEEPlJS8_EEE10hipError_tPvRmT3_T4_T5_T6_T7_T9_mT8_P12ihipStream_tbDpT10_ENKUlT_T0_E_clISt17integral_constantIbLb0EES18_IbLb1EEEEDaS14_S15_EUlS14_E_NS1_11comp_targetILNS1_3genE5ELNS1_11target_archE942ELNS1_3gpuE9ELNS1_3repE0EEENS1_30default_config_static_selectorELNS0_4arch9wavefront6targetE1EEEvT1_: ; @_ZN7rocprim17ROCPRIM_400000_NS6detail17trampoline_kernelINS0_14default_configENS1_25partition_config_selectorILNS1_17partition_subalgoE8EN3c108BFloat16ENS0_10empty_typeEbEEZZNS1_14partition_implILS5_8ELb0ES3_jPKS7_PS8_PKS8_NS0_5tupleIJPS7_S8_EEENSG_IJSD_SD_EEENS0_18inequality_wrapperIN6hipcub16HIPCUB_304000_NS8EqualityEEEPlJS8_EEE10hipError_tPvRmT3_T4_T5_T6_T7_T9_mT8_P12ihipStream_tbDpT10_ENKUlT_T0_E_clISt17integral_constantIbLb0EES18_IbLb1EEEEDaS14_S15_EUlS14_E_NS1_11comp_targetILNS1_3genE5ELNS1_11target_archE942ELNS1_3gpuE9ELNS1_3repE0EEENS1_30default_config_static_selectorELNS0_4arch9wavefront6targetE1EEEvT1_
; %bb.0:
	s_load_dwordx4 s[20:23], s[0:1], 0x40
	s_load_dwordx2 s[8:9], s[0:1], 0x50
	s_load_dwordx2 s[28:29], s[0:1], 0x60
	v_cmp_ne_u32_e64 s[2:3], 0, v0
	v_cmp_eq_u32_e64 s[18:19], 0, v0
	s_and_saveexec_b64 s[4:5], s[18:19]
	s_cbranch_execz .LBB849_4
; %bb.1:
	s_mov_b64 s[10:11], exec
	v_mbcnt_lo_u32_b32 v1, s10, 0
	v_mbcnt_hi_u32_b32 v1, s11, v1
	v_cmp_eq_u32_e32 vcc, 0, v1
                                        ; implicit-def: $vgpr2
	s_and_saveexec_b64 s[6:7], vcc
	s_cbranch_execz .LBB849_3
; %bb.2:
	s_load_dwordx2 s[12:13], s[0:1], 0x70
	s_bcnt1_i32_b64 s10, s[10:11]
	v_mov_b32_e32 v2, 0
	v_mov_b32_e32 v3, s10
	s_waitcnt lgkmcnt(0)
	global_atomic_add v2, v2, v3, s[12:13] sc0
.LBB849_3:
	s_or_b64 exec, exec, s[6:7]
	s_waitcnt vmcnt(0)
	v_readfirstlane_b32 s6, v2
	v_mov_b32_e32 v2, 0
	s_nop 0
	v_add_u32_e32 v1, s6, v1
	ds_write_b32 v2, v1
.LBB849_4:
	s_or_b64 exec, exec, s[4:5]
	v_mov_b32_e32 v3, 0
	s_load_dwordx4 s[4:7], s[0:1], 0x8
	s_load_dwordx2 s[24:25], s[0:1], 0x28
	s_load_dword s10, s[0:1], 0x68
	s_waitcnt lgkmcnt(0)
	s_barrier
	ds_read_b32 v1, v3
	s_waitcnt lgkmcnt(0)
	s_barrier
	global_load_dwordx2 v[8:9], v3, s[22:23]
	s_lshl_b64 s[0:1], s[6:7], 1
	s_add_u32 s4, s4, s0
	s_movk_i32 s0, 0x3c00
	v_mul_lo_u32 v2, v1, s0
	s_mul_i32 s0, s10, 0x3c00
	s_addc_u32 s5, s5, s1
	s_add_i32 s1, s0, s6
	v_mov_b32_e32 v5, s9
	s_add_i32 s9, s10, -1
	s_sub_i32 s12, s8, s1
	s_add_u32 s0, s6, s0
	v_readfirstlane_b32 s33, v1
	s_addc_u32 s1, s7, 0
	v_mov_b32_e32 v4, s8
	s_cmp_eq_u32 s33, s9
	v_cmp_ge_u64_e32 vcc, s[0:1], v[4:5]
	s_cselect_b64 s[22:23], -1, 0
	s_and_b64 s[8:9], vcc, s[22:23]
	s_xor_b64 s[26:27], s[8:9], -1
	v_lshlrev_b64 v[4:5], 1, v[2:3]
	s_mov_b64 s[0:1], -1
	v_lshl_add_u64 v[18:19], s[4:5], 0, v[4:5]
	s_and_b64 vcc, exec, s[26:27]
	s_cbranch_vccz .LBB849_6
; %bb.5:
	v_lshlrev_b32_e32 v2, 1, v0
	v_lshl_add_u64 v[4:5], v[18:19], 0, v[2:3]
	v_add_co_u32_e32 v6, vcc, 0x1000, v4
	v_readfirstlane_b32 s0, v18
	s_nop 0
	v_addc_co_u32_e32 v7, vcc, 0, v5, vcc
	v_add_co_u32_e32 v10, vcc, 0x2000, v4
	v_readfirstlane_b32 s1, v19
	s_nop 0
	v_addc_co_u32_e32 v11, vcc, 0, v5, vcc
	s_nop 2
	global_load_ushort v1, v2, s[0:1]
	global_load_ushort v3, v2, s[0:1] offset:1024
	global_load_ushort v12, v2, s[0:1] offset:2048
	;; [unrolled: 1-line block ×3, first 2 shown]
	global_load_ushort v14, v[6:7], off
	global_load_ushort v15, v[6:7], off offset:1024
	global_load_ushort v16, v[6:7], off offset:2048
	global_load_ushort v17, v[6:7], off offset:3072
	global_load_ushort v20, v[10:11], off
	global_load_ushort v21, v[10:11], off offset:1024
	global_load_ushort v22, v[10:11], off offset:2048
	global_load_ushort v23, v[10:11], off offset:3072
	v_add_co_u32_e32 v6, vcc, 0x3000, v4
	s_mov_b64 s[0:1], 0
	s_nop 0
	v_addc_co_u32_e32 v7, vcc, 0, v5, vcc
	v_add_co_u32_e32 v10, vcc, 0x4000, v4
	s_nop 1
	v_addc_co_u32_e32 v11, vcc, 0, v5, vcc
	global_load_ushort v24, v[6:7], off
	global_load_ushort v25, v[6:7], off offset:1024
	global_load_ushort v26, v[6:7], off offset:2048
	;; [unrolled: 1-line block ×3, first 2 shown]
	global_load_ushort v28, v[10:11], off
	global_load_ushort v29, v[10:11], off offset:1024
	global_load_ushort v30, v[10:11], off offset:2048
	;; [unrolled: 1-line block ×3, first 2 shown]
	v_add_co_u32_e32 v6, vcc, 0x5000, v4
	s_nop 1
	v_addc_co_u32_e32 v7, vcc, 0, v5, vcc
	v_add_co_u32_e32 v10, vcc, 0x6000, v4
	s_nop 1
	v_addc_co_u32_e32 v11, vcc, 0, v5, vcc
	v_add_co_u32_e32 v4, vcc, 0x7000, v4
	global_load_ushort v32, v[6:7], off
	global_load_ushort v33, v[6:7], off offset:1024
	global_load_ushort v34, v[6:7], off offset:2048
	;; [unrolled: 1-line block ×3, first 2 shown]
	global_load_ushort v36, v[10:11], off
	global_load_ushort v37, v[10:11], off offset:1024
	global_load_ushort v38, v[10:11], off offset:2048
	;; [unrolled: 1-line block ×3, first 2 shown]
	v_addc_co_u32_e32 v5, vcc, 0, v5, vcc
	global_load_ushort v6, v[4:5], off
	global_load_ushort v7, v[4:5], off offset:1024
	s_waitcnt vmcnt(29)
	ds_write_b16 v2, v1
	s_waitcnt vmcnt(28)
	ds_write_b16 v2, v3 offset:1024
	s_waitcnt vmcnt(27)
	ds_write_b16 v2, v12 offset:2048
	;; [unrolled: 2-line block ×29, first 2 shown]
	s_waitcnt lgkmcnt(0)
	s_barrier
.LBB849_6:
	s_andn2_b64 vcc, exec, s[0:1]
	s_addk_i32 s12, 0x3c00
	s_cbranch_vccnz .LBB849_68
; %bb.7:
	v_cmp_gt_u32_e32 vcc, s12, v0
                                        ; implicit-def: $vgpr1
	s_and_saveexec_b64 s[0:1], vcc
	s_cbranch_execz .LBB849_9
; %bb.8:
	v_lshlrev_b32_e32 v1, 1, v0
	v_readfirstlane_b32 s4, v18
	v_readfirstlane_b32 s5, v19
	s_nop 4
	global_load_ushort v1, v1, s[4:5]
.LBB849_9:
	s_or_b64 exec, exec, s[0:1]
	v_or_b32_e32 v2, 0x200, v0
	v_cmp_gt_u32_e32 vcc, s12, v2
                                        ; implicit-def: $vgpr2
	s_and_saveexec_b64 s[0:1], vcc
	s_cbranch_execz .LBB849_11
; %bb.10:
	v_lshlrev_b32_e32 v2, 1, v0
	v_readfirstlane_b32 s4, v18
	v_readfirstlane_b32 s5, v19
	s_nop 4
	global_load_ushort v2, v2, s[4:5] offset:1024
.LBB849_11:
	s_or_b64 exec, exec, s[0:1]
	v_or_b32_e32 v3, 0x400, v0
	v_cmp_gt_u32_e32 vcc, s12, v3
                                        ; implicit-def: $vgpr3
	s_and_saveexec_b64 s[0:1], vcc
	s_cbranch_execz .LBB849_13
; %bb.12:
	v_lshlrev_b32_e32 v3, 1, v0
	v_readfirstlane_b32 s4, v18
	v_readfirstlane_b32 s5, v19
	s_nop 4
	global_load_ushort v3, v3, s[4:5] offset:2048
.LBB849_13:
	s_or_b64 exec, exec, s[0:1]
	v_or_b32_e32 v4, 0x600, v0
	v_cmp_gt_u32_e32 vcc, s12, v4
                                        ; implicit-def: $vgpr4
	s_and_saveexec_b64 s[0:1], vcc
	s_cbranch_execz .LBB849_15
; %bb.14:
	v_lshlrev_b32_e32 v4, 1, v0
	v_readfirstlane_b32 s4, v18
	v_readfirstlane_b32 s5, v19
	s_nop 4
	global_load_ushort v4, v4, s[4:5] offset:3072
.LBB849_15:
	s_or_b64 exec, exec, s[0:1]
	v_or_b32_e32 v6, 0x800, v0
	v_cmp_gt_u32_e32 vcc, s12, v6
                                        ; implicit-def: $vgpr5
	s_and_saveexec_b64 s[0:1], vcc
	s_cbranch_execz .LBB849_17
; %bb.16:
	v_lshlrev_b32_e32 v5, 1, v6
	v_readfirstlane_b32 s4, v18
	v_readfirstlane_b32 s5, v19
	s_nop 4
	global_load_ushort v5, v5, s[4:5]
.LBB849_17:
	s_or_b64 exec, exec, s[0:1]
	v_or_b32_e32 v7, 0xa00, v0
	v_cmp_gt_u32_e32 vcc, s12, v7
                                        ; implicit-def: $vgpr6
	s_and_saveexec_b64 s[0:1], vcc
	s_cbranch_execz .LBB849_19
; %bb.18:
	v_lshlrev_b32_e32 v6, 1, v7
	v_readfirstlane_b32 s4, v18
	v_readfirstlane_b32 s5, v19
	s_nop 4
	global_load_ushort v6, v6, s[4:5]
.LBB849_19:
	s_or_b64 exec, exec, s[0:1]
	v_or_b32_e32 v10, 0xc00, v0
	v_cmp_gt_u32_e32 vcc, s12, v10
                                        ; implicit-def: $vgpr7
	s_and_saveexec_b64 s[0:1], vcc
	s_cbranch_execz .LBB849_21
; %bb.20:
	v_lshlrev_b32_e32 v7, 1, v10
	v_readfirstlane_b32 s4, v18
	v_readfirstlane_b32 s5, v19
	s_nop 4
	global_load_ushort v7, v7, s[4:5]
.LBB849_21:
	s_or_b64 exec, exec, s[0:1]
	v_or_b32_e32 v11, 0xe00, v0
	v_cmp_gt_u32_e32 vcc, s12, v11
                                        ; implicit-def: $vgpr10
	s_and_saveexec_b64 s[0:1], vcc
	s_cbranch_execz .LBB849_23
; %bb.22:
	v_lshlrev_b32_e32 v10, 1, v11
	v_readfirstlane_b32 s4, v18
	v_readfirstlane_b32 s5, v19
	s_nop 4
	global_load_ushort v10, v10, s[4:5]
.LBB849_23:
	s_or_b64 exec, exec, s[0:1]
	v_or_b32_e32 v12, 0x1000, v0
	v_cmp_gt_u32_e32 vcc, s12, v12
                                        ; implicit-def: $vgpr11
	s_and_saveexec_b64 s[0:1], vcc
	s_cbranch_execz .LBB849_25
; %bb.24:
	v_lshlrev_b32_e32 v11, 1, v12
	v_readfirstlane_b32 s4, v18
	v_readfirstlane_b32 s5, v19
	s_nop 4
	global_load_ushort v11, v11, s[4:5]
.LBB849_25:
	s_or_b64 exec, exec, s[0:1]
	v_or_b32_e32 v13, 0x1200, v0
	v_cmp_gt_u32_e32 vcc, s12, v13
                                        ; implicit-def: $vgpr12
	s_and_saveexec_b64 s[0:1], vcc
	s_cbranch_execz .LBB849_27
; %bb.26:
	v_lshlrev_b32_e32 v12, 1, v13
	v_readfirstlane_b32 s4, v18
	v_readfirstlane_b32 s5, v19
	s_nop 4
	global_load_ushort v12, v12, s[4:5]
.LBB849_27:
	s_or_b64 exec, exec, s[0:1]
	v_or_b32_e32 v14, 0x1400, v0
	v_cmp_gt_u32_e32 vcc, s12, v14
                                        ; implicit-def: $vgpr13
	s_and_saveexec_b64 s[0:1], vcc
	s_cbranch_execz .LBB849_29
; %bb.28:
	v_lshlrev_b32_e32 v13, 1, v14
	v_readfirstlane_b32 s4, v18
	v_readfirstlane_b32 s5, v19
	s_nop 4
	global_load_ushort v13, v13, s[4:5]
.LBB849_29:
	s_or_b64 exec, exec, s[0:1]
	v_or_b32_e32 v15, 0x1600, v0
	v_cmp_gt_u32_e32 vcc, s12, v15
                                        ; implicit-def: $vgpr14
	s_and_saveexec_b64 s[0:1], vcc
	s_cbranch_execz .LBB849_31
; %bb.30:
	v_lshlrev_b32_e32 v14, 1, v15
	v_readfirstlane_b32 s4, v18
	v_readfirstlane_b32 s5, v19
	s_nop 4
	global_load_ushort v14, v14, s[4:5]
.LBB849_31:
	s_or_b64 exec, exec, s[0:1]
	v_or_b32_e32 v16, 0x1800, v0
	v_cmp_gt_u32_e32 vcc, s12, v16
                                        ; implicit-def: $vgpr15
	s_and_saveexec_b64 s[0:1], vcc
	s_cbranch_execz .LBB849_33
; %bb.32:
	v_lshlrev_b32_e32 v15, 1, v16
	v_readfirstlane_b32 s4, v18
	v_readfirstlane_b32 s5, v19
	s_nop 4
	global_load_ushort v15, v15, s[4:5]
.LBB849_33:
	s_or_b64 exec, exec, s[0:1]
	v_or_b32_e32 v17, 0x1a00, v0
	v_cmp_gt_u32_e32 vcc, s12, v17
                                        ; implicit-def: $vgpr16
	s_and_saveexec_b64 s[0:1], vcc
	s_cbranch_execz .LBB849_35
; %bb.34:
	v_lshlrev_b32_e32 v16, 1, v17
	v_readfirstlane_b32 s4, v18
	v_readfirstlane_b32 s5, v19
	s_nop 4
	global_load_ushort v16, v16, s[4:5]
.LBB849_35:
	s_or_b64 exec, exec, s[0:1]
	v_or_b32_e32 v20, 0x1c00, v0
	v_cmp_gt_u32_e32 vcc, s12, v20
                                        ; implicit-def: $vgpr17
	s_and_saveexec_b64 s[0:1], vcc
	s_cbranch_execz .LBB849_37
; %bb.36:
	v_lshlrev_b32_e32 v17, 1, v20
	v_readfirstlane_b32 s4, v18
	v_readfirstlane_b32 s5, v19
	s_nop 4
	global_load_ushort v17, v17, s[4:5]
.LBB849_37:
	s_or_b64 exec, exec, s[0:1]
	v_or_b32_e32 v21, 0x1e00, v0
	v_cmp_gt_u32_e32 vcc, s12, v21
                                        ; implicit-def: $vgpr20
	s_and_saveexec_b64 s[0:1], vcc
	s_cbranch_execz .LBB849_39
; %bb.38:
	v_lshlrev_b32_e32 v20, 1, v21
	v_readfirstlane_b32 s4, v18
	v_readfirstlane_b32 s5, v19
	s_nop 4
	global_load_ushort v20, v20, s[4:5]
.LBB849_39:
	s_or_b64 exec, exec, s[0:1]
	v_or_b32_e32 v22, 0x2000, v0
	v_cmp_gt_u32_e32 vcc, s12, v22
                                        ; implicit-def: $vgpr21
	s_and_saveexec_b64 s[0:1], vcc
	s_cbranch_execz .LBB849_41
; %bb.40:
	v_lshlrev_b32_e32 v21, 1, v22
	v_readfirstlane_b32 s4, v18
	v_readfirstlane_b32 s5, v19
	s_nop 4
	global_load_ushort v21, v21, s[4:5]
.LBB849_41:
	s_or_b64 exec, exec, s[0:1]
	v_or_b32_e32 v23, 0x2200, v0
	v_cmp_gt_u32_e32 vcc, s12, v23
                                        ; implicit-def: $vgpr22
	s_and_saveexec_b64 s[0:1], vcc
	s_cbranch_execz .LBB849_43
; %bb.42:
	v_lshlrev_b32_e32 v22, 1, v23
	v_readfirstlane_b32 s4, v18
	v_readfirstlane_b32 s5, v19
	s_nop 4
	global_load_ushort v22, v22, s[4:5]
.LBB849_43:
	s_or_b64 exec, exec, s[0:1]
	v_or_b32_e32 v24, 0x2400, v0
	v_cmp_gt_u32_e32 vcc, s12, v24
                                        ; implicit-def: $vgpr23
	s_and_saveexec_b64 s[0:1], vcc
	s_cbranch_execz .LBB849_45
; %bb.44:
	v_lshlrev_b32_e32 v23, 1, v24
	v_readfirstlane_b32 s4, v18
	v_readfirstlane_b32 s5, v19
	s_nop 4
	global_load_ushort v23, v23, s[4:5]
.LBB849_45:
	s_or_b64 exec, exec, s[0:1]
	v_or_b32_e32 v25, 0x2600, v0
	v_cmp_gt_u32_e32 vcc, s12, v25
                                        ; implicit-def: $vgpr24
	s_and_saveexec_b64 s[0:1], vcc
	s_cbranch_execz .LBB849_47
; %bb.46:
	v_lshlrev_b32_e32 v24, 1, v25
	v_readfirstlane_b32 s4, v18
	v_readfirstlane_b32 s5, v19
	s_nop 4
	global_load_ushort v24, v24, s[4:5]
.LBB849_47:
	s_or_b64 exec, exec, s[0:1]
	v_or_b32_e32 v26, 0x2800, v0
	v_cmp_gt_u32_e32 vcc, s12, v26
                                        ; implicit-def: $vgpr25
	s_and_saveexec_b64 s[0:1], vcc
	s_cbranch_execz .LBB849_49
; %bb.48:
	v_lshlrev_b32_e32 v25, 1, v26
	v_readfirstlane_b32 s4, v18
	v_readfirstlane_b32 s5, v19
	s_nop 4
	global_load_ushort v25, v25, s[4:5]
.LBB849_49:
	s_or_b64 exec, exec, s[0:1]
	v_or_b32_e32 v27, 0x2a00, v0
	v_cmp_gt_u32_e32 vcc, s12, v27
                                        ; implicit-def: $vgpr26
	s_and_saveexec_b64 s[0:1], vcc
	s_cbranch_execz .LBB849_51
; %bb.50:
	v_lshlrev_b32_e32 v26, 1, v27
	v_readfirstlane_b32 s4, v18
	v_readfirstlane_b32 s5, v19
	s_nop 4
	global_load_ushort v26, v26, s[4:5]
.LBB849_51:
	s_or_b64 exec, exec, s[0:1]
	v_or_b32_e32 v28, 0x2c00, v0
	v_cmp_gt_u32_e32 vcc, s12, v28
                                        ; implicit-def: $vgpr27
	s_and_saveexec_b64 s[0:1], vcc
	s_cbranch_execz .LBB849_53
; %bb.52:
	v_lshlrev_b32_e32 v27, 1, v28
	v_readfirstlane_b32 s4, v18
	v_readfirstlane_b32 s5, v19
	s_nop 4
	global_load_ushort v27, v27, s[4:5]
.LBB849_53:
	s_or_b64 exec, exec, s[0:1]
	v_or_b32_e32 v29, 0x2e00, v0
	v_cmp_gt_u32_e32 vcc, s12, v29
                                        ; implicit-def: $vgpr28
	s_and_saveexec_b64 s[0:1], vcc
	s_cbranch_execz .LBB849_55
; %bb.54:
	v_lshlrev_b32_e32 v28, 1, v29
	v_readfirstlane_b32 s4, v18
	v_readfirstlane_b32 s5, v19
	s_nop 4
	global_load_ushort v28, v28, s[4:5]
.LBB849_55:
	s_or_b64 exec, exec, s[0:1]
	v_or_b32_e32 v30, 0x3000, v0
	v_cmp_gt_u32_e32 vcc, s12, v30
                                        ; implicit-def: $vgpr29
	s_and_saveexec_b64 s[0:1], vcc
	s_cbranch_execz .LBB849_57
; %bb.56:
	v_lshlrev_b32_e32 v29, 1, v30
	v_readfirstlane_b32 s4, v18
	v_readfirstlane_b32 s5, v19
	s_nop 4
	global_load_ushort v29, v29, s[4:5]
.LBB849_57:
	s_or_b64 exec, exec, s[0:1]
	v_or_b32_e32 v31, 0x3200, v0
	v_cmp_gt_u32_e32 vcc, s12, v31
                                        ; implicit-def: $vgpr30
	s_and_saveexec_b64 s[0:1], vcc
	s_cbranch_execz .LBB849_59
; %bb.58:
	v_lshlrev_b32_e32 v30, 1, v31
	v_readfirstlane_b32 s4, v18
	v_readfirstlane_b32 s5, v19
	s_nop 4
	global_load_ushort v30, v30, s[4:5]
.LBB849_59:
	s_or_b64 exec, exec, s[0:1]
	v_or_b32_e32 v32, 0x3400, v0
	v_cmp_gt_u32_e32 vcc, s12, v32
                                        ; implicit-def: $vgpr31
	s_and_saveexec_b64 s[0:1], vcc
	s_cbranch_execz .LBB849_61
; %bb.60:
	v_lshlrev_b32_e32 v31, 1, v32
	v_readfirstlane_b32 s4, v18
	v_readfirstlane_b32 s5, v19
	s_nop 4
	global_load_ushort v31, v31, s[4:5]
.LBB849_61:
	s_or_b64 exec, exec, s[0:1]
	v_or_b32_e32 v33, 0x3600, v0
	v_cmp_gt_u32_e32 vcc, s12, v33
                                        ; implicit-def: $vgpr32
	s_and_saveexec_b64 s[0:1], vcc
	s_cbranch_execz .LBB849_63
; %bb.62:
	v_lshlrev_b32_e32 v32, 1, v33
	v_readfirstlane_b32 s4, v18
	v_readfirstlane_b32 s5, v19
	s_nop 4
	global_load_ushort v32, v32, s[4:5]
.LBB849_63:
	s_or_b64 exec, exec, s[0:1]
	v_or_b32_e32 v34, 0x3800, v0
	v_cmp_gt_u32_e32 vcc, s12, v34
                                        ; implicit-def: $vgpr33
	s_and_saveexec_b64 s[0:1], vcc
	s_cbranch_execz .LBB849_65
; %bb.64:
	v_lshlrev_b32_e32 v33, 1, v34
	v_readfirstlane_b32 s4, v18
	v_readfirstlane_b32 s5, v19
	s_nop 4
	global_load_ushort v33, v33, s[4:5]
.LBB849_65:
	s_or_b64 exec, exec, s[0:1]
	v_or_b32_e32 v35, 0x3a00, v0
	v_cmp_gt_u32_e32 vcc, s12, v35
                                        ; implicit-def: $vgpr34
	s_and_saveexec_b64 s[0:1], vcc
	s_cbranch_execz .LBB849_67
; %bb.66:
	v_lshlrev_b32_e32 v34, 1, v35
	v_readfirstlane_b32 s4, v18
	v_readfirstlane_b32 s5, v19
	s_nop 4
	global_load_ushort v34, v34, s[4:5]
.LBB849_67:
	s_or_b64 exec, exec, s[0:1]
	v_lshlrev_b32_e32 v35, 1, v0
	s_waitcnt vmcnt(0)
	ds_write_b16 v35, v1
	ds_write_b16 v35, v2 offset:1024
	ds_write_b16 v35, v3 offset:2048
	;; [unrolled: 1-line block ×29, first 2 shown]
	s_waitcnt lgkmcnt(0)
	s_barrier
.LBB849_68:
	v_mul_u32_u24_e32 v28, 30, v0
	v_lshlrev_b32_e32 v50, 1, v28
	ds_read2_b32 v[16:17], v50 offset1:1
	ds_read2_b32 v[14:15], v50 offset0:2 offset1:3
	ds_read2_b32 v[12:13], v50 offset0:4 offset1:5
	ds_read2_b32 v[10:11], v50 offset0:6 offset1:7
	ds_read_b32 v1, v50 offset:56
	ds_read2_b32 v[2:3], v50 offset0:12 offset1:13
	ds_read2_b32 v[4:5], v50 offset0:10 offset1:11
	;; [unrolled: 1-line block ×3, first 2 shown]
	s_cmp_lg_u32 s33, 0
	s_cselect_b64 s[16:17], -1, 0
	s_cmp_lg_u64 s[6:7], 0
	s_cselect_b64 s[0:1], -1, 0
	s_or_b64 s[0:1], s[0:1], s[16:17]
	v_mad_u32_u24 v20, v0, 30, 29
	v_mad_u32_u24 v21, v0, 30, 28
	;; [unrolled: 1-line block ×8, first 2 shown]
	v_or_b32_e32 v48, 1, v28
	v_mad_u32_u24 v49, v0, 30, 2
	v_mad_u32_u24 v47, v0, 30, 3
	;; [unrolled: 1-line block ×20, first 2 shown]
	s_mov_b64 s[10:11], 0
	s_and_b64 vcc, exec, s[0:1]
	s_waitcnt lgkmcnt(0)
	s_barrier
	s_cbranch_vccz .LBB849_73
; %bb.69:
	global_load_ushort v18, v[18:19], off offset:-2
	v_lshlrev_b32_e32 v19, 1, v0
	s_and_b64 vcc, exec, s[26:27]
	ds_write_b16_d16_hi v19, v1
	s_cbranch_vccz .LBB849_75
; %bb.70:
	s_waitcnt vmcnt(0)
	v_mov_b32_e32 v51, v18
	s_waitcnt lgkmcnt(0)
	s_barrier
	s_and_saveexec_b64 s[0:1], s[2:3]
	s_cbranch_execz .LBB849_72
; %bb.71:
	v_add_u32_e32 v51, -2, v19
	ds_read_u16 v51, v51
.LBB849_72:
	s_or_b64 exec, exec, s[0:1]
	v_and_b32_e32 v52, 0xffff0000, v1
	v_lshlrev_b32_e32 v53, 16, v1
	v_cmp_neq_f32_e32 vcc, v53, v52
	v_and_b32_e32 v52, 0xffff0000, v3
	v_lshlrev_b32_e32 v54, 16, v3
	v_cndmask_b32_e64 v84, 0, 1, vcc
	v_cmp_neq_f32_e32 vcc, v52, v53
	v_lshlrev_b32_e32 v53, 16, v2
	s_waitcnt lgkmcnt(0)
	v_lshlrev_b32_e32 v51, 16, v51
	v_cndmask_b32_e64 v85, 0, 1, vcc
	v_cmp_neq_f32_e32 vcc, v54, v52
	v_and_b32_e32 v52, 0xffff0000, v2
	s_nop 0
	v_cndmask_b32_e64 v86, 0, 1, vcc
	v_cmp_neq_f32_e32 vcc, v52, v54
	v_lshlrev_b32_e32 v54, 16, v5
	s_nop 0
	v_cndmask_b32_e64 v87, 0, 1, vcc
	v_cmp_neq_f32_e32 vcc, v53, v52
	v_and_b32_e32 v52, 0xffff0000, v5
	s_nop 0
	v_cndmask_b32_e64 v88, 0, 1, vcc
	v_cmp_neq_f32_e32 vcc, v52, v53
	v_lshlrev_b32_e32 v53, 16, v4
	s_nop 0
	;; [unrolled: 8-line block ×11, first 2 shown]
	v_cndmask_b32_e64 v107, 0, 1, vcc
	v_cmp_neq_f32_e32 vcc, v53, v52
	v_and_b32_e32 v52, 0xffff0000, v17
	s_nop 0
	v_cndmask_b32_e64 v108, 0, 1, vcc
	v_cmp_neq_f32_e32 vcc, v52, v53
	v_lshlrev_b32_e32 v53, 16, v16
	v_cmp_neq_f32_e64 s[0:1], v53, v51
	v_cndmask_b32_e64 v109, 0, 1, vcc
	v_cmp_neq_f32_e32 vcc, v54, v52
	v_and_b32_e32 v52, 0xffff0000, v16
	s_nop 0
	v_cndmask_b32_e64 v110, 0, 1, vcc
	v_cmp_neq_f32_e32 vcc, v52, v54
	s_nop 1
	v_cndmask_b32_e64 v111, 0, 1, vcc
	v_cmp_neq_f32_e32 vcc, v53, v52
	s_nop 1
	v_cndmask_b32_e64 v112, 0, 1, vcc
	s_branch .LBB849_79
.LBB849_73:
                                        ; implicit-def: $sgpr0_sgpr1
                                        ; implicit-def: $vgpr112
                                        ; implicit-def: $vgpr111
                                        ; implicit-def: $vgpr110
                                        ; implicit-def: $vgpr109
                                        ; implicit-def: $vgpr108
                                        ; implicit-def: $vgpr107
                                        ; implicit-def: $vgpr106
                                        ; implicit-def: $vgpr105
                                        ; implicit-def: $vgpr104
                                        ; implicit-def: $vgpr103
                                        ; implicit-def: $vgpr102
                                        ; implicit-def: $vgpr101
                                        ; implicit-def: $vgpr100
                                        ; implicit-def: $vgpr99
                                        ; implicit-def: $vgpr98
                                        ; implicit-def: $vgpr97
                                        ; implicit-def: $vgpr96
                                        ; implicit-def: $vgpr95
                                        ; implicit-def: $vgpr94
                                        ; implicit-def: $vgpr93
                                        ; implicit-def: $vgpr92
                                        ; implicit-def: $vgpr91
                                        ; implicit-def: $vgpr90
                                        ; implicit-def: $vgpr89
                                        ; implicit-def: $vgpr88
                                        ; implicit-def: $vgpr87
                                        ; implicit-def: $vgpr86
                                        ; implicit-def: $vgpr85
                                        ; implicit-def: $vgpr84
	s_branch .LBB849_80
.LBB849_74:
                                        ; implicit-def: $sgpr6
	s_branch .LBB849_88
.LBB849_75:
                                        ; implicit-def: $sgpr0_sgpr1
                                        ; implicit-def: $vgpr112
                                        ; implicit-def: $vgpr111
                                        ; implicit-def: $vgpr110
                                        ; implicit-def: $vgpr109
                                        ; implicit-def: $vgpr108
                                        ; implicit-def: $vgpr107
                                        ; implicit-def: $vgpr106
                                        ; implicit-def: $vgpr105
                                        ; implicit-def: $vgpr104
                                        ; implicit-def: $vgpr103
                                        ; implicit-def: $vgpr102
                                        ; implicit-def: $vgpr101
                                        ; implicit-def: $vgpr100
                                        ; implicit-def: $vgpr99
                                        ; implicit-def: $vgpr98
                                        ; implicit-def: $vgpr97
                                        ; implicit-def: $vgpr96
                                        ; implicit-def: $vgpr95
                                        ; implicit-def: $vgpr94
                                        ; implicit-def: $vgpr93
                                        ; implicit-def: $vgpr92
                                        ; implicit-def: $vgpr91
                                        ; implicit-def: $vgpr90
                                        ; implicit-def: $vgpr89
                                        ; implicit-def: $vgpr88
                                        ; implicit-def: $vgpr87
                                        ; implicit-def: $vgpr86
                                        ; implicit-def: $vgpr85
                                        ; implicit-def: $vgpr84
	s_cbranch_execz .LBB849_79
; %bb.76:
	s_waitcnt lgkmcnt(0)
	s_barrier
	s_and_saveexec_b64 s[0:1], s[2:3]
	s_cbranch_execz .LBB849_78
; %bb.77:
	s_waitcnt vmcnt(0)
	v_add_u32_e32 v18, -2, v19
	ds_read_u16 v18, v18
.LBB849_78:
	s_or_b64 exec, exec, s[0:1]
	v_and_b32_e32 v19, 0xffff0000, v1
	v_lshlrev_b32_e32 v51, 16, v1
	v_cmp_gt_u32_e32 vcc, s12, v20
	v_cmp_neq_f32_e64 s[0:1], v51, v19
	v_and_b32_e32 v19, 0xffff0000, v3
	s_and_b64 s[0:1], vcc, s[0:1]
	v_cmp_gt_u32_e32 vcc, s12, v21
	v_lshlrev_b32_e32 v52, 16, v3
	v_cmp_neq_f32_e64 s[4:5], v19, v51
	v_cndmask_b32_e64 v84, 0, 1, s[0:1]
	v_cmp_gt_u32_e64 s[0:1], s12, v22
	s_and_b64 s[4:5], vcc, s[4:5]
	v_cmp_neq_f32_e32 vcc, v52, v19
	v_and_b32_e32 v19, 0xffff0000, v2
	v_cndmask_b32_e64 v85, 0, 1, s[4:5]
	s_and_b64 s[0:1], s[0:1], vcc
	v_cmp_gt_u32_e32 vcc, s12, v23
	v_lshlrev_b32_e32 v51, 16, v2
	v_cmp_neq_f32_e64 s[4:5], v19, v52
	v_cndmask_b32_e64 v86, 0, 1, s[0:1]
	v_cmp_gt_u32_e64 s[0:1], s12, v24
	s_and_b64 s[4:5], vcc, s[4:5]
	v_cmp_neq_f32_e32 vcc, v51, v19
	v_and_b32_e32 v19, 0xffff0000, v5
	v_cndmask_b32_e64 v87, 0, 1, s[4:5]
	s_and_b64 s[0:1], s[0:1], vcc
	v_cmp_gt_u32_e32 vcc, s12, v25
	v_lshlrev_b32_e32 v52, 16, v5
	v_cmp_neq_f32_e64 s[4:5], v19, v51
	v_cndmask_b32_e64 v88, 0, 1, s[0:1]
	v_cmp_gt_u32_e64 s[0:1], s12, v26
	s_and_b64 s[4:5], vcc, s[4:5]
	v_cmp_neq_f32_e32 vcc, v52, v19
	v_and_b32_e32 v19, 0xffff0000, v4
	v_cndmask_b32_e64 v89, 0, 1, s[4:5]
	s_and_b64 s[0:1], s[0:1], vcc
	v_cmp_gt_u32_e32 vcc, s12, v27
	v_lshlrev_b32_e32 v51, 16, v4
	v_cmp_neq_f32_e64 s[4:5], v19, v52
	v_cndmask_b32_e64 v90, 0, 1, s[0:1]
	v_cmp_gt_u32_e64 s[0:1], s12, v31
	s_and_b64 s[4:5], vcc, s[4:5]
	v_cmp_neq_f32_e32 vcc, v51, v19
	v_and_b32_e32 v19, 0xffff0000, v7
	v_cndmask_b32_e64 v91, 0, 1, s[4:5]
	s_and_b64 s[0:1], s[0:1], vcc
	v_cmp_gt_u32_e32 vcc, s12, v34
	v_lshlrev_b32_e32 v52, 16, v7
	v_cmp_neq_f32_e64 s[4:5], v19, v51
	v_cndmask_b32_e64 v92, 0, 1, s[0:1]
	v_cmp_gt_u32_e64 s[0:1], s12, v37
	s_and_b64 s[4:5], vcc, s[4:5]
	v_cmp_neq_f32_e32 vcc, v52, v19
	v_and_b32_e32 v19, 0xffff0000, v6
	v_cndmask_b32_e64 v93, 0, 1, s[4:5]
	s_and_b64 s[0:1], s[0:1], vcc
	v_cmp_gt_u32_e32 vcc, s12, v41
	v_lshlrev_b32_e32 v51, 16, v6
	v_cmp_neq_f32_e64 s[4:5], v19, v52
	v_cndmask_b32_e64 v94, 0, 1, s[0:1]
	v_cmp_gt_u32_e64 s[0:1], s12, v30
	s_and_b64 s[4:5], vcc, s[4:5]
	v_cmp_neq_f32_e32 vcc, v51, v19
	v_and_b32_e32 v19, 0xffff0000, v11
	v_cndmask_b32_e64 v95, 0, 1, s[4:5]
	s_and_b64 s[0:1], s[0:1], vcc
	v_cmp_gt_u32_e32 vcc, s12, v33
	v_lshlrev_b32_e32 v52, 16, v11
	v_cmp_neq_f32_e64 s[4:5], v19, v51
	v_cndmask_b32_e64 v96, 0, 1, s[0:1]
	v_cmp_gt_u32_e64 s[0:1], s12, v36
	s_and_b64 s[4:5], vcc, s[4:5]
	v_cmp_neq_f32_e32 vcc, v52, v19
	v_and_b32_e32 v19, 0xffff0000, v10
	v_cndmask_b32_e64 v97, 0, 1, s[4:5]
	s_and_b64 s[0:1], s[0:1], vcc
	v_cmp_gt_u32_e32 vcc, s12, v40
	v_lshlrev_b32_e32 v51, 16, v10
	v_cmp_neq_f32_e64 s[4:5], v19, v52
	v_cndmask_b32_e64 v98, 0, 1, s[0:1]
	v_cmp_gt_u32_e64 s[0:1], s12, v29
	s_and_b64 s[4:5], vcc, s[4:5]
	v_cmp_neq_f32_e32 vcc, v51, v19
	v_and_b32_e32 v19, 0xffff0000, v13
	v_cndmask_b32_e64 v99, 0, 1, s[4:5]
	s_and_b64 s[0:1], s[0:1], vcc
	v_cmp_gt_u32_e32 vcc, s12, v32
	v_lshlrev_b32_e32 v52, 16, v13
	v_cmp_neq_f32_e64 s[4:5], v19, v51
	v_cndmask_b32_e64 v100, 0, 1, s[0:1]
	v_cmp_gt_u32_e64 s[0:1], s12, v35
	s_and_b64 s[4:5], vcc, s[4:5]
	v_cmp_neq_f32_e32 vcc, v52, v19
	v_and_b32_e32 v19, 0xffff0000, v12
	v_cndmask_b32_e64 v101, 0, 1, s[4:5]
	s_and_b64 s[0:1], s[0:1], vcc
	v_cmp_gt_u32_e32 vcc, s12, v39
	v_lshlrev_b32_e32 v51, 16, v12
	v_cmp_neq_f32_e64 s[4:5], v19, v52
	v_cndmask_b32_e64 v102, 0, 1, s[0:1]
	v_cmp_gt_u32_e64 s[0:1], s12, v38
	s_and_b64 s[4:5], vcc, s[4:5]
	v_cmp_neq_f32_e32 vcc, v51, v19
	v_and_b32_e32 v19, 0xffff0000, v15
	v_cndmask_b32_e64 v103, 0, 1, s[4:5]
	s_and_b64 s[0:1], s[0:1], vcc
	v_cmp_gt_u32_e32 vcc, s12, v42
	v_lshlrev_b32_e32 v52, 16, v15
	v_cmp_neq_f32_e64 s[4:5], v19, v51
	v_cndmask_b32_e64 v104, 0, 1, s[0:1]
	v_cmp_gt_u32_e64 s[0:1], s12, v43
	s_and_b64 s[4:5], vcc, s[4:5]
	v_cmp_neq_f32_e32 vcc, v52, v19
	v_and_b32_e32 v19, 0xffff0000, v14
	v_cndmask_b32_e64 v105, 0, 1, s[4:5]
	s_and_b64 s[0:1], s[0:1], vcc
	v_cmp_gt_u32_e32 vcc, s12, v45
	v_lshlrev_b32_e32 v51, 16, v14
	v_cmp_neq_f32_e64 s[4:5], v19, v52
	v_cndmask_b32_e64 v106, 0, 1, s[0:1]
	v_cmp_gt_u32_e64 s[0:1], s12, v44
	s_and_b64 s[4:5], vcc, s[4:5]
	v_cmp_neq_f32_e32 vcc, v51, v19
	v_and_b32_e32 v19, 0xffff0000, v17
	v_cndmask_b32_e64 v107, 0, 1, s[4:5]
	s_and_b64 s[0:1], s[0:1], vcc
	v_cmp_gt_u32_e32 vcc, s12, v46
	v_lshlrev_b32_e32 v52, 16, v17
	v_cmp_neq_f32_e64 s[4:5], v19, v51
	v_cndmask_b32_e64 v108, 0, 1, s[0:1]
	v_cmp_gt_u32_e64 s[0:1], s12, v47
	s_and_b64 s[4:5], vcc, s[4:5]
	v_cmp_neq_f32_e32 vcc, v52, v19
	v_and_b32_e32 v19, 0xffff0000, v16
	v_cndmask_b32_e64 v109, 0, 1, s[4:5]
	s_and_b64 s[0:1], s[0:1], vcc
	v_cmp_gt_u32_e32 vcc, s12, v49
	v_lshlrev_b32_e32 v51, 16, v16
	v_cmp_neq_f32_e64 s[4:5], v19, v52
	v_cndmask_b32_e64 v110, 0, 1, s[0:1]
	v_cmp_gt_u32_e64 s[0:1], s12, v48
	s_and_b64 s[4:5], vcc, s[4:5]
	v_cmp_neq_f32_e32 vcc, v51, v19
	s_and_b64 s[0:1], s[0:1], vcc
	s_waitcnt vmcnt(0) lgkmcnt(0)
	v_lshlrev_b32_e32 v18, 16, v18
	v_cndmask_b32_e64 v112, 0, 1, s[0:1]
	v_cmp_gt_u32_e32 vcc, s12, v28
	v_cmp_neq_f32_e64 s[0:1], v51, v18
	v_cndmask_b32_e64 v111, 0, 1, s[4:5]
	s_and_b64 s[0:1], vcc, s[0:1]
.LBB849_79:
	s_mov_b64 s[10:11], -1
	s_cbranch_execnz .LBB849_74
.LBB849_80:
	s_movk_i32 s0, 0xffc6
	s_waitcnt vmcnt(0)
	v_mad_i32_i24 v18, v0, s0, v50
	s_and_b64 vcc, exec, s[26:27]
	v_lshlrev_b32_e32 v63, 16, v1
	v_lshlrev_b32_e32 v62, 16, v3
	v_lshlrev_b32_e32 v61, 16, v2
	v_lshlrev_b32_e32 v60, 16, v5
	v_lshlrev_b32_e32 v59, 16, v4
	v_lshlrev_b32_e32 v58, 16, v7
	v_lshlrev_b32_e32 v57, 16, v6
	v_lshlrev_b32_e32 v56, 16, v11
	v_lshlrev_b32_e32 v55, 16, v10
	v_lshlrev_b32_e32 v54, 16, v13
	v_lshlrev_b32_e32 v53, 16, v12
	v_lshlrev_b32_e32 v52, 16, v15
	v_lshlrev_b32_e32 v51, 16, v14
	v_lshlrev_b32_e32 v50, 16, v17
	v_lshlrev_b32_e32 v19, 16, v16
	ds_write_b16_d16_hi v18, v1
	s_cbranch_vccz .LBB849_84
; %bb.81:
	v_and_b32_e32 v64, 0xffff0000, v1
	v_cmp_neq_f32_e32 vcc, v63, v64
	v_and_b32_e32 v64, 0xffff0000, v3
	s_waitcnt lgkmcnt(0)
	v_cndmask_b32_e64 v84, 0, 1, vcc
	v_cmp_neq_f32_e32 vcc, v64, v63
	s_barrier
	s_nop 0
	v_cndmask_b32_e64 v85, 0, 1, vcc
	v_cmp_neq_f32_e32 vcc, v62, v64
	v_and_b32_e32 v64, 0xffff0000, v2
                                        ; implicit-def: $sgpr0_sgpr1
	s_nop 0
	v_cndmask_b32_e64 v86, 0, 1, vcc
	v_cmp_neq_f32_e32 vcc, v64, v62
	s_nop 1
	v_cndmask_b32_e64 v87, 0, 1, vcc
	v_cmp_neq_f32_e32 vcc, v61, v64
	v_and_b32_e32 v64, 0xffff0000, v5
	s_nop 0
	v_cndmask_b32_e64 v88, 0, 1, vcc
	v_cmp_neq_f32_e32 vcc, v64, v61
	s_nop 1
	v_cndmask_b32_e64 v89, 0, 1, vcc
	v_cmp_neq_f32_e32 vcc, v60, v64
	v_and_b32_e32 v64, 0xffff0000, v4
	;; [unrolled: 7-line block ×12, first 2 shown]
	s_nop 0
	v_cndmask_b32_e64 v110, 0, 1, vcc
	v_cmp_neq_f32_e32 vcc, v64, v50
	s_nop 1
	v_cndmask_b32_e64 v111, 0, 1, vcc
	v_cmp_neq_f32_e32 vcc, v19, v64
	s_nop 1
	v_cndmask_b32_e64 v112, 0, 1, vcc
	s_and_saveexec_b64 s[4:5], s[2:3]
	s_xor_b64 s[4:5], exec, s[4:5]
	s_cbranch_execz .LBB849_83
; %bb.82:
	v_add_u32_e32 v64, -2, v18
	ds_read_u16 v64, v64
	s_or_b64 s[10:11], s[10:11], exec
	s_waitcnt lgkmcnt(0)
	v_lshlrev_b32_e32 v64, 16, v64
	v_cmp_neq_f32_e32 vcc, v19, v64
	s_and_b64 s[0:1], vcc, exec
.LBB849_83:
	s_or_b64 exec, exec, s[4:5]
	s_mov_b32 s6, 1
	s_branch .LBB849_88
.LBB849_84:
                                        ; implicit-def: $sgpr0_sgpr1
                                        ; implicit-def: $vgpr112
                                        ; implicit-def: $vgpr111
                                        ; implicit-def: $vgpr110
                                        ; implicit-def: $vgpr109
                                        ; implicit-def: $vgpr108
                                        ; implicit-def: $vgpr107
                                        ; implicit-def: $vgpr106
                                        ; implicit-def: $vgpr105
                                        ; implicit-def: $vgpr104
                                        ; implicit-def: $vgpr103
                                        ; implicit-def: $vgpr102
                                        ; implicit-def: $vgpr101
                                        ; implicit-def: $vgpr100
                                        ; implicit-def: $vgpr99
                                        ; implicit-def: $vgpr98
                                        ; implicit-def: $vgpr97
                                        ; implicit-def: $vgpr96
                                        ; implicit-def: $vgpr95
                                        ; implicit-def: $vgpr94
                                        ; implicit-def: $vgpr93
                                        ; implicit-def: $vgpr92
                                        ; implicit-def: $vgpr91
                                        ; implicit-def: $vgpr90
                                        ; implicit-def: $vgpr89
                                        ; implicit-def: $vgpr88
                                        ; implicit-def: $vgpr87
                                        ; implicit-def: $vgpr86
                                        ; implicit-def: $vgpr85
                                        ; implicit-def: $vgpr84
                                        ; implicit-def: $sgpr6
	s_cbranch_execz .LBB849_88
; %bb.85:
	v_and_b32_e32 v64, 0xffff0000, v1
	v_cmp_gt_u32_e32 vcc, s12, v20
	v_cmp_neq_f32_e64 s[0:1], v63, v64
	v_and_b32_e32 v64, 0xffff0000, v3
	s_and_b64 s[0:1], vcc, s[0:1]
	v_cmp_gt_u32_e32 vcc, s12, v21
	v_cmp_neq_f32_e64 s[4:5], v64, v63
	v_cndmask_b32_e64 v84, 0, 1, s[0:1]
	v_cmp_gt_u32_e64 s[0:1], s12, v22
	s_and_b64 s[4:5], vcc, s[4:5]
	v_cmp_neq_f32_e32 vcc, v62, v64
	v_and_b32_e32 v63, 0xffff0000, v2
	v_cndmask_b32_e64 v85, 0, 1, s[4:5]
	s_and_b64 s[0:1], s[0:1], vcc
	v_cmp_gt_u32_e32 vcc, s12, v23
	v_cmp_neq_f32_e64 s[4:5], v63, v62
	v_cndmask_b32_e64 v86, 0, 1, s[0:1]
	v_cmp_gt_u32_e64 s[0:1], s12, v24
	s_and_b64 s[4:5], vcc, s[4:5]
	v_cmp_neq_f32_e32 vcc, v61, v63
	v_and_b32_e32 v62, 0xffff0000, v5
	v_cndmask_b32_e64 v87, 0, 1, s[4:5]
	s_and_b64 s[0:1], s[0:1], vcc
	;; [unrolled: 9-line block ×13, first 2 shown]
	v_cmp_gt_u32_e32 vcc, s12, v49
	v_cmp_neq_f32_e64 s[4:5], v51, v50
	v_cndmask_b32_e64 v110, 0, 1, s[0:1]
	v_cmp_gt_u32_e64 s[0:1], s12, v48
	s_and_b64 s[4:5], vcc, s[4:5]
	v_cmp_neq_f32_e32 vcc, v19, v51
	s_and_b64 s[0:1], s[0:1], vcc
	v_cndmask_b32_e64 v111, 0, 1, s[4:5]
	v_cndmask_b32_e64 v112, 0, 1, s[0:1]
	s_waitcnt lgkmcnt(0)
	s_barrier
	s_waitcnt lgkmcnt(0)
                                        ; implicit-def: $sgpr0_sgpr1
	s_and_saveexec_b64 s[4:5], s[2:3]
	s_cbranch_execz .LBB849_87
; %bb.86:
	v_add_u32_e32 v18, -2, v18
	ds_read_u16 v18, v18
	v_cmp_gt_u32_e32 vcc, s12, v28
	s_or_b64 s[10:11], s[10:11], exec
	s_waitcnt lgkmcnt(0)
	v_lshlrev_b32_e32 v18, 16, v18
	v_cmp_neq_f32_e64 s[0:1], v19, v18
	s_and_b64 s[0:1], vcc, s[0:1]
	s_and_b64 s[0:1], s[0:1], exec
.LBB849_87:
	s_or_b64 exec, exec, s[4:5]
	s_mov_b32 s6, 1
.LBB849_88:
	v_mov_b32_e32 v113, s6
	s_and_saveexec_b64 s[2:3], s[10:11]
; %bb.89:
	v_cndmask_b32_e64 v113, 0, 1, s[0:1]
; %bb.90:
	s_or_b64 exec, exec, s[2:3]
	s_andn2_b64 vcc, exec, s[8:9]
	s_cbranch_vccnz .LBB849_92
; %bb.91:
	v_cmp_gt_u32_e32 vcc, s12, v28
	s_nop 1
	v_cndmask_b32_e32 v113, 0, v113, vcc
	v_cmp_gt_u32_e32 vcc, s12, v48
	s_nop 1
	v_cndmask_b32_e32 v112, 0, v112, vcc
	v_cmp_gt_u32_e32 vcc, s12, v49
	s_nop 1
	v_cndmask_b32_e32 v111, 0, v111, vcc
	v_cmp_gt_u32_e32 vcc, s12, v47
	s_nop 1
	v_cndmask_b32_e32 v110, 0, v110, vcc
	v_cmp_gt_u32_e32 vcc, s12, v46
	s_nop 1
	v_cndmask_b32_e32 v109, 0, v109, vcc
	v_cmp_gt_u32_e32 vcc, s12, v44
	s_nop 1
	v_cndmask_b32_e32 v108, 0, v108, vcc
	v_cmp_gt_u32_e32 vcc, s12, v45
	s_nop 1
	v_cndmask_b32_e32 v107, 0, v107, vcc
	v_cmp_gt_u32_e32 vcc, s12, v43
	s_nop 1
	v_cndmask_b32_e32 v106, 0, v106, vcc
	v_cmp_gt_u32_e32 vcc, s12, v42
	s_nop 1
	v_cndmask_b32_e32 v105, 0, v105, vcc
	v_cmp_gt_u32_e32 vcc, s12, v38
	s_nop 1
	v_cndmask_b32_e32 v104, 0, v104, vcc
	v_cmp_gt_u32_e32 vcc, s12, v39
	s_nop 1
	v_cndmask_b32_e32 v103, 0, v103, vcc
	v_cmp_gt_u32_e32 vcc, s12, v35
	s_nop 1
	v_cndmask_b32_e32 v102, 0, v102, vcc
	v_cmp_gt_u32_e32 vcc, s12, v32
	s_nop 1
	v_cndmask_b32_e32 v101, 0, v101, vcc
	v_cmp_gt_u32_e32 vcc, s12, v29
	s_nop 1
	v_cndmask_b32_e32 v100, 0, v100, vcc
	v_cmp_gt_u32_e32 vcc, s12, v40
	s_nop 1
	v_cndmask_b32_e32 v99, 0, v99, vcc
	v_cmp_gt_u32_e32 vcc, s12, v36
	s_nop 1
	v_cndmask_b32_e32 v98, 0, v98, vcc
	v_cmp_gt_u32_e32 vcc, s12, v33
	s_nop 1
	v_cndmask_b32_e32 v97, 0, v97, vcc
	v_cmp_gt_u32_e32 vcc, s12, v30
	s_nop 1
	v_cndmask_b32_e32 v96, 0, v96, vcc
	v_cmp_gt_u32_e32 vcc, s12, v41
	s_nop 1
	v_cndmask_b32_e32 v95, 0, v95, vcc
	v_cmp_gt_u32_e32 vcc, s12, v37
	s_nop 1
	v_cndmask_b32_e32 v94, 0, v94, vcc
	v_cmp_gt_u32_e32 vcc, s12, v34
	s_nop 1
	v_cndmask_b32_e32 v93, 0, v93, vcc
	v_cmp_gt_u32_e32 vcc, s12, v31
	s_nop 1
	v_cndmask_b32_e32 v92, 0, v92, vcc
	v_cmp_gt_u32_e32 vcc, s12, v27
	s_nop 1
	v_cndmask_b32_e32 v91, 0, v91, vcc
	v_cmp_gt_u32_e32 vcc, s12, v26
	s_nop 1
	v_cndmask_b32_e32 v90, 0, v90, vcc
	v_cmp_gt_u32_e32 vcc, s12, v25
	s_nop 1
	v_cndmask_b32_e32 v89, 0, v89, vcc
	v_cmp_gt_u32_e32 vcc, s12, v24
	s_nop 1
	v_cndmask_b32_e32 v88, 0, v88, vcc
	v_cmp_gt_u32_e32 vcc, s12, v23
	s_nop 1
	v_cndmask_b32_e32 v87, 0, v87, vcc
	v_cmp_gt_u32_e32 vcc, s12, v22
	s_nop 1
	v_cndmask_b32_e32 v86, 0, v86, vcc
	v_cmp_gt_u32_e32 vcc, s12, v21
	s_nop 1
	v_cndmask_b32_e32 v85, 0, v85, vcc
	v_cmp_gt_u32_e32 vcc, s12, v20
	s_nop 1
	v_cndmask_b32_e32 v84, 0, v84, vcc
.LBB849_92:
	v_and_b32_e32 v63, 0xff, v87
	v_and_b32_e32 v65, 0xff, v86
	s_waitcnt vmcnt(0)
	v_add_u32_sdwa v18, v85, v84 dst_sel:DWORD dst_unused:UNUSED_PAD src0_sel:BYTE_0 src1_sel:BYTE_0
	v_and_b32_e32 v59, 0xff, v89
	v_and_b32_e32 v61, 0xff, v88
	v_add3_u32 v18, v18, v65, v63
	v_and_b32_e32 v55, 0xff, v91
	v_and_b32_e32 v57, 0xff, v90
	v_add3_u32 v18, v18, v61, v59
	v_and_b32_e32 v51, 0xff, v93
	v_and_b32_e32 v53, 0xff, v92
	v_add3_u32 v18, v18, v57, v55
	v_and_b32_e32 v47, 0xff, v95
	v_and_b32_e32 v49, 0xff, v94
	v_add3_u32 v18, v18, v53, v51
	v_and_b32_e32 v44, 0xff, v97
	v_and_b32_e32 v45, 0xff, v96
	v_add3_u32 v18, v18, v49, v47
	v_and_b32_e32 v42, 0xff, v99
	v_and_b32_e32 v43, 0xff, v98
	v_add3_u32 v18, v18, v45, v44
	v_and_b32_e32 v40, 0xff, v101
	v_and_b32_e32 v41, 0xff, v100
	v_add3_u32 v18, v18, v43, v42
	v_and_b32_e32 v38, 0xff, v103
	v_and_b32_e32 v39, 0xff, v102
	v_add3_u32 v18, v18, v41, v40
	v_and_b32_e32 v36, 0xff, v105
	v_and_b32_e32 v37, 0xff, v104
	v_add3_u32 v18, v18, v39, v38
	v_and_b32_e32 v34, 0xff, v107
	v_and_b32_e32 v35, 0xff, v106
	v_add3_u32 v18, v18, v37, v36
	v_and_b32_e32 v32, 0xff, v109
	v_and_b32_e32 v33, 0xff, v108
	v_add3_u32 v18, v18, v35, v34
	v_and_b32_e32 v30, 0xff, v111
	v_and_b32_e32 v31, 0xff, v110
	v_add3_u32 v18, v18, v33, v32
	v_and_b32_e32 v28, 0xff, v113
	v_and_b32_e32 v29, 0xff, v112
	v_add3_u32 v18, v18, v31, v30
	v_add3_u32 v50, v18, v29, v28
	v_mbcnt_lo_u32_b32 v18, -1, 0
	v_mbcnt_hi_u32_b32 v46, -1, v18
	v_and_b32_e32 v18, 15, v46
	v_cmp_eq_u32_e64 s[14:15], 0, v18
	v_cmp_lt_u32_e64 s[12:13], 1, v18
	v_cmp_lt_u32_e64 s[10:11], 3, v18
	;; [unrolled: 1-line block ×3, first 2 shown]
	v_and_b32_e32 v18, 16, v46
	v_cmp_eq_u32_e64 s[6:7], 0, v18
	v_or_b32_e32 v18, 63, v0
	v_cmp_lt_u32_e64 s[2:3], 31, v46
	v_lshrrev_b32_e32 v48, 6, v0
	v_cmp_eq_u32_e64 s[4:5], v18, v0
	s_and_b64 vcc, exec, s[16:17]
	s_waitcnt lgkmcnt(0)
	s_barrier
	s_cbranch_vccz .LBB849_119
; %bb.93:
	v_mov_b32_dpp v18, v50 row_shr:1 row_mask:0xf bank_mask:0xf
	v_cndmask_b32_e64 v18, v18, 0, s[14:15]
	v_add_u32_e32 v18, v18, v50
	s_nop 1
	v_mov_b32_dpp v19, v18 row_shr:2 row_mask:0xf bank_mask:0xf
	v_cndmask_b32_e64 v19, 0, v19, s[12:13]
	v_add_u32_e32 v18, v18, v19
	s_nop 1
	;; [unrolled: 4-line block ×4, first 2 shown]
	v_mov_b32_dpp v19, v18 row_bcast:15 row_mask:0xf bank_mask:0xf
	v_cndmask_b32_e64 v19, v19, 0, s[6:7]
	v_add_u32_e32 v18, v18, v19
	s_nop 1
	v_mov_b32_dpp v19, v18 row_bcast:31 row_mask:0xf bank_mask:0xf
	v_cndmask_b32_e64 v19, 0, v19, s[2:3]
	v_add_u32_e32 v18, v18, v19
	s_and_saveexec_b64 s[0:1], s[4:5]
	s_cbranch_execz .LBB849_95
; %bb.94:
	v_lshlrev_b32_e32 v19, 2, v48
	ds_write_b32 v19, v18
.LBB849_95:
	s_or_b64 exec, exec, s[0:1]
	v_cmp_gt_u32_e32 vcc, 8, v0
	s_waitcnt lgkmcnt(0)
	s_barrier
	s_and_saveexec_b64 s[0:1], vcc
	s_cbranch_execz .LBB849_97
; %bb.96:
	v_lshlrev_b32_e32 v19, 2, v0
	ds_read_b32 v20, v19
	v_and_b32_e32 v21, 7, v46
	v_cmp_ne_u32_e32 vcc, 0, v21
	s_waitcnt lgkmcnt(0)
	v_mov_b32_dpp v22, v20 row_shr:1 row_mask:0xf bank_mask:0xf
	v_cndmask_b32_e32 v22, 0, v22, vcc
	v_add_u32_e32 v20, v22, v20
	v_cmp_lt_u32_e32 vcc, 1, v21
	s_nop 0
	v_mov_b32_dpp v22, v20 row_shr:2 row_mask:0xf bank_mask:0xf
	v_cndmask_b32_e32 v22, 0, v22, vcc
	v_add_u32_e32 v20, v20, v22
	v_cmp_lt_u32_e32 vcc, 3, v21
	s_nop 0
	v_mov_b32_dpp v22, v20 row_shr:4 row_mask:0xf bank_mask:0xf
	v_cndmask_b32_e32 v21, 0, v22, vcc
	v_add_u32_e32 v20, v20, v21
	ds_write_b32 v19, v20
.LBB849_97:
	s_or_b64 exec, exec, s[0:1]
	v_cmp_gt_u32_e32 vcc, 64, v0
	v_cmp_lt_u32_e64 s[0:1], 63, v0
	s_waitcnt lgkmcnt(0)
	s_barrier
	s_waitcnt lgkmcnt(0)
                                        ; implicit-def: $vgpr52
	s_and_saveexec_b64 s[16:17], s[0:1]
	s_cbranch_execz .LBB849_99
; %bb.98:
	v_lshl_add_u32 v19, v48, 2, -4
	ds_read_b32 v52, v19
	s_waitcnt lgkmcnt(0)
	v_add_u32_e32 v18, v52, v18
.LBB849_99:
	s_or_b64 exec, exec, s[16:17]
	v_add_u32_e32 v19, -1, v46
	v_and_b32_e32 v20, 64, v46
	v_cmp_lt_i32_e64 s[0:1], v19, v20
	v_cmp_eq_u32_e64 s[16:17], 0, v46
	s_nop 0
	v_cndmask_b32_e64 v19, v19, v46, s[0:1]
	v_lshlrev_b32_e32 v19, 2, v19
	ds_bpermute_b32 v54, v19, v18
	s_and_saveexec_b64 s[0:1], vcc
	s_cbranch_execz .LBB849_118
; %bb.100:
	v_mov_b32_e32 v25, 0
	ds_read_b32 v18, v25 offset:28
	s_and_saveexec_b64 s[30:31], s[16:17]
	s_cbranch_execz .LBB849_102
; %bb.101:
	s_add_i32 s34, s33, 64
	s_mov_b32 s35, 0
	s_lshl_b64 s[34:35], s[34:35], 3
	s_add_u32 s34, s28, s34
	v_mov_b32_e32 v19, 1
	s_addc_u32 s35, s29, s35
	s_waitcnt lgkmcnt(0)
	global_store_dwordx2 v25, v[18:19], s[34:35] sc1
.LBB849_102:
	s_or_b64 exec, exec, s[30:31]
	v_xad_u32 v20, v46, -1, s33
	v_add_u32_e32 v24, 64, v20
	v_lshl_add_u64 v[26:27], v[24:25], 3, s[28:29]
	global_load_dwordx2 v[22:23], v[26:27], off sc1
	s_waitcnt vmcnt(0)
	v_cmp_eq_u16_sdwa s[34:35], v23, v25 src0_sel:BYTE_0 src1_sel:DWORD
	s_and_saveexec_b64 s[30:31], s[34:35]
	s_cbranch_execz .LBB849_106
; %bb.103:
	s_mov_b64 s[34:35], 0
	v_mov_b32_e32 v19, 0
.LBB849_104:                            ; =>This Inner Loop Header: Depth=1
	global_load_dwordx2 v[22:23], v[26:27], off sc1
	s_waitcnt vmcnt(0)
	v_cmp_ne_u16_sdwa s[36:37], v23, v19 src0_sel:BYTE_0 src1_sel:DWORD
	s_or_b64 s[34:35], s[36:37], s[34:35]
	s_andn2_b64 exec, exec, s[34:35]
	s_cbranch_execnz .LBB849_104
; %bb.105:
	s_or_b64 exec, exec, s[34:35]
.LBB849_106:
	s_or_b64 exec, exec, s[30:31]
	v_and_b32_e32 v58, 63, v46
	v_mov_b32_e32 v56, 2
	v_cmp_ne_u32_e32 vcc, 63, v58
	v_cmp_eq_u16_sdwa s[30:31], v23, v56 src0_sel:BYTE_0 src1_sel:DWORD
	v_lshlrev_b64 v[24:25], v46, -1
	v_addc_co_u32_e32 v26, vcc, 0, v46, vcc
	v_and_b32_e32 v19, s31, v25
	v_lshlrev_b32_e32 v60, 2, v26
	v_or_b32_e32 v19, 0x80000000, v19
	ds_bpermute_b32 v26, v60, v22
	v_and_b32_e32 v21, s30, v24
	v_ffbl_b32_e32 v19, v19
	v_add_u32_e32 v19, 32, v19
	v_ffbl_b32_e32 v21, v21
	v_min_u32_e32 v19, v21, v19
	v_cmp_lt_u32_e32 vcc, v58, v19
	v_add_u32_e32 v64, 2, v58
	v_add_u32_e32 v67, 4, v58
	s_waitcnt lgkmcnt(0)
	v_cndmask_b32_e32 v21, 0, v26, vcc
	v_cmp_gt_u32_e32 vcc, 62, v58
	v_add_u32_e32 v21, v21, v22
	v_add_u32_e32 v69, 8, v58
	v_cndmask_b32_e64 v22, 0, 1, vcc
	v_lshlrev_b32_e32 v22, 1, v22
	v_add_lshl_u32 v62, v22, v46, 2
	ds_bpermute_b32 v22, v62, v21
	v_cmp_le_u32_e32 vcc, v64, v19
	v_add_u32_e32 v71, 16, v58
	v_add_u32_e32 v73, 32, v58
	s_waitcnt lgkmcnt(0)
	v_cndmask_b32_e32 v22, 0, v22, vcc
	v_cmp_gt_u32_e32 vcc, 60, v58
	v_add_u32_e32 v21, v21, v22
	s_nop 0
	v_cndmask_b32_e64 v22, 0, 1, vcc
	v_lshlrev_b32_e32 v22, 2, v22
	v_add_lshl_u32 v66, v22, v46, 2
	ds_bpermute_b32 v22, v66, v21
	v_cmp_le_u32_e32 vcc, v67, v19
	s_waitcnt lgkmcnt(0)
	s_nop 0
	v_cndmask_b32_e32 v22, 0, v22, vcc
	v_cmp_gt_u32_e32 vcc, 56, v58
	v_add_u32_e32 v21, v21, v22
	s_nop 0
	v_cndmask_b32_e64 v22, 0, 1, vcc
	v_lshlrev_b32_e32 v22, 3, v22
	v_add_lshl_u32 v68, v22, v46, 2
	ds_bpermute_b32 v22, v68, v21
	v_cmp_le_u32_e32 vcc, v69, v19
	s_waitcnt lgkmcnt(0)
	s_nop 0
	;; [unrolled: 11-line block ×4, first 2 shown]
	v_cndmask_b32_e32 v19, 0, v22, vcc
	v_add_u32_e32 v22, v21, v19
	v_mov_b32_e32 v21, 0
	s_branch .LBB849_108
.LBB849_107:                            ;   in Loop: Header=BB849_108 Depth=1
	s_or_b64 exec, exec, s[30:31]
	v_cmp_eq_u16_sdwa s[30:31], v23, v56 src0_sel:BYTE_0 src1_sel:DWORD
	ds_bpermute_b32 v74, v60, v22
	v_subrev_u32_e32 v20, 64, v20
	v_and_b32_e32 v26, s31, v25
	v_or_b32_e32 v26, 0x80000000, v26
	v_and_b32_e32 v27, s30, v24
	v_ffbl_b32_e32 v26, v26
	v_add_u32_e32 v26, 32, v26
	v_ffbl_b32_e32 v27, v27
	v_min_u32_e32 v26, v27, v26
	v_cmp_lt_u32_e32 vcc, v58, v26
	s_waitcnt lgkmcnt(0)
	s_nop 0
	v_cndmask_b32_e32 v27, 0, v74, vcc
	v_add_u32_e32 v22, v27, v22
	ds_bpermute_b32 v27, v62, v22
	v_cmp_le_u32_e32 vcc, v64, v26
	s_waitcnt lgkmcnt(0)
	s_nop 0
	v_cndmask_b32_e32 v27, 0, v27, vcc
	v_add_u32_e32 v22, v22, v27
	ds_bpermute_b32 v27, v66, v22
	v_cmp_le_u32_e32 vcc, v67, v26
	;; [unrolled: 6-line block ×5, first 2 shown]
	s_waitcnt lgkmcnt(0)
	s_nop 0
	v_cndmask_b32_e32 v26, 0, v27, vcc
	v_add3_u32 v22, v26, v19, v22
.LBB849_108:                            ; =>This Loop Header: Depth=1
                                        ;     Child Loop BB849_111 Depth 2
	v_cmp_ne_u16_sdwa s[30:31], v23, v56 src0_sel:BYTE_0 src1_sel:DWORD
	s_nop 1
	v_cndmask_b32_e64 v19, 0, 1, s[30:31]
	;;#ASMSTART
	;;#ASMEND
	s_nop 0
	v_cmp_ne_u32_e32 vcc, 0, v19
	s_cmp_lg_u64 vcc, exec
	v_mov_b32_e32 v19, v22
	s_cbranch_scc1 .LBB849_113
; %bb.109:                              ;   in Loop: Header=BB849_108 Depth=1
	v_lshl_add_u64 v[26:27], v[20:21], 3, s[28:29]
	global_load_dwordx2 v[22:23], v[26:27], off sc1
	s_waitcnt vmcnt(0)
	v_cmp_eq_u16_sdwa s[34:35], v23, v21 src0_sel:BYTE_0 src1_sel:DWORD
	s_and_saveexec_b64 s[30:31], s[34:35]
	s_cbranch_execz .LBB849_107
; %bb.110:                              ;   in Loop: Header=BB849_108 Depth=1
	s_mov_b64 s[34:35], 0
.LBB849_111:                            ;   Parent Loop BB849_108 Depth=1
                                        ; =>  This Inner Loop Header: Depth=2
	global_load_dwordx2 v[22:23], v[26:27], off sc1
	s_waitcnt vmcnt(0)
	v_cmp_ne_u16_sdwa s[36:37], v23, v21 src0_sel:BYTE_0 src1_sel:DWORD
	s_or_b64 s[34:35], s[36:37], s[34:35]
	s_andn2_b64 exec, exec, s[34:35]
	s_cbranch_execnz .LBB849_111
; %bb.112:                              ;   in Loop: Header=BB849_108 Depth=1
	s_or_b64 exec, exec, s[34:35]
	s_branch .LBB849_107
.LBB849_113:                            ;   in Loop: Header=BB849_108 Depth=1
                                        ; implicit-def: $vgpr22
                                        ; implicit-def: $vgpr23
	s_cbranch_execz .LBB849_108
; %bb.114:
	s_and_saveexec_b64 s[30:31], s[16:17]
	s_cbranch_execz .LBB849_116
; %bb.115:
	s_add_i32 s34, s33, 64
	s_mov_b32 s35, 0
	s_lshl_b64 s[34:35], s[34:35], 3
	s_add_u32 s34, s28, s34
	v_add_u32_e32 v20, v19, v18
	v_mov_b32_e32 v21, 2
	s_addc_u32 s35, s29, s35
	v_mov_b32_e32 v22, 0
	global_store_dwordx2 v22, v[20:21], s[34:35] sc1
	ds_write_b64 v22, v[18:19] offset:30720
.LBB849_116:
	s_or_b64 exec, exec, s[30:31]
	s_and_b64 exec, exec, s[18:19]
	s_cbranch_execz .LBB849_118
; %bb.117:
	v_mov_b32_e32 v18, 0
	ds_write_b32 v18, v19 offset:28
.LBB849_118:
	s_or_b64 exec, exec, s[0:1]
	v_mov_b32_e32 v18, 0
	s_waitcnt lgkmcnt(0)
	s_barrier
	ds_read_b32 v20, v18 offset:28
	s_waitcnt lgkmcnt(0)
	s_barrier
	ds_read_b64 v[18:19], v18 offset:30720
	v_cndmask_b32_e64 v21, v54, v52, s[16:17]
	v_cndmask_b32_e64 v21, v21, 0, s[18:19]
	v_add_u32_e32 v76, v20, v21
	s_waitcnt lgkmcnt(0)
	v_mov_b32_e32 v20, v19
	s_branch .LBB849_129
.LBB849_119:
                                        ; implicit-def: $vgpr20
                                        ; implicit-def: $vgpr18
                                        ; implicit-def: $vgpr76
	s_cbranch_execz .LBB849_129
; %bb.120:
	s_nop 0
	v_mov_b32_dpp v18, v50 row_shr:1 row_mask:0xf bank_mask:0xf
	v_cndmask_b32_e64 v18, v18, 0, s[14:15]
	v_add_u32_e32 v18, v18, v50
	s_nop 1
	v_mov_b32_dpp v19, v18 row_shr:2 row_mask:0xf bank_mask:0xf
	v_cndmask_b32_e64 v19, 0, v19, s[12:13]
	v_add_u32_e32 v18, v18, v19
	;; [unrolled: 4-line block ×4, first 2 shown]
	s_nop 1
	v_mov_b32_dpp v19, v18 row_bcast:15 row_mask:0xf bank_mask:0xf
	v_cndmask_b32_e64 v19, v19, 0, s[6:7]
	v_add_u32_e32 v18, v18, v19
	s_nop 1
	v_mov_b32_dpp v19, v18 row_bcast:31 row_mask:0xf bank_mask:0xf
	v_cndmask_b32_e64 v19, 0, v19, s[2:3]
	v_add_u32_e32 v18, v18, v19
	s_and_saveexec_b64 s[0:1], s[4:5]
	s_cbranch_execz .LBB849_122
; %bb.121:
	v_lshlrev_b32_e32 v19, 2, v48
	ds_write_b32 v19, v18
.LBB849_122:
	s_or_b64 exec, exec, s[0:1]
	v_cmp_gt_u32_e32 vcc, 8, v0
	s_waitcnt lgkmcnt(0)
	s_barrier
	s_and_saveexec_b64 s[0:1], vcc
	s_cbranch_execz .LBB849_124
; %bb.123:
	v_lshlrev_b32_e32 v19, 2, v0
	ds_read_b32 v20, v19
	v_and_b32_e32 v21, 7, v46
	v_cmp_ne_u32_e32 vcc, 0, v21
	s_waitcnt lgkmcnt(0)
	v_mov_b32_dpp v22, v20 row_shr:1 row_mask:0xf bank_mask:0xf
	v_cndmask_b32_e32 v22, 0, v22, vcc
	v_add_u32_e32 v20, v22, v20
	v_cmp_lt_u32_e32 vcc, 1, v21
	s_nop 0
	v_mov_b32_dpp v22, v20 row_shr:2 row_mask:0xf bank_mask:0xf
	v_cndmask_b32_e32 v22, 0, v22, vcc
	v_add_u32_e32 v20, v20, v22
	v_cmp_lt_u32_e32 vcc, 3, v21
	s_nop 0
	v_mov_b32_dpp v22, v20 row_shr:4 row_mask:0xf bank_mask:0xf
	v_cndmask_b32_e32 v21, 0, v22, vcc
	v_add_u32_e32 v20, v20, v21
	ds_write_b32 v19, v20
.LBB849_124:
	s_or_b64 exec, exec, s[0:1]
	v_cmp_lt_u32_e32 vcc, 63, v0
	v_mov_b32_e32 v19, 0
	v_mov_b32_e32 v20, 0
	s_waitcnt lgkmcnt(0)
	s_barrier
	s_and_saveexec_b64 s[0:1], vcc
	s_cbranch_execz .LBB849_126
; %bb.125:
	v_lshl_add_u32 v20, v48, 2, -4
	ds_read_b32 v20, v20
.LBB849_126:
	s_or_b64 exec, exec, s[0:1]
	v_add_u32_e32 v21, -1, v46
	v_and_b32_e32 v22, 64, v46
	v_cmp_lt_i32_e32 vcc, v21, v22
	s_waitcnt lgkmcnt(0)
	v_add_u32_e32 v18, v20, v18
	v_cndmask_b32_e32 v21, v21, v46, vcc
	v_lshlrev_b32_e32 v21, 2, v21
	ds_bpermute_b32 v21, v21, v18
	ds_read_b32 v18, v19 offset:28
	s_and_saveexec_b64 s[0:1], s[18:19]
	s_cbranch_execz .LBB849_128
; %bb.127:
	v_mov_b32_e32 v22, 0
	v_mov_b32_e32 v19, 2
	s_waitcnt lgkmcnt(0)
	global_store_dwordx2 v22, v[18:19], s[28:29] offset:512 sc1
.LBB849_128:
	s_or_b64 exec, exec, s[0:1]
	v_cmp_eq_u32_e32 vcc, 0, v46
	s_waitcnt lgkmcnt(0)
	s_barrier
	v_cndmask_b32_e32 v19, v21, v20, vcc
	v_mov_b32_e32 v20, 0
	v_cndmask_b32_e64 v76, v19, 0, s[18:19]
.LBB849_129:
	v_add_u32_e32 v80, v76, v28
	v_add_u32_e32 v78, v80, v29
	;; [unrolled: 1-line block ×27, first 2 shown]
	s_movk_i32 s0, 0x201
	v_add_u32_e32 v24, v26, v65
	v_cmp_gt_u32_e32 vcc, s0, v18
	v_add_u32_sdwa v22, v24, v85 dst_sel:DWORD dst_unused:UNUSED_PAD src0_sel:DWORD src1_sel:BYTE_0
	s_mov_b64 s[0:1], -1
	s_cbranch_vccnz .LBB849_133
; %bb.130:
	s_and_b64 vcc, exec, s[0:1]
	s_cbranch_vccnz .LBB849_224
.LBB849_131:
	s_and_b64 s[0:1], s[18:19], s[22:23]
	s_and_saveexec_b64 s[2:3], s[0:1]
	s_cbranch_execnz .LBB849_298
.LBB849_132:
	s_endpgm
.LBB849_133:
	v_add_u32_e32 v19, v20, v18
	v_lshlrev_b64 v[82:83], 1, v[8:9]
	v_cmp_lt_u32_e32 vcc, v76, v19
	v_lshl_add_u64 v[82:83], s[24:25], 0, v[82:83]
	s_or_b64 s[2:3], s[26:27], vcc
	s_and_saveexec_b64 s[0:1], s[2:3]
	s_cbranch_execz .LBB849_136
; %bb.134:
	v_and_b32_e32 v21, 1, v113
	v_cmp_eq_u32_e32 vcc, 1, v21
	s_and_b64 exec, exec, vcc
	s_cbranch_execz .LBB849_136
; %bb.135:
	v_mov_b32_e32 v77, 0
	v_lshl_add_u64 v[114:115], v[76:77], 1, v[82:83]
	global_store_short v[114:115], v16, off
.LBB849_136:
	s_or_b64 exec, exec, s[0:1]
	v_cmp_lt_u32_e32 vcc, v80, v19
	s_or_b64 s[2:3], s[26:27], vcc
	s_and_saveexec_b64 s[0:1], s[2:3]
	s_cbranch_execz .LBB849_139
; %bb.137:
	v_and_b32_e32 v21, 1, v112
	v_cmp_eq_u32_e32 vcc, 1, v21
	s_and_b64 exec, exec, vcc
	s_cbranch_execz .LBB849_139
; %bb.138:
	v_mov_b32_e32 v81, 0
	v_lshl_add_u64 v[114:115], v[80:81], 1, v[82:83]
	global_store_short_d16_hi v[114:115], v16, off
.LBB849_139:
	s_or_b64 exec, exec, s[0:1]
	v_cmp_lt_u32_e32 vcc, v78, v19
	s_or_b64 s[2:3], s[26:27], vcc
	s_and_saveexec_b64 s[0:1], s[2:3]
	s_cbranch_execz .LBB849_142
; %bb.140:
	v_and_b32_e32 v21, 1, v111
	v_cmp_eq_u32_e32 vcc, 1, v21
	s_and_b64 exec, exec, vcc
	s_cbranch_execz .LBB849_142
; %bb.141:
	v_mov_b32_e32 v79, 0
	v_lshl_add_u64 v[114:115], v[78:79], 1, v[82:83]
	global_store_short v[114:115], v17, off
.LBB849_142:
	s_or_b64 exec, exec, s[0:1]
	v_cmp_lt_u32_e32 vcc, v74, v19
	s_or_b64 s[2:3], s[26:27], vcc
	s_and_saveexec_b64 s[0:1], s[2:3]
	s_cbranch_execz .LBB849_145
; %bb.143:
	v_and_b32_e32 v21, 1, v110
	v_cmp_eq_u32_e32 vcc, 1, v21
	s_and_b64 exec, exec, vcc
	s_cbranch_execz .LBB849_145
; %bb.144:
	v_mov_b32_e32 v75, 0
	v_lshl_add_u64 v[114:115], v[74:75], 1, v[82:83]
	global_store_short_d16_hi v[114:115], v17, off
.LBB849_145:
	s_or_b64 exec, exec, s[0:1]
	v_cmp_lt_u32_e32 vcc, v72, v19
	;; [unrolled: 30-line block ×14, first 2 shown]
	s_or_b64 s[2:3], s[26:27], vcc
	s_and_saveexec_b64 s[0:1], s[2:3]
	s_cbranch_execz .LBB849_220
; %bb.218:
	v_and_b32_e32 v21, 1, v85
	v_cmp_eq_u32_e32 vcc, 1, v21
	s_and_b64 exec, exec, vcc
	s_cbranch_execz .LBB849_220
; %bb.219:
	v_mov_b32_e32 v25, 0
	v_lshl_add_u64 v[114:115], v[24:25], 1, v[82:83]
	global_store_short v[114:115], v1, off
.LBB849_220:
	s_or_b64 exec, exec, s[0:1]
	v_cmp_lt_u32_e32 vcc, v22, v19
	s_or_b64 s[2:3], s[26:27], vcc
	s_and_saveexec_b64 s[0:1], s[2:3]
	s_cbranch_execz .LBB849_223
; %bb.221:
	v_and_b32_e32 v19, 1, v84
	v_cmp_eq_u32_e32 vcc, 1, v19
	s_and_b64 exec, exec, vcc
	s_cbranch_execz .LBB849_223
; %bb.222:
	v_mov_b32_e32 v23, 0
	v_lshl_add_u64 v[82:83], v[22:23], 1, v[82:83]
	global_store_short_d16_hi v[82:83], v1, off
.LBB849_223:
	s_or_b64 exec, exec, s[0:1]
	s_branch .LBB849_131
.LBB849_224:
	v_and_b32_e32 v19, 1, v113
	v_cmp_eq_u32_e32 vcc, 1, v19
	s_and_saveexec_b64 s[0:1], vcc
	s_cbranch_execz .LBB849_226
; %bb.225:
	v_sub_u32_e32 v19, v76, v20
	v_lshlrev_b32_e32 v19, 1, v19
	ds_write_b16 v19, v16
.LBB849_226:
	s_or_b64 exec, exec, s[0:1]
	v_and_b32_e32 v19, 1, v112
	v_cmp_eq_u32_e32 vcc, 1, v19
	s_and_saveexec_b64 s[0:1], vcc
	s_cbranch_execz .LBB849_228
; %bb.227:
	v_sub_u32_e32 v19, v80, v20
	v_lshlrev_b32_e32 v19, 1, v19
	ds_write_b16_d16_hi v19, v16
.LBB849_228:
	s_or_b64 exec, exec, s[0:1]
	v_and_b32_e32 v16, 1, v111
	v_cmp_eq_u32_e32 vcc, 1, v16
	s_and_saveexec_b64 s[0:1], vcc
	s_cbranch_execz .LBB849_230
; %bb.229:
	v_sub_u32_e32 v16, v78, v20
	v_lshlrev_b32_e32 v16, 1, v16
	ds_write_b16 v16, v17
.LBB849_230:
	s_or_b64 exec, exec, s[0:1]
	v_and_b32_e32 v16, 1, v110
	v_cmp_eq_u32_e32 vcc, 1, v16
	s_and_saveexec_b64 s[0:1], vcc
	s_cbranch_execz .LBB849_232
; %bb.231:
	v_sub_u32_e32 v16, v74, v20
	v_lshlrev_b32_e32 v16, 1, v16
	ds_write_b16_d16_hi v16, v17
.LBB849_232:
	s_or_b64 exec, exec, s[0:1]
	v_and_b32_e32 v16, 1, v109
	v_cmp_eq_u32_e32 vcc, 1, v16
	s_and_saveexec_b64 s[0:1], vcc
	s_cbranch_execz .LBB849_234
; %bb.233:
	v_sub_u32_e32 v16, v72, v20
	v_lshlrev_b32_e32 v16, 1, v16
	ds_write_b16 v16, v14
.LBB849_234:
	s_or_b64 exec, exec, s[0:1]
	v_and_b32_e32 v16, 1, v108
	v_cmp_eq_u32_e32 vcc, 1, v16
	s_and_saveexec_b64 s[0:1], vcc
	s_cbranch_execz .LBB849_236
; %bb.235:
	v_sub_u32_e32 v16, v70, v20
	v_lshlrev_b32_e32 v16, 1, v16
	ds_write_b16_d16_hi v16, v14
.LBB849_236:
	s_or_b64 exec, exec, s[0:1]
	v_and_b32_e32 v14, 1, v107
	v_cmp_eq_u32_e32 vcc, 1, v14
	s_and_saveexec_b64 s[0:1], vcc
	s_cbranch_execz .LBB849_238
; %bb.237:
	v_sub_u32_e32 v14, v68, v20
	v_lshlrev_b32_e32 v14, 1, v14
	ds_write_b16 v14, v15
.LBB849_238:
	s_or_b64 exec, exec, s[0:1]
	v_and_b32_e32 v14, 1, v106
	v_cmp_eq_u32_e32 vcc, 1, v14
	s_and_saveexec_b64 s[0:1], vcc
	s_cbranch_execz .LBB849_240
; %bb.239:
	v_sub_u32_e32 v14, v66, v20
	v_lshlrev_b32_e32 v14, 1, v14
	ds_write_b16_d16_hi v14, v15
.LBB849_240:
	s_or_b64 exec, exec, s[0:1]
	v_and_b32_e32 v14, 1, v105
	v_cmp_eq_u32_e32 vcc, 1, v14
	s_and_saveexec_b64 s[0:1], vcc
	s_cbranch_execz .LBB849_242
; %bb.241:
	v_sub_u32_e32 v14, v64, v20
	v_lshlrev_b32_e32 v14, 1, v14
	ds_write_b16 v14, v12
.LBB849_242:
	s_or_b64 exec, exec, s[0:1]
	v_and_b32_e32 v14, 1, v104
	v_cmp_eq_u32_e32 vcc, 1, v14
	s_and_saveexec_b64 s[0:1], vcc
	s_cbranch_execz .LBB849_244
; %bb.243:
	v_sub_u32_e32 v14, v62, v20
	v_lshlrev_b32_e32 v14, 1, v14
	ds_write_b16_d16_hi v14, v12
.LBB849_244:
	s_or_b64 exec, exec, s[0:1]
	v_and_b32_e32 v12, 1, v103
	v_cmp_eq_u32_e32 vcc, 1, v12
	s_and_saveexec_b64 s[0:1], vcc
	s_cbranch_execz .LBB849_246
; %bb.245:
	v_sub_u32_e32 v12, v60, v20
	v_lshlrev_b32_e32 v12, 1, v12
	ds_write_b16 v12, v13
.LBB849_246:
	s_or_b64 exec, exec, s[0:1]
	v_and_b32_e32 v12, 1, v102
	v_cmp_eq_u32_e32 vcc, 1, v12
	s_and_saveexec_b64 s[0:1], vcc
	s_cbranch_execz .LBB849_248
; %bb.247:
	v_sub_u32_e32 v12, v58, v20
	v_lshlrev_b32_e32 v12, 1, v12
	ds_write_b16_d16_hi v12, v13
.LBB849_248:
	s_or_b64 exec, exec, s[0:1]
	v_and_b32_e32 v12, 1, v101
	v_cmp_eq_u32_e32 vcc, 1, v12
	s_and_saveexec_b64 s[0:1], vcc
	s_cbranch_execz .LBB849_250
; %bb.249:
	v_sub_u32_e32 v12, v56, v20
	v_lshlrev_b32_e32 v12, 1, v12
	ds_write_b16 v12, v10
.LBB849_250:
	s_or_b64 exec, exec, s[0:1]
	v_and_b32_e32 v12, 1, v100
	v_cmp_eq_u32_e32 vcc, 1, v12
	s_and_saveexec_b64 s[0:1], vcc
	s_cbranch_execz .LBB849_252
; %bb.251:
	v_sub_u32_e32 v12, v54, v20
	v_lshlrev_b32_e32 v12, 1, v12
	ds_write_b16_d16_hi v12, v10
.LBB849_252:
	s_or_b64 exec, exec, s[0:1]
	v_and_b32_e32 v10, 1, v99
	v_cmp_eq_u32_e32 vcc, 1, v10
	s_and_saveexec_b64 s[0:1], vcc
	s_cbranch_execz .LBB849_254
; %bb.253:
	v_sub_u32_e32 v10, v52, v20
	v_lshlrev_b32_e32 v10, 1, v10
	ds_write_b16 v10, v11
.LBB849_254:
	s_or_b64 exec, exec, s[0:1]
	v_and_b32_e32 v10, 1, v98
	v_cmp_eq_u32_e32 vcc, 1, v10
	s_and_saveexec_b64 s[0:1], vcc
	s_cbranch_execz .LBB849_256
; %bb.255:
	v_sub_u32_e32 v10, v50, v20
	v_lshlrev_b32_e32 v10, 1, v10
	ds_write_b16_d16_hi v10, v11
.LBB849_256:
	s_or_b64 exec, exec, s[0:1]
	v_and_b32_e32 v10, 1, v97
	v_cmp_eq_u32_e32 vcc, 1, v10
	s_and_saveexec_b64 s[0:1], vcc
	s_cbranch_execz .LBB849_258
; %bb.257:
	v_sub_u32_e32 v10, v48, v20
	v_lshlrev_b32_e32 v10, 1, v10
	ds_write_b16 v10, v6
.LBB849_258:
	s_or_b64 exec, exec, s[0:1]
	v_and_b32_e32 v10, 1, v96
	v_cmp_eq_u32_e32 vcc, 1, v10
	s_and_saveexec_b64 s[0:1], vcc
	s_cbranch_execz .LBB849_260
; %bb.259:
	v_sub_u32_e32 v10, v46, v20
	v_lshlrev_b32_e32 v10, 1, v10
	ds_write_b16_d16_hi v10, v6
.LBB849_260:
	s_or_b64 exec, exec, s[0:1]
	v_and_b32_e32 v6, 1, v95
	v_cmp_eq_u32_e32 vcc, 1, v6
	s_and_saveexec_b64 s[0:1], vcc
	s_cbranch_execz .LBB849_262
; %bb.261:
	v_sub_u32_e32 v6, v44, v20
	v_lshlrev_b32_e32 v6, 1, v6
	ds_write_b16 v6, v7
.LBB849_262:
	s_or_b64 exec, exec, s[0:1]
	v_and_b32_e32 v6, 1, v94
	v_cmp_eq_u32_e32 vcc, 1, v6
	s_and_saveexec_b64 s[0:1], vcc
	s_cbranch_execz .LBB849_264
; %bb.263:
	v_sub_u32_e32 v6, v42, v20
	v_lshlrev_b32_e32 v6, 1, v6
	ds_write_b16_d16_hi v6, v7
.LBB849_264:
	s_or_b64 exec, exec, s[0:1]
	v_and_b32_e32 v6, 1, v93
	v_cmp_eq_u32_e32 vcc, 1, v6
	s_and_saveexec_b64 s[0:1], vcc
	s_cbranch_execz .LBB849_266
; %bb.265:
	v_sub_u32_e32 v6, v40, v20
	v_lshlrev_b32_e32 v6, 1, v6
	ds_write_b16 v6, v4
.LBB849_266:
	s_or_b64 exec, exec, s[0:1]
	v_and_b32_e32 v6, 1, v92
	v_cmp_eq_u32_e32 vcc, 1, v6
	s_and_saveexec_b64 s[0:1], vcc
	s_cbranch_execz .LBB849_268
; %bb.267:
	v_sub_u32_e32 v6, v38, v20
	v_lshlrev_b32_e32 v6, 1, v6
	ds_write_b16_d16_hi v6, v4
.LBB849_268:
	s_or_b64 exec, exec, s[0:1]
	v_and_b32_e32 v4, 1, v91
	v_cmp_eq_u32_e32 vcc, 1, v4
	s_and_saveexec_b64 s[0:1], vcc
	s_cbranch_execz .LBB849_270
; %bb.269:
	v_sub_u32_e32 v4, v36, v20
	v_lshlrev_b32_e32 v4, 1, v4
	ds_write_b16 v4, v5
.LBB849_270:
	s_or_b64 exec, exec, s[0:1]
	v_and_b32_e32 v4, 1, v90
	v_cmp_eq_u32_e32 vcc, 1, v4
	s_and_saveexec_b64 s[0:1], vcc
	s_cbranch_execz .LBB849_272
; %bb.271:
	v_sub_u32_e32 v4, v34, v20
	v_lshlrev_b32_e32 v4, 1, v4
	ds_write_b16_d16_hi v4, v5
.LBB849_272:
	s_or_b64 exec, exec, s[0:1]
	v_and_b32_e32 v4, 1, v89
	v_cmp_eq_u32_e32 vcc, 1, v4
	s_and_saveexec_b64 s[0:1], vcc
	s_cbranch_execz .LBB849_274
; %bb.273:
	v_sub_u32_e32 v4, v32, v20
	v_lshlrev_b32_e32 v4, 1, v4
	ds_write_b16 v4, v2
.LBB849_274:
	s_or_b64 exec, exec, s[0:1]
	v_and_b32_e32 v4, 1, v88
	v_cmp_eq_u32_e32 vcc, 1, v4
	s_and_saveexec_b64 s[0:1], vcc
	s_cbranch_execz .LBB849_276
; %bb.275:
	v_sub_u32_e32 v4, v30, v20
	v_lshlrev_b32_e32 v4, 1, v4
	ds_write_b16_d16_hi v4, v2
.LBB849_276:
	s_or_b64 exec, exec, s[0:1]
	v_and_b32_e32 v2, 1, v87
	v_cmp_eq_u32_e32 vcc, 1, v2
	s_and_saveexec_b64 s[0:1], vcc
	s_cbranch_execz .LBB849_278
; %bb.277:
	v_sub_u32_e32 v2, v28, v20
	v_lshlrev_b32_e32 v2, 1, v2
	ds_write_b16 v2, v3
.LBB849_278:
	s_or_b64 exec, exec, s[0:1]
	v_and_b32_e32 v2, 1, v86
	v_cmp_eq_u32_e32 vcc, 1, v2
	s_and_saveexec_b64 s[0:1], vcc
	s_cbranch_execz .LBB849_280
; %bb.279:
	v_sub_u32_e32 v2, v26, v20
	v_lshlrev_b32_e32 v2, 1, v2
	ds_write_b16_d16_hi v2, v3
.LBB849_280:
	s_or_b64 exec, exec, s[0:1]
	v_and_b32_e32 v2, 1, v85
	v_cmp_eq_u32_e32 vcc, 1, v2
	s_and_saveexec_b64 s[0:1], vcc
	s_cbranch_execz .LBB849_282
; %bb.281:
	v_sub_u32_e32 v2, v24, v20
	v_lshlrev_b32_e32 v2, 1, v2
	ds_write_b16 v2, v1
.LBB849_282:
	s_or_b64 exec, exec, s[0:1]
	v_and_b32_e32 v2, 1, v84
	v_cmp_eq_u32_e32 vcc, 1, v2
	s_and_saveexec_b64 s[0:1], vcc
	s_cbranch_execz .LBB849_284
; %bb.283:
	v_sub_u32_e32 v2, v22, v20
	v_lshlrev_b32_e32 v2, 1, v2
	ds_write_b16_d16_hi v2, v1
.LBB849_284:
	s_or_b64 exec, exec, s[0:1]
	v_cmp_lt_u32_e32 vcc, v0, v18
	s_waitcnt lgkmcnt(0)
	s_barrier
	s_and_saveexec_b64 s[0:1], vcc
	s_cbranch_execz .LBB849_297
; %bb.285:
	v_mov_b32_e32 v21, 0
	v_lshlrev_b64 v[2:3], 1, v[8:9]
	v_lshl_add_u64 v[2:3], s[24:25], 0, v[2:3]
	v_lshlrev_b64 v[4:5], 1, v[20:21]
	v_xad_u32 v1, v0, -1, v18
	s_movk_i32 s2, 0x5ff
	v_lshl_add_u64 v[10:11], v[2:3], 0, v[4:5]
	v_cmp_lt_u32_e32 vcc, s2, v1
	s_mov_b64 s[4:5], -1
	s_and_saveexec_b64 s[2:3], vcc
	s_cbranch_execz .LBB849_294
; %bb.286:
	v_lshrrev_b32_e32 v14, 9, v1
	v_add_u32_e32 v4, -3, v14
	v_or_b32_e32 v3, 0x600, v0
	v_or_b32_e32 v2, 0x400, v0
	v_lshrrev_b32_e32 v5, 2, v4
	v_or_b32_e32 v1, 0x200, v0
	v_add_u32_e32 v16, 1, v5
	v_cmp_lt_u32_e32 vcc, 11, v4
	v_mov_b64_e32 v[6:7], v[2:3]
	v_lshlrev_b32_e32 v15, 1, v0
	v_mov_b64_e32 v[4:5], v[0:1]
	s_and_saveexec_b64 s[4:5], vcc
	s_cbranch_execz .LBB849_290
; %bb.287:
	v_mov_b64_e32 v[6:7], v[2:3]
	v_and_b32_e32 v17, 0x7ffffffc, v16
	s_mov_b32 s8, 0
	s_mov_b64 s[6:7], 0
	v_mov_b32_e32 v13, 0
	v_mov_b32_e32 v19, v15
	v_mov_b64_e32 v[4:5], v[0:1]
.LBB849_288:                            ; =>This Inner Loop Header: Depth=1
	v_mov_b32_e32 v12, v4
	ds_read_u16 v1, v19
	ds_read_u16 v46, v19 offset:1024
	ds_read_u16 v47, v19 offset:2048
	;; [unrolled: 1-line block ×7, first 2 shown]
	v_lshl_add_u64 v[38:39], v[12:13], 1, v[10:11]
	v_mov_b32_e32 v12, v5
	v_lshl_add_u64 v[40:41], v[12:13], 1, v[10:11]
	v_mov_b32_e32 v12, v6
	ds_read_u16 v53, v19 offset:8192
	ds_read_u16 v54, v19 offset:9216
	;; [unrolled: 1-line block ×8, first 2 shown]
	v_lshl_add_u64 v[42:43], v[12:13], 1, v[10:11]
	v_mov_b32_e32 v12, v7
	v_add_u32_e32 v2, 0x800, v7
	v_mov_b32_e32 v3, v13
	v_lshl_add_u64 v[44:45], v[12:13], 1, v[10:11]
	v_add_u32_e32 v12, 0x800, v4
	v_add_u32_e32 v22, 0x800, v6
	;; [unrolled: 1-line block ×3, first 2 shown]
	v_mov_b32_e32 v25, v13
	v_mov_b32_e32 v23, v13
	v_add_u32_e32 v17, -4, v17
	v_lshl_add_u64 v[2:3], v[2:3], 1, v[10:11]
	s_waitcnt lgkmcnt(14)
	global_store_short v[38:39], v1, off
	global_store_short v[40:41], v46, off
	s_waitcnt lgkmcnt(13)
	global_store_short v[42:43], v47, off
	s_waitcnt lgkmcnt(12)
	global_store_short v[44:45], v48, off
	v_lshl_add_u64 v[38:39], v[12:13], 1, v[10:11]
	v_add_u32_e32 v12, 0x1000, v4
	v_add_u32_e32 v26, 0x1000, v7
	;; [unrolled: 1-line block ×4, first 2 shown]
	v_mov_b32_e32 v31, v13
	v_mov_b32_e32 v29, v13
	;; [unrolled: 1-line block ×3, first 2 shown]
	s_add_i32 s8, s8, 16
	v_lshl_add_u64 v[24:25], v[24:25], 1, v[10:11]
	v_lshl_add_u64 v[22:23], v[22:23], 1, v[10:11]
	v_cmp_eq_u32_e32 vcc, 0, v17
	s_waitcnt lgkmcnt(11)
	global_store_short v[38:39], v49, off
	s_waitcnt lgkmcnt(10)
	global_store_short v[24:25], v50, off
	;; [unrolled: 2-line block ×4, first 2 shown]
	v_lshl_add_u64 v[2:3], v[12:13], 1, v[10:11]
	v_add_u32_e32 v12, 0x1800, v4
	v_add_u32_e32 v32, 0x1800, v7
	;; [unrolled: 1-line block ×4, first 2 shown]
	v_mov_b32_e32 v37, v13
	v_mov_b32_e32 v35, v13
	;; [unrolled: 1-line block ×3, first 2 shown]
	v_add_u32_e32 v19, 0x4000, v19
	v_lshl_add_u64 v[30:31], v[30:31], 1, v[10:11]
	v_lshl_add_u64 v[28:29], v[28:29], 1, v[10:11]
	v_lshl_add_u64 v[26:27], v[26:27], 1, v[10:11]
	v_add_u32_e32 v5, 0x2000, v5
	v_mov_b32_e32 v21, s8
	v_add_u32_e32 v6, 0x2000, v6
	s_or_b64 s[6:7], vcc, s[6:7]
	v_add_u32_e32 v7, 0x2000, v7
	v_add_u32_e32 v4, 0x2000, v4
	s_waitcnt lgkmcnt(7)
	global_store_short v[2:3], v53, off
	s_waitcnt lgkmcnt(6)
	global_store_short v[30:31], v54, off
	;; [unrolled: 2-line block ×4, first 2 shown]
	v_lshl_add_u64 v[2:3], v[12:13], 1, v[10:11]
	v_lshl_add_u64 v[36:37], v[36:37], 1, v[10:11]
	;; [unrolled: 1-line block ×4, first 2 shown]
	s_waitcnt lgkmcnt(3)
	global_store_short v[2:3], v57, off
	s_waitcnt lgkmcnt(2)
	global_store_short v[36:37], v58, off
	;; [unrolled: 2-line block ×4, first 2 shown]
	s_andn2_b64 exec, exec, s[6:7]
	s_cbranch_execnz .LBB849_288
; %bb.289:
	s_or_b64 exec, exec, s[6:7]
.LBB849_290:
	s_or_b64 exec, exec, s[4:5]
	v_and_b32_e32 v1, 3, v16
	v_cmp_ne_u32_e32 vcc, 0, v1
	s_and_saveexec_b64 s[4:5], vcc
	s_cbranch_execz .LBB849_293
; %bb.291:
	v_lshl_or_b32 v12, v21, 10, v15
	s_mov_b64 s[6:7], 0
	v_mov_b32_e32 v3, 0
.LBB849_292:                            ; =>This Inner Loop Header: Depth=1
	ds_read_u16 v13, v12
	ds_read_u16 v15, v12 offset:1024
	ds_read_u16 v19, v12 offset:2048
	;; [unrolled: 1-line block ×3, first 2 shown]
	v_mov_b32_e32 v2, v4
	v_add_u32_e32 v1, -1, v1
	v_lshl_add_u64 v[16:17], v[2:3], 1, v[10:11]
	v_mov_b32_e32 v2, v5
	v_cmp_eq_u32_e32 vcc, 0, v1
	v_lshl_add_u64 v[22:23], v[2:3], 1, v[10:11]
	v_mov_b32_e32 v2, v6
	v_add_u32_e32 v4, 0x800, v4
	v_add_u32_e32 v12, 0x1000, v12
	;; [unrolled: 1-line block ×4, first 2 shown]
	s_or_b64 s[6:7], vcc, s[6:7]
	v_lshl_add_u64 v[24:25], v[2:3], 1, v[10:11]
	v_mov_b32_e32 v2, v7
	v_add_u32_e32 v7, 0x800, v7
	v_lshl_add_u64 v[26:27], v[2:3], 1, v[10:11]
	s_waitcnt lgkmcnt(3)
	global_store_short v[16:17], v13, off
	s_waitcnt lgkmcnt(2)
	global_store_short v[22:23], v15, off
	;; [unrolled: 2-line block ×4, first 2 shown]
	s_andn2_b64 exec, exec, s[6:7]
	s_cbranch_execnz .LBB849_292
.LBB849_293:
	s_or_b64 exec, exec, s[4:5]
	v_add_u32_e32 v1, 1, v14
	v_and_b32_e32 v2, 0xfffffc, v1
	v_cmp_ne_u32_e32 vcc, v1, v2
	v_lshl_or_b32 v0, v2, 9, v0
	s_orn2_b64 s[4:5], vcc, exec
.LBB849_294:
	s_or_b64 exec, exec, s[2:3]
	s_and_b64 exec, exec, s[4:5]
	s_cbranch_execz .LBB849_297
; %bb.295:
	v_lshlrev_b32_e32 v2, 1, v0
	s_mov_b64 s[2:3], 0
	v_mov_b32_e32 v1, 0
.LBB849_296:                            ; =>This Inner Loop Header: Depth=1
	ds_read_u16 v3, v2
	v_lshl_add_u64 v[4:5], v[0:1], 1, v[10:11]
	v_add_u32_e32 v0, 0x200, v0
	v_cmp_ge_u32_e32 vcc, v0, v18
	v_add_u32_e32 v2, 0x400, v2
	s_or_b64 s[2:3], vcc, s[2:3]
	s_waitcnt lgkmcnt(0)
	global_store_short v[4:5], v3, off
	s_andn2_b64 exec, exec, s[2:3]
	s_cbranch_execnz .LBB849_296
.LBB849_297:
	s_or_b64 exec, exec, s[0:1]
	s_and_b64 s[0:1], s[18:19], s[22:23]
	s_and_saveexec_b64 s[2:3], s[0:1]
	s_cbranch_execz .LBB849_132
.LBB849_298:
	v_mov_b32_e32 v19, 0
	v_lshl_add_u64 v[0:1], v[8:9], 0, v[18:19]
	v_mov_b32_e32 v21, v19
	v_lshl_add_u64 v[0:1], v[0:1], 0, v[20:21]
	global_store_dwordx2 v19, v[0:1], s[20:21]
	s_endpgm
	.section	.rodata,"a",@progbits
	.p2align	6, 0x0
	.amdhsa_kernel _ZN7rocprim17ROCPRIM_400000_NS6detail17trampoline_kernelINS0_14default_configENS1_25partition_config_selectorILNS1_17partition_subalgoE8EN3c108BFloat16ENS0_10empty_typeEbEEZZNS1_14partition_implILS5_8ELb0ES3_jPKS7_PS8_PKS8_NS0_5tupleIJPS7_S8_EEENSG_IJSD_SD_EEENS0_18inequality_wrapperIN6hipcub16HIPCUB_304000_NS8EqualityEEEPlJS8_EEE10hipError_tPvRmT3_T4_T5_T6_T7_T9_mT8_P12ihipStream_tbDpT10_ENKUlT_T0_E_clISt17integral_constantIbLb0EES18_IbLb1EEEEDaS14_S15_EUlS14_E_NS1_11comp_targetILNS1_3genE5ELNS1_11target_archE942ELNS1_3gpuE9ELNS1_3repE0EEENS1_30default_config_static_selectorELNS0_4arch9wavefront6targetE1EEEvT1_
		.amdhsa_group_segment_fixed_size 30728
		.amdhsa_private_segment_fixed_size 0
		.amdhsa_kernarg_size 128
		.amdhsa_user_sgpr_count 2
		.amdhsa_user_sgpr_dispatch_ptr 0
		.amdhsa_user_sgpr_queue_ptr 0
		.amdhsa_user_sgpr_kernarg_segment_ptr 1
		.amdhsa_user_sgpr_dispatch_id 0
		.amdhsa_user_sgpr_kernarg_preload_length 0
		.amdhsa_user_sgpr_kernarg_preload_offset 0
		.amdhsa_user_sgpr_private_segment_size 0
		.amdhsa_uses_dynamic_stack 0
		.amdhsa_enable_private_segment 0
		.amdhsa_system_sgpr_workgroup_id_x 1
		.amdhsa_system_sgpr_workgroup_id_y 0
		.amdhsa_system_sgpr_workgroup_id_z 0
		.amdhsa_system_sgpr_workgroup_info 0
		.amdhsa_system_vgpr_workitem_id 0
		.amdhsa_next_free_vgpr 116
		.amdhsa_next_free_sgpr 38
		.amdhsa_accum_offset 116
		.amdhsa_reserve_vcc 1
		.amdhsa_float_round_mode_32 0
		.amdhsa_float_round_mode_16_64 0
		.amdhsa_float_denorm_mode_32 3
		.amdhsa_float_denorm_mode_16_64 3
		.amdhsa_dx10_clamp 1
		.amdhsa_ieee_mode 1
		.amdhsa_fp16_overflow 0
		.amdhsa_tg_split 0
		.amdhsa_exception_fp_ieee_invalid_op 0
		.amdhsa_exception_fp_denorm_src 0
		.amdhsa_exception_fp_ieee_div_zero 0
		.amdhsa_exception_fp_ieee_overflow 0
		.amdhsa_exception_fp_ieee_underflow 0
		.amdhsa_exception_fp_ieee_inexact 0
		.amdhsa_exception_int_div_zero 0
	.end_amdhsa_kernel
	.section	.text._ZN7rocprim17ROCPRIM_400000_NS6detail17trampoline_kernelINS0_14default_configENS1_25partition_config_selectorILNS1_17partition_subalgoE8EN3c108BFloat16ENS0_10empty_typeEbEEZZNS1_14partition_implILS5_8ELb0ES3_jPKS7_PS8_PKS8_NS0_5tupleIJPS7_S8_EEENSG_IJSD_SD_EEENS0_18inequality_wrapperIN6hipcub16HIPCUB_304000_NS8EqualityEEEPlJS8_EEE10hipError_tPvRmT3_T4_T5_T6_T7_T9_mT8_P12ihipStream_tbDpT10_ENKUlT_T0_E_clISt17integral_constantIbLb0EES18_IbLb1EEEEDaS14_S15_EUlS14_E_NS1_11comp_targetILNS1_3genE5ELNS1_11target_archE942ELNS1_3gpuE9ELNS1_3repE0EEENS1_30default_config_static_selectorELNS0_4arch9wavefront6targetE1EEEvT1_,"axG",@progbits,_ZN7rocprim17ROCPRIM_400000_NS6detail17trampoline_kernelINS0_14default_configENS1_25partition_config_selectorILNS1_17partition_subalgoE8EN3c108BFloat16ENS0_10empty_typeEbEEZZNS1_14partition_implILS5_8ELb0ES3_jPKS7_PS8_PKS8_NS0_5tupleIJPS7_S8_EEENSG_IJSD_SD_EEENS0_18inequality_wrapperIN6hipcub16HIPCUB_304000_NS8EqualityEEEPlJS8_EEE10hipError_tPvRmT3_T4_T5_T6_T7_T9_mT8_P12ihipStream_tbDpT10_ENKUlT_T0_E_clISt17integral_constantIbLb0EES18_IbLb1EEEEDaS14_S15_EUlS14_E_NS1_11comp_targetILNS1_3genE5ELNS1_11target_archE942ELNS1_3gpuE9ELNS1_3repE0EEENS1_30default_config_static_selectorELNS0_4arch9wavefront6targetE1EEEvT1_,comdat
.Lfunc_end849:
	.size	_ZN7rocprim17ROCPRIM_400000_NS6detail17trampoline_kernelINS0_14default_configENS1_25partition_config_selectorILNS1_17partition_subalgoE8EN3c108BFloat16ENS0_10empty_typeEbEEZZNS1_14partition_implILS5_8ELb0ES3_jPKS7_PS8_PKS8_NS0_5tupleIJPS7_S8_EEENSG_IJSD_SD_EEENS0_18inequality_wrapperIN6hipcub16HIPCUB_304000_NS8EqualityEEEPlJS8_EEE10hipError_tPvRmT3_T4_T5_T6_T7_T9_mT8_P12ihipStream_tbDpT10_ENKUlT_T0_E_clISt17integral_constantIbLb0EES18_IbLb1EEEEDaS14_S15_EUlS14_E_NS1_11comp_targetILNS1_3genE5ELNS1_11target_archE942ELNS1_3gpuE9ELNS1_3repE0EEENS1_30default_config_static_selectorELNS0_4arch9wavefront6targetE1EEEvT1_, .Lfunc_end849-_ZN7rocprim17ROCPRIM_400000_NS6detail17trampoline_kernelINS0_14default_configENS1_25partition_config_selectorILNS1_17partition_subalgoE8EN3c108BFloat16ENS0_10empty_typeEbEEZZNS1_14partition_implILS5_8ELb0ES3_jPKS7_PS8_PKS8_NS0_5tupleIJPS7_S8_EEENSG_IJSD_SD_EEENS0_18inequality_wrapperIN6hipcub16HIPCUB_304000_NS8EqualityEEEPlJS8_EEE10hipError_tPvRmT3_T4_T5_T6_T7_T9_mT8_P12ihipStream_tbDpT10_ENKUlT_T0_E_clISt17integral_constantIbLb0EES18_IbLb1EEEEDaS14_S15_EUlS14_E_NS1_11comp_targetILNS1_3genE5ELNS1_11target_archE942ELNS1_3gpuE9ELNS1_3repE0EEENS1_30default_config_static_selectorELNS0_4arch9wavefront6targetE1EEEvT1_
                                        ; -- End function
	.section	.AMDGPU.csdata,"",@progbits
; Kernel info:
; codeLenInByte = 13316
; NumSgprs: 44
; NumVgprs: 116
; NumAgprs: 0
; TotalNumVgprs: 116
; ScratchSize: 0
; MemoryBound: 0
; FloatMode: 240
; IeeeMode: 1
; LDSByteSize: 30728 bytes/workgroup (compile time only)
; SGPRBlocks: 5
; VGPRBlocks: 14
; NumSGPRsForWavesPerEU: 44
; NumVGPRsForWavesPerEU: 116
; AccumOffset: 116
; Occupancy: 4
; WaveLimiterHint : 1
; COMPUTE_PGM_RSRC2:SCRATCH_EN: 0
; COMPUTE_PGM_RSRC2:USER_SGPR: 2
; COMPUTE_PGM_RSRC2:TRAP_HANDLER: 0
; COMPUTE_PGM_RSRC2:TGID_X_EN: 1
; COMPUTE_PGM_RSRC2:TGID_Y_EN: 0
; COMPUTE_PGM_RSRC2:TGID_Z_EN: 0
; COMPUTE_PGM_RSRC2:TIDIG_COMP_CNT: 0
; COMPUTE_PGM_RSRC3_GFX90A:ACCUM_OFFSET: 28
; COMPUTE_PGM_RSRC3_GFX90A:TG_SPLIT: 0
	.section	.text._ZN7rocprim17ROCPRIM_400000_NS6detail17trampoline_kernelINS0_14default_configENS1_25partition_config_selectorILNS1_17partition_subalgoE8EN3c108BFloat16ENS0_10empty_typeEbEEZZNS1_14partition_implILS5_8ELb0ES3_jPKS7_PS8_PKS8_NS0_5tupleIJPS7_S8_EEENSG_IJSD_SD_EEENS0_18inequality_wrapperIN6hipcub16HIPCUB_304000_NS8EqualityEEEPlJS8_EEE10hipError_tPvRmT3_T4_T5_T6_T7_T9_mT8_P12ihipStream_tbDpT10_ENKUlT_T0_E_clISt17integral_constantIbLb0EES18_IbLb1EEEEDaS14_S15_EUlS14_E_NS1_11comp_targetILNS1_3genE4ELNS1_11target_archE910ELNS1_3gpuE8ELNS1_3repE0EEENS1_30default_config_static_selectorELNS0_4arch9wavefront6targetE1EEEvT1_,"axG",@progbits,_ZN7rocprim17ROCPRIM_400000_NS6detail17trampoline_kernelINS0_14default_configENS1_25partition_config_selectorILNS1_17partition_subalgoE8EN3c108BFloat16ENS0_10empty_typeEbEEZZNS1_14partition_implILS5_8ELb0ES3_jPKS7_PS8_PKS8_NS0_5tupleIJPS7_S8_EEENSG_IJSD_SD_EEENS0_18inequality_wrapperIN6hipcub16HIPCUB_304000_NS8EqualityEEEPlJS8_EEE10hipError_tPvRmT3_T4_T5_T6_T7_T9_mT8_P12ihipStream_tbDpT10_ENKUlT_T0_E_clISt17integral_constantIbLb0EES18_IbLb1EEEEDaS14_S15_EUlS14_E_NS1_11comp_targetILNS1_3genE4ELNS1_11target_archE910ELNS1_3gpuE8ELNS1_3repE0EEENS1_30default_config_static_selectorELNS0_4arch9wavefront6targetE1EEEvT1_,comdat
	.protected	_ZN7rocprim17ROCPRIM_400000_NS6detail17trampoline_kernelINS0_14default_configENS1_25partition_config_selectorILNS1_17partition_subalgoE8EN3c108BFloat16ENS0_10empty_typeEbEEZZNS1_14partition_implILS5_8ELb0ES3_jPKS7_PS8_PKS8_NS0_5tupleIJPS7_S8_EEENSG_IJSD_SD_EEENS0_18inequality_wrapperIN6hipcub16HIPCUB_304000_NS8EqualityEEEPlJS8_EEE10hipError_tPvRmT3_T4_T5_T6_T7_T9_mT8_P12ihipStream_tbDpT10_ENKUlT_T0_E_clISt17integral_constantIbLb0EES18_IbLb1EEEEDaS14_S15_EUlS14_E_NS1_11comp_targetILNS1_3genE4ELNS1_11target_archE910ELNS1_3gpuE8ELNS1_3repE0EEENS1_30default_config_static_selectorELNS0_4arch9wavefront6targetE1EEEvT1_ ; -- Begin function _ZN7rocprim17ROCPRIM_400000_NS6detail17trampoline_kernelINS0_14default_configENS1_25partition_config_selectorILNS1_17partition_subalgoE8EN3c108BFloat16ENS0_10empty_typeEbEEZZNS1_14partition_implILS5_8ELb0ES3_jPKS7_PS8_PKS8_NS0_5tupleIJPS7_S8_EEENSG_IJSD_SD_EEENS0_18inequality_wrapperIN6hipcub16HIPCUB_304000_NS8EqualityEEEPlJS8_EEE10hipError_tPvRmT3_T4_T5_T6_T7_T9_mT8_P12ihipStream_tbDpT10_ENKUlT_T0_E_clISt17integral_constantIbLb0EES18_IbLb1EEEEDaS14_S15_EUlS14_E_NS1_11comp_targetILNS1_3genE4ELNS1_11target_archE910ELNS1_3gpuE8ELNS1_3repE0EEENS1_30default_config_static_selectorELNS0_4arch9wavefront6targetE1EEEvT1_
	.globl	_ZN7rocprim17ROCPRIM_400000_NS6detail17trampoline_kernelINS0_14default_configENS1_25partition_config_selectorILNS1_17partition_subalgoE8EN3c108BFloat16ENS0_10empty_typeEbEEZZNS1_14partition_implILS5_8ELb0ES3_jPKS7_PS8_PKS8_NS0_5tupleIJPS7_S8_EEENSG_IJSD_SD_EEENS0_18inequality_wrapperIN6hipcub16HIPCUB_304000_NS8EqualityEEEPlJS8_EEE10hipError_tPvRmT3_T4_T5_T6_T7_T9_mT8_P12ihipStream_tbDpT10_ENKUlT_T0_E_clISt17integral_constantIbLb0EES18_IbLb1EEEEDaS14_S15_EUlS14_E_NS1_11comp_targetILNS1_3genE4ELNS1_11target_archE910ELNS1_3gpuE8ELNS1_3repE0EEENS1_30default_config_static_selectorELNS0_4arch9wavefront6targetE1EEEvT1_
	.p2align	8
	.type	_ZN7rocprim17ROCPRIM_400000_NS6detail17trampoline_kernelINS0_14default_configENS1_25partition_config_selectorILNS1_17partition_subalgoE8EN3c108BFloat16ENS0_10empty_typeEbEEZZNS1_14partition_implILS5_8ELb0ES3_jPKS7_PS8_PKS8_NS0_5tupleIJPS7_S8_EEENSG_IJSD_SD_EEENS0_18inequality_wrapperIN6hipcub16HIPCUB_304000_NS8EqualityEEEPlJS8_EEE10hipError_tPvRmT3_T4_T5_T6_T7_T9_mT8_P12ihipStream_tbDpT10_ENKUlT_T0_E_clISt17integral_constantIbLb0EES18_IbLb1EEEEDaS14_S15_EUlS14_E_NS1_11comp_targetILNS1_3genE4ELNS1_11target_archE910ELNS1_3gpuE8ELNS1_3repE0EEENS1_30default_config_static_selectorELNS0_4arch9wavefront6targetE1EEEvT1_,@function
_ZN7rocprim17ROCPRIM_400000_NS6detail17trampoline_kernelINS0_14default_configENS1_25partition_config_selectorILNS1_17partition_subalgoE8EN3c108BFloat16ENS0_10empty_typeEbEEZZNS1_14partition_implILS5_8ELb0ES3_jPKS7_PS8_PKS8_NS0_5tupleIJPS7_S8_EEENSG_IJSD_SD_EEENS0_18inequality_wrapperIN6hipcub16HIPCUB_304000_NS8EqualityEEEPlJS8_EEE10hipError_tPvRmT3_T4_T5_T6_T7_T9_mT8_P12ihipStream_tbDpT10_ENKUlT_T0_E_clISt17integral_constantIbLb0EES18_IbLb1EEEEDaS14_S15_EUlS14_E_NS1_11comp_targetILNS1_3genE4ELNS1_11target_archE910ELNS1_3gpuE8ELNS1_3repE0EEENS1_30default_config_static_selectorELNS0_4arch9wavefront6targetE1EEEvT1_: ; @_ZN7rocprim17ROCPRIM_400000_NS6detail17trampoline_kernelINS0_14default_configENS1_25partition_config_selectorILNS1_17partition_subalgoE8EN3c108BFloat16ENS0_10empty_typeEbEEZZNS1_14partition_implILS5_8ELb0ES3_jPKS7_PS8_PKS8_NS0_5tupleIJPS7_S8_EEENSG_IJSD_SD_EEENS0_18inequality_wrapperIN6hipcub16HIPCUB_304000_NS8EqualityEEEPlJS8_EEE10hipError_tPvRmT3_T4_T5_T6_T7_T9_mT8_P12ihipStream_tbDpT10_ENKUlT_T0_E_clISt17integral_constantIbLb0EES18_IbLb1EEEEDaS14_S15_EUlS14_E_NS1_11comp_targetILNS1_3genE4ELNS1_11target_archE910ELNS1_3gpuE8ELNS1_3repE0EEENS1_30default_config_static_selectorELNS0_4arch9wavefront6targetE1EEEvT1_
; %bb.0:
	.section	.rodata,"a",@progbits
	.p2align	6, 0x0
	.amdhsa_kernel _ZN7rocprim17ROCPRIM_400000_NS6detail17trampoline_kernelINS0_14default_configENS1_25partition_config_selectorILNS1_17partition_subalgoE8EN3c108BFloat16ENS0_10empty_typeEbEEZZNS1_14partition_implILS5_8ELb0ES3_jPKS7_PS8_PKS8_NS0_5tupleIJPS7_S8_EEENSG_IJSD_SD_EEENS0_18inequality_wrapperIN6hipcub16HIPCUB_304000_NS8EqualityEEEPlJS8_EEE10hipError_tPvRmT3_T4_T5_T6_T7_T9_mT8_P12ihipStream_tbDpT10_ENKUlT_T0_E_clISt17integral_constantIbLb0EES18_IbLb1EEEEDaS14_S15_EUlS14_E_NS1_11comp_targetILNS1_3genE4ELNS1_11target_archE910ELNS1_3gpuE8ELNS1_3repE0EEENS1_30default_config_static_selectorELNS0_4arch9wavefront6targetE1EEEvT1_
		.amdhsa_group_segment_fixed_size 0
		.amdhsa_private_segment_fixed_size 0
		.amdhsa_kernarg_size 128
		.amdhsa_user_sgpr_count 2
		.amdhsa_user_sgpr_dispatch_ptr 0
		.amdhsa_user_sgpr_queue_ptr 0
		.amdhsa_user_sgpr_kernarg_segment_ptr 1
		.amdhsa_user_sgpr_dispatch_id 0
		.amdhsa_user_sgpr_kernarg_preload_length 0
		.amdhsa_user_sgpr_kernarg_preload_offset 0
		.amdhsa_user_sgpr_private_segment_size 0
		.amdhsa_uses_dynamic_stack 0
		.amdhsa_enable_private_segment 0
		.amdhsa_system_sgpr_workgroup_id_x 1
		.amdhsa_system_sgpr_workgroup_id_y 0
		.amdhsa_system_sgpr_workgroup_id_z 0
		.amdhsa_system_sgpr_workgroup_info 0
		.amdhsa_system_vgpr_workitem_id 0
		.amdhsa_next_free_vgpr 1
		.amdhsa_next_free_sgpr 0
		.amdhsa_accum_offset 4
		.amdhsa_reserve_vcc 0
		.amdhsa_float_round_mode_32 0
		.amdhsa_float_round_mode_16_64 0
		.amdhsa_float_denorm_mode_32 3
		.amdhsa_float_denorm_mode_16_64 3
		.amdhsa_dx10_clamp 1
		.amdhsa_ieee_mode 1
		.amdhsa_fp16_overflow 0
		.amdhsa_tg_split 0
		.amdhsa_exception_fp_ieee_invalid_op 0
		.amdhsa_exception_fp_denorm_src 0
		.amdhsa_exception_fp_ieee_div_zero 0
		.amdhsa_exception_fp_ieee_overflow 0
		.amdhsa_exception_fp_ieee_underflow 0
		.amdhsa_exception_fp_ieee_inexact 0
		.amdhsa_exception_int_div_zero 0
	.end_amdhsa_kernel
	.section	.text._ZN7rocprim17ROCPRIM_400000_NS6detail17trampoline_kernelINS0_14default_configENS1_25partition_config_selectorILNS1_17partition_subalgoE8EN3c108BFloat16ENS0_10empty_typeEbEEZZNS1_14partition_implILS5_8ELb0ES3_jPKS7_PS8_PKS8_NS0_5tupleIJPS7_S8_EEENSG_IJSD_SD_EEENS0_18inequality_wrapperIN6hipcub16HIPCUB_304000_NS8EqualityEEEPlJS8_EEE10hipError_tPvRmT3_T4_T5_T6_T7_T9_mT8_P12ihipStream_tbDpT10_ENKUlT_T0_E_clISt17integral_constantIbLb0EES18_IbLb1EEEEDaS14_S15_EUlS14_E_NS1_11comp_targetILNS1_3genE4ELNS1_11target_archE910ELNS1_3gpuE8ELNS1_3repE0EEENS1_30default_config_static_selectorELNS0_4arch9wavefront6targetE1EEEvT1_,"axG",@progbits,_ZN7rocprim17ROCPRIM_400000_NS6detail17trampoline_kernelINS0_14default_configENS1_25partition_config_selectorILNS1_17partition_subalgoE8EN3c108BFloat16ENS0_10empty_typeEbEEZZNS1_14partition_implILS5_8ELb0ES3_jPKS7_PS8_PKS8_NS0_5tupleIJPS7_S8_EEENSG_IJSD_SD_EEENS0_18inequality_wrapperIN6hipcub16HIPCUB_304000_NS8EqualityEEEPlJS8_EEE10hipError_tPvRmT3_T4_T5_T6_T7_T9_mT8_P12ihipStream_tbDpT10_ENKUlT_T0_E_clISt17integral_constantIbLb0EES18_IbLb1EEEEDaS14_S15_EUlS14_E_NS1_11comp_targetILNS1_3genE4ELNS1_11target_archE910ELNS1_3gpuE8ELNS1_3repE0EEENS1_30default_config_static_selectorELNS0_4arch9wavefront6targetE1EEEvT1_,comdat
.Lfunc_end850:
	.size	_ZN7rocprim17ROCPRIM_400000_NS6detail17trampoline_kernelINS0_14default_configENS1_25partition_config_selectorILNS1_17partition_subalgoE8EN3c108BFloat16ENS0_10empty_typeEbEEZZNS1_14partition_implILS5_8ELb0ES3_jPKS7_PS8_PKS8_NS0_5tupleIJPS7_S8_EEENSG_IJSD_SD_EEENS0_18inequality_wrapperIN6hipcub16HIPCUB_304000_NS8EqualityEEEPlJS8_EEE10hipError_tPvRmT3_T4_T5_T6_T7_T9_mT8_P12ihipStream_tbDpT10_ENKUlT_T0_E_clISt17integral_constantIbLb0EES18_IbLb1EEEEDaS14_S15_EUlS14_E_NS1_11comp_targetILNS1_3genE4ELNS1_11target_archE910ELNS1_3gpuE8ELNS1_3repE0EEENS1_30default_config_static_selectorELNS0_4arch9wavefront6targetE1EEEvT1_, .Lfunc_end850-_ZN7rocprim17ROCPRIM_400000_NS6detail17trampoline_kernelINS0_14default_configENS1_25partition_config_selectorILNS1_17partition_subalgoE8EN3c108BFloat16ENS0_10empty_typeEbEEZZNS1_14partition_implILS5_8ELb0ES3_jPKS7_PS8_PKS8_NS0_5tupleIJPS7_S8_EEENSG_IJSD_SD_EEENS0_18inequality_wrapperIN6hipcub16HIPCUB_304000_NS8EqualityEEEPlJS8_EEE10hipError_tPvRmT3_T4_T5_T6_T7_T9_mT8_P12ihipStream_tbDpT10_ENKUlT_T0_E_clISt17integral_constantIbLb0EES18_IbLb1EEEEDaS14_S15_EUlS14_E_NS1_11comp_targetILNS1_3genE4ELNS1_11target_archE910ELNS1_3gpuE8ELNS1_3repE0EEENS1_30default_config_static_selectorELNS0_4arch9wavefront6targetE1EEEvT1_
                                        ; -- End function
	.section	.AMDGPU.csdata,"",@progbits
; Kernel info:
; codeLenInByte = 0
; NumSgprs: 6
; NumVgprs: 0
; NumAgprs: 0
; TotalNumVgprs: 0
; ScratchSize: 0
; MemoryBound: 0
; FloatMode: 240
; IeeeMode: 1
; LDSByteSize: 0 bytes/workgroup (compile time only)
; SGPRBlocks: 0
; VGPRBlocks: 0
; NumSGPRsForWavesPerEU: 6
; NumVGPRsForWavesPerEU: 1
; AccumOffset: 4
; Occupancy: 8
; WaveLimiterHint : 0
; COMPUTE_PGM_RSRC2:SCRATCH_EN: 0
; COMPUTE_PGM_RSRC2:USER_SGPR: 2
; COMPUTE_PGM_RSRC2:TRAP_HANDLER: 0
; COMPUTE_PGM_RSRC2:TGID_X_EN: 1
; COMPUTE_PGM_RSRC2:TGID_Y_EN: 0
; COMPUTE_PGM_RSRC2:TGID_Z_EN: 0
; COMPUTE_PGM_RSRC2:TIDIG_COMP_CNT: 0
; COMPUTE_PGM_RSRC3_GFX90A:ACCUM_OFFSET: 0
; COMPUTE_PGM_RSRC3_GFX90A:TG_SPLIT: 0
	.section	.text._ZN7rocprim17ROCPRIM_400000_NS6detail17trampoline_kernelINS0_14default_configENS1_25partition_config_selectorILNS1_17partition_subalgoE8EN3c108BFloat16ENS0_10empty_typeEbEEZZNS1_14partition_implILS5_8ELb0ES3_jPKS7_PS8_PKS8_NS0_5tupleIJPS7_S8_EEENSG_IJSD_SD_EEENS0_18inequality_wrapperIN6hipcub16HIPCUB_304000_NS8EqualityEEEPlJS8_EEE10hipError_tPvRmT3_T4_T5_T6_T7_T9_mT8_P12ihipStream_tbDpT10_ENKUlT_T0_E_clISt17integral_constantIbLb0EES18_IbLb1EEEEDaS14_S15_EUlS14_E_NS1_11comp_targetILNS1_3genE3ELNS1_11target_archE908ELNS1_3gpuE7ELNS1_3repE0EEENS1_30default_config_static_selectorELNS0_4arch9wavefront6targetE1EEEvT1_,"axG",@progbits,_ZN7rocprim17ROCPRIM_400000_NS6detail17trampoline_kernelINS0_14default_configENS1_25partition_config_selectorILNS1_17partition_subalgoE8EN3c108BFloat16ENS0_10empty_typeEbEEZZNS1_14partition_implILS5_8ELb0ES3_jPKS7_PS8_PKS8_NS0_5tupleIJPS7_S8_EEENSG_IJSD_SD_EEENS0_18inequality_wrapperIN6hipcub16HIPCUB_304000_NS8EqualityEEEPlJS8_EEE10hipError_tPvRmT3_T4_T5_T6_T7_T9_mT8_P12ihipStream_tbDpT10_ENKUlT_T0_E_clISt17integral_constantIbLb0EES18_IbLb1EEEEDaS14_S15_EUlS14_E_NS1_11comp_targetILNS1_3genE3ELNS1_11target_archE908ELNS1_3gpuE7ELNS1_3repE0EEENS1_30default_config_static_selectorELNS0_4arch9wavefront6targetE1EEEvT1_,comdat
	.protected	_ZN7rocprim17ROCPRIM_400000_NS6detail17trampoline_kernelINS0_14default_configENS1_25partition_config_selectorILNS1_17partition_subalgoE8EN3c108BFloat16ENS0_10empty_typeEbEEZZNS1_14partition_implILS5_8ELb0ES3_jPKS7_PS8_PKS8_NS0_5tupleIJPS7_S8_EEENSG_IJSD_SD_EEENS0_18inequality_wrapperIN6hipcub16HIPCUB_304000_NS8EqualityEEEPlJS8_EEE10hipError_tPvRmT3_T4_T5_T6_T7_T9_mT8_P12ihipStream_tbDpT10_ENKUlT_T0_E_clISt17integral_constantIbLb0EES18_IbLb1EEEEDaS14_S15_EUlS14_E_NS1_11comp_targetILNS1_3genE3ELNS1_11target_archE908ELNS1_3gpuE7ELNS1_3repE0EEENS1_30default_config_static_selectorELNS0_4arch9wavefront6targetE1EEEvT1_ ; -- Begin function _ZN7rocprim17ROCPRIM_400000_NS6detail17trampoline_kernelINS0_14default_configENS1_25partition_config_selectorILNS1_17partition_subalgoE8EN3c108BFloat16ENS0_10empty_typeEbEEZZNS1_14partition_implILS5_8ELb0ES3_jPKS7_PS8_PKS8_NS0_5tupleIJPS7_S8_EEENSG_IJSD_SD_EEENS0_18inequality_wrapperIN6hipcub16HIPCUB_304000_NS8EqualityEEEPlJS8_EEE10hipError_tPvRmT3_T4_T5_T6_T7_T9_mT8_P12ihipStream_tbDpT10_ENKUlT_T0_E_clISt17integral_constantIbLb0EES18_IbLb1EEEEDaS14_S15_EUlS14_E_NS1_11comp_targetILNS1_3genE3ELNS1_11target_archE908ELNS1_3gpuE7ELNS1_3repE0EEENS1_30default_config_static_selectorELNS0_4arch9wavefront6targetE1EEEvT1_
	.globl	_ZN7rocprim17ROCPRIM_400000_NS6detail17trampoline_kernelINS0_14default_configENS1_25partition_config_selectorILNS1_17partition_subalgoE8EN3c108BFloat16ENS0_10empty_typeEbEEZZNS1_14partition_implILS5_8ELb0ES3_jPKS7_PS8_PKS8_NS0_5tupleIJPS7_S8_EEENSG_IJSD_SD_EEENS0_18inequality_wrapperIN6hipcub16HIPCUB_304000_NS8EqualityEEEPlJS8_EEE10hipError_tPvRmT3_T4_T5_T6_T7_T9_mT8_P12ihipStream_tbDpT10_ENKUlT_T0_E_clISt17integral_constantIbLb0EES18_IbLb1EEEEDaS14_S15_EUlS14_E_NS1_11comp_targetILNS1_3genE3ELNS1_11target_archE908ELNS1_3gpuE7ELNS1_3repE0EEENS1_30default_config_static_selectorELNS0_4arch9wavefront6targetE1EEEvT1_
	.p2align	8
	.type	_ZN7rocprim17ROCPRIM_400000_NS6detail17trampoline_kernelINS0_14default_configENS1_25partition_config_selectorILNS1_17partition_subalgoE8EN3c108BFloat16ENS0_10empty_typeEbEEZZNS1_14partition_implILS5_8ELb0ES3_jPKS7_PS8_PKS8_NS0_5tupleIJPS7_S8_EEENSG_IJSD_SD_EEENS0_18inequality_wrapperIN6hipcub16HIPCUB_304000_NS8EqualityEEEPlJS8_EEE10hipError_tPvRmT3_T4_T5_T6_T7_T9_mT8_P12ihipStream_tbDpT10_ENKUlT_T0_E_clISt17integral_constantIbLb0EES18_IbLb1EEEEDaS14_S15_EUlS14_E_NS1_11comp_targetILNS1_3genE3ELNS1_11target_archE908ELNS1_3gpuE7ELNS1_3repE0EEENS1_30default_config_static_selectorELNS0_4arch9wavefront6targetE1EEEvT1_,@function
_ZN7rocprim17ROCPRIM_400000_NS6detail17trampoline_kernelINS0_14default_configENS1_25partition_config_selectorILNS1_17partition_subalgoE8EN3c108BFloat16ENS0_10empty_typeEbEEZZNS1_14partition_implILS5_8ELb0ES3_jPKS7_PS8_PKS8_NS0_5tupleIJPS7_S8_EEENSG_IJSD_SD_EEENS0_18inequality_wrapperIN6hipcub16HIPCUB_304000_NS8EqualityEEEPlJS8_EEE10hipError_tPvRmT3_T4_T5_T6_T7_T9_mT8_P12ihipStream_tbDpT10_ENKUlT_T0_E_clISt17integral_constantIbLb0EES18_IbLb1EEEEDaS14_S15_EUlS14_E_NS1_11comp_targetILNS1_3genE3ELNS1_11target_archE908ELNS1_3gpuE7ELNS1_3repE0EEENS1_30default_config_static_selectorELNS0_4arch9wavefront6targetE1EEEvT1_: ; @_ZN7rocprim17ROCPRIM_400000_NS6detail17trampoline_kernelINS0_14default_configENS1_25partition_config_selectorILNS1_17partition_subalgoE8EN3c108BFloat16ENS0_10empty_typeEbEEZZNS1_14partition_implILS5_8ELb0ES3_jPKS7_PS8_PKS8_NS0_5tupleIJPS7_S8_EEENSG_IJSD_SD_EEENS0_18inequality_wrapperIN6hipcub16HIPCUB_304000_NS8EqualityEEEPlJS8_EEE10hipError_tPvRmT3_T4_T5_T6_T7_T9_mT8_P12ihipStream_tbDpT10_ENKUlT_T0_E_clISt17integral_constantIbLb0EES18_IbLb1EEEEDaS14_S15_EUlS14_E_NS1_11comp_targetILNS1_3genE3ELNS1_11target_archE908ELNS1_3gpuE7ELNS1_3repE0EEENS1_30default_config_static_selectorELNS0_4arch9wavefront6targetE1EEEvT1_
; %bb.0:
	.section	.rodata,"a",@progbits
	.p2align	6, 0x0
	.amdhsa_kernel _ZN7rocprim17ROCPRIM_400000_NS6detail17trampoline_kernelINS0_14default_configENS1_25partition_config_selectorILNS1_17partition_subalgoE8EN3c108BFloat16ENS0_10empty_typeEbEEZZNS1_14partition_implILS5_8ELb0ES3_jPKS7_PS8_PKS8_NS0_5tupleIJPS7_S8_EEENSG_IJSD_SD_EEENS0_18inequality_wrapperIN6hipcub16HIPCUB_304000_NS8EqualityEEEPlJS8_EEE10hipError_tPvRmT3_T4_T5_T6_T7_T9_mT8_P12ihipStream_tbDpT10_ENKUlT_T0_E_clISt17integral_constantIbLb0EES18_IbLb1EEEEDaS14_S15_EUlS14_E_NS1_11comp_targetILNS1_3genE3ELNS1_11target_archE908ELNS1_3gpuE7ELNS1_3repE0EEENS1_30default_config_static_selectorELNS0_4arch9wavefront6targetE1EEEvT1_
		.amdhsa_group_segment_fixed_size 0
		.amdhsa_private_segment_fixed_size 0
		.amdhsa_kernarg_size 128
		.amdhsa_user_sgpr_count 2
		.amdhsa_user_sgpr_dispatch_ptr 0
		.amdhsa_user_sgpr_queue_ptr 0
		.amdhsa_user_sgpr_kernarg_segment_ptr 1
		.amdhsa_user_sgpr_dispatch_id 0
		.amdhsa_user_sgpr_kernarg_preload_length 0
		.amdhsa_user_sgpr_kernarg_preload_offset 0
		.amdhsa_user_sgpr_private_segment_size 0
		.amdhsa_uses_dynamic_stack 0
		.amdhsa_enable_private_segment 0
		.amdhsa_system_sgpr_workgroup_id_x 1
		.amdhsa_system_sgpr_workgroup_id_y 0
		.amdhsa_system_sgpr_workgroup_id_z 0
		.amdhsa_system_sgpr_workgroup_info 0
		.amdhsa_system_vgpr_workitem_id 0
		.amdhsa_next_free_vgpr 1
		.amdhsa_next_free_sgpr 0
		.amdhsa_accum_offset 4
		.amdhsa_reserve_vcc 0
		.amdhsa_float_round_mode_32 0
		.amdhsa_float_round_mode_16_64 0
		.amdhsa_float_denorm_mode_32 3
		.amdhsa_float_denorm_mode_16_64 3
		.amdhsa_dx10_clamp 1
		.amdhsa_ieee_mode 1
		.amdhsa_fp16_overflow 0
		.amdhsa_tg_split 0
		.amdhsa_exception_fp_ieee_invalid_op 0
		.amdhsa_exception_fp_denorm_src 0
		.amdhsa_exception_fp_ieee_div_zero 0
		.amdhsa_exception_fp_ieee_overflow 0
		.amdhsa_exception_fp_ieee_underflow 0
		.amdhsa_exception_fp_ieee_inexact 0
		.amdhsa_exception_int_div_zero 0
	.end_amdhsa_kernel
	.section	.text._ZN7rocprim17ROCPRIM_400000_NS6detail17trampoline_kernelINS0_14default_configENS1_25partition_config_selectorILNS1_17partition_subalgoE8EN3c108BFloat16ENS0_10empty_typeEbEEZZNS1_14partition_implILS5_8ELb0ES3_jPKS7_PS8_PKS8_NS0_5tupleIJPS7_S8_EEENSG_IJSD_SD_EEENS0_18inequality_wrapperIN6hipcub16HIPCUB_304000_NS8EqualityEEEPlJS8_EEE10hipError_tPvRmT3_T4_T5_T6_T7_T9_mT8_P12ihipStream_tbDpT10_ENKUlT_T0_E_clISt17integral_constantIbLb0EES18_IbLb1EEEEDaS14_S15_EUlS14_E_NS1_11comp_targetILNS1_3genE3ELNS1_11target_archE908ELNS1_3gpuE7ELNS1_3repE0EEENS1_30default_config_static_selectorELNS0_4arch9wavefront6targetE1EEEvT1_,"axG",@progbits,_ZN7rocprim17ROCPRIM_400000_NS6detail17trampoline_kernelINS0_14default_configENS1_25partition_config_selectorILNS1_17partition_subalgoE8EN3c108BFloat16ENS0_10empty_typeEbEEZZNS1_14partition_implILS5_8ELb0ES3_jPKS7_PS8_PKS8_NS0_5tupleIJPS7_S8_EEENSG_IJSD_SD_EEENS0_18inequality_wrapperIN6hipcub16HIPCUB_304000_NS8EqualityEEEPlJS8_EEE10hipError_tPvRmT3_T4_T5_T6_T7_T9_mT8_P12ihipStream_tbDpT10_ENKUlT_T0_E_clISt17integral_constantIbLb0EES18_IbLb1EEEEDaS14_S15_EUlS14_E_NS1_11comp_targetILNS1_3genE3ELNS1_11target_archE908ELNS1_3gpuE7ELNS1_3repE0EEENS1_30default_config_static_selectorELNS0_4arch9wavefront6targetE1EEEvT1_,comdat
.Lfunc_end851:
	.size	_ZN7rocprim17ROCPRIM_400000_NS6detail17trampoline_kernelINS0_14default_configENS1_25partition_config_selectorILNS1_17partition_subalgoE8EN3c108BFloat16ENS0_10empty_typeEbEEZZNS1_14partition_implILS5_8ELb0ES3_jPKS7_PS8_PKS8_NS0_5tupleIJPS7_S8_EEENSG_IJSD_SD_EEENS0_18inequality_wrapperIN6hipcub16HIPCUB_304000_NS8EqualityEEEPlJS8_EEE10hipError_tPvRmT3_T4_T5_T6_T7_T9_mT8_P12ihipStream_tbDpT10_ENKUlT_T0_E_clISt17integral_constantIbLb0EES18_IbLb1EEEEDaS14_S15_EUlS14_E_NS1_11comp_targetILNS1_3genE3ELNS1_11target_archE908ELNS1_3gpuE7ELNS1_3repE0EEENS1_30default_config_static_selectorELNS0_4arch9wavefront6targetE1EEEvT1_, .Lfunc_end851-_ZN7rocprim17ROCPRIM_400000_NS6detail17trampoline_kernelINS0_14default_configENS1_25partition_config_selectorILNS1_17partition_subalgoE8EN3c108BFloat16ENS0_10empty_typeEbEEZZNS1_14partition_implILS5_8ELb0ES3_jPKS7_PS8_PKS8_NS0_5tupleIJPS7_S8_EEENSG_IJSD_SD_EEENS0_18inequality_wrapperIN6hipcub16HIPCUB_304000_NS8EqualityEEEPlJS8_EEE10hipError_tPvRmT3_T4_T5_T6_T7_T9_mT8_P12ihipStream_tbDpT10_ENKUlT_T0_E_clISt17integral_constantIbLb0EES18_IbLb1EEEEDaS14_S15_EUlS14_E_NS1_11comp_targetILNS1_3genE3ELNS1_11target_archE908ELNS1_3gpuE7ELNS1_3repE0EEENS1_30default_config_static_selectorELNS0_4arch9wavefront6targetE1EEEvT1_
                                        ; -- End function
	.section	.AMDGPU.csdata,"",@progbits
; Kernel info:
; codeLenInByte = 0
; NumSgprs: 6
; NumVgprs: 0
; NumAgprs: 0
; TotalNumVgprs: 0
; ScratchSize: 0
; MemoryBound: 0
; FloatMode: 240
; IeeeMode: 1
; LDSByteSize: 0 bytes/workgroup (compile time only)
; SGPRBlocks: 0
; VGPRBlocks: 0
; NumSGPRsForWavesPerEU: 6
; NumVGPRsForWavesPerEU: 1
; AccumOffset: 4
; Occupancy: 8
; WaveLimiterHint : 0
; COMPUTE_PGM_RSRC2:SCRATCH_EN: 0
; COMPUTE_PGM_RSRC2:USER_SGPR: 2
; COMPUTE_PGM_RSRC2:TRAP_HANDLER: 0
; COMPUTE_PGM_RSRC2:TGID_X_EN: 1
; COMPUTE_PGM_RSRC2:TGID_Y_EN: 0
; COMPUTE_PGM_RSRC2:TGID_Z_EN: 0
; COMPUTE_PGM_RSRC2:TIDIG_COMP_CNT: 0
; COMPUTE_PGM_RSRC3_GFX90A:ACCUM_OFFSET: 0
; COMPUTE_PGM_RSRC3_GFX90A:TG_SPLIT: 0
	.section	.text._ZN7rocprim17ROCPRIM_400000_NS6detail17trampoline_kernelINS0_14default_configENS1_25partition_config_selectorILNS1_17partition_subalgoE8EN3c108BFloat16ENS0_10empty_typeEbEEZZNS1_14partition_implILS5_8ELb0ES3_jPKS7_PS8_PKS8_NS0_5tupleIJPS7_S8_EEENSG_IJSD_SD_EEENS0_18inequality_wrapperIN6hipcub16HIPCUB_304000_NS8EqualityEEEPlJS8_EEE10hipError_tPvRmT3_T4_T5_T6_T7_T9_mT8_P12ihipStream_tbDpT10_ENKUlT_T0_E_clISt17integral_constantIbLb0EES18_IbLb1EEEEDaS14_S15_EUlS14_E_NS1_11comp_targetILNS1_3genE2ELNS1_11target_archE906ELNS1_3gpuE6ELNS1_3repE0EEENS1_30default_config_static_selectorELNS0_4arch9wavefront6targetE1EEEvT1_,"axG",@progbits,_ZN7rocprim17ROCPRIM_400000_NS6detail17trampoline_kernelINS0_14default_configENS1_25partition_config_selectorILNS1_17partition_subalgoE8EN3c108BFloat16ENS0_10empty_typeEbEEZZNS1_14partition_implILS5_8ELb0ES3_jPKS7_PS8_PKS8_NS0_5tupleIJPS7_S8_EEENSG_IJSD_SD_EEENS0_18inequality_wrapperIN6hipcub16HIPCUB_304000_NS8EqualityEEEPlJS8_EEE10hipError_tPvRmT3_T4_T5_T6_T7_T9_mT8_P12ihipStream_tbDpT10_ENKUlT_T0_E_clISt17integral_constantIbLb0EES18_IbLb1EEEEDaS14_S15_EUlS14_E_NS1_11comp_targetILNS1_3genE2ELNS1_11target_archE906ELNS1_3gpuE6ELNS1_3repE0EEENS1_30default_config_static_selectorELNS0_4arch9wavefront6targetE1EEEvT1_,comdat
	.protected	_ZN7rocprim17ROCPRIM_400000_NS6detail17trampoline_kernelINS0_14default_configENS1_25partition_config_selectorILNS1_17partition_subalgoE8EN3c108BFloat16ENS0_10empty_typeEbEEZZNS1_14partition_implILS5_8ELb0ES3_jPKS7_PS8_PKS8_NS0_5tupleIJPS7_S8_EEENSG_IJSD_SD_EEENS0_18inequality_wrapperIN6hipcub16HIPCUB_304000_NS8EqualityEEEPlJS8_EEE10hipError_tPvRmT3_T4_T5_T6_T7_T9_mT8_P12ihipStream_tbDpT10_ENKUlT_T0_E_clISt17integral_constantIbLb0EES18_IbLb1EEEEDaS14_S15_EUlS14_E_NS1_11comp_targetILNS1_3genE2ELNS1_11target_archE906ELNS1_3gpuE6ELNS1_3repE0EEENS1_30default_config_static_selectorELNS0_4arch9wavefront6targetE1EEEvT1_ ; -- Begin function _ZN7rocprim17ROCPRIM_400000_NS6detail17trampoline_kernelINS0_14default_configENS1_25partition_config_selectorILNS1_17partition_subalgoE8EN3c108BFloat16ENS0_10empty_typeEbEEZZNS1_14partition_implILS5_8ELb0ES3_jPKS7_PS8_PKS8_NS0_5tupleIJPS7_S8_EEENSG_IJSD_SD_EEENS0_18inequality_wrapperIN6hipcub16HIPCUB_304000_NS8EqualityEEEPlJS8_EEE10hipError_tPvRmT3_T4_T5_T6_T7_T9_mT8_P12ihipStream_tbDpT10_ENKUlT_T0_E_clISt17integral_constantIbLb0EES18_IbLb1EEEEDaS14_S15_EUlS14_E_NS1_11comp_targetILNS1_3genE2ELNS1_11target_archE906ELNS1_3gpuE6ELNS1_3repE0EEENS1_30default_config_static_selectorELNS0_4arch9wavefront6targetE1EEEvT1_
	.globl	_ZN7rocprim17ROCPRIM_400000_NS6detail17trampoline_kernelINS0_14default_configENS1_25partition_config_selectorILNS1_17partition_subalgoE8EN3c108BFloat16ENS0_10empty_typeEbEEZZNS1_14partition_implILS5_8ELb0ES3_jPKS7_PS8_PKS8_NS0_5tupleIJPS7_S8_EEENSG_IJSD_SD_EEENS0_18inequality_wrapperIN6hipcub16HIPCUB_304000_NS8EqualityEEEPlJS8_EEE10hipError_tPvRmT3_T4_T5_T6_T7_T9_mT8_P12ihipStream_tbDpT10_ENKUlT_T0_E_clISt17integral_constantIbLb0EES18_IbLb1EEEEDaS14_S15_EUlS14_E_NS1_11comp_targetILNS1_3genE2ELNS1_11target_archE906ELNS1_3gpuE6ELNS1_3repE0EEENS1_30default_config_static_selectorELNS0_4arch9wavefront6targetE1EEEvT1_
	.p2align	8
	.type	_ZN7rocprim17ROCPRIM_400000_NS6detail17trampoline_kernelINS0_14default_configENS1_25partition_config_selectorILNS1_17partition_subalgoE8EN3c108BFloat16ENS0_10empty_typeEbEEZZNS1_14partition_implILS5_8ELb0ES3_jPKS7_PS8_PKS8_NS0_5tupleIJPS7_S8_EEENSG_IJSD_SD_EEENS0_18inequality_wrapperIN6hipcub16HIPCUB_304000_NS8EqualityEEEPlJS8_EEE10hipError_tPvRmT3_T4_T5_T6_T7_T9_mT8_P12ihipStream_tbDpT10_ENKUlT_T0_E_clISt17integral_constantIbLb0EES18_IbLb1EEEEDaS14_S15_EUlS14_E_NS1_11comp_targetILNS1_3genE2ELNS1_11target_archE906ELNS1_3gpuE6ELNS1_3repE0EEENS1_30default_config_static_selectorELNS0_4arch9wavefront6targetE1EEEvT1_,@function
_ZN7rocprim17ROCPRIM_400000_NS6detail17trampoline_kernelINS0_14default_configENS1_25partition_config_selectorILNS1_17partition_subalgoE8EN3c108BFloat16ENS0_10empty_typeEbEEZZNS1_14partition_implILS5_8ELb0ES3_jPKS7_PS8_PKS8_NS0_5tupleIJPS7_S8_EEENSG_IJSD_SD_EEENS0_18inequality_wrapperIN6hipcub16HIPCUB_304000_NS8EqualityEEEPlJS8_EEE10hipError_tPvRmT3_T4_T5_T6_T7_T9_mT8_P12ihipStream_tbDpT10_ENKUlT_T0_E_clISt17integral_constantIbLb0EES18_IbLb1EEEEDaS14_S15_EUlS14_E_NS1_11comp_targetILNS1_3genE2ELNS1_11target_archE906ELNS1_3gpuE6ELNS1_3repE0EEENS1_30default_config_static_selectorELNS0_4arch9wavefront6targetE1EEEvT1_: ; @_ZN7rocprim17ROCPRIM_400000_NS6detail17trampoline_kernelINS0_14default_configENS1_25partition_config_selectorILNS1_17partition_subalgoE8EN3c108BFloat16ENS0_10empty_typeEbEEZZNS1_14partition_implILS5_8ELb0ES3_jPKS7_PS8_PKS8_NS0_5tupleIJPS7_S8_EEENSG_IJSD_SD_EEENS0_18inequality_wrapperIN6hipcub16HIPCUB_304000_NS8EqualityEEEPlJS8_EEE10hipError_tPvRmT3_T4_T5_T6_T7_T9_mT8_P12ihipStream_tbDpT10_ENKUlT_T0_E_clISt17integral_constantIbLb0EES18_IbLb1EEEEDaS14_S15_EUlS14_E_NS1_11comp_targetILNS1_3genE2ELNS1_11target_archE906ELNS1_3gpuE6ELNS1_3repE0EEENS1_30default_config_static_selectorELNS0_4arch9wavefront6targetE1EEEvT1_
; %bb.0:
	.section	.rodata,"a",@progbits
	.p2align	6, 0x0
	.amdhsa_kernel _ZN7rocprim17ROCPRIM_400000_NS6detail17trampoline_kernelINS0_14default_configENS1_25partition_config_selectorILNS1_17partition_subalgoE8EN3c108BFloat16ENS0_10empty_typeEbEEZZNS1_14partition_implILS5_8ELb0ES3_jPKS7_PS8_PKS8_NS0_5tupleIJPS7_S8_EEENSG_IJSD_SD_EEENS0_18inequality_wrapperIN6hipcub16HIPCUB_304000_NS8EqualityEEEPlJS8_EEE10hipError_tPvRmT3_T4_T5_T6_T7_T9_mT8_P12ihipStream_tbDpT10_ENKUlT_T0_E_clISt17integral_constantIbLb0EES18_IbLb1EEEEDaS14_S15_EUlS14_E_NS1_11comp_targetILNS1_3genE2ELNS1_11target_archE906ELNS1_3gpuE6ELNS1_3repE0EEENS1_30default_config_static_selectorELNS0_4arch9wavefront6targetE1EEEvT1_
		.amdhsa_group_segment_fixed_size 0
		.amdhsa_private_segment_fixed_size 0
		.amdhsa_kernarg_size 128
		.amdhsa_user_sgpr_count 2
		.amdhsa_user_sgpr_dispatch_ptr 0
		.amdhsa_user_sgpr_queue_ptr 0
		.amdhsa_user_sgpr_kernarg_segment_ptr 1
		.amdhsa_user_sgpr_dispatch_id 0
		.amdhsa_user_sgpr_kernarg_preload_length 0
		.amdhsa_user_sgpr_kernarg_preload_offset 0
		.amdhsa_user_sgpr_private_segment_size 0
		.amdhsa_uses_dynamic_stack 0
		.amdhsa_enable_private_segment 0
		.amdhsa_system_sgpr_workgroup_id_x 1
		.amdhsa_system_sgpr_workgroup_id_y 0
		.amdhsa_system_sgpr_workgroup_id_z 0
		.amdhsa_system_sgpr_workgroup_info 0
		.amdhsa_system_vgpr_workitem_id 0
		.amdhsa_next_free_vgpr 1
		.amdhsa_next_free_sgpr 0
		.amdhsa_accum_offset 4
		.amdhsa_reserve_vcc 0
		.amdhsa_float_round_mode_32 0
		.amdhsa_float_round_mode_16_64 0
		.amdhsa_float_denorm_mode_32 3
		.amdhsa_float_denorm_mode_16_64 3
		.amdhsa_dx10_clamp 1
		.amdhsa_ieee_mode 1
		.amdhsa_fp16_overflow 0
		.amdhsa_tg_split 0
		.amdhsa_exception_fp_ieee_invalid_op 0
		.amdhsa_exception_fp_denorm_src 0
		.amdhsa_exception_fp_ieee_div_zero 0
		.amdhsa_exception_fp_ieee_overflow 0
		.amdhsa_exception_fp_ieee_underflow 0
		.amdhsa_exception_fp_ieee_inexact 0
		.amdhsa_exception_int_div_zero 0
	.end_amdhsa_kernel
	.section	.text._ZN7rocprim17ROCPRIM_400000_NS6detail17trampoline_kernelINS0_14default_configENS1_25partition_config_selectorILNS1_17partition_subalgoE8EN3c108BFloat16ENS0_10empty_typeEbEEZZNS1_14partition_implILS5_8ELb0ES3_jPKS7_PS8_PKS8_NS0_5tupleIJPS7_S8_EEENSG_IJSD_SD_EEENS0_18inequality_wrapperIN6hipcub16HIPCUB_304000_NS8EqualityEEEPlJS8_EEE10hipError_tPvRmT3_T4_T5_T6_T7_T9_mT8_P12ihipStream_tbDpT10_ENKUlT_T0_E_clISt17integral_constantIbLb0EES18_IbLb1EEEEDaS14_S15_EUlS14_E_NS1_11comp_targetILNS1_3genE2ELNS1_11target_archE906ELNS1_3gpuE6ELNS1_3repE0EEENS1_30default_config_static_selectorELNS0_4arch9wavefront6targetE1EEEvT1_,"axG",@progbits,_ZN7rocprim17ROCPRIM_400000_NS6detail17trampoline_kernelINS0_14default_configENS1_25partition_config_selectorILNS1_17partition_subalgoE8EN3c108BFloat16ENS0_10empty_typeEbEEZZNS1_14partition_implILS5_8ELb0ES3_jPKS7_PS8_PKS8_NS0_5tupleIJPS7_S8_EEENSG_IJSD_SD_EEENS0_18inequality_wrapperIN6hipcub16HIPCUB_304000_NS8EqualityEEEPlJS8_EEE10hipError_tPvRmT3_T4_T5_T6_T7_T9_mT8_P12ihipStream_tbDpT10_ENKUlT_T0_E_clISt17integral_constantIbLb0EES18_IbLb1EEEEDaS14_S15_EUlS14_E_NS1_11comp_targetILNS1_3genE2ELNS1_11target_archE906ELNS1_3gpuE6ELNS1_3repE0EEENS1_30default_config_static_selectorELNS0_4arch9wavefront6targetE1EEEvT1_,comdat
.Lfunc_end852:
	.size	_ZN7rocprim17ROCPRIM_400000_NS6detail17trampoline_kernelINS0_14default_configENS1_25partition_config_selectorILNS1_17partition_subalgoE8EN3c108BFloat16ENS0_10empty_typeEbEEZZNS1_14partition_implILS5_8ELb0ES3_jPKS7_PS8_PKS8_NS0_5tupleIJPS7_S8_EEENSG_IJSD_SD_EEENS0_18inequality_wrapperIN6hipcub16HIPCUB_304000_NS8EqualityEEEPlJS8_EEE10hipError_tPvRmT3_T4_T5_T6_T7_T9_mT8_P12ihipStream_tbDpT10_ENKUlT_T0_E_clISt17integral_constantIbLb0EES18_IbLb1EEEEDaS14_S15_EUlS14_E_NS1_11comp_targetILNS1_3genE2ELNS1_11target_archE906ELNS1_3gpuE6ELNS1_3repE0EEENS1_30default_config_static_selectorELNS0_4arch9wavefront6targetE1EEEvT1_, .Lfunc_end852-_ZN7rocprim17ROCPRIM_400000_NS6detail17trampoline_kernelINS0_14default_configENS1_25partition_config_selectorILNS1_17partition_subalgoE8EN3c108BFloat16ENS0_10empty_typeEbEEZZNS1_14partition_implILS5_8ELb0ES3_jPKS7_PS8_PKS8_NS0_5tupleIJPS7_S8_EEENSG_IJSD_SD_EEENS0_18inequality_wrapperIN6hipcub16HIPCUB_304000_NS8EqualityEEEPlJS8_EEE10hipError_tPvRmT3_T4_T5_T6_T7_T9_mT8_P12ihipStream_tbDpT10_ENKUlT_T0_E_clISt17integral_constantIbLb0EES18_IbLb1EEEEDaS14_S15_EUlS14_E_NS1_11comp_targetILNS1_3genE2ELNS1_11target_archE906ELNS1_3gpuE6ELNS1_3repE0EEENS1_30default_config_static_selectorELNS0_4arch9wavefront6targetE1EEEvT1_
                                        ; -- End function
	.section	.AMDGPU.csdata,"",@progbits
; Kernel info:
; codeLenInByte = 0
; NumSgprs: 6
; NumVgprs: 0
; NumAgprs: 0
; TotalNumVgprs: 0
; ScratchSize: 0
; MemoryBound: 0
; FloatMode: 240
; IeeeMode: 1
; LDSByteSize: 0 bytes/workgroup (compile time only)
; SGPRBlocks: 0
; VGPRBlocks: 0
; NumSGPRsForWavesPerEU: 6
; NumVGPRsForWavesPerEU: 1
; AccumOffset: 4
; Occupancy: 8
; WaveLimiterHint : 0
; COMPUTE_PGM_RSRC2:SCRATCH_EN: 0
; COMPUTE_PGM_RSRC2:USER_SGPR: 2
; COMPUTE_PGM_RSRC2:TRAP_HANDLER: 0
; COMPUTE_PGM_RSRC2:TGID_X_EN: 1
; COMPUTE_PGM_RSRC2:TGID_Y_EN: 0
; COMPUTE_PGM_RSRC2:TGID_Z_EN: 0
; COMPUTE_PGM_RSRC2:TIDIG_COMP_CNT: 0
; COMPUTE_PGM_RSRC3_GFX90A:ACCUM_OFFSET: 0
; COMPUTE_PGM_RSRC3_GFX90A:TG_SPLIT: 0
	.section	.text._ZN7rocprim17ROCPRIM_400000_NS6detail17trampoline_kernelINS0_14default_configENS1_25partition_config_selectorILNS1_17partition_subalgoE8EN3c108BFloat16ENS0_10empty_typeEbEEZZNS1_14partition_implILS5_8ELb0ES3_jPKS7_PS8_PKS8_NS0_5tupleIJPS7_S8_EEENSG_IJSD_SD_EEENS0_18inequality_wrapperIN6hipcub16HIPCUB_304000_NS8EqualityEEEPlJS8_EEE10hipError_tPvRmT3_T4_T5_T6_T7_T9_mT8_P12ihipStream_tbDpT10_ENKUlT_T0_E_clISt17integral_constantIbLb0EES18_IbLb1EEEEDaS14_S15_EUlS14_E_NS1_11comp_targetILNS1_3genE10ELNS1_11target_archE1200ELNS1_3gpuE4ELNS1_3repE0EEENS1_30default_config_static_selectorELNS0_4arch9wavefront6targetE1EEEvT1_,"axG",@progbits,_ZN7rocprim17ROCPRIM_400000_NS6detail17trampoline_kernelINS0_14default_configENS1_25partition_config_selectorILNS1_17partition_subalgoE8EN3c108BFloat16ENS0_10empty_typeEbEEZZNS1_14partition_implILS5_8ELb0ES3_jPKS7_PS8_PKS8_NS0_5tupleIJPS7_S8_EEENSG_IJSD_SD_EEENS0_18inequality_wrapperIN6hipcub16HIPCUB_304000_NS8EqualityEEEPlJS8_EEE10hipError_tPvRmT3_T4_T5_T6_T7_T9_mT8_P12ihipStream_tbDpT10_ENKUlT_T0_E_clISt17integral_constantIbLb0EES18_IbLb1EEEEDaS14_S15_EUlS14_E_NS1_11comp_targetILNS1_3genE10ELNS1_11target_archE1200ELNS1_3gpuE4ELNS1_3repE0EEENS1_30default_config_static_selectorELNS0_4arch9wavefront6targetE1EEEvT1_,comdat
	.protected	_ZN7rocprim17ROCPRIM_400000_NS6detail17trampoline_kernelINS0_14default_configENS1_25partition_config_selectorILNS1_17partition_subalgoE8EN3c108BFloat16ENS0_10empty_typeEbEEZZNS1_14partition_implILS5_8ELb0ES3_jPKS7_PS8_PKS8_NS0_5tupleIJPS7_S8_EEENSG_IJSD_SD_EEENS0_18inequality_wrapperIN6hipcub16HIPCUB_304000_NS8EqualityEEEPlJS8_EEE10hipError_tPvRmT3_T4_T5_T6_T7_T9_mT8_P12ihipStream_tbDpT10_ENKUlT_T0_E_clISt17integral_constantIbLb0EES18_IbLb1EEEEDaS14_S15_EUlS14_E_NS1_11comp_targetILNS1_3genE10ELNS1_11target_archE1200ELNS1_3gpuE4ELNS1_3repE0EEENS1_30default_config_static_selectorELNS0_4arch9wavefront6targetE1EEEvT1_ ; -- Begin function _ZN7rocprim17ROCPRIM_400000_NS6detail17trampoline_kernelINS0_14default_configENS1_25partition_config_selectorILNS1_17partition_subalgoE8EN3c108BFloat16ENS0_10empty_typeEbEEZZNS1_14partition_implILS5_8ELb0ES3_jPKS7_PS8_PKS8_NS0_5tupleIJPS7_S8_EEENSG_IJSD_SD_EEENS0_18inequality_wrapperIN6hipcub16HIPCUB_304000_NS8EqualityEEEPlJS8_EEE10hipError_tPvRmT3_T4_T5_T6_T7_T9_mT8_P12ihipStream_tbDpT10_ENKUlT_T0_E_clISt17integral_constantIbLb0EES18_IbLb1EEEEDaS14_S15_EUlS14_E_NS1_11comp_targetILNS1_3genE10ELNS1_11target_archE1200ELNS1_3gpuE4ELNS1_3repE0EEENS1_30default_config_static_selectorELNS0_4arch9wavefront6targetE1EEEvT1_
	.globl	_ZN7rocprim17ROCPRIM_400000_NS6detail17trampoline_kernelINS0_14default_configENS1_25partition_config_selectorILNS1_17partition_subalgoE8EN3c108BFloat16ENS0_10empty_typeEbEEZZNS1_14partition_implILS5_8ELb0ES3_jPKS7_PS8_PKS8_NS0_5tupleIJPS7_S8_EEENSG_IJSD_SD_EEENS0_18inequality_wrapperIN6hipcub16HIPCUB_304000_NS8EqualityEEEPlJS8_EEE10hipError_tPvRmT3_T4_T5_T6_T7_T9_mT8_P12ihipStream_tbDpT10_ENKUlT_T0_E_clISt17integral_constantIbLb0EES18_IbLb1EEEEDaS14_S15_EUlS14_E_NS1_11comp_targetILNS1_3genE10ELNS1_11target_archE1200ELNS1_3gpuE4ELNS1_3repE0EEENS1_30default_config_static_selectorELNS0_4arch9wavefront6targetE1EEEvT1_
	.p2align	8
	.type	_ZN7rocprim17ROCPRIM_400000_NS6detail17trampoline_kernelINS0_14default_configENS1_25partition_config_selectorILNS1_17partition_subalgoE8EN3c108BFloat16ENS0_10empty_typeEbEEZZNS1_14partition_implILS5_8ELb0ES3_jPKS7_PS8_PKS8_NS0_5tupleIJPS7_S8_EEENSG_IJSD_SD_EEENS0_18inequality_wrapperIN6hipcub16HIPCUB_304000_NS8EqualityEEEPlJS8_EEE10hipError_tPvRmT3_T4_T5_T6_T7_T9_mT8_P12ihipStream_tbDpT10_ENKUlT_T0_E_clISt17integral_constantIbLb0EES18_IbLb1EEEEDaS14_S15_EUlS14_E_NS1_11comp_targetILNS1_3genE10ELNS1_11target_archE1200ELNS1_3gpuE4ELNS1_3repE0EEENS1_30default_config_static_selectorELNS0_4arch9wavefront6targetE1EEEvT1_,@function
_ZN7rocprim17ROCPRIM_400000_NS6detail17trampoline_kernelINS0_14default_configENS1_25partition_config_selectorILNS1_17partition_subalgoE8EN3c108BFloat16ENS0_10empty_typeEbEEZZNS1_14partition_implILS5_8ELb0ES3_jPKS7_PS8_PKS8_NS0_5tupleIJPS7_S8_EEENSG_IJSD_SD_EEENS0_18inequality_wrapperIN6hipcub16HIPCUB_304000_NS8EqualityEEEPlJS8_EEE10hipError_tPvRmT3_T4_T5_T6_T7_T9_mT8_P12ihipStream_tbDpT10_ENKUlT_T0_E_clISt17integral_constantIbLb0EES18_IbLb1EEEEDaS14_S15_EUlS14_E_NS1_11comp_targetILNS1_3genE10ELNS1_11target_archE1200ELNS1_3gpuE4ELNS1_3repE0EEENS1_30default_config_static_selectorELNS0_4arch9wavefront6targetE1EEEvT1_: ; @_ZN7rocprim17ROCPRIM_400000_NS6detail17trampoline_kernelINS0_14default_configENS1_25partition_config_selectorILNS1_17partition_subalgoE8EN3c108BFloat16ENS0_10empty_typeEbEEZZNS1_14partition_implILS5_8ELb0ES3_jPKS7_PS8_PKS8_NS0_5tupleIJPS7_S8_EEENSG_IJSD_SD_EEENS0_18inequality_wrapperIN6hipcub16HIPCUB_304000_NS8EqualityEEEPlJS8_EEE10hipError_tPvRmT3_T4_T5_T6_T7_T9_mT8_P12ihipStream_tbDpT10_ENKUlT_T0_E_clISt17integral_constantIbLb0EES18_IbLb1EEEEDaS14_S15_EUlS14_E_NS1_11comp_targetILNS1_3genE10ELNS1_11target_archE1200ELNS1_3gpuE4ELNS1_3repE0EEENS1_30default_config_static_selectorELNS0_4arch9wavefront6targetE1EEEvT1_
; %bb.0:
	.section	.rodata,"a",@progbits
	.p2align	6, 0x0
	.amdhsa_kernel _ZN7rocprim17ROCPRIM_400000_NS6detail17trampoline_kernelINS0_14default_configENS1_25partition_config_selectorILNS1_17partition_subalgoE8EN3c108BFloat16ENS0_10empty_typeEbEEZZNS1_14partition_implILS5_8ELb0ES3_jPKS7_PS8_PKS8_NS0_5tupleIJPS7_S8_EEENSG_IJSD_SD_EEENS0_18inequality_wrapperIN6hipcub16HIPCUB_304000_NS8EqualityEEEPlJS8_EEE10hipError_tPvRmT3_T4_T5_T6_T7_T9_mT8_P12ihipStream_tbDpT10_ENKUlT_T0_E_clISt17integral_constantIbLb0EES18_IbLb1EEEEDaS14_S15_EUlS14_E_NS1_11comp_targetILNS1_3genE10ELNS1_11target_archE1200ELNS1_3gpuE4ELNS1_3repE0EEENS1_30default_config_static_selectorELNS0_4arch9wavefront6targetE1EEEvT1_
		.amdhsa_group_segment_fixed_size 0
		.amdhsa_private_segment_fixed_size 0
		.amdhsa_kernarg_size 128
		.amdhsa_user_sgpr_count 2
		.amdhsa_user_sgpr_dispatch_ptr 0
		.amdhsa_user_sgpr_queue_ptr 0
		.amdhsa_user_sgpr_kernarg_segment_ptr 1
		.amdhsa_user_sgpr_dispatch_id 0
		.amdhsa_user_sgpr_kernarg_preload_length 0
		.amdhsa_user_sgpr_kernarg_preload_offset 0
		.amdhsa_user_sgpr_private_segment_size 0
		.amdhsa_uses_dynamic_stack 0
		.amdhsa_enable_private_segment 0
		.amdhsa_system_sgpr_workgroup_id_x 1
		.amdhsa_system_sgpr_workgroup_id_y 0
		.amdhsa_system_sgpr_workgroup_id_z 0
		.amdhsa_system_sgpr_workgroup_info 0
		.amdhsa_system_vgpr_workitem_id 0
		.amdhsa_next_free_vgpr 1
		.amdhsa_next_free_sgpr 0
		.amdhsa_accum_offset 4
		.amdhsa_reserve_vcc 0
		.amdhsa_float_round_mode_32 0
		.amdhsa_float_round_mode_16_64 0
		.amdhsa_float_denorm_mode_32 3
		.amdhsa_float_denorm_mode_16_64 3
		.amdhsa_dx10_clamp 1
		.amdhsa_ieee_mode 1
		.amdhsa_fp16_overflow 0
		.amdhsa_tg_split 0
		.amdhsa_exception_fp_ieee_invalid_op 0
		.amdhsa_exception_fp_denorm_src 0
		.amdhsa_exception_fp_ieee_div_zero 0
		.amdhsa_exception_fp_ieee_overflow 0
		.amdhsa_exception_fp_ieee_underflow 0
		.amdhsa_exception_fp_ieee_inexact 0
		.amdhsa_exception_int_div_zero 0
	.end_amdhsa_kernel
	.section	.text._ZN7rocprim17ROCPRIM_400000_NS6detail17trampoline_kernelINS0_14default_configENS1_25partition_config_selectorILNS1_17partition_subalgoE8EN3c108BFloat16ENS0_10empty_typeEbEEZZNS1_14partition_implILS5_8ELb0ES3_jPKS7_PS8_PKS8_NS0_5tupleIJPS7_S8_EEENSG_IJSD_SD_EEENS0_18inequality_wrapperIN6hipcub16HIPCUB_304000_NS8EqualityEEEPlJS8_EEE10hipError_tPvRmT3_T4_T5_T6_T7_T9_mT8_P12ihipStream_tbDpT10_ENKUlT_T0_E_clISt17integral_constantIbLb0EES18_IbLb1EEEEDaS14_S15_EUlS14_E_NS1_11comp_targetILNS1_3genE10ELNS1_11target_archE1200ELNS1_3gpuE4ELNS1_3repE0EEENS1_30default_config_static_selectorELNS0_4arch9wavefront6targetE1EEEvT1_,"axG",@progbits,_ZN7rocprim17ROCPRIM_400000_NS6detail17trampoline_kernelINS0_14default_configENS1_25partition_config_selectorILNS1_17partition_subalgoE8EN3c108BFloat16ENS0_10empty_typeEbEEZZNS1_14partition_implILS5_8ELb0ES3_jPKS7_PS8_PKS8_NS0_5tupleIJPS7_S8_EEENSG_IJSD_SD_EEENS0_18inequality_wrapperIN6hipcub16HIPCUB_304000_NS8EqualityEEEPlJS8_EEE10hipError_tPvRmT3_T4_T5_T6_T7_T9_mT8_P12ihipStream_tbDpT10_ENKUlT_T0_E_clISt17integral_constantIbLb0EES18_IbLb1EEEEDaS14_S15_EUlS14_E_NS1_11comp_targetILNS1_3genE10ELNS1_11target_archE1200ELNS1_3gpuE4ELNS1_3repE0EEENS1_30default_config_static_selectorELNS0_4arch9wavefront6targetE1EEEvT1_,comdat
.Lfunc_end853:
	.size	_ZN7rocprim17ROCPRIM_400000_NS6detail17trampoline_kernelINS0_14default_configENS1_25partition_config_selectorILNS1_17partition_subalgoE8EN3c108BFloat16ENS0_10empty_typeEbEEZZNS1_14partition_implILS5_8ELb0ES3_jPKS7_PS8_PKS8_NS0_5tupleIJPS7_S8_EEENSG_IJSD_SD_EEENS0_18inequality_wrapperIN6hipcub16HIPCUB_304000_NS8EqualityEEEPlJS8_EEE10hipError_tPvRmT3_T4_T5_T6_T7_T9_mT8_P12ihipStream_tbDpT10_ENKUlT_T0_E_clISt17integral_constantIbLb0EES18_IbLb1EEEEDaS14_S15_EUlS14_E_NS1_11comp_targetILNS1_3genE10ELNS1_11target_archE1200ELNS1_3gpuE4ELNS1_3repE0EEENS1_30default_config_static_selectorELNS0_4arch9wavefront6targetE1EEEvT1_, .Lfunc_end853-_ZN7rocprim17ROCPRIM_400000_NS6detail17trampoline_kernelINS0_14default_configENS1_25partition_config_selectorILNS1_17partition_subalgoE8EN3c108BFloat16ENS0_10empty_typeEbEEZZNS1_14partition_implILS5_8ELb0ES3_jPKS7_PS8_PKS8_NS0_5tupleIJPS7_S8_EEENSG_IJSD_SD_EEENS0_18inequality_wrapperIN6hipcub16HIPCUB_304000_NS8EqualityEEEPlJS8_EEE10hipError_tPvRmT3_T4_T5_T6_T7_T9_mT8_P12ihipStream_tbDpT10_ENKUlT_T0_E_clISt17integral_constantIbLb0EES18_IbLb1EEEEDaS14_S15_EUlS14_E_NS1_11comp_targetILNS1_3genE10ELNS1_11target_archE1200ELNS1_3gpuE4ELNS1_3repE0EEENS1_30default_config_static_selectorELNS0_4arch9wavefront6targetE1EEEvT1_
                                        ; -- End function
	.section	.AMDGPU.csdata,"",@progbits
; Kernel info:
; codeLenInByte = 0
; NumSgprs: 6
; NumVgprs: 0
; NumAgprs: 0
; TotalNumVgprs: 0
; ScratchSize: 0
; MemoryBound: 0
; FloatMode: 240
; IeeeMode: 1
; LDSByteSize: 0 bytes/workgroup (compile time only)
; SGPRBlocks: 0
; VGPRBlocks: 0
; NumSGPRsForWavesPerEU: 6
; NumVGPRsForWavesPerEU: 1
; AccumOffset: 4
; Occupancy: 8
; WaveLimiterHint : 0
; COMPUTE_PGM_RSRC2:SCRATCH_EN: 0
; COMPUTE_PGM_RSRC2:USER_SGPR: 2
; COMPUTE_PGM_RSRC2:TRAP_HANDLER: 0
; COMPUTE_PGM_RSRC2:TGID_X_EN: 1
; COMPUTE_PGM_RSRC2:TGID_Y_EN: 0
; COMPUTE_PGM_RSRC2:TGID_Z_EN: 0
; COMPUTE_PGM_RSRC2:TIDIG_COMP_CNT: 0
; COMPUTE_PGM_RSRC3_GFX90A:ACCUM_OFFSET: 0
; COMPUTE_PGM_RSRC3_GFX90A:TG_SPLIT: 0
	.section	.text._ZN7rocprim17ROCPRIM_400000_NS6detail17trampoline_kernelINS0_14default_configENS1_25partition_config_selectorILNS1_17partition_subalgoE8EN3c108BFloat16ENS0_10empty_typeEbEEZZNS1_14partition_implILS5_8ELb0ES3_jPKS7_PS8_PKS8_NS0_5tupleIJPS7_S8_EEENSG_IJSD_SD_EEENS0_18inequality_wrapperIN6hipcub16HIPCUB_304000_NS8EqualityEEEPlJS8_EEE10hipError_tPvRmT3_T4_T5_T6_T7_T9_mT8_P12ihipStream_tbDpT10_ENKUlT_T0_E_clISt17integral_constantIbLb0EES18_IbLb1EEEEDaS14_S15_EUlS14_E_NS1_11comp_targetILNS1_3genE9ELNS1_11target_archE1100ELNS1_3gpuE3ELNS1_3repE0EEENS1_30default_config_static_selectorELNS0_4arch9wavefront6targetE1EEEvT1_,"axG",@progbits,_ZN7rocprim17ROCPRIM_400000_NS6detail17trampoline_kernelINS0_14default_configENS1_25partition_config_selectorILNS1_17partition_subalgoE8EN3c108BFloat16ENS0_10empty_typeEbEEZZNS1_14partition_implILS5_8ELb0ES3_jPKS7_PS8_PKS8_NS0_5tupleIJPS7_S8_EEENSG_IJSD_SD_EEENS0_18inequality_wrapperIN6hipcub16HIPCUB_304000_NS8EqualityEEEPlJS8_EEE10hipError_tPvRmT3_T4_T5_T6_T7_T9_mT8_P12ihipStream_tbDpT10_ENKUlT_T0_E_clISt17integral_constantIbLb0EES18_IbLb1EEEEDaS14_S15_EUlS14_E_NS1_11comp_targetILNS1_3genE9ELNS1_11target_archE1100ELNS1_3gpuE3ELNS1_3repE0EEENS1_30default_config_static_selectorELNS0_4arch9wavefront6targetE1EEEvT1_,comdat
	.protected	_ZN7rocprim17ROCPRIM_400000_NS6detail17trampoline_kernelINS0_14default_configENS1_25partition_config_selectorILNS1_17partition_subalgoE8EN3c108BFloat16ENS0_10empty_typeEbEEZZNS1_14partition_implILS5_8ELb0ES3_jPKS7_PS8_PKS8_NS0_5tupleIJPS7_S8_EEENSG_IJSD_SD_EEENS0_18inequality_wrapperIN6hipcub16HIPCUB_304000_NS8EqualityEEEPlJS8_EEE10hipError_tPvRmT3_T4_T5_T6_T7_T9_mT8_P12ihipStream_tbDpT10_ENKUlT_T0_E_clISt17integral_constantIbLb0EES18_IbLb1EEEEDaS14_S15_EUlS14_E_NS1_11comp_targetILNS1_3genE9ELNS1_11target_archE1100ELNS1_3gpuE3ELNS1_3repE0EEENS1_30default_config_static_selectorELNS0_4arch9wavefront6targetE1EEEvT1_ ; -- Begin function _ZN7rocprim17ROCPRIM_400000_NS6detail17trampoline_kernelINS0_14default_configENS1_25partition_config_selectorILNS1_17partition_subalgoE8EN3c108BFloat16ENS0_10empty_typeEbEEZZNS1_14partition_implILS5_8ELb0ES3_jPKS7_PS8_PKS8_NS0_5tupleIJPS7_S8_EEENSG_IJSD_SD_EEENS0_18inequality_wrapperIN6hipcub16HIPCUB_304000_NS8EqualityEEEPlJS8_EEE10hipError_tPvRmT3_T4_T5_T6_T7_T9_mT8_P12ihipStream_tbDpT10_ENKUlT_T0_E_clISt17integral_constantIbLb0EES18_IbLb1EEEEDaS14_S15_EUlS14_E_NS1_11comp_targetILNS1_3genE9ELNS1_11target_archE1100ELNS1_3gpuE3ELNS1_3repE0EEENS1_30default_config_static_selectorELNS0_4arch9wavefront6targetE1EEEvT1_
	.globl	_ZN7rocprim17ROCPRIM_400000_NS6detail17trampoline_kernelINS0_14default_configENS1_25partition_config_selectorILNS1_17partition_subalgoE8EN3c108BFloat16ENS0_10empty_typeEbEEZZNS1_14partition_implILS5_8ELb0ES3_jPKS7_PS8_PKS8_NS0_5tupleIJPS7_S8_EEENSG_IJSD_SD_EEENS0_18inequality_wrapperIN6hipcub16HIPCUB_304000_NS8EqualityEEEPlJS8_EEE10hipError_tPvRmT3_T4_T5_T6_T7_T9_mT8_P12ihipStream_tbDpT10_ENKUlT_T0_E_clISt17integral_constantIbLb0EES18_IbLb1EEEEDaS14_S15_EUlS14_E_NS1_11comp_targetILNS1_3genE9ELNS1_11target_archE1100ELNS1_3gpuE3ELNS1_3repE0EEENS1_30default_config_static_selectorELNS0_4arch9wavefront6targetE1EEEvT1_
	.p2align	8
	.type	_ZN7rocprim17ROCPRIM_400000_NS6detail17trampoline_kernelINS0_14default_configENS1_25partition_config_selectorILNS1_17partition_subalgoE8EN3c108BFloat16ENS0_10empty_typeEbEEZZNS1_14partition_implILS5_8ELb0ES3_jPKS7_PS8_PKS8_NS0_5tupleIJPS7_S8_EEENSG_IJSD_SD_EEENS0_18inequality_wrapperIN6hipcub16HIPCUB_304000_NS8EqualityEEEPlJS8_EEE10hipError_tPvRmT3_T4_T5_T6_T7_T9_mT8_P12ihipStream_tbDpT10_ENKUlT_T0_E_clISt17integral_constantIbLb0EES18_IbLb1EEEEDaS14_S15_EUlS14_E_NS1_11comp_targetILNS1_3genE9ELNS1_11target_archE1100ELNS1_3gpuE3ELNS1_3repE0EEENS1_30default_config_static_selectorELNS0_4arch9wavefront6targetE1EEEvT1_,@function
_ZN7rocprim17ROCPRIM_400000_NS6detail17trampoline_kernelINS0_14default_configENS1_25partition_config_selectorILNS1_17partition_subalgoE8EN3c108BFloat16ENS0_10empty_typeEbEEZZNS1_14partition_implILS5_8ELb0ES3_jPKS7_PS8_PKS8_NS0_5tupleIJPS7_S8_EEENSG_IJSD_SD_EEENS0_18inequality_wrapperIN6hipcub16HIPCUB_304000_NS8EqualityEEEPlJS8_EEE10hipError_tPvRmT3_T4_T5_T6_T7_T9_mT8_P12ihipStream_tbDpT10_ENKUlT_T0_E_clISt17integral_constantIbLb0EES18_IbLb1EEEEDaS14_S15_EUlS14_E_NS1_11comp_targetILNS1_3genE9ELNS1_11target_archE1100ELNS1_3gpuE3ELNS1_3repE0EEENS1_30default_config_static_selectorELNS0_4arch9wavefront6targetE1EEEvT1_: ; @_ZN7rocprim17ROCPRIM_400000_NS6detail17trampoline_kernelINS0_14default_configENS1_25partition_config_selectorILNS1_17partition_subalgoE8EN3c108BFloat16ENS0_10empty_typeEbEEZZNS1_14partition_implILS5_8ELb0ES3_jPKS7_PS8_PKS8_NS0_5tupleIJPS7_S8_EEENSG_IJSD_SD_EEENS0_18inequality_wrapperIN6hipcub16HIPCUB_304000_NS8EqualityEEEPlJS8_EEE10hipError_tPvRmT3_T4_T5_T6_T7_T9_mT8_P12ihipStream_tbDpT10_ENKUlT_T0_E_clISt17integral_constantIbLb0EES18_IbLb1EEEEDaS14_S15_EUlS14_E_NS1_11comp_targetILNS1_3genE9ELNS1_11target_archE1100ELNS1_3gpuE3ELNS1_3repE0EEENS1_30default_config_static_selectorELNS0_4arch9wavefront6targetE1EEEvT1_
; %bb.0:
	.section	.rodata,"a",@progbits
	.p2align	6, 0x0
	.amdhsa_kernel _ZN7rocprim17ROCPRIM_400000_NS6detail17trampoline_kernelINS0_14default_configENS1_25partition_config_selectorILNS1_17partition_subalgoE8EN3c108BFloat16ENS0_10empty_typeEbEEZZNS1_14partition_implILS5_8ELb0ES3_jPKS7_PS8_PKS8_NS0_5tupleIJPS7_S8_EEENSG_IJSD_SD_EEENS0_18inequality_wrapperIN6hipcub16HIPCUB_304000_NS8EqualityEEEPlJS8_EEE10hipError_tPvRmT3_T4_T5_T6_T7_T9_mT8_P12ihipStream_tbDpT10_ENKUlT_T0_E_clISt17integral_constantIbLb0EES18_IbLb1EEEEDaS14_S15_EUlS14_E_NS1_11comp_targetILNS1_3genE9ELNS1_11target_archE1100ELNS1_3gpuE3ELNS1_3repE0EEENS1_30default_config_static_selectorELNS0_4arch9wavefront6targetE1EEEvT1_
		.amdhsa_group_segment_fixed_size 0
		.amdhsa_private_segment_fixed_size 0
		.amdhsa_kernarg_size 128
		.amdhsa_user_sgpr_count 2
		.amdhsa_user_sgpr_dispatch_ptr 0
		.amdhsa_user_sgpr_queue_ptr 0
		.amdhsa_user_sgpr_kernarg_segment_ptr 1
		.amdhsa_user_sgpr_dispatch_id 0
		.amdhsa_user_sgpr_kernarg_preload_length 0
		.amdhsa_user_sgpr_kernarg_preload_offset 0
		.amdhsa_user_sgpr_private_segment_size 0
		.amdhsa_uses_dynamic_stack 0
		.amdhsa_enable_private_segment 0
		.amdhsa_system_sgpr_workgroup_id_x 1
		.amdhsa_system_sgpr_workgroup_id_y 0
		.amdhsa_system_sgpr_workgroup_id_z 0
		.amdhsa_system_sgpr_workgroup_info 0
		.amdhsa_system_vgpr_workitem_id 0
		.amdhsa_next_free_vgpr 1
		.amdhsa_next_free_sgpr 0
		.amdhsa_accum_offset 4
		.amdhsa_reserve_vcc 0
		.amdhsa_float_round_mode_32 0
		.amdhsa_float_round_mode_16_64 0
		.amdhsa_float_denorm_mode_32 3
		.amdhsa_float_denorm_mode_16_64 3
		.amdhsa_dx10_clamp 1
		.amdhsa_ieee_mode 1
		.amdhsa_fp16_overflow 0
		.amdhsa_tg_split 0
		.amdhsa_exception_fp_ieee_invalid_op 0
		.amdhsa_exception_fp_denorm_src 0
		.amdhsa_exception_fp_ieee_div_zero 0
		.amdhsa_exception_fp_ieee_overflow 0
		.amdhsa_exception_fp_ieee_underflow 0
		.amdhsa_exception_fp_ieee_inexact 0
		.amdhsa_exception_int_div_zero 0
	.end_amdhsa_kernel
	.section	.text._ZN7rocprim17ROCPRIM_400000_NS6detail17trampoline_kernelINS0_14default_configENS1_25partition_config_selectorILNS1_17partition_subalgoE8EN3c108BFloat16ENS0_10empty_typeEbEEZZNS1_14partition_implILS5_8ELb0ES3_jPKS7_PS8_PKS8_NS0_5tupleIJPS7_S8_EEENSG_IJSD_SD_EEENS0_18inequality_wrapperIN6hipcub16HIPCUB_304000_NS8EqualityEEEPlJS8_EEE10hipError_tPvRmT3_T4_T5_T6_T7_T9_mT8_P12ihipStream_tbDpT10_ENKUlT_T0_E_clISt17integral_constantIbLb0EES18_IbLb1EEEEDaS14_S15_EUlS14_E_NS1_11comp_targetILNS1_3genE9ELNS1_11target_archE1100ELNS1_3gpuE3ELNS1_3repE0EEENS1_30default_config_static_selectorELNS0_4arch9wavefront6targetE1EEEvT1_,"axG",@progbits,_ZN7rocprim17ROCPRIM_400000_NS6detail17trampoline_kernelINS0_14default_configENS1_25partition_config_selectorILNS1_17partition_subalgoE8EN3c108BFloat16ENS0_10empty_typeEbEEZZNS1_14partition_implILS5_8ELb0ES3_jPKS7_PS8_PKS8_NS0_5tupleIJPS7_S8_EEENSG_IJSD_SD_EEENS0_18inequality_wrapperIN6hipcub16HIPCUB_304000_NS8EqualityEEEPlJS8_EEE10hipError_tPvRmT3_T4_T5_T6_T7_T9_mT8_P12ihipStream_tbDpT10_ENKUlT_T0_E_clISt17integral_constantIbLb0EES18_IbLb1EEEEDaS14_S15_EUlS14_E_NS1_11comp_targetILNS1_3genE9ELNS1_11target_archE1100ELNS1_3gpuE3ELNS1_3repE0EEENS1_30default_config_static_selectorELNS0_4arch9wavefront6targetE1EEEvT1_,comdat
.Lfunc_end854:
	.size	_ZN7rocprim17ROCPRIM_400000_NS6detail17trampoline_kernelINS0_14default_configENS1_25partition_config_selectorILNS1_17partition_subalgoE8EN3c108BFloat16ENS0_10empty_typeEbEEZZNS1_14partition_implILS5_8ELb0ES3_jPKS7_PS8_PKS8_NS0_5tupleIJPS7_S8_EEENSG_IJSD_SD_EEENS0_18inequality_wrapperIN6hipcub16HIPCUB_304000_NS8EqualityEEEPlJS8_EEE10hipError_tPvRmT3_T4_T5_T6_T7_T9_mT8_P12ihipStream_tbDpT10_ENKUlT_T0_E_clISt17integral_constantIbLb0EES18_IbLb1EEEEDaS14_S15_EUlS14_E_NS1_11comp_targetILNS1_3genE9ELNS1_11target_archE1100ELNS1_3gpuE3ELNS1_3repE0EEENS1_30default_config_static_selectorELNS0_4arch9wavefront6targetE1EEEvT1_, .Lfunc_end854-_ZN7rocprim17ROCPRIM_400000_NS6detail17trampoline_kernelINS0_14default_configENS1_25partition_config_selectorILNS1_17partition_subalgoE8EN3c108BFloat16ENS0_10empty_typeEbEEZZNS1_14partition_implILS5_8ELb0ES3_jPKS7_PS8_PKS8_NS0_5tupleIJPS7_S8_EEENSG_IJSD_SD_EEENS0_18inequality_wrapperIN6hipcub16HIPCUB_304000_NS8EqualityEEEPlJS8_EEE10hipError_tPvRmT3_T4_T5_T6_T7_T9_mT8_P12ihipStream_tbDpT10_ENKUlT_T0_E_clISt17integral_constantIbLb0EES18_IbLb1EEEEDaS14_S15_EUlS14_E_NS1_11comp_targetILNS1_3genE9ELNS1_11target_archE1100ELNS1_3gpuE3ELNS1_3repE0EEENS1_30default_config_static_selectorELNS0_4arch9wavefront6targetE1EEEvT1_
                                        ; -- End function
	.section	.AMDGPU.csdata,"",@progbits
; Kernel info:
; codeLenInByte = 0
; NumSgprs: 6
; NumVgprs: 0
; NumAgprs: 0
; TotalNumVgprs: 0
; ScratchSize: 0
; MemoryBound: 0
; FloatMode: 240
; IeeeMode: 1
; LDSByteSize: 0 bytes/workgroup (compile time only)
; SGPRBlocks: 0
; VGPRBlocks: 0
; NumSGPRsForWavesPerEU: 6
; NumVGPRsForWavesPerEU: 1
; AccumOffset: 4
; Occupancy: 8
; WaveLimiterHint : 0
; COMPUTE_PGM_RSRC2:SCRATCH_EN: 0
; COMPUTE_PGM_RSRC2:USER_SGPR: 2
; COMPUTE_PGM_RSRC2:TRAP_HANDLER: 0
; COMPUTE_PGM_RSRC2:TGID_X_EN: 1
; COMPUTE_PGM_RSRC2:TGID_Y_EN: 0
; COMPUTE_PGM_RSRC2:TGID_Z_EN: 0
; COMPUTE_PGM_RSRC2:TIDIG_COMP_CNT: 0
; COMPUTE_PGM_RSRC3_GFX90A:ACCUM_OFFSET: 0
; COMPUTE_PGM_RSRC3_GFX90A:TG_SPLIT: 0
	.section	.text._ZN7rocprim17ROCPRIM_400000_NS6detail17trampoline_kernelINS0_14default_configENS1_25partition_config_selectorILNS1_17partition_subalgoE8EN3c108BFloat16ENS0_10empty_typeEbEEZZNS1_14partition_implILS5_8ELb0ES3_jPKS7_PS8_PKS8_NS0_5tupleIJPS7_S8_EEENSG_IJSD_SD_EEENS0_18inequality_wrapperIN6hipcub16HIPCUB_304000_NS8EqualityEEEPlJS8_EEE10hipError_tPvRmT3_T4_T5_T6_T7_T9_mT8_P12ihipStream_tbDpT10_ENKUlT_T0_E_clISt17integral_constantIbLb0EES18_IbLb1EEEEDaS14_S15_EUlS14_E_NS1_11comp_targetILNS1_3genE8ELNS1_11target_archE1030ELNS1_3gpuE2ELNS1_3repE0EEENS1_30default_config_static_selectorELNS0_4arch9wavefront6targetE1EEEvT1_,"axG",@progbits,_ZN7rocprim17ROCPRIM_400000_NS6detail17trampoline_kernelINS0_14default_configENS1_25partition_config_selectorILNS1_17partition_subalgoE8EN3c108BFloat16ENS0_10empty_typeEbEEZZNS1_14partition_implILS5_8ELb0ES3_jPKS7_PS8_PKS8_NS0_5tupleIJPS7_S8_EEENSG_IJSD_SD_EEENS0_18inequality_wrapperIN6hipcub16HIPCUB_304000_NS8EqualityEEEPlJS8_EEE10hipError_tPvRmT3_T4_T5_T6_T7_T9_mT8_P12ihipStream_tbDpT10_ENKUlT_T0_E_clISt17integral_constantIbLb0EES18_IbLb1EEEEDaS14_S15_EUlS14_E_NS1_11comp_targetILNS1_3genE8ELNS1_11target_archE1030ELNS1_3gpuE2ELNS1_3repE0EEENS1_30default_config_static_selectorELNS0_4arch9wavefront6targetE1EEEvT1_,comdat
	.protected	_ZN7rocprim17ROCPRIM_400000_NS6detail17trampoline_kernelINS0_14default_configENS1_25partition_config_selectorILNS1_17partition_subalgoE8EN3c108BFloat16ENS0_10empty_typeEbEEZZNS1_14partition_implILS5_8ELb0ES3_jPKS7_PS8_PKS8_NS0_5tupleIJPS7_S8_EEENSG_IJSD_SD_EEENS0_18inequality_wrapperIN6hipcub16HIPCUB_304000_NS8EqualityEEEPlJS8_EEE10hipError_tPvRmT3_T4_T5_T6_T7_T9_mT8_P12ihipStream_tbDpT10_ENKUlT_T0_E_clISt17integral_constantIbLb0EES18_IbLb1EEEEDaS14_S15_EUlS14_E_NS1_11comp_targetILNS1_3genE8ELNS1_11target_archE1030ELNS1_3gpuE2ELNS1_3repE0EEENS1_30default_config_static_selectorELNS0_4arch9wavefront6targetE1EEEvT1_ ; -- Begin function _ZN7rocprim17ROCPRIM_400000_NS6detail17trampoline_kernelINS0_14default_configENS1_25partition_config_selectorILNS1_17partition_subalgoE8EN3c108BFloat16ENS0_10empty_typeEbEEZZNS1_14partition_implILS5_8ELb0ES3_jPKS7_PS8_PKS8_NS0_5tupleIJPS7_S8_EEENSG_IJSD_SD_EEENS0_18inequality_wrapperIN6hipcub16HIPCUB_304000_NS8EqualityEEEPlJS8_EEE10hipError_tPvRmT3_T4_T5_T6_T7_T9_mT8_P12ihipStream_tbDpT10_ENKUlT_T0_E_clISt17integral_constantIbLb0EES18_IbLb1EEEEDaS14_S15_EUlS14_E_NS1_11comp_targetILNS1_3genE8ELNS1_11target_archE1030ELNS1_3gpuE2ELNS1_3repE0EEENS1_30default_config_static_selectorELNS0_4arch9wavefront6targetE1EEEvT1_
	.globl	_ZN7rocprim17ROCPRIM_400000_NS6detail17trampoline_kernelINS0_14default_configENS1_25partition_config_selectorILNS1_17partition_subalgoE8EN3c108BFloat16ENS0_10empty_typeEbEEZZNS1_14partition_implILS5_8ELb0ES3_jPKS7_PS8_PKS8_NS0_5tupleIJPS7_S8_EEENSG_IJSD_SD_EEENS0_18inequality_wrapperIN6hipcub16HIPCUB_304000_NS8EqualityEEEPlJS8_EEE10hipError_tPvRmT3_T4_T5_T6_T7_T9_mT8_P12ihipStream_tbDpT10_ENKUlT_T0_E_clISt17integral_constantIbLb0EES18_IbLb1EEEEDaS14_S15_EUlS14_E_NS1_11comp_targetILNS1_3genE8ELNS1_11target_archE1030ELNS1_3gpuE2ELNS1_3repE0EEENS1_30default_config_static_selectorELNS0_4arch9wavefront6targetE1EEEvT1_
	.p2align	8
	.type	_ZN7rocprim17ROCPRIM_400000_NS6detail17trampoline_kernelINS0_14default_configENS1_25partition_config_selectorILNS1_17partition_subalgoE8EN3c108BFloat16ENS0_10empty_typeEbEEZZNS1_14partition_implILS5_8ELb0ES3_jPKS7_PS8_PKS8_NS0_5tupleIJPS7_S8_EEENSG_IJSD_SD_EEENS0_18inequality_wrapperIN6hipcub16HIPCUB_304000_NS8EqualityEEEPlJS8_EEE10hipError_tPvRmT3_T4_T5_T6_T7_T9_mT8_P12ihipStream_tbDpT10_ENKUlT_T0_E_clISt17integral_constantIbLb0EES18_IbLb1EEEEDaS14_S15_EUlS14_E_NS1_11comp_targetILNS1_3genE8ELNS1_11target_archE1030ELNS1_3gpuE2ELNS1_3repE0EEENS1_30default_config_static_selectorELNS0_4arch9wavefront6targetE1EEEvT1_,@function
_ZN7rocprim17ROCPRIM_400000_NS6detail17trampoline_kernelINS0_14default_configENS1_25partition_config_selectorILNS1_17partition_subalgoE8EN3c108BFloat16ENS0_10empty_typeEbEEZZNS1_14partition_implILS5_8ELb0ES3_jPKS7_PS8_PKS8_NS0_5tupleIJPS7_S8_EEENSG_IJSD_SD_EEENS0_18inequality_wrapperIN6hipcub16HIPCUB_304000_NS8EqualityEEEPlJS8_EEE10hipError_tPvRmT3_T4_T5_T6_T7_T9_mT8_P12ihipStream_tbDpT10_ENKUlT_T0_E_clISt17integral_constantIbLb0EES18_IbLb1EEEEDaS14_S15_EUlS14_E_NS1_11comp_targetILNS1_3genE8ELNS1_11target_archE1030ELNS1_3gpuE2ELNS1_3repE0EEENS1_30default_config_static_selectorELNS0_4arch9wavefront6targetE1EEEvT1_: ; @_ZN7rocprim17ROCPRIM_400000_NS6detail17trampoline_kernelINS0_14default_configENS1_25partition_config_selectorILNS1_17partition_subalgoE8EN3c108BFloat16ENS0_10empty_typeEbEEZZNS1_14partition_implILS5_8ELb0ES3_jPKS7_PS8_PKS8_NS0_5tupleIJPS7_S8_EEENSG_IJSD_SD_EEENS0_18inequality_wrapperIN6hipcub16HIPCUB_304000_NS8EqualityEEEPlJS8_EEE10hipError_tPvRmT3_T4_T5_T6_T7_T9_mT8_P12ihipStream_tbDpT10_ENKUlT_T0_E_clISt17integral_constantIbLb0EES18_IbLb1EEEEDaS14_S15_EUlS14_E_NS1_11comp_targetILNS1_3genE8ELNS1_11target_archE1030ELNS1_3gpuE2ELNS1_3repE0EEENS1_30default_config_static_selectorELNS0_4arch9wavefront6targetE1EEEvT1_
; %bb.0:
	.section	.rodata,"a",@progbits
	.p2align	6, 0x0
	.amdhsa_kernel _ZN7rocprim17ROCPRIM_400000_NS6detail17trampoline_kernelINS0_14default_configENS1_25partition_config_selectorILNS1_17partition_subalgoE8EN3c108BFloat16ENS0_10empty_typeEbEEZZNS1_14partition_implILS5_8ELb0ES3_jPKS7_PS8_PKS8_NS0_5tupleIJPS7_S8_EEENSG_IJSD_SD_EEENS0_18inequality_wrapperIN6hipcub16HIPCUB_304000_NS8EqualityEEEPlJS8_EEE10hipError_tPvRmT3_T4_T5_T6_T7_T9_mT8_P12ihipStream_tbDpT10_ENKUlT_T0_E_clISt17integral_constantIbLb0EES18_IbLb1EEEEDaS14_S15_EUlS14_E_NS1_11comp_targetILNS1_3genE8ELNS1_11target_archE1030ELNS1_3gpuE2ELNS1_3repE0EEENS1_30default_config_static_selectorELNS0_4arch9wavefront6targetE1EEEvT1_
		.amdhsa_group_segment_fixed_size 0
		.amdhsa_private_segment_fixed_size 0
		.amdhsa_kernarg_size 128
		.amdhsa_user_sgpr_count 2
		.amdhsa_user_sgpr_dispatch_ptr 0
		.amdhsa_user_sgpr_queue_ptr 0
		.amdhsa_user_sgpr_kernarg_segment_ptr 1
		.amdhsa_user_sgpr_dispatch_id 0
		.amdhsa_user_sgpr_kernarg_preload_length 0
		.amdhsa_user_sgpr_kernarg_preload_offset 0
		.amdhsa_user_sgpr_private_segment_size 0
		.amdhsa_uses_dynamic_stack 0
		.amdhsa_enable_private_segment 0
		.amdhsa_system_sgpr_workgroup_id_x 1
		.amdhsa_system_sgpr_workgroup_id_y 0
		.amdhsa_system_sgpr_workgroup_id_z 0
		.amdhsa_system_sgpr_workgroup_info 0
		.amdhsa_system_vgpr_workitem_id 0
		.amdhsa_next_free_vgpr 1
		.amdhsa_next_free_sgpr 0
		.amdhsa_accum_offset 4
		.amdhsa_reserve_vcc 0
		.amdhsa_float_round_mode_32 0
		.amdhsa_float_round_mode_16_64 0
		.amdhsa_float_denorm_mode_32 3
		.amdhsa_float_denorm_mode_16_64 3
		.amdhsa_dx10_clamp 1
		.amdhsa_ieee_mode 1
		.amdhsa_fp16_overflow 0
		.amdhsa_tg_split 0
		.amdhsa_exception_fp_ieee_invalid_op 0
		.amdhsa_exception_fp_denorm_src 0
		.amdhsa_exception_fp_ieee_div_zero 0
		.amdhsa_exception_fp_ieee_overflow 0
		.amdhsa_exception_fp_ieee_underflow 0
		.amdhsa_exception_fp_ieee_inexact 0
		.amdhsa_exception_int_div_zero 0
	.end_amdhsa_kernel
	.section	.text._ZN7rocprim17ROCPRIM_400000_NS6detail17trampoline_kernelINS0_14default_configENS1_25partition_config_selectorILNS1_17partition_subalgoE8EN3c108BFloat16ENS0_10empty_typeEbEEZZNS1_14partition_implILS5_8ELb0ES3_jPKS7_PS8_PKS8_NS0_5tupleIJPS7_S8_EEENSG_IJSD_SD_EEENS0_18inequality_wrapperIN6hipcub16HIPCUB_304000_NS8EqualityEEEPlJS8_EEE10hipError_tPvRmT3_T4_T5_T6_T7_T9_mT8_P12ihipStream_tbDpT10_ENKUlT_T0_E_clISt17integral_constantIbLb0EES18_IbLb1EEEEDaS14_S15_EUlS14_E_NS1_11comp_targetILNS1_3genE8ELNS1_11target_archE1030ELNS1_3gpuE2ELNS1_3repE0EEENS1_30default_config_static_selectorELNS0_4arch9wavefront6targetE1EEEvT1_,"axG",@progbits,_ZN7rocprim17ROCPRIM_400000_NS6detail17trampoline_kernelINS0_14default_configENS1_25partition_config_selectorILNS1_17partition_subalgoE8EN3c108BFloat16ENS0_10empty_typeEbEEZZNS1_14partition_implILS5_8ELb0ES3_jPKS7_PS8_PKS8_NS0_5tupleIJPS7_S8_EEENSG_IJSD_SD_EEENS0_18inequality_wrapperIN6hipcub16HIPCUB_304000_NS8EqualityEEEPlJS8_EEE10hipError_tPvRmT3_T4_T5_T6_T7_T9_mT8_P12ihipStream_tbDpT10_ENKUlT_T0_E_clISt17integral_constantIbLb0EES18_IbLb1EEEEDaS14_S15_EUlS14_E_NS1_11comp_targetILNS1_3genE8ELNS1_11target_archE1030ELNS1_3gpuE2ELNS1_3repE0EEENS1_30default_config_static_selectorELNS0_4arch9wavefront6targetE1EEEvT1_,comdat
.Lfunc_end855:
	.size	_ZN7rocprim17ROCPRIM_400000_NS6detail17trampoline_kernelINS0_14default_configENS1_25partition_config_selectorILNS1_17partition_subalgoE8EN3c108BFloat16ENS0_10empty_typeEbEEZZNS1_14partition_implILS5_8ELb0ES3_jPKS7_PS8_PKS8_NS0_5tupleIJPS7_S8_EEENSG_IJSD_SD_EEENS0_18inequality_wrapperIN6hipcub16HIPCUB_304000_NS8EqualityEEEPlJS8_EEE10hipError_tPvRmT3_T4_T5_T6_T7_T9_mT8_P12ihipStream_tbDpT10_ENKUlT_T0_E_clISt17integral_constantIbLb0EES18_IbLb1EEEEDaS14_S15_EUlS14_E_NS1_11comp_targetILNS1_3genE8ELNS1_11target_archE1030ELNS1_3gpuE2ELNS1_3repE0EEENS1_30default_config_static_selectorELNS0_4arch9wavefront6targetE1EEEvT1_, .Lfunc_end855-_ZN7rocprim17ROCPRIM_400000_NS6detail17trampoline_kernelINS0_14default_configENS1_25partition_config_selectorILNS1_17partition_subalgoE8EN3c108BFloat16ENS0_10empty_typeEbEEZZNS1_14partition_implILS5_8ELb0ES3_jPKS7_PS8_PKS8_NS0_5tupleIJPS7_S8_EEENSG_IJSD_SD_EEENS0_18inequality_wrapperIN6hipcub16HIPCUB_304000_NS8EqualityEEEPlJS8_EEE10hipError_tPvRmT3_T4_T5_T6_T7_T9_mT8_P12ihipStream_tbDpT10_ENKUlT_T0_E_clISt17integral_constantIbLb0EES18_IbLb1EEEEDaS14_S15_EUlS14_E_NS1_11comp_targetILNS1_3genE8ELNS1_11target_archE1030ELNS1_3gpuE2ELNS1_3repE0EEENS1_30default_config_static_selectorELNS0_4arch9wavefront6targetE1EEEvT1_
                                        ; -- End function
	.section	.AMDGPU.csdata,"",@progbits
; Kernel info:
; codeLenInByte = 0
; NumSgprs: 6
; NumVgprs: 0
; NumAgprs: 0
; TotalNumVgprs: 0
; ScratchSize: 0
; MemoryBound: 0
; FloatMode: 240
; IeeeMode: 1
; LDSByteSize: 0 bytes/workgroup (compile time only)
; SGPRBlocks: 0
; VGPRBlocks: 0
; NumSGPRsForWavesPerEU: 6
; NumVGPRsForWavesPerEU: 1
; AccumOffset: 4
; Occupancy: 8
; WaveLimiterHint : 0
; COMPUTE_PGM_RSRC2:SCRATCH_EN: 0
; COMPUTE_PGM_RSRC2:USER_SGPR: 2
; COMPUTE_PGM_RSRC2:TRAP_HANDLER: 0
; COMPUTE_PGM_RSRC2:TGID_X_EN: 1
; COMPUTE_PGM_RSRC2:TGID_Y_EN: 0
; COMPUTE_PGM_RSRC2:TGID_Z_EN: 0
; COMPUTE_PGM_RSRC2:TIDIG_COMP_CNT: 0
; COMPUTE_PGM_RSRC3_GFX90A:ACCUM_OFFSET: 0
; COMPUTE_PGM_RSRC3_GFX90A:TG_SPLIT: 0
	.section	.text._ZN7rocprim17ROCPRIM_400000_NS6detail17trampoline_kernelINS0_14default_configENS1_33run_length_encode_config_selectorIN3c108BFloat16EjNS0_4plusIjEEEEZZNS1_33reduce_by_key_impl_wrapped_configILNS1_25lookback_scan_determinismE0ES3_S9_PKS6_NS0_17constant_iteratorIjlEEPS6_PlSH_S8_NS0_8equal_toIS6_EEEE10hipError_tPvRmT2_T3_mT4_T5_T6_T7_T8_P12ihipStream_tbENKUlT_T0_E_clISt17integral_constantIbLb0EES11_EEDaSW_SX_EUlSW_E_NS1_11comp_targetILNS1_3genE0ELNS1_11target_archE4294967295ELNS1_3gpuE0ELNS1_3repE0EEENS1_30default_config_static_selectorELNS0_4arch9wavefront6targetE1EEEvT1_,"axG",@progbits,_ZN7rocprim17ROCPRIM_400000_NS6detail17trampoline_kernelINS0_14default_configENS1_33run_length_encode_config_selectorIN3c108BFloat16EjNS0_4plusIjEEEEZZNS1_33reduce_by_key_impl_wrapped_configILNS1_25lookback_scan_determinismE0ES3_S9_PKS6_NS0_17constant_iteratorIjlEEPS6_PlSH_S8_NS0_8equal_toIS6_EEEE10hipError_tPvRmT2_T3_mT4_T5_T6_T7_T8_P12ihipStream_tbENKUlT_T0_E_clISt17integral_constantIbLb0EES11_EEDaSW_SX_EUlSW_E_NS1_11comp_targetILNS1_3genE0ELNS1_11target_archE4294967295ELNS1_3gpuE0ELNS1_3repE0EEENS1_30default_config_static_selectorELNS0_4arch9wavefront6targetE1EEEvT1_,comdat
	.protected	_ZN7rocprim17ROCPRIM_400000_NS6detail17trampoline_kernelINS0_14default_configENS1_33run_length_encode_config_selectorIN3c108BFloat16EjNS0_4plusIjEEEEZZNS1_33reduce_by_key_impl_wrapped_configILNS1_25lookback_scan_determinismE0ES3_S9_PKS6_NS0_17constant_iteratorIjlEEPS6_PlSH_S8_NS0_8equal_toIS6_EEEE10hipError_tPvRmT2_T3_mT4_T5_T6_T7_T8_P12ihipStream_tbENKUlT_T0_E_clISt17integral_constantIbLb0EES11_EEDaSW_SX_EUlSW_E_NS1_11comp_targetILNS1_3genE0ELNS1_11target_archE4294967295ELNS1_3gpuE0ELNS1_3repE0EEENS1_30default_config_static_selectorELNS0_4arch9wavefront6targetE1EEEvT1_ ; -- Begin function _ZN7rocprim17ROCPRIM_400000_NS6detail17trampoline_kernelINS0_14default_configENS1_33run_length_encode_config_selectorIN3c108BFloat16EjNS0_4plusIjEEEEZZNS1_33reduce_by_key_impl_wrapped_configILNS1_25lookback_scan_determinismE0ES3_S9_PKS6_NS0_17constant_iteratorIjlEEPS6_PlSH_S8_NS0_8equal_toIS6_EEEE10hipError_tPvRmT2_T3_mT4_T5_T6_T7_T8_P12ihipStream_tbENKUlT_T0_E_clISt17integral_constantIbLb0EES11_EEDaSW_SX_EUlSW_E_NS1_11comp_targetILNS1_3genE0ELNS1_11target_archE4294967295ELNS1_3gpuE0ELNS1_3repE0EEENS1_30default_config_static_selectorELNS0_4arch9wavefront6targetE1EEEvT1_
	.globl	_ZN7rocprim17ROCPRIM_400000_NS6detail17trampoline_kernelINS0_14default_configENS1_33run_length_encode_config_selectorIN3c108BFloat16EjNS0_4plusIjEEEEZZNS1_33reduce_by_key_impl_wrapped_configILNS1_25lookback_scan_determinismE0ES3_S9_PKS6_NS0_17constant_iteratorIjlEEPS6_PlSH_S8_NS0_8equal_toIS6_EEEE10hipError_tPvRmT2_T3_mT4_T5_T6_T7_T8_P12ihipStream_tbENKUlT_T0_E_clISt17integral_constantIbLb0EES11_EEDaSW_SX_EUlSW_E_NS1_11comp_targetILNS1_3genE0ELNS1_11target_archE4294967295ELNS1_3gpuE0ELNS1_3repE0EEENS1_30default_config_static_selectorELNS0_4arch9wavefront6targetE1EEEvT1_
	.p2align	8
	.type	_ZN7rocprim17ROCPRIM_400000_NS6detail17trampoline_kernelINS0_14default_configENS1_33run_length_encode_config_selectorIN3c108BFloat16EjNS0_4plusIjEEEEZZNS1_33reduce_by_key_impl_wrapped_configILNS1_25lookback_scan_determinismE0ES3_S9_PKS6_NS0_17constant_iteratorIjlEEPS6_PlSH_S8_NS0_8equal_toIS6_EEEE10hipError_tPvRmT2_T3_mT4_T5_T6_T7_T8_P12ihipStream_tbENKUlT_T0_E_clISt17integral_constantIbLb0EES11_EEDaSW_SX_EUlSW_E_NS1_11comp_targetILNS1_3genE0ELNS1_11target_archE4294967295ELNS1_3gpuE0ELNS1_3repE0EEENS1_30default_config_static_selectorELNS0_4arch9wavefront6targetE1EEEvT1_,@function
_ZN7rocprim17ROCPRIM_400000_NS6detail17trampoline_kernelINS0_14default_configENS1_33run_length_encode_config_selectorIN3c108BFloat16EjNS0_4plusIjEEEEZZNS1_33reduce_by_key_impl_wrapped_configILNS1_25lookback_scan_determinismE0ES3_S9_PKS6_NS0_17constant_iteratorIjlEEPS6_PlSH_S8_NS0_8equal_toIS6_EEEE10hipError_tPvRmT2_T3_mT4_T5_T6_T7_T8_P12ihipStream_tbENKUlT_T0_E_clISt17integral_constantIbLb0EES11_EEDaSW_SX_EUlSW_E_NS1_11comp_targetILNS1_3genE0ELNS1_11target_archE4294967295ELNS1_3gpuE0ELNS1_3repE0EEENS1_30default_config_static_selectorELNS0_4arch9wavefront6targetE1EEEvT1_: ; @_ZN7rocprim17ROCPRIM_400000_NS6detail17trampoline_kernelINS0_14default_configENS1_33run_length_encode_config_selectorIN3c108BFloat16EjNS0_4plusIjEEEEZZNS1_33reduce_by_key_impl_wrapped_configILNS1_25lookback_scan_determinismE0ES3_S9_PKS6_NS0_17constant_iteratorIjlEEPS6_PlSH_S8_NS0_8equal_toIS6_EEEE10hipError_tPvRmT2_T3_mT4_T5_T6_T7_T8_P12ihipStream_tbENKUlT_T0_E_clISt17integral_constantIbLb0EES11_EEDaSW_SX_EUlSW_E_NS1_11comp_targetILNS1_3genE0ELNS1_11target_archE4294967295ELNS1_3gpuE0ELNS1_3repE0EEENS1_30default_config_static_selectorELNS0_4arch9wavefront6targetE1EEEvT1_
; %bb.0:
	.section	.rodata,"a",@progbits
	.p2align	6, 0x0
	.amdhsa_kernel _ZN7rocprim17ROCPRIM_400000_NS6detail17trampoline_kernelINS0_14default_configENS1_33run_length_encode_config_selectorIN3c108BFloat16EjNS0_4plusIjEEEEZZNS1_33reduce_by_key_impl_wrapped_configILNS1_25lookback_scan_determinismE0ES3_S9_PKS6_NS0_17constant_iteratorIjlEEPS6_PlSH_S8_NS0_8equal_toIS6_EEEE10hipError_tPvRmT2_T3_mT4_T5_T6_T7_T8_P12ihipStream_tbENKUlT_T0_E_clISt17integral_constantIbLb0EES11_EEDaSW_SX_EUlSW_E_NS1_11comp_targetILNS1_3genE0ELNS1_11target_archE4294967295ELNS1_3gpuE0ELNS1_3repE0EEENS1_30default_config_static_selectorELNS0_4arch9wavefront6targetE1EEEvT1_
		.amdhsa_group_segment_fixed_size 0
		.amdhsa_private_segment_fixed_size 0
		.amdhsa_kernarg_size 128
		.amdhsa_user_sgpr_count 2
		.amdhsa_user_sgpr_dispatch_ptr 0
		.amdhsa_user_sgpr_queue_ptr 0
		.amdhsa_user_sgpr_kernarg_segment_ptr 1
		.amdhsa_user_sgpr_dispatch_id 0
		.amdhsa_user_sgpr_kernarg_preload_length 0
		.amdhsa_user_sgpr_kernarg_preload_offset 0
		.amdhsa_user_sgpr_private_segment_size 0
		.amdhsa_uses_dynamic_stack 0
		.amdhsa_enable_private_segment 0
		.amdhsa_system_sgpr_workgroup_id_x 1
		.amdhsa_system_sgpr_workgroup_id_y 0
		.amdhsa_system_sgpr_workgroup_id_z 0
		.amdhsa_system_sgpr_workgroup_info 0
		.amdhsa_system_vgpr_workitem_id 0
		.amdhsa_next_free_vgpr 1
		.amdhsa_next_free_sgpr 0
		.amdhsa_accum_offset 4
		.amdhsa_reserve_vcc 0
		.amdhsa_float_round_mode_32 0
		.amdhsa_float_round_mode_16_64 0
		.amdhsa_float_denorm_mode_32 3
		.amdhsa_float_denorm_mode_16_64 3
		.amdhsa_dx10_clamp 1
		.amdhsa_ieee_mode 1
		.amdhsa_fp16_overflow 0
		.amdhsa_tg_split 0
		.amdhsa_exception_fp_ieee_invalid_op 0
		.amdhsa_exception_fp_denorm_src 0
		.amdhsa_exception_fp_ieee_div_zero 0
		.amdhsa_exception_fp_ieee_overflow 0
		.amdhsa_exception_fp_ieee_underflow 0
		.amdhsa_exception_fp_ieee_inexact 0
		.amdhsa_exception_int_div_zero 0
	.end_amdhsa_kernel
	.section	.text._ZN7rocprim17ROCPRIM_400000_NS6detail17trampoline_kernelINS0_14default_configENS1_33run_length_encode_config_selectorIN3c108BFloat16EjNS0_4plusIjEEEEZZNS1_33reduce_by_key_impl_wrapped_configILNS1_25lookback_scan_determinismE0ES3_S9_PKS6_NS0_17constant_iteratorIjlEEPS6_PlSH_S8_NS0_8equal_toIS6_EEEE10hipError_tPvRmT2_T3_mT4_T5_T6_T7_T8_P12ihipStream_tbENKUlT_T0_E_clISt17integral_constantIbLb0EES11_EEDaSW_SX_EUlSW_E_NS1_11comp_targetILNS1_3genE0ELNS1_11target_archE4294967295ELNS1_3gpuE0ELNS1_3repE0EEENS1_30default_config_static_selectorELNS0_4arch9wavefront6targetE1EEEvT1_,"axG",@progbits,_ZN7rocprim17ROCPRIM_400000_NS6detail17trampoline_kernelINS0_14default_configENS1_33run_length_encode_config_selectorIN3c108BFloat16EjNS0_4plusIjEEEEZZNS1_33reduce_by_key_impl_wrapped_configILNS1_25lookback_scan_determinismE0ES3_S9_PKS6_NS0_17constant_iteratorIjlEEPS6_PlSH_S8_NS0_8equal_toIS6_EEEE10hipError_tPvRmT2_T3_mT4_T5_T6_T7_T8_P12ihipStream_tbENKUlT_T0_E_clISt17integral_constantIbLb0EES11_EEDaSW_SX_EUlSW_E_NS1_11comp_targetILNS1_3genE0ELNS1_11target_archE4294967295ELNS1_3gpuE0ELNS1_3repE0EEENS1_30default_config_static_selectorELNS0_4arch9wavefront6targetE1EEEvT1_,comdat
.Lfunc_end856:
	.size	_ZN7rocprim17ROCPRIM_400000_NS6detail17trampoline_kernelINS0_14default_configENS1_33run_length_encode_config_selectorIN3c108BFloat16EjNS0_4plusIjEEEEZZNS1_33reduce_by_key_impl_wrapped_configILNS1_25lookback_scan_determinismE0ES3_S9_PKS6_NS0_17constant_iteratorIjlEEPS6_PlSH_S8_NS0_8equal_toIS6_EEEE10hipError_tPvRmT2_T3_mT4_T5_T6_T7_T8_P12ihipStream_tbENKUlT_T0_E_clISt17integral_constantIbLb0EES11_EEDaSW_SX_EUlSW_E_NS1_11comp_targetILNS1_3genE0ELNS1_11target_archE4294967295ELNS1_3gpuE0ELNS1_3repE0EEENS1_30default_config_static_selectorELNS0_4arch9wavefront6targetE1EEEvT1_, .Lfunc_end856-_ZN7rocprim17ROCPRIM_400000_NS6detail17trampoline_kernelINS0_14default_configENS1_33run_length_encode_config_selectorIN3c108BFloat16EjNS0_4plusIjEEEEZZNS1_33reduce_by_key_impl_wrapped_configILNS1_25lookback_scan_determinismE0ES3_S9_PKS6_NS0_17constant_iteratorIjlEEPS6_PlSH_S8_NS0_8equal_toIS6_EEEE10hipError_tPvRmT2_T3_mT4_T5_T6_T7_T8_P12ihipStream_tbENKUlT_T0_E_clISt17integral_constantIbLb0EES11_EEDaSW_SX_EUlSW_E_NS1_11comp_targetILNS1_3genE0ELNS1_11target_archE4294967295ELNS1_3gpuE0ELNS1_3repE0EEENS1_30default_config_static_selectorELNS0_4arch9wavefront6targetE1EEEvT1_
                                        ; -- End function
	.section	.AMDGPU.csdata,"",@progbits
; Kernel info:
; codeLenInByte = 0
; NumSgprs: 6
; NumVgprs: 0
; NumAgprs: 0
; TotalNumVgprs: 0
; ScratchSize: 0
; MemoryBound: 0
; FloatMode: 240
; IeeeMode: 1
; LDSByteSize: 0 bytes/workgroup (compile time only)
; SGPRBlocks: 0
; VGPRBlocks: 0
; NumSGPRsForWavesPerEU: 6
; NumVGPRsForWavesPerEU: 1
; AccumOffset: 4
; Occupancy: 8
; WaveLimiterHint : 0
; COMPUTE_PGM_RSRC2:SCRATCH_EN: 0
; COMPUTE_PGM_RSRC2:USER_SGPR: 2
; COMPUTE_PGM_RSRC2:TRAP_HANDLER: 0
; COMPUTE_PGM_RSRC2:TGID_X_EN: 1
; COMPUTE_PGM_RSRC2:TGID_Y_EN: 0
; COMPUTE_PGM_RSRC2:TGID_Z_EN: 0
; COMPUTE_PGM_RSRC2:TIDIG_COMP_CNT: 0
; COMPUTE_PGM_RSRC3_GFX90A:ACCUM_OFFSET: 0
; COMPUTE_PGM_RSRC3_GFX90A:TG_SPLIT: 0
	.section	.text._ZN7rocprim17ROCPRIM_400000_NS6detail17trampoline_kernelINS0_14default_configENS1_33run_length_encode_config_selectorIN3c108BFloat16EjNS0_4plusIjEEEEZZNS1_33reduce_by_key_impl_wrapped_configILNS1_25lookback_scan_determinismE0ES3_S9_PKS6_NS0_17constant_iteratorIjlEEPS6_PlSH_S8_NS0_8equal_toIS6_EEEE10hipError_tPvRmT2_T3_mT4_T5_T6_T7_T8_P12ihipStream_tbENKUlT_T0_E_clISt17integral_constantIbLb0EES11_EEDaSW_SX_EUlSW_E_NS1_11comp_targetILNS1_3genE5ELNS1_11target_archE942ELNS1_3gpuE9ELNS1_3repE0EEENS1_30default_config_static_selectorELNS0_4arch9wavefront6targetE1EEEvT1_,"axG",@progbits,_ZN7rocprim17ROCPRIM_400000_NS6detail17trampoline_kernelINS0_14default_configENS1_33run_length_encode_config_selectorIN3c108BFloat16EjNS0_4plusIjEEEEZZNS1_33reduce_by_key_impl_wrapped_configILNS1_25lookback_scan_determinismE0ES3_S9_PKS6_NS0_17constant_iteratorIjlEEPS6_PlSH_S8_NS0_8equal_toIS6_EEEE10hipError_tPvRmT2_T3_mT4_T5_T6_T7_T8_P12ihipStream_tbENKUlT_T0_E_clISt17integral_constantIbLb0EES11_EEDaSW_SX_EUlSW_E_NS1_11comp_targetILNS1_3genE5ELNS1_11target_archE942ELNS1_3gpuE9ELNS1_3repE0EEENS1_30default_config_static_selectorELNS0_4arch9wavefront6targetE1EEEvT1_,comdat
	.protected	_ZN7rocprim17ROCPRIM_400000_NS6detail17trampoline_kernelINS0_14default_configENS1_33run_length_encode_config_selectorIN3c108BFloat16EjNS0_4plusIjEEEEZZNS1_33reduce_by_key_impl_wrapped_configILNS1_25lookback_scan_determinismE0ES3_S9_PKS6_NS0_17constant_iteratorIjlEEPS6_PlSH_S8_NS0_8equal_toIS6_EEEE10hipError_tPvRmT2_T3_mT4_T5_T6_T7_T8_P12ihipStream_tbENKUlT_T0_E_clISt17integral_constantIbLb0EES11_EEDaSW_SX_EUlSW_E_NS1_11comp_targetILNS1_3genE5ELNS1_11target_archE942ELNS1_3gpuE9ELNS1_3repE0EEENS1_30default_config_static_selectorELNS0_4arch9wavefront6targetE1EEEvT1_ ; -- Begin function _ZN7rocprim17ROCPRIM_400000_NS6detail17trampoline_kernelINS0_14default_configENS1_33run_length_encode_config_selectorIN3c108BFloat16EjNS0_4plusIjEEEEZZNS1_33reduce_by_key_impl_wrapped_configILNS1_25lookback_scan_determinismE0ES3_S9_PKS6_NS0_17constant_iteratorIjlEEPS6_PlSH_S8_NS0_8equal_toIS6_EEEE10hipError_tPvRmT2_T3_mT4_T5_T6_T7_T8_P12ihipStream_tbENKUlT_T0_E_clISt17integral_constantIbLb0EES11_EEDaSW_SX_EUlSW_E_NS1_11comp_targetILNS1_3genE5ELNS1_11target_archE942ELNS1_3gpuE9ELNS1_3repE0EEENS1_30default_config_static_selectorELNS0_4arch9wavefront6targetE1EEEvT1_
	.globl	_ZN7rocprim17ROCPRIM_400000_NS6detail17trampoline_kernelINS0_14default_configENS1_33run_length_encode_config_selectorIN3c108BFloat16EjNS0_4plusIjEEEEZZNS1_33reduce_by_key_impl_wrapped_configILNS1_25lookback_scan_determinismE0ES3_S9_PKS6_NS0_17constant_iteratorIjlEEPS6_PlSH_S8_NS0_8equal_toIS6_EEEE10hipError_tPvRmT2_T3_mT4_T5_T6_T7_T8_P12ihipStream_tbENKUlT_T0_E_clISt17integral_constantIbLb0EES11_EEDaSW_SX_EUlSW_E_NS1_11comp_targetILNS1_3genE5ELNS1_11target_archE942ELNS1_3gpuE9ELNS1_3repE0EEENS1_30default_config_static_selectorELNS0_4arch9wavefront6targetE1EEEvT1_
	.p2align	8
	.type	_ZN7rocprim17ROCPRIM_400000_NS6detail17trampoline_kernelINS0_14default_configENS1_33run_length_encode_config_selectorIN3c108BFloat16EjNS0_4plusIjEEEEZZNS1_33reduce_by_key_impl_wrapped_configILNS1_25lookback_scan_determinismE0ES3_S9_PKS6_NS0_17constant_iteratorIjlEEPS6_PlSH_S8_NS0_8equal_toIS6_EEEE10hipError_tPvRmT2_T3_mT4_T5_T6_T7_T8_P12ihipStream_tbENKUlT_T0_E_clISt17integral_constantIbLb0EES11_EEDaSW_SX_EUlSW_E_NS1_11comp_targetILNS1_3genE5ELNS1_11target_archE942ELNS1_3gpuE9ELNS1_3repE0EEENS1_30default_config_static_selectorELNS0_4arch9wavefront6targetE1EEEvT1_,@function
_ZN7rocprim17ROCPRIM_400000_NS6detail17trampoline_kernelINS0_14default_configENS1_33run_length_encode_config_selectorIN3c108BFloat16EjNS0_4plusIjEEEEZZNS1_33reduce_by_key_impl_wrapped_configILNS1_25lookback_scan_determinismE0ES3_S9_PKS6_NS0_17constant_iteratorIjlEEPS6_PlSH_S8_NS0_8equal_toIS6_EEEE10hipError_tPvRmT2_T3_mT4_T5_T6_T7_T8_P12ihipStream_tbENKUlT_T0_E_clISt17integral_constantIbLb0EES11_EEDaSW_SX_EUlSW_E_NS1_11comp_targetILNS1_3genE5ELNS1_11target_archE942ELNS1_3gpuE9ELNS1_3repE0EEENS1_30default_config_static_selectorELNS0_4arch9wavefront6targetE1EEEvT1_: ; @_ZN7rocprim17ROCPRIM_400000_NS6detail17trampoline_kernelINS0_14default_configENS1_33run_length_encode_config_selectorIN3c108BFloat16EjNS0_4plusIjEEEEZZNS1_33reduce_by_key_impl_wrapped_configILNS1_25lookback_scan_determinismE0ES3_S9_PKS6_NS0_17constant_iteratorIjlEEPS6_PlSH_S8_NS0_8equal_toIS6_EEEE10hipError_tPvRmT2_T3_mT4_T5_T6_T7_T8_P12ihipStream_tbENKUlT_T0_E_clISt17integral_constantIbLb0EES11_EEDaSW_SX_EUlSW_E_NS1_11comp_targetILNS1_3genE5ELNS1_11target_archE942ELNS1_3gpuE9ELNS1_3repE0EEENS1_30default_config_static_selectorELNS0_4arch9wavefront6targetE1EEEvT1_
; %bb.0:
	s_load_dwordx4 s[4:7], s[0:1], 0x0
	s_load_dword s3, s[0:1], 0x10
	s_load_dwordx8 s[40:47], s[0:1], 0x40
	s_load_dwordx4 s[48:51], s[0:1], 0x20
	s_load_dwordx2 s[52:53], s[0:1], 0x30
	s_load_dwordx2 s[54:55], s[0:1], 0x70
	s_load_dwordx4 s[36:39], s[0:1], 0x60
	s_waitcnt lgkmcnt(0)
	s_mul_i32 s0, s44, s43
	s_mul_hi_u32 s1, s44, s42
	s_add_i32 s0, s1, s0
	s_mul_i32 s1, s45, s42
	s_add_i32 s8, s0, s1
	s_lshl_b64 s[0:1], s[6:7], 1
	s_add_u32 s4, s4, s0
	s_addc_u32 s5, s5, s1
	s_mul_i32 s0, s2, 0xf00
	s_mov_b32 s1, 0
	s_lshl_b64 s[0:1], s[0:1], 1
	s_add_u32 s4, s4, s0
	s_mul_i32 s9, s44, s42
	s_addc_u32 s5, s5, s1
	s_add_u32 s0, s9, s2
	s_addc_u32 s1, s8, 0
	s_add_u32 s10, s46, -1
	s_addc_u32 s11, s47, -1
	s_cmp_eq_u64 s[0:1], s[10:11]
	s_cselect_b64 s[44:45], -1, 0
	s_cmp_lg_u64 s[0:1], s[10:11]
	s_mov_b64 s[6:7], -1
	s_cselect_b64 s[8:9], -1, 0
	s_mul_i32 s33, s10, 0xfffff100
	s_and_b64 vcc, exec, s[44:45]
	s_cbranch_vccnz .LBB857_2
; %bb.1:
	v_lshlrev_b32_e32 v2, 1, v0
	v_mov_b32_e32 v3, 0
	v_lshl_add_u64 v[4:5], s[4:5], 0, v[2:3]
	v_add_co_u32_e32 v4, vcc, 0x1000, v4
	global_load_ushort v1, v2, s[4:5]
	global_load_ushort v3, v2, s[4:5] offset:512
	global_load_ushort v12, v2, s[4:5] offset:1024
	;; [unrolled: 1-line block ×7, first 2 shown]
	v_addc_co_u32_e32 v5, vcc, 0, v5, vcc
	global_load_ushort v20, v[4:5], off
	global_load_ushort v21, v[4:5], off offset:512
	global_load_ushort v22, v[4:5], off offset:1024
	;; [unrolled: 1-line block ×6, first 2 shown]
	v_mad_u32_u24 v28, v0, 28, v2
	s_movk_i32 s6, 0xffe6
	v_mul_u32_u24_e32 v6, 15, v0
	v_mad_u32_u24 v16, v0, 15, 2
	v_mad_u32_u24 v9, v0, 15, 4
	;; [unrolled: 1-line block ×7, first 2 shown]
	v_mov_b32_e32 v27, s3
	v_mad_i32_i24 v29, v0, s6, v28
	s_waitcnt vmcnt(14)
	ds_write_b16 v2, v1
	s_waitcnt vmcnt(13)
	ds_write_b16 v2, v3 offset:512
	s_waitcnt vmcnt(12)
	ds_write_b16 v2, v12 offset:1024
	;; [unrolled: 2-line block ×14, first 2 shown]
	s_waitcnt lgkmcnt(0)
	s_barrier
	ds_read_b128 v[2:5], v28
	ds_read_b96 v[12:14], v28 offset:16
	ds_read_u16 v1, v28 offset:28
	s_waitcnt lgkmcnt(0)
	s_barrier
	ds_write2st64_b32 v29, v27, v27 offset1:4
	ds_write2st64_b32 v29, v27, v27 offset0:8 offset1:12
	ds_write2st64_b32 v29, v27, v27 offset0:16 offset1:20
	;; [unrolled: 1-line block ×6, first 2 shown]
	ds_write_b32 v29, v27 offset:14336
	s_waitcnt lgkmcnt(0)
	s_barrier
	s_add_i32 s33, s33, s36
	s_cbranch_execz .LBB857_3
	s_branch .LBB857_34
.LBB857_2:
                                        ; implicit-def: $vgpr14
                                        ; implicit-def: $vgpr5
                                        ; implicit-def: $vgpr10
                                        ; implicit-def: $vgpr11
                                        ; implicit-def: $vgpr15
                                        ; implicit-def: $vgpr7
                                        ; implicit-def: $vgpr8
                                        ; implicit-def: $vgpr9
                                        ; implicit-def: $vgpr16
                                        ; implicit-def: $vgpr6
                                        ; implicit-def: $vgpr1
	s_andn2_b64 vcc, exec, s[6:7]
	s_add_i32 s33, s33, s36
	s_cbranch_vccnz .LBB857_34
.LBB857_3:
	v_cmp_gt_u32_e32 vcc, s33, v0
                                        ; implicit-def: $vgpr1
	s_and_saveexec_b64 s[6:7], vcc
	s_cbranch_execz .LBB857_5
; %bb.4:
	v_lshlrev_b32_e32 v1, 1, v0
	global_load_ushort v1, v1, s[4:5]
.LBB857_5:
	s_or_b64 exec, exec, s[6:7]
	v_or_b32_e32 v2, 0x100, v0
	v_cmp_gt_u32_e32 vcc, s33, v2
                                        ; implicit-def: $vgpr2
	s_and_saveexec_b64 s[6:7], vcc
	s_cbranch_execz .LBB857_7
; %bb.6:
	v_lshlrev_b32_e32 v2, 1, v0
	global_load_ushort v2, v2, s[4:5] offset:512
.LBB857_7:
	s_or_b64 exec, exec, s[6:7]
	v_or_b32_e32 v3, 0x200, v0
	v_cmp_gt_u32_e32 vcc, s33, v3
                                        ; implicit-def: $vgpr3
	s_and_saveexec_b64 s[6:7], vcc
	s_cbranch_execz .LBB857_9
; %bb.8:
	v_lshlrev_b32_e32 v3, 1, v0
	global_load_ushort v3, v3, s[4:5] offset:1024
.LBB857_9:
	s_or_b64 exec, exec, s[6:7]
	v_or_b32_e32 v4, 0x300, v0
	v_cmp_gt_u32_e32 vcc, s33, v4
                                        ; implicit-def: $vgpr4
	s_and_saveexec_b64 s[6:7], vcc
	s_cbranch_execz .LBB857_11
; %bb.10:
	v_lshlrev_b32_e32 v4, 1, v0
	global_load_ushort v4, v4, s[4:5] offset:1536
.LBB857_11:
	s_or_b64 exec, exec, s[6:7]
	v_or_b32_e32 v5, 0x400, v0
	v_cmp_gt_u32_e32 vcc, s33, v5
                                        ; implicit-def: $vgpr5
	s_and_saveexec_b64 s[6:7], vcc
	s_cbranch_execz .LBB857_13
; %bb.12:
	v_lshlrev_b32_e32 v5, 1, v0
	global_load_ushort v5, v5, s[4:5] offset:2048
.LBB857_13:
	s_or_b64 exec, exec, s[6:7]
	v_or_b32_e32 v6, 0x500, v0
	v_cmp_gt_u32_e32 vcc, s33, v6
                                        ; implicit-def: $vgpr6
	s_and_saveexec_b64 s[6:7], vcc
	s_cbranch_execz .LBB857_15
; %bb.14:
	v_lshlrev_b32_e32 v6, 1, v0
	global_load_ushort v6, v6, s[4:5] offset:2560
.LBB857_15:
	s_or_b64 exec, exec, s[6:7]
	v_or_b32_e32 v7, 0x600, v0
	v_cmp_gt_u32_e32 vcc, s33, v7
                                        ; implicit-def: $vgpr7
	s_and_saveexec_b64 s[6:7], vcc
	s_cbranch_execz .LBB857_17
; %bb.16:
	v_lshlrev_b32_e32 v7, 1, v0
	global_load_ushort v7, v7, s[4:5] offset:3072
.LBB857_17:
	s_or_b64 exec, exec, s[6:7]
	v_or_b32_e32 v8, 0x700, v0
	v_cmp_gt_u32_e32 vcc, s33, v8
                                        ; implicit-def: $vgpr8
	s_and_saveexec_b64 s[6:7], vcc
	s_cbranch_execz .LBB857_19
; %bb.18:
	v_lshlrev_b32_e32 v8, 1, v0
	global_load_ushort v8, v8, s[4:5] offset:3584
.LBB857_19:
	s_or_b64 exec, exec, s[6:7]
	v_or_b32_e32 v10, 0x800, v0
	v_cmp_gt_u32_e32 vcc, s33, v10
                                        ; implicit-def: $vgpr9
	s_and_saveexec_b64 s[6:7], vcc
	s_cbranch_execz .LBB857_21
; %bb.20:
	v_lshlrev_b32_e32 v9, 1, v10
	global_load_ushort v9, v9, s[4:5]
.LBB857_21:
	s_or_b64 exec, exec, s[6:7]
	v_or_b32_e32 v11, 0x900, v0
	v_cmp_gt_u32_e32 vcc, s33, v11
                                        ; implicit-def: $vgpr10
	s_and_saveexec_b64 s[6:7], vcc
	s_cbranch_execz .LBB857_23
; %bb.22:
	v_lshlrev_b32_e32 v10, 1, v11
	global_load_ushort v10, v10, s[4:5]
.LBB857_23:
	s_or_b64 exec, exec, s[6:7]
	v_or_b32_e32 v12, 0xa00, v0
	v_cmp_gt_u32_e32 vcc, s33, v12
                                        ; implicit-def: $vgpr11
	s_and_saveexec_b64 s[6:7], vcc
	s_cbranch_execz .LBB857_25
; %bb.24:
	v_lshlrev_b32_e32 v11, 1, v12
	global_load_ushort v11, v11, s[4:5]
.LBB857_25:
	s_or_b64 exec, exec, s[6:7]
	v_or_b32_e32 v13, 0xb00, v0
	v_cmp_gt_u32_e32 vcc, s33, v13
                                        ; implicit-def: $vgpr12
	s_and_saveexec_b64 s[6:7], vcc
	s_cbranch_execz .LBB857_27
; %bb.26:
	v_lshlrev_b32_e32 v12, 1, v13
	global_load_ushort v12, v12, s[4:5]
.LBB857_27:
	s_or_b64 exec, exec, s[6:7]
	v_or_b32_e32 v14, 0xc00, v0
	v_cmp_gt_u32_e32 vcc, s33, v14
                                        ; implicit-def: $vgpr13
	s_and_saveexec_b64 s[6:7], vcc
	s_cbranch_execz .LBB857_29
; %bb.28:
	v_lshlrev_b32_e32 v13, 1, v14
	global_load_ushort v13, v13, s[4:5]
.LBB857_29:
	s_or_b64 exec, exec, s[6:7]
	v_or_b32_e32 v15, 0xd00, v0
	v_cmp_gt_u32_e32 vcc, s33, v15
                                        ; implicit-def: $vgpr14
	s_and_saveexec_b64 s[6:7], vcc
	s_cbranch_execz .LBB857_31
; %bb.30:
	v_lshlrev_b32_e32 v14, 1, v15
	global_load_ushort v14, v14, s[4:5]
.LBB857_31:
	s_or_b64 exec, exec, s[6:7]
	v_or_b32_e32 v16, 0xe00, v0
	v_cmp_gt_u32_e32 vcc, s33, v16
                                        ; implicit-def: $vgpr15
	s_and_saveexec_b64 s[6:7], vcc
	s_cbranch_execz .LBB857_33
; %bb.32:
	v_lshlrev_b32_e32 v15, 1, v16
	global_load_ushort v15, v15, s[4:5]
.LBB857_33:
	s_or_b64 exec, exec, s[6:7]
	v_lshlrev_b32_e32 v16, 1, v0
	v_mad_u32_u24 v17, v0, 28, v16
	s_waitcnt vmcnt(0)
	ds_write_b16 v16, v1
	ds_write_b16 v16, v2 offset:512
	ds_write_b16 v16, v3 offset:1024
	;; [unrolled: 1-line block ×14, first 2 shown]
	s_waitcnt lgkmcnt(0)
	s_barrier
	ds_read_b128 v[2:5], v17
	ds_read_b96 v[12:14], v17 offset:16
	ds_read_u16 v1, v17 offset:28
	s_movk_i32 s6, 0xffe6
	v_mul_u32_u24_e32 v6, 15, v0
	v_mad_u32_u24 v16, v0, 15, 2
	v_mad_u32_u24 v9, v0, 15, 4
	;; [unrolled: 1-line block ×7, first 2 shown]
	v_mad_i32_i24 v17, v0, s6, v17
	v_mov_b32_e32 v18, s3
	s_waitcnt lgkmcnt(0)
	s_barrier
	ds_write2st64_b32 v17, v18, v18 offset1:4
	ds_write2st64_b32 v17, v18, v18 offset0:8 offset1:12
	ds_write2st64_b32 v17, v18, v18 offset0:16 offset1:20
	ds_write2st64_b32 v17, v18, v18 offset0:24 offset1:28
	ds_write2st64_b32 v17, v18, v18 offset0:32 offset1:36
	ds_write2st64_b32 v17, v18, v18 offset0:40 offset1:44
	ds_write2st64_b32 v17, v18, v18 offset0:48 offset1:52
	ds_write_b32 v17, v18 offset:14336
	s_waitcnt lgkmcnt(0)
	s_barrier
.LBB857_34:
	v_lshlrev_b32_e32 v6, 2, v6
	v_lshlrev_b32_e32 v24, 2, v16
	ds_read2_b32 v[20:21], v6 offset0:3 offset1:5
	ds_read2_b32 v[18:19], v6 offset0:7 offset1:9
	;; [unrolled: 1-line block ×3, first 2 shown]
	v_lshlrev_b32_e32 v9, 2, v9
	v_lshlrev_b32_e32 v8, 2, v8
	;; [unrolled: 1-line block ×6, first 2 shown]
	ds_read2_b32 v[22:23], v6 offset1:1
	ds_read_b32 v75, v24
	ds_read_b32 v74, v9
	ds_read_b32 v73, v8
	ds_read_b32 v72, v7
	ds_read_b32 v71, v15
	ds_read_b32 v70, v11
	ds_read_b32 v76, v10
	s_cmp_eq_u64 s[0:1], 0
	s_cselect_b64 s[46:47], -1, 0
	s_cmp_lg_u64 s[0:1], 0
	s_mov_b64 s[6:7], 0
	s_cselect_b64 s[10:11], -1, 0
	s_and_b64 vcc, exec, s[8:9]
	s_waitcnt lgkmcnt(0)
	s_barrier
	s_cbranch_vccz .LBB857_40
; %bb.35:
	s_and_b64 vcc, exec, s[10:11]
	s_cbranch_vccz .LBB857_41
; %bb.36:
	v_mov_b32_e32 v6, 0
	global_load_ushort v6, v6, s[4:5] offset:-2
	v_lshlrev_b32_e32 v7, 1, v0
	v_cmp_ne_u32_e32 vcc, 0, v0
	ds_write_b16 v7, v1
	s_waitcnt lgkmcnt(0)
	s_barrier
	s_and_saveexec_b64 s[6:7], vcc
	s_cbranch_execz .LBB857_38
; %bb.37:
	s_waitcnt vmcnt(0)
	v_add_u32_e32 v6, -2, v7
	ds_read_u16 v6, v6
.LBB857_38:
	s_or_b64 exec, exec, s[6:7]
	v_and_b32_e32 v30, 0xffff0000, v2
	v_lshlrev_b32_e32 v31, 16, v2
	v_lshlrev_b32_e32 v32, 16, v3
	v_cmp_neq_f32_e32 vcc, v30, v31
	v_and_b32_e32 v29, 0xffff0000, v3
	v_lshlrev_b32_e32 v27, 16, v4
	v_cndmask_b32_e64 v67, 0, 1, vcc
	v_cmp_neq_f32_e32 vcc, v30, v32
	v_and_b32_e32 v26, 0xffff0000, v4
	v_lshlrev_b32_e32 v28, 16, v5
	v_cndmask_b32_e64 v68, 0, 1, vcc
	;; [unrolled: 4-line block ×6, first 2 shown]
	v_cmp_neq_f32_e32 vcc, v28, v25
	s_waitcnt vmcnt(0) lgkmcnt(0)
	v_lshlrev_b32_e32 v6, 16, v6
	v_cmp_neq_f32_e64 s[8:9], v31, v6
	v_cndmask_b32_e64 v64, 0, 1, vcc
	v_cmp_neq_f32_e32 vcc, v15, v25
	s_mov_b64 s[6:7], -1
	s_nop 0
	v_cndmask_b32_e64 v57, 0, 1, vcc
	v_cmp_neq_f32_e32 vcc, v11, v15
	s_nop 1
	v_cndmask_b32_e64 v56, 0, 1, vcc
	v_cmp_neq_f32_e32 vcc, v11, v24
	;; [unrolled: 3-line block ×6, first 2 shown]
	s_nop 1
	v_cndmask_b32_e64 v59, 0, 1, vcc
.LBB857_39:
                                        ; implicit-def: $sgpr3
	s_branch .LBB857_53
.LBB857_40:
                                        ; implicit-def: $sgpr8_sgpr9
                                        ; implicit-def: $vgpr59
                                        ; implicit-def: $vgpr58
                                        ; implicit-def: $vgpr15
                                        ; implicit-def: $vgpr61
                                        ; implicit-def: $vgpr62
                                        ; implicit-def: $vgpr56
                                        ; implicit-def: $vgpr57
                                        ; implicit-def: $vgpr64
                                        ; implicit-def: $vgpr65
                                        ; implicit-def: $vgpr60
                                        ; implicit-def: $vgpr63
                                        ; implicit-def: $vgpr66
                                        ; implicit-def: $vgpr68
                                        ; implicit-def: $vgpr67
                                        ; implicit-def: $sgpr3
	s_cbranch_execnz .LBB857_45
	s_branch .LBB857_53
.LBB857_41:
                                        ; implicit-def: $sgpr8_sgpr9
                                        ; implicit-def: $vgpr59
                                        ; implicit-def: $vgpr58
                                        ; implicit-def: $vgpr15
                                        ; implicit-def: $vgpr61
                                        ; implicit-def: $vgpr62
                                        ; implicit-def: $vgpr56
                                        ; implicit-def: $vgpr57
                                        ; implicit-def: $vgpr64
                                        ; implicit-def: $vgpr65
                                        ; implicit-def: $vgpr60
                                        ; implicit-def: $vgpr63
                                        ; implicit-def: $vgpr66
                                        ; implicit-def: $vgpr68
                                        ; implicit-def: $vgpr67
	s_cbranch_execz .LBB857_39
; %bb.42:
	v_and_b32_e32 v31, 0xffff0000, v2
	v_lshlrev_b32_e32 v7, 16, v2
	v_lshlrev_b32_e32 v32, 16, v3
	v_cmp_neq_f32_e32 vcc, v31, v7
	v_and_b32_e32 v30, 0xffff0000, v3
	v_lshlrev_b32_e32 v28, 16, v4
	v_cndmask_b32_e64 v67, 0, 1, vcc
	v_cmp_neq_f32_e32 vcc, v31, v32
	v_and_b32_e32 v27, 0xffff0000, v4
	v_lshlrev_b32_e32 v29, 16, v5
	v_cndmask_b32_e64 v68, 0, 1, vcc
	;; [unrolled: 4-line block ×6, first 2 shown]
	v_cmp_neq_f32_e32 vcc, v29, v26
	s_mov_b32 s3, 1
	v_lshlrev_b32_e32 v6, 1, v0
	v_cndmask_b32_e64 v64, 0, 1, vcc
	v_cmp_neq_f32_e32 vcc, v24, v26
	ds_write_b16 v6, v1
	s_waitcnt lgkmcnt(0)
	v_cndmask_b32_e64 v57, 0, 1, vcc
	v_cmp_neq_f32_e32 vcc, v15, v24
	s_barrier
	s_nop 0
	v_cndmask_b32_e64 v56, 0, 1, vcc
	v_cmp_neq_f32_e32 vcc, v15, v25
                                        ; implicit-def: $sgpr8_sgpr9
	s_nop 1
	v_cndmask_b32_e64 v62, 0, 1, vcc
	v_cmp_neq_f32_e32 vcc, v25, v11
	s_nop 1
	v_cndmask_b32_e64 v61, 0, 1, vcc
	v_cmp_neq_f32_e32 vcc, v9, v11
	;; [unrolled: 3-line block ×4, first 2 shown]
	s_nop 1
	v_cndmask_b32_e64 v59, 0, 1, vcc
	v_cmp_ne_u32_e32 vcc, 0, v0
	s_and_saveexec_b64 s[12:13], vcc
	s_xor_b64 s[12:13], exec, s[12:13]
	s_cbranch_execz .LBB857_44
; %bb.43:
	v_add_u32_e32 v6, -2, v6
	ds_read_u16 v6, v6
	s_or_b64 s[6:7], s[6:7], exec
	s_waitcnt lgkmcnt(0)
	v_lshlrev_b32_e32 v6, 16, v6
	v_cmp_neq_f32_e32 vcc, v7, v6
	s_and_b64 s[8:9], vcc, exec
.LBB857_44:
	s_or_b64 exec, exec, s[12:13]
	s_branch .LBB857_53
.LBB857_45:
	s_mul_hi_u32 s3, s0, 0xfffff100
	s_mulk_i32 s1, 0xf100
	s_sub_i32 s3, s3, s0
	s_add_i32 s3, s3, s1
	s_mulk_i32 s0, 0xf100
	s_add_u32 s56, s0, s36
	s_addc_u32 s57, s3, s37
	s_and_b64 vcc, exec, s[10:11]
	v_cmp_ne_u32_e64 s[0:1], 0, v0
	s_cbranch_vccz .LBB857_50
; %bb.46:
	v_mov_b32_e32 v7, 0
	global_load_ushort v10, v7, s[4:5] offset:-2
	v_lshlrev_b32_e32 v6, 1, v0
	v_mul_u32_u24_e32 v8, 15, v0
	ds_write_b16 v6, v1
	s_waitcnt lgkmcnt(0)
	s_barrier
	s_and_saveexec_b64 s[4:5], s[0:1]
	s_cbranch_execz .LBB857_48
; %bb.47:
	v_add_u32_e32 v6, -2, v6
	s_waitcnt vmcnt(0)
	ds_read_u16 v10, v6
.LBB857_48:
	s_or_b64 exec, exec, s[4:5]
	s_mov_b32 s0, 0xe000d
	v_pk_add_u16 v6, v8, s0 op_sel_hi:[0,1]
	v_alignbit_b32 v24, 0, v6, 16
	v_and_b32_e32 v6, 0xffff, v6
	v_and_b32_e32 v9, 0xffff0000, v14
	v_cmp_gt_u64_e32 vcc, s[56:57], v[6:7]
	v_lshlrev_b32_e32 v6, 16, v1
	v_lshlrev_b32_e32 v11, 16, v14
	v_cmp_neq_f32_e64 s[6:7], v9, v6
	v_add_u32_e32 v6, 12, v8
	v_and_b32_e32 v27, 0xffff0000, v13
	s_mov_b32 s3, 0xb000a
	v_mov_b32_e32 v25, v7
	v_cmp_gt_u64_e64 s[8:9], s[56:57], v[6:7]
	v_cmp_neq_f32_e64 s[10:11], v27, v11
	v_pk_add_u16 v6, v8, s3 op_sel_hi:[0,1]
	v_cmp_gt_u64_e64 s[0:1], s[56:57], v[24:25]
	v_cmp_neq_f32_e64 s[4:5], v9, v11
	v_lshlrev_b32_e32 v9, 16, v13
	v_and_b32_e32 v26, 0xffff0000, v12
	s_and_b64 s[8:9], s[8:9], s[10:11]
	v_alignbit_b32 v24, 0, v6, 16
	v_and_b32_e32 v6, 0xffff, v6
	v_cndmask_b32_e64 v15, 0, 1, s[8:9]
	v_cmp_gt_u64_e64 s[8:9], s[56:57], v[6:7]
	v_cmp_neq_f32_e64 s[12:13], v9, v26
	v_cmp_neq_f32_e64 s[14:15], v9, v27
	v_add_u32_e32 v6, 9, v8
	v_lshlrev_b32_e32 v9, 16, v12
	v_cmp_gt_u64_e64 s[16:17], s[56:57], v[6:7]
	v_cmp_neq_f32_e64 s[18:19], v26, v9
	s_and_b64 s[16:17], s[16:17], s[18:19]
	v_add_u32_e32 v6, 8, v8
	v_and_b32_e32 v27, 0xffff0000, v5
	s_mov_b32 s3, 0x70006
	v_cndmask_b32_e64 v56, 0, 1, s[16:17]
	v_cmp_gt_u64_e64 s[16:17], s[56:57], v[6:7]
	v_cmp_neq_f32_e64 s[18:19], v27, v9
	v_pk_add_u16 v6, v8, s3 op_sel_hi:[0,1]
	v_cmp_gt_u64_e64 s[10:11], s[56:57], v[24:25]
	s_and_b64 s[16:17], s[16:17], s[18:19]
	v_alignbit_b32 v24, 0, v6, 16
	v_and_b32_e32 v6, 0xffff, v6
	v_and_b32_e32 v26, 0xffff0000, v4
	v_cndmask_b32_e64 v57, 0, 1, s[16:17]
	v_cmp_gt_u64_e64 s[16:17], s[56:57], v[6:7]
	v_add_u32_e32 v6, 5, v8
	v_lshlrev_b32_e32 v9, 16, v4
	v_lshlrev_b32_e32 v11, 16, v5
	v_cmp_gt_u64_e64 s[24:25], s[56:57], v[6:7]
	v_cmp_neq_f32_e64 s[26:27], v26, v9
	v_cmp_neq_f32_e64 s[22:23], v11, v27
	s_and_b64 s[24:25], s[24:25], s[26:27]
	v_add_u32_e32 v6, 4, v8
	v_and_b32_e32 v27, 0xffff0000, v3
	s_mov_b32 s3, 0x30002
	v_cndmask_b32_e64 v60, 0, 1, s[24:25]
	v_cmp_gt_u64_e64 s[24:25], s[56:57], v[6:7]
	v_cmp_neq_f32_e64 s[26:27], v27, v9
	v_pk_add_u16 v6, v8, s3 op_sel_hi:[0,1]
	v_cmp_gt_u64_e64 s[18:19], s[56:57], v[24:25]
	s_and_b64 s[24:25], s[24:25], s[26:27]
	v_alignbit_b32 v24, 0, v6, 16
	v_and_b32_e32 v6, 0xffff, v6
	v_cmp_neq_f32_e64 s[20:21], v11, v26
	v_lshlrev_b32_e32 v11, 16, v3
	v_and_b32_e32 v26, 0xffff0000, v2
	v_cndmask_b32_e64 v63, 0, 1, s[24:25]
	v_cmp_gt_u64_e64 s[24:25], s[56:57], v[6:7]
	v_add_u32_e32 v6, 1, v8
	v_cmp_neq_f32_e64 s[28:29], v11, v26
	v_cmp_gt_u64_e64 s[34:35], s[56:57], v[6:7]
	v_lshlrev_b32_e32 v6, 16, v2
	v_cmp_gt_u64_e64 s[26:27], s[56:57], v[24:25]
	v_cmp_neq_f32_e64 s[30:31], v11, v27
	v_cmp_neq_f32_e64 s[36:37], v26, v6
	s_and_b64 s[24:25], s[24:25], s[28:29]
	s_and_b64 s[16:17], s[16:17], s[20:21]
	;; [unrolled: 1-line block ×4, first 2 shown]
	v_mov_b32_e32 v9, v7
	s_waitcnt vmcnt(0) lgkmcnt(0)
	v_lshlrev_b32_e32 v7, 16, v10
	s_and_b64 s[34:35], s[34:35], s[36:37]
	v_cndmask_b32_e64 v68, 0, 1, s[24:25]
	s_and_b64 s[24:25], s[26:27], s[30:31]
	v_cndmask_b32_e64 v65, 0, 1, s[16:17]
	;; [unrolled: 2-line block ×3, first 2 shown]
	s_and_b64 s[8:9], s[10:11], s[14:15]
	s_and_b64 s[4:5], vcc, s[4:5]
	v_cndmask_b32_e64 v59, 0, 1, s[0:1]
	v_cmp_gt_u64_e32 vcc, s[56:57], v[8:9]
	v_cmp_neq_f32_e64 s[0:1], v7, v6
	v_cndmask_b32_e64 v67, 0, 1, s[34:35]
	v_cndmask_b32_e64 v66, 0, 1, s[24:25]
	;; [unrolled: 1-line block ×5, first 2 shown]
	s_and_b64 s[8:9], vcc, s[0:1]
	s_mov_b64 s[6:7], -1
.LBB857_49:
                                        ; implicit-def: $sgpr3
	v_mov_b32_e32 v69, s3
	s_and_saveexec_b64 s[0:1], s[6:7]
	s_cbranch_execnz .LBB857_54
	s_branch .LBB857_55
.LBB857_50:
                                        ; implicit-def: $sgpr8_sgpr9
                                        ; implicit-def: $vgpr59
                                        ; implicit-def: $vgpr58
                                        ; implicit-def: $vgpr15
                                        ; implicit-def: $vgpr61
                                        ; implicit-def: $vgpr62
                                        ; implicit-def: $vgpr56
                                        ; implicit-def: $vgpr57
                                        ; implicit-def: $vgpr64
                                        ; implicit-def: $vgpr65
                                        ; implicit-def: $vgpr60
                                        ; implicit-def: $vgpr63
                                        ; implicit-def: $vgpr66
                                        ; implicit-def: $vgpr68
                                        ; implicit-def: $vgpr67
	s_cbranch_execz .LBB857_49
; %bb.51:
	v_mad_u32_u24 v6, v0, 15, 14
	v_mov_b32_e32 v7, 0
	v_cmp_gt_u64_e32 vcc, s[56:57], v[6:7]
	v_mad_u32_u24 v6, v0, 15, 13
	v_lshlrev_b32_e32 v9, 16, v1
	v_cmp_gt_u64_e64 s[0:1], s[56:57], v[6:7]
	v_and_b32_e32 v6, 0xffff0000, v14
	v_lshlrev_b32_e32 v10, 16, v14
	v_cmp_neq_f32_e64 s[4:5], v6, v9
	s_and_b64 s[4:5], vcc, s[4:5]
	v_cmp_neq_f32_e32 vcc, v10, v6
	v_mad_u32_u24 v6, v0, 15, 12
	s_and_b64 s[0:1], s[0:1], vcc
	v_cmp_gt_u64_e32 vcc, s[56:57], v[6:7]
	v_mad_u32_u24 v6, v0, 15, 11
	v_cndmask_b32_e64 v58, 0, 1, s[0:1]
	v_cmp_gt_u64_e64 s[0:1], s[56:57], v[6:7]
	v_and_b32_e32 v6, 0xffff0000, v13
	v_cndmask_b32_e64 v59, 0, 1, s[4:5]
	v_lshlrev_b32_e32 v9, 16, v13
	v_cmp_neq_f32_e64 s[4:5], v6, v10
	s_and_b64 s[4:5], vcc, s[4:5]
	v_cmp_neq_f32_e32 vcc, v9, v6
	v_mad_u32_u24 v6, v0, 15, 10
	s_and_b64 s[0:1], s[0:1], vcc
	v_cmp_gt_u64_e32 vcc, s[56:57], v[6:7]
	v_mad_u32_u24 v6, v0, 15, 9
	v_cndmask_b32_e64 v61, 0, 1, s[0:1]
	v_cmp_gt_u64_e64 s[0:1], s[56:57], v[6:7]
	v_and_b32_e32 v6, 0xffff0000, v12
	v_cndmask_b32_e64 v15, 0, 1, s[4:5]
	v_lshlrev_b32_e32 v10, 16, v12
	v_cmp_neq_f32_e64 s[4:5], v6, v9
	s_and_b64 s[4:5], vcc, s[4:5]
	v_cmp_neq_f32_e32 vcc, v10, v6
	v_mad_u32_u24 v6, v0, 15, 8
	s_and_b64 s[0:1], s[0:1], vcc
	v_cmp_gt_u64_e32 vcc, s[56:57], v[6:7]
	v_mad_u32_u24 v6, v0, 15, 7
	v_cndmask_b32_e64 v56, 0, 1, s[0:1]
	v_cmp_gt_u64_e64 s[0:1], s[56:57], v[6:7]
	v_and_b32_e32 v6, 0xffff0000, v5
	v_cndmask_b32_e64 v62, 0, 1, s[4:5]
	v_lshlrev_b32_e32 v9, 16, v5
	v_cmp_neq_f32_e64 s[4:5], v6, v10
	s_and_b64 s[4:5], vcc, s[4:5]
	v_cmp_neq_f32_e32 vcc, v9, v6
	v_mad_u32_u24 v6, v0, 15, 6
	s_and_b64 s[0:1], s[0:1], vcc
	v_cmp_gt_u64_e32 vcc, s[56:57], v[6:7]
	v_mad_u32_u24 v6, v0, 15, 5
	v_cndmask_b32_e64 v64, 0, 1, s[0:1]
	v_cmp_gt_u64_e64 s[0:1], s[56:57], v[6:7]
	v_and_b32_e32 v6, 0xffff0000, v4
	v_cndmask_b32_e64 v57, 0, 1, s[4:5]
	v_lshlrev_b32_e32 v10, 16, v4
	v_cmp_neq_f32_e64 s[4:5], v6, v9
	s_and_b64 s[4:5], vcc, s[4:5]
	v_cmp_neq_f32_e32 vcc, v10, v6
	v_mad_u32_u24 v6, v0, 15, 4
	s_and_b64 s[0:1], s[0:1], vcc
	v_cmp_gt_u64_e32 vcc, s[56:57], v[6:7]
	v_mad_u32_u24 v6, v0, 15, 3
	v_cndmask_b32_e64 v60, 0, 1, s[0:1]
	v_cmp_gt_u64_e64 s[0:1], s[56:57], v[6:7]
	v_and_b32_e32 v6, 0xffff0000, v3
	v_cndmask_b32_e64 v65, 0, 1, s[4:5]
	v_lshlrev_b32_e32 v11, 16, v3
	v_cmp_neq_f32_e64 s[4:5], v6, v10
	s_and_b64 s[4:5], vcc, s[4:5]
	v_cmp_neq_f32_e32 vcc, v11, v6
	v_mad_u32_u24 v6, v0, 15, 2
	s_and_b64 s[0:1], s[0:1], vcc
	v_cmp_gt_u64_e32 vcc, s[56:57], v[6:7]
	v_mad_u32_u24 v6, v0, 15, 1
	v_cndmask_b32_e64 v66, 0, 1, s[0:1]
	v_cmp_gt_u64_e64 s[0:1], s[56:57], v[6:7]
	v_and_b32_e32 v6, 0xffff0000, v2
	v_cndmask_b32_e64 v63, 0, 1, s[4:5]
	v_lshlrev_b32_e32 v9, 16, v2
	v_cmp_neq_f32_e64 s[4:5], v6, v11
	s_and_b64 s[4:5], vcc, s[4:5]
	v_cmp_neq_f32_e32 vcc, v9, v6
	s_and_b64 s[0:1], s[0:1], vcc
	s_mov_b32 s3, 1
	v_lshlrev_b32_e32 v8, 1, v0
	v_cndmask_b32_e64 v68, 0, 1, s[4:5]
	v_cndmask_b32_e64 v67, 0, 1, s[0:1]
	v_cmp_ne_u32_e32 vcc, 0, v0
	ds_write_b16 v8, v1
	s_waitcnt lgkmcnt(0)
	s_barrier
	s_waitcnt lgkmcnt(0)
                                        ; implicit-def: $sgpr8_sgpr9
	s_and_saveexec_b64 s[4:5], vcc
	s_cbranch_execz .LBB857_146
; %bb.52:
	v_add_u32_e32 v6, -2, v8
	ds_read_u16 v8, v6
	v_mul_u32_u24_e32 v6, 15, v0
	v_cmp_gt_u64_e32 vcc, s[56:57], v[6:7]
	s_or_b64 s[6:7], s[6:7], exec
	s_waitcnt lgkmcnt(0)
	v_lshlrev_b32_e32 v6, 16, v8
	v_cmp_neq_f32_e64 s[0:1], v9, v6
	s_and_b64 s[0:1], vcc, s[0:1]
	s_and_b64 s[8:9], s[0:1], exec
	s_or_b64 exec, exec, s[4:5]
.LBB857_53:
	v_mov_b32_e32 v69, s3
	s_and_saveexec_b64 s[0:1], s[6:7]
.LBB857_54:
	v_cndmask_b32_e64 v69, 0, 1, s[8:9]
.LBB857_55:
	s_or_b64 exec, exec, s[0:1]
	s_cmp_eq_u64 s[42:43], 0
	v_add3_u32 v6, v67, v69, v68
	s_cselect_b64 s[34:35], -1, 0
	s_cmp_lg_u32 s2, 0
	v_cmp_eq_u32_e64 s[24:25], 0, v67
	v_cmp_eq_u32_e64 s[22:23], 0, v68
	;; [unrolled: 1-line block ×3, first 2 shown]
	v_add3_u32 v80, v6, v66, v63
	v_cmp_eq_u32_e64 s[18:19], 0, v63
	v_cmp_eq_u32_e64 s[16:17], 0, v60
	;; [unrolled: 1-line block ×10, first 2 shown]
	v_cmp_eq_u32_e32 vcc, 0, v59
	v_mbcnt_lo_u32_b32 v79, -1, 0
	v_lshrrev_b32_e32 v77, 6, v0
	v_or_b32_e32 v78, 63, v0
	s_cbranch_scc0 .LBB857_82
; %bb.56:
	v_cndmask_b32_e64 v6, 0, v22, s[24:25]
	v_add_u32_e32 v6, v6, v23
	v_cndmask_b32_e64 v6, 0, v6, s[22:23]
	v_add_u32_e32 v6, v6, v75
	v_cndmask_b32_e64 v6, 0, v6, s[20:21]
	v_add_u32_e32 v6, v6, v20
	v_cndmask_b32_e64 v6, 0, v6, s[18:19]
	v_add_u32_e32 v6, v6, v74
	v_cndmask_b32_e64 v6, 0, v6, s[16:17]
	v_add_u32_e32 v6, v6, v21
	v_cndmask_b32_e64 v6, 0, v6, s[14:15]
	v_add_u32_e32 v6, v6, v73
	v_cndmask_b32_e64 v6, 0, v6, s[12:13]
	v_add_u32_e32 v6, v6, v18
	v_cndmask_b32_e64 v6, 0, v6, s[10:11]
	v_add_u32_e32 v6, v6, v72
	v_cndmask_b32_e64 v6, 0, v6, s[8:9]
	v_add_u32_e32 v6, v6, v19
	v_cndmask_b32_e64 v6, 0, v6, s[6:7]
	v_add_u32_e32 v6, v6, v71
	v_cndmask_b32_e64 v6, 0, v6, s[4:5]
	v_add_u32_e32 v6, v6, v16
	v_cndmask_b32_e64 v6, 0, v6, s[28:29]
	v_add3_u32 v7, v80, v60, v65
	v_add_u32_e32 v6, v6, v70
	v_add3_u32 v7, v7, v64, v57
	v_cndmask_b32_e64 v6, 0, v6, s[0:1]
	v_add3_u32 v7, v7, v56, v62
	v_add_u32_e32 v6, v6, v17
	v_add3_u32 v7, v7, v61, v15
	v_cndmask_b32_e32 v6, 0, v6, vcc
	v_add3_u32 v7, v7, v58, v59
	v_add_u32_e32 v6, v6, v76
	v_mbcnt_hi_u32_b32 v27, -1, v79
	v_and_b32_e32 v8, 15, v27
	v_mov_b32_dpp v10, v6 row_shr:1 row_mask:0xf bank_mask:0xf
	v_cmp_eq_u32_e32 vcc, 0, v7
	v_mov_b32_dpp v9, v7 row_shr:1 row_mask:0xf bank_mask:0xf
	v_cmp_lt_u32_e64 s[26:27], 1, v8
	v_cndmask_b32_e32 v10, 0, v10, vcc
	v_cmp_eq_u32_e32 vcc, 0, v8
	s_nop 1
	v_cndmask_b32_e64 v9, v9, 0, vcc
	v_add_u32_e32 v7, v9, v7
	v_cndmask_b32_e64 v9, v10, 0, vcc
	v_add_u32_e32 v6, v9, v6
	v_cmp_eq_u32_e32 vcc, 0, v7
	v_mov_b32_dpp v9, v7 row_shr:2 row_mask:0xf bank_mask:0xf
	v_mov_b32_dpp v10, v6 row_shr:2 row_mask:0xf bank_mask:0xf
	v_cndmask_b32_e64 v9, 0, v9, s[26:27]
	s_and_b64 vcc, s[26:27], vcc
	v_cndmask_b32_e32 v10, 0, v10, vcc
	v_add_u32_e32 v7, v7, v9
	v_add_u32_e32 v6, v10, v6
	v_cmp_eq_u32_e32 vcc, 0, v7
	v_mov_b32_dpp v9, v7 row_shr:4 row_mask:0xf bank_mask:0xf
	v_cmp_lt_u32_e64 s[26:27], 3, v8
	v_mov_b32_dpp v10, v6 row_shr:4 row_mask:0xf bank_mask:0xf
	s_and_b64 vcc, s[26:27], vcc
	v_cndmask_b32_e64 v9, 0, v9, s[26:27]
	v_cndmask_b32_e32 v10, 0, v10, vcc
	v_add_u32_e32 v7, v9, v7
	v_add_u32_e32 v6, v6, v10
	v_cmp_eq_u32_e32 vcc, 0, v7
	v_cmp_lt_u32_e64 s[26:27], 7, v8
	v_mov_b32_dpp v9, v7 row_shr:8 row_mask:0xf bank_mask:0xf
	v_mov_b32_dpp v10, v6 row_shr:8 row_mask:0xf bank_mask:0xf
	s_and_b64 vcc, s[26:27], vcc
	v_cndmask_b32_e64 v8, 0, v9, s[26:27]
	v_cndmask_b32_e32 v9, 0, v10, vcc
	v_add_u32_e32 v6, v9, v6
	v_add_u32_e32 v7, v8, v7
	v_bfe_i32 v10, v27, 4, 1
	v_mov_b32_dpp v9, v6 row_bcast:15 row_mask:0xf bank_mask:0xf
	v_mov_b32_dpp v8, v7 row_bcast:15 row_mask:0xf bank_mask:0xf
	v_cmp_eq_u32_e32 vcc, 0, v7
	v_and_b32_e32 v8, v10, v8
	v_add_u32_e32 v7, v8, v7
	v_cndmask_b32_e32 v9, 0, v9, vcc
	v_and_b32_e32 v8, v10, v9
	v_add_u32_e32 v8, v8, v6
	v_mov_b32_dpp v6, v7 row_bcast:31 row_mask:0xf bank_mask:0xf
	v_cmp_eq_u32_e32 vcc, 0, v7
	v_cmp_lt_u32_e64 s[26:27], 31, v27
	v_mov_b32_dpp v9, v8 row_bcast:31 row_mask:0xf bank_mask:0xf
	s_and_b64 vcc, s[26:27], vcc
	v_cndmask_b32_e64 v6, 0, v6, s[26:27]
	v_add_u32_e32 v6, v6, v7
	v_cndmask_b32_e32 v7, 0, v9, vcc
	v_add_u32_e32 v7, v7, v8
	v_cmp_eq_u32_e32 vcc, v78, v0
	v_lshlrev_b32_e32 v8, 3, v77
	s_and_saveexec_b64 s[26:27], vcc
	s_cbranch_execz .LBB857_58
; %bb.57:
	ds_write_b64 v8, v[6:7] offset:1040
.LBB857_58:
	s_or_b64 exec, exec, s[26:27]
	v_cmp_gt_u32_e32 vcc, 4, v0
	s_waitcnt lgkmcnt(0)
	s_barrier
	s_and_saveexec_b64 s[30:31], vcc
	s_cbranch_execz .LBB857_60
; %bb.59:
	v_lshlrev_b32_e32 v9, 3, v0
	ds_read_b64 v[10:11], v9 offset:1040
	v_and_b32_e32 v24, 3, v27
	v_cmp_lt_u32_e64 s[26:27], 1, v24
	s_waitcnt lgkmcnt(0)
	v_mov_b32_dpp v26, v11 row_shr:1 row_mask:0xf bank_mask:0xf
	v_cmp_eq_u32_e32 vcc, 0, v10
	v_mov_b32_dpp v25, v10 row_shr:1 row_mask:0xf bank_mask:0xf
	s_nop 0
	v_cndmask_b32_e32 v26, 0, v26, vcc
	v_cmp_eq_u32_e32 vcc, 0, v24
	s_nop 1
	v_cndmask_b32_e64 v25, v25, 0, vcc
	v_add_u32_e32 v10, v25, v10
	v_cndmask_b32_e64 v25, v26, 0, vcc
	v_add_u32_e32 v11, v25, v11
	v_cmp_eq_u32_e32 vcc, 0, v10
	v_mov_b32_dpp v25, v10 row_shr:2 row_mask:0xf bank_mask:0xf
	v_mov_b32_dpp v26, v11 row_shr:2 row_mask:0xf bank_mask:0xf
	v_cndmask_b32_e64 v24, 0, v25, s[26:27]
	s_and_b64 vcc, s[26:27], vcc
	v_add_u32_e32 v10, v24, v10
	v_cndmask_b32_e32 v24, 0, v26, vcc
	v_add_u32_e32 v11, v24, v11
	ds_write_b64 v9, v[10:11] offset:1040
.LBB857_60:
	s_or_b64 exec, exec, s[30:31]
	v_cmp_gt_u32_e32 vcc, 64, v0
	v_cmp_lt_u32_e64 s[26:27], 63, v0
	v_mov_b32_e32 v24, 0
	v_mov_b32_e32 v25, 0
	s_waitcnt lgkmcnt(0)
	s_barrier
	s_and_saveexec_b64 s[30:31], s[26:27]
	s_cbranch_execz .LBB857_62
; %bb.61:
	ds_read_b64 v[24:25], v8 offset:1032
	v_cmp_eq_u32_e64 s[26:27], 0, v6
	s_waitcnt lgkmcnt(0)
	v_add_u32_e32 v8, v24, v6
	v_cndmask_b32_e64 v6, 0, v25, s[26:27]
	v_add_u32_e32 v7, v6, v7
	v_mov_b32_e32 v6, v8
.LBB857_62:
	s_or_b64 exec, exec, s[30:31]
	v_add_u32_e32 v8, -1, v27
	v_and_b32_e32 v9, 64, v27
	v_cmp_lt_i32_e64 s[26:27], v8, v9
	s_nop 1
	v_cndmask_b32_e64 v8, v8, v27, s[26:27]
	v_lshlrev_b32_e32 v8, 2, v8
	ds_bpermute_b32 v32, v8, v6
	ds_bpermute_b32 v33, v8, v7
	v_cmp_eq_u32_e64 s[26:27], 0, v27
	s_and_saveexec_b64 s[36:37], vcc
	s_cbranch_execz .LBB857_81
; %bb.63:
	v_mov_b32_e32 v11, 0
	ds_read_b64 v[6:7], v11 offset:1064
	s_waitcnt lgkmcnt(0)
	v_readfirstlane_b32 s3, v6
	v_readfirstlane_b32 s56, v7
	s_and_saveexec_b64 s[30:31], s[26:27]
	s_cbranch_execz .LBB857_65
; %bb.64:
	s_add_i32 s42, s2, 64
	s_mov_b32 s43, 0
	s_lshl_b64 s[58:59], s[42:43], 4
	s_add_u32 s58, s40, s58
	s_addc_u32 s59, s41, s59
	s_and_b32 s61, s56, 0xff000000
	s_mov_b32 s60, s43
	s_and_b32 s63, s56, 0xff0000
	s_mov_b32 s62, s43
	s_or_b64 s[60:61], s[62:63], s[60:61]
	s_and_b32 s63, s56, 0xff00
	s_or_b64 s[60:61], s[60:61], s[62:63]
	s_and_b32 s63, s56, 0xff
	s_or_b64 s[42:43], s[60:61], s[62:63]
	v_mov_b32_e32 v8, s3
	v_mov_b32_e32 v9, s43
	;; [unrolled: 1-line block ×3, first 2 shown]
	v_mov_b64_e32 v[6:7], s[58:59]
	;;#ASMSTART
	global_store_dwordx4 v[6:7], v[8:11] off sc1	
s_waitcnt vmcnt(0)
	;;#ASMEND
.LBB857_65:
	s_or_b64 exec, exec, s[30:31]
	v_xad_u32 v26, v27, -1, s2
	v_add_u32_e32 v10, 64, v26
	v_lshl_add_u64 v[28:29], v[10:11], 4, s[40:41]
	;;#ASMSTART
	global_load_dwordx4 v[6:9], v[28:29] off sc1	
s_waitcnt vmcnt(0)
	;;#ASMEND
	s_nop 0
	v_and_b32_e32 v9, 0xff, v7
	v_and_b32_e32 v10, 0xff00, v7
	v_or3_b32 v6, v6, 0, 0
	v_and_b32_e32 v30, 0xff000000, v7
	v_or3_b32 v9, 0, v9, v10
	;; [unrolled: 2-line block ×3, first 2 shown]
	v_or3_b32 v6, v6, 0, 0
	v_cmp_eq_u16_sdwa s[42:43], v8, v11 src0_sel:BYTE_0 src1_sel:DWORD
	s_and_saveexec_b64 s[30:31], s[42:43]
	s_cbranch_execz .LBB857_69
; %bb.66:
	s_mov_b64 s[42:43], 0
	v_mov_b32_e32 v10, 0
.LBB857_67:                             ; =>This Inner Loop Header: Depth=1
	;;#ASMSTART
	global_load_dwordx4 v[6:9], v[28:29] off sc1	
s_waitcnt vmcnt(0)
	;;#ASMEND
	s_nop 0
	v_cmp_ne_u16_sdwa s[58:59], v8, v10 src0_sel:BYTE_0 src1_sel:DWORD
	s_or_b64 s[42:43], s[58:59], s[42:43]
	s_andn2_b64 exec, exec, s[42:43]
	s_cbranch_execnz .LBB857_67
; %bb.68:
	s_or_b64 exec, exec, s[42:43]
.LBB857_69:
	s_or_b64 exec, exec, s[30:31]
	v_mov_b32_e32 v34, 2
	v_cmp_eq_u16_sdwa s[30:31], v8, v34 src0_sel:BYTE_0 src1_sel:DWORD
	v_lshlrev_b64 v[28:29], v27, -1
	v_and_b32_e32 v35, 63, v27
	v_and_b32_e32 v9, s31, v29
	v_or_b32_e32 v9, 0x80000000, v9
	v_cmp_ne_u32_e32 vcc, 63, v35
	v_and_b32_e32 v10, s30, v28
	v_ffbl_b32_e32 v9, v9
	v_addc_co_u32_e32 v11, vcc, 0, v27, vcc
	v_add_u32_e32 v9, 32, v9
	v_ffbl_b32_e32 v10, v10
	v_lshlrev_b32_e32 v36, 2, v11
	v_min_u32_e32 v9, v10, v9
	ds_bpermute_b32 v10, v36, v7
	v_cmp_eq_u32_e32 vcc, 0, v6
	v_cmp_lt_u32_e64 s[30:31], v35, v9
	ds_bpermute_b32 v11, v36, v6
	s_and_b64 vcc, s[30:31], vcc
	s_waitcnt lgkmcnt(1)
	v_cndmask_b32_e32 v10, 0, v10, vcc
	v_cmp_gt_u32_e32 vcc, 62, v35
	v_add_u32_e32 v7, v10, v7
	s_waitcnt lgkmcnt(0)
	v_cndmask_b32_e64 v11, 0, v11, s[30:31]
	v_cndmask_b32_e64 v10, 0, 1, vcc
	v_lshlrev_b32_e32 v10, 1, v10
	v_add_lshl_u32 v37, v10, v27, 2
	ds_bpermute_b32 v10, v37, v7
	v_add_u32_e32 v6, v11, v6
	ds_bpermute_b32 v11, v37, v6
	v_add_u32_e32 v38, 2, v35
	v_cmp_eq_u32_e32 vcc, 0, v6
	v_add_u32_e32 v40, 4, v35
	v_add_u32_e32 v42, 8, v35
	s_waitcnt lgkmcnt(1)
	v_cndmask_b32_e32 v10, 0, v10, vcc
	v_cmp_gt_u32_e32 vcc, v38, v9
	v_add_u32_e32 v44, 16, v35
	v_add_u32_e32 v46, 32, v35
	v_cndmask_b32_e64 v10, v10, 0, vcc
	v_add_u32_e32 v7, v10, v7
	s_waitcnt lgkmcnt(0)
	v_cndmask_b32_e64 v10, v11, 0, vcc
	v_cmp_gt_u32_e32 vcc, 60, v35
	v_add_u32_e32 v6, v6, v10
	s_nop 0
	v_cndmask_b32_e64 v11, 0, 1, vcc
	v_lshlrev_b32_e32 v11, 2, v11
	v_add_lshl_u32 v39, v11, v27, 2
	ds_bpermute_b32 v11, v39, v7
	ds_bpermute_b32 v10, v39, v6
	v_cmp_eq_u32_e32 vcc, 0, v6
	s_waitcnt lgkmcnt(1)
	s_nop 0
	v_cndmask_b32_e32 v11, 0, v11, vcc
	v_cmp_gt_u32_e32 vcc, v40, v9
	s_nop 1
	v_cndmask_b32_e64 v11, v11, 0, vcc
	s_waitcnt lgkmcnt(0)
	v_cndmask_b32_e64 v10, v10, 0, vcc
	v_cmp_gt_u32_e32 vcc, 56, v35
	v_add_u32_e32 v7, v7, v11
	v_add_u32_e32 v6, v6, v10
	v_cndmask_b32_e64 v11, 0, 1, vcc
	v_lshlrev_b32_e32 v11, 3, v11
	v_add_lshl_u32 v41, v11, v27, 2
	ds_bpermute_b32 v11, v41, v7
	ds_bpermute_b32 v10, v41, v6
	v_cmp_eq_u32_e32 vcc, 0, v6
	s_waitcnt lgkmcnt(1)
	s_nop 0
	v_cndmask_b32_e32 v11, 0, v11, vcc
	v_cmp_gt_u32_e32 vcc, v42, v9
	s_nop 1
	v_cndmask_b32_e64 v11, v11, 0, vcc
	s_waitcnt lgkmcnt(0)
	v_cndmask_b32_e64 v10, v10, 0, vcc
	v_cmp_gt_u32_e32 vcc, 48, v35
	v_add_u32_e32 v7, v7, v11
	v_add_u32_e32 v6, v6, v10
	v_cndmask_b32_e64 v11, 0, 1, vcc
	v_lshlrev_b32_e32 v11, 4, v11
	v_add_lshl_u32 v43, v11, v27, 2
	ds_bpermute_b32 v11, v43, v7
	ds_bpermute_b32 v10, v43, v6
	v_cmp_eq_u32_e32 vcc, 0, v6
	s_waitcnt lgkmcnt(1)
	s_nop 0
	v_cndmask_b32_e32 v11, 0, v11, vcc
	v_cmp_gt_u32_e32 vcc, v44, v9
	s_nop 1
	v_cndmask_b32_e64 v11, v11, 0, vcc
	s_waitcnt lgkmcnt(0)
	v_cndmask_b32_e64 v10, v10, 0, vcc
	v_cmp_gt_u32_e32 vcc, 32, v35
	v_add_u32_e32 v7, v7, v11
	v_add_u32_e32 v6, v6, v10
	v_cndmask_b32_e64 v11, 0, 1, vcc
	v_lshlrev_b32_e32 v11, 5, v11
	v_add_lshl_u32 v45, v11, v27, 2
	ds_bpermute_b32 v11, v45, v7
	ds_bpermute_b32 v10, v45, v6
	v_cmp_eq_u32_e32 vcc, 0, v6
	v_mov_b32_e32 v27, 0
	s_waitcnt lgkmcnt(1)
	v_cndmask_b32_e32 v11, 0, v11, vcc
	v_cmp_gt_u32_e32 vcc, v46, v9
	s_nop 1
	v_cndmask_b32_e64 v9, v11, 0, vcc
	v_add_u32_e32 v7, v9, v7
	s_waitcnt lgkmcnt(0)
	v_cndmask_b32_e64 v9, v10, 0, vcc
	v_add_u32_e32 v6, v9, v6
	s_branch .LBB857_71
.LBB857_70:                             ;   in Loop: Header=BB857_71 Depth=1
	s_or_b64 exec, exec, s[30:31]
	v_cmp_eq_u16_sdwa s[30:31], v8, v34 src0_sel:BYTE_0 src1_sel:DWORD
	v_cmp_eq_u32_e32 vcc, 0, v6
	ds_bpermute_b32 v31, v36, v6
	v_and_b32_e32 v9, s31, v29
	v_or_b32_e32 v9, 0x80000000, v9
	v_and_b32_e32 v30, s30, v28
	v_ffbl_b32_e32 v9, v9
	v_add_u32_e32 v9, 32, v9
	v_ffbl_b32_e32 v30, v30
	v_min_u32_e32 v9, v30, v9
	ds_bpermute_b32 v30, v36, v7
	v_cmp_lt_u32_e64 s[30:31], v35, v9
	s_and_b64 vcc, s[30:31], vcc
	v_subrev_u32_e32 v26, 64, v26
	s_waitcnt lgkmcnt(1)
	v_cndmask_b32_e64 v31, 0, v31, s[30:31]
	s_waitcnt lgkmcnt(0)
	v_cndmask_b32_e32 v30, 0, v30, vcc
	v_add_u32_e32 v7, v30, v7
	ds_bpermute_b32 v30, v37, v7
	v_add_u32_e32 v6, v31, v6
	v_cmp_eq_u32_e32 vcc, 0, v6
	ds_bpermute_b32 v31, v37, v6
	s_waitcnt lgkmcnt(1)
	v_cndmask_b32_e32 v30, 0, v30, vcc
	v_cmp_gt_u32_e32 vcc, v38, v9
	s_nop 1
	v_cndmask_b32_e64 v30, v30, 0, vcc
	v_add_u32_e32 v7, v30, v7
	ds_bpermute_b32 v30, v39, v7
	s_waitcnt lgkmcnt(1)
	v_cndmask_b32_e64 v31, v31, 0, vcc
	v_add_u32_e32 v6, v6, v31
	v_cmp_eq_u32_e32 vcc, 0, v6
	ds_bpermute_b32 v31, v39, v6
	s_waitcnt lgkmcnt(1)
	v_cndmask_b32_e32 v30, 0, v30, vcc
	v_cmp_gt_u32_e32 vcc, v40, v9
	s_nop 1
	v_cndmask_b32_e64 v30, v30, 0, vcc
	v_add_u32_e32 v7, v7, v30
	ds_bpermute_b32 v30, v41, v7
	s_waitcnt lgkmcnt(1)
	v_cndmask_b32_e64 v31, v31, 0, vcc
	v_add_u32_e32 v6, v6, v31
	ds_bpermute_b32 v31, v41, v6
	v_cmp_eq_u32_e32 vcc, 0, v6
	s_waitcnt lgkmcnt(1)
	s_nop 0
	v_cndmask_b32_e32 v30, 0, v30, vcc
	v_cmp_gt_u32_e32 vcc, v42, v9
	s_nop 1
	v_cndmask_b32_e64 v30, v30, 0, vcc
	v_add_u32_e32 v7, v7, v30
	ds_bpermute_b32 v30, v43, v7
	s_waitcnt lgkmcnt(1)
	v_cndmask_b32_e64 v31, v31, 0, vcc
	v_add_u32_e32 v6, v6, v31
	ds_bpermute_b32 v31, v43, v6
	v_cmp_eq_u32_e32 vcc, 0, v6
	s_waitcnt lgkmcnt(1)
	s_nop 0
	;; [unrolled: 13-line block ×3, first 2 shown]
	v_cndmask_b32_e32 v30, 0, v30, vcc
	v_cmp_gt_u32_e32 vcc, v46, v9
	s_nop 1
	v_cndmask_b32_e64 v9, v30, 0, vcc
	v_add_u32_e32 v7, v9, v7
	s_waitcnt lgkmcnt(0)
	v_cndmask_b32_e64 v9, v31, 0, vcc
	v_cmp_eq_u32_e32 vcc, 0, v10
	v_add3_u32 v6, v6, v10, v9
	s_nop 0
	v_cndmask_b32_e32 v7, 0, v7, vcc
	v_add_u32_e32 v7, v7, v11
.LBB857_71:                             ; =>This Loop Header: Depth=1
                                        ;     Child Loop BB857_74 Depth 2
	v_cmp_ne_u16_sdwa s[30:31], v8, v34 src0_sel:BYTE_0 src1_sel:DWORD
	v_mov_b32_e32 v11, v7
	v_mov_b32_e32 v10, v6
	v_cndmask_b32_e64 v7, 0, 1, s[30:31]
	;;#ASMSTART
	;;#ASMEND
	s_nop 0
	v_cmp_ne_u32_e32 vcc, 0, v7
	s_cmp_lg_u64 vcc, exec
	s_cbranch_scc1 .LBB857_76
; %bb.72:                               ;   in Loop: Header=BB857_71 Depth=1
	v_lshl_add_u64 v[30:31], v[26:27], 4, s[40:41]
	;;#ASMSTART
	global_load_dwordx4 v[6:9], v[30:31] off sc1	
s_waitcnt vmcnt(0)
	;;#ASMEND
	s_nop 0
	v_and_b32_e32 v9, 0xff, v7
	v_and_b32_e32 v47, 0xff00, v7
	v_or3_b32 v6, v6, 0, 0
	v_and_b32_e32 v48, 0xff000000, v7
	v_or3_b32 v9, 0, v9, v47
	;; [unrolled: 2-line block ×3, first 2 shown]
	v_or3_b32 v6, v6, 0, 0
	v_cmp_eq_u16_sdwa s[42:43], v8, v27 src0_sel:BYTE_0 src1_sel:DWORD
	s_and_saveexec_b64 s[30:31], s[42:43]
	s_cbranch_execz .LBB857_70
; %bb.73:                               ;   in Loop: Header=BB857_71 Depth=1
	s_mov_b64 s[42:43], 0
.LBB857_74:                             ;   Parent Loop BB857_71 Depth=1
                                        ; =>  This Inner Loop Header: Depth=2
	;;#ASMSTART
	global_load_dwordx4 v[6:9], v[30:31] off sc1	
s_waitcnt vmcnt(0)
	;;#ASMEND
	s_nop 0
	v_cmp_ne_u16_sdwa s[58:59], v8, v27 src0_sel:BYTE_0 src1_sel:DWORD
	s_or_b64 s[42:43], s[58:59], s[42:43]
	s_andn2_b64 exec, exec, s[42:43]
	s_cbranch_execnz .LBB857_74
; %bb.75:                               ;   in Loop: Header=BB857_71 Depth=1
	s_or_b64 exec, exec, s[42:43]
	s_branch .LBB857_70
.LBB857_76:                             ;   in Loop: Header=BB857_71 Depth=1
                                        ; implicit-def: $vgpr7
                                        ; implicit-def: $vgpr6
                                        ; implicit-def: $vgpr8
	s_cbranch_execz .LBB857_71
; %bb.77:
	s_and_saveexec_b64 s[30:31], s[26:27]
	s_cbranch_execz .LBB857_79
; %bb.78:
	s_cmp_eq_u32 s3, 0
	s_cselect_b64 vcc, -1, 0
	s_mov_b32 s43, 0
	v_cndmask_b32_e32 v6, 0, v11, vcc
	s_add_i32 s42, s2, 64
	v_add_u32_e32 v6, s56, v6
	s_lshl_b64 s[42:43], s[42:43], 4
	s_add_u32 s42, s40, s42
	v_and_b32_e32 v7, 0xff000000, v6
	v_and_b32_e32 v8, 0xff0000, v6
	s_addc_u32 s43, s41, s43
	v_or_b32_e32 v7, v8, v7
	v_and_b32_e32 v8, 0xff00, v6
	v_and_b32_e32 v6, 0xff, v6
	v_add_u32_e32 v26, s3, v10
	v_mov_b32_e32 v29, 0
	v_or3_b32 v27, v7, v8, v6
	v_mov_b32_e32 v28, 2
	v_mov_b64_e32 v[6:7], s[42:43]
	;;#ASMSTART
	global_store_dwordx4 v[6:7], v[26:29] off sc1	
s_waitcnt vmcnt(0)
	;;#ASMEND
	v_mov_b32_e32 v8, s3
	v_mov_b32_e32 v9, s56
	ds_write_b128 v29, v[8:11] offset:1024
.LBB857_79:
	s_or_b64 exec, exec, s[30:31]
	v_cmp_eq_u32_e32 vcc, 0, v0
	s_and_b64 exec, exec, vcc
	s_cbranch_execz .LBB857_81
; %bb.80:
	v_mov_b32_e32 v6, 0
	ds_write_b64 v6, v[10:11] offset:1064
.LBB857_81:
	s_or_b64 exec, exec, s[36:37]
	v_mov_b32_e32 v8, 0
	s_waitcnt lgkmcnt(0)
	s_barrier
	ds_read_b64 v[6:7], v8 offset:1064
	v_cndmask_b32_e64 v10, v32, v24, s[26:27]
	v_cmp_eq_u32_e32 vcc, 0, v10
	v_cndmask_b32_e64 v9, v33, v25, s[26:27]
	s_waitcnt lgkmcnt(0)
	v_cndmask_b32_e32 v11, 0, v7, vcc
	v_add_u32_e32 v9, v11, v9
	v_cmp_eq_u32_e32 vcc, 0, v0
	s_barrier
	s_nop 0
	v_cndmask_b32_e32 v55, v9, v7, vcc
	v_cndmask_b32_e64 v7, v10, 0, vcc
	v_cmp_eq_u32_e32 vcc, 0, v69
	v_add_u32_e32 v54, v6, v7
	v_add_u32_e32 v52, v54, v69
	v_cndmask_b32_e32 v6, 0, v55, vcc
	v_add_u32_e32 v53, v6, v22
	v_cndmask_b32_e64 v6, 0, v53, s[24:25]
	v_add_u32_e32 v51, v6, v23
	v_cndmask_b32_e64 v6, 0, v51, s[22:23]
	;; [unrolled: 2-line block ×8, first 2 shown]
	v_add_u32_e32 v37, v6, v72
	v_add_u32_e32 v50, v52, v67
	v_cndmask_b32_e64 v6, 0, v37, s[8:9]
	v_add_u32_e32 v48, v50, v68
	v_add_u32_e32 v35, v6, v19
	v_add_u32_e32 v46, v48, v66
	v_cndmask_b32_e64 v6, 0, v35, s[6:7]
	v_add_u32_e32 v44, v46, v63
	v_add_u32_e32 v33, v6, v71
	v_add_u32_e32 v42, v44, v60
	v_cndmask_b32_e64 v6, 0, v33, s[4:5]
	v_add_u32_e32 v40, v42, v65
	v_add_u32_e32 v31, v6, v16
	ds_read_b128 v[6:9], v8 offset:1024
	v_add_u32_e32 v38, v40, v64
	v_add_u32_e32 v36, v38, v57
	;; [unrolled: 1-line block ×4, first 2 shown]
	v_cndmask_b32_e64 v10, 0, v31, s[28:29]
	v_add_u32_e32 v30, v32, v61
	v_add_u32_e32 v29, v10, v70
	s_waitcnt lgkmcnt(0)
	v_cmp_eq_u32_e32 vcc, 0, v6
	v_add_u32_e32 v28, v30, v15
	v_cndmask_b32_e64 v10, 0, v29, s[0:1]
	v_cndmask_b32_e32 v9, 0, v9, vcc
	v_add_u32_e32 v26, v28, v58
	v_add_u32_e32 v27, v10, v17
	;; [unrolled: 1-line block ×3, first 2 shown]
	s_branch .LBB857_94
.LBB857_82:
                                        ; implicit-def: $vgpr6
                                        ; implicit-def: $vgpr24
                                        ; implicit-def: $vgpr54_vgpr55
                                        ; implicit-def: $vgpr52_vgpr53
                                        ; implicit-def: $vgpr50_vgpr51
                                        ; implicit-def: $vgpr48_vgpr49
                                        ; implicit-def: $vgpr46_vgpr47
                                        ; implicit-def: $vgpr44_vgpr45
                                        ; implicit-def: $vgpr42_vgpr43
                                        ; implicit-def: $vgpr40_vgpr41
                                        ; implicit-def: $vgpr38_vgpr39
                                        ; implicit-def: $vgpr36_vgpr37
                                        ; implicit-def: $vgpr34_vgpr35
                                        ; implicit-def: $vgpr32_vgpr33
                                        ; implicit-def: $vgpr30_vgpr31
                                        ; implicit-def: $vgpr28_vgpr29
                                        ; implicit-def: $vgpr26_vgpr27
	s_cbranch_execz .LBB857_94
; %bb.83:
	s_and_b64 s[0:1], s[34:35], exec
	s_cselect_b32 s1, 0, s55
	s_cselect_b32 s0, 0, s54
	s_cmp_eq_u64 s[0:1], 0
	v_mov_b32_e32 v10, v22
	s_cbranch_scc1 .LBB857_85
; %bb.84:
	v_mov_b32_e32 v6, 0
	global_load_dword v10, v6, s[0:1]
.LBB857_85:
	v_cmp_eq_u32_e64 s[0:1], 0, v67
	v_cmp_eq_u32_e64 s[2:3], 0, v68
	v_cmp_eq_u32_e64 s[4:5], 0, v66
	v_cndmask_b32_e64 v6, 0, v22, s[0:1]
	v_add_u32_e32 v6, v6, v23
	v_cndmask_b32_e64 v6, 0, v6, s[2:3]
	v_add_u32_e32 v6, v6, v75
	v_cndmask_b32_e64 v6, 0, v6, s[4:5]
	v_add_u32_e32 v6, v6, v20
	v_cmp_eq_u32_e64 s[6:7], 0, v63
	v_cmp_eq_u32_e64 s[8:9], 0, v60
	v_cmp_eq_u32_e64 s[10:11], 0, v65
	v_cndmask_b32_e64 v6, 0, v6, s[6:7]
	v_add_u32_e32 v6, v6, v74
	v_cndmask_b32_e64 v6, 0, v6, s[8:9]
	v_add_u32_e32 v6, v6, v21
	v_cndmask_b32_e64 v6, 0, v6, s[10:11]
	v_add_u32_e32 v6, v6, v73
	;; [unrolled: 9-line block ×3, first 2 shown]
	v_cmp_eq_u32_e64 s[18:19], 0, v62
	v_cmp_eq_u32_e64 s[20:21], 0, v61
	;; [unrolled: 1-line block ×3, first 2 shown]
	v_cndmask_b32_e64 v6, 0, v6, s[18:19]
	v_add_u32_e32 v6, v6, v71
	v_cndmask_b32_e64 v6, 0, v6, s[20:21]
	v_add_u32_e32 v6, v6, v16
	v_cndmask_b32_e64 v6, 0, v6, s[22:23]
	v_add3_u32 v7, v80, v60, v65
	v_add_u32_e32 v6, v6, v70
	v_cmp_eq_u32_e32 vcc, 0, v58
	v_add3_u32 v7, v7, v64, v57
	v_add3_u32 v7, v7, v56, v62
	v_cndmask_b32_e32 v6, 0, v6, vcc
	v_add_u32_e32 v6, v6, v17
	v_cmp_eq_u32_e64 s[24:25], 0, v59
	v_add3_u32 v7, v7, v61, v15
	v_add3_u32 v7, v7, v58, v59
	v_cndmask_b32_e64 v6, 0, v6, s[24:25]
	v_add_u32_e32 v6, v6, v76
	v_mbcnt_hi_u32_b32 v11, -1, v79
	v_and_b32_e32 v8, 15, v11
	v_mov_b32_dpp v24, v6 row_shr:1 row_mask:0xf bank_mask:0xf
	v_cmp_eq_u32_e64 s[24:25], 0, v7
	v_mov_b32_dpp v9, v7 row_shr:1 row_mask:0xf bank_mask:0xf
	v_cmp_lt_u32_e64 s[26:27], 1, v8
	v_cndmask_b32_e64 v24, 0, v24, s[24:25]
	v_cmp_eq_u32_e64 s[24:25], 0, v8
	s_nop 1
	v_cndmask_b32_e64 v9, v9, 0, s[24:25]
	v_add_u32_e32 v7, v9, v7
	v_cndmask_b32_e64 v9, v24, 0, s[24:25]
	v_add_u32_e32 v6, v9, v6
	v_cmp_eq_u32_e64 s[24:25], 0, v7
	v_mov_b32_dpp v9, v7 row_shr:2 row_mask:0xf bank_mask:0xf
	v_mov_b32_dpp v24, v6 row_shr:2 row_mask:0xf bank_mask:0xf
	v_cndmask_b32_e64 v9, 0, v9, s[26:27]
	s_and_b64 s[24:25], s[26:27], s[24:25]
	v_cndmask_b32_e64 v24, 0, v24, s[24:25]
	v_add_u32_e32 v7, v7, v9
	v_add_u32_e32 v6, v24, v6
	v_cmp_eq_u32_e64 s[24:25], 0, v7
	v_mov_b32_dpp v9, v7 row_shr:4 row_mask:0xf bank_mask:0xf
	v_cmp_lt_u32_e64 s[26:27], 3, v8
	v_mov_b32_dpp v24, v6 row_shr:4 row_mask:0xf bank_mask:0xf
	s_and_b64 s[24:25], s[26:27], s[24:25]
	v_cndmask_b32_e64 v9, 0, v9, s[26:27]
	v_cndmask_b32_e64 v24, 0, v24, s[24:25]
	v_add_u32_e32 v7, v9, v7
	v_add_u32_e32 v6, v6, v24
	v_cmp_eq_u32_e64 s[24:25], 0, v7
	v_cmp_lt_u32_e64 s[26:27], 7, v8
	v_mov_b32_dpp v9, v7 row_shr:8 row_mask:0xf bank_mask:0xf
	v_mov_b32_dpp v24, v6 row_shr:8 row_mask:0xf bank_mask:0xf
	s_and_b64 s[24:25], s[26:27], s[24:25]
	v_cndmask_b32_e64 v8, 0, v9, s[26:27]
	v_cndmask_b32_e64 v9, 0, v24, s[24:25]
	v_add_u32_e32 v6, v9, v6
	v_add_u32_e32 v7, v8, v7
	v_bfe_i32 v24, v11, 4, 1
	v_mov_b32_dpp v9, v6 row_bcast:15 row_mask:0xf bank_mask:0xf
	v_mov_b32_dpp v8, v7 row_bcast:15 row_mask:0xf bank_mask:0xf
	v_cmp_eq_u32_e64 s[24:25], 0, v7
	v_and_b32_e32 v8, v24, v8
	v_add_u32_e32 v7, v8, v7
	v_cndmask_b32_e64 v9, 0, v9, s[24:25]
	v_and_b32_e32 v8, v24, v9
	v_add_u32_e32 v8, v8, v6
	v_mov_b32_dpp v6, v7 row_bcast:31 row_mask:0xf bank_mask:0xf
	v_cmp_eq_u32_e64 s[24:25], 0, v7
	v_cmp_lt_u32_e64 s[26:27], 31, v11
	v_mov_b32_dpp v9, v8 row_bcast:31 row_mask:0xf bank_mask:0xf
	s_and_b64 s[24:25], s[26:27], s[24:25]
	v_cndmask_b32_e64 v6, 0, v6, s[26:27]
	v_add_u32_e32 v6, v6, v7
	v_cndmask_b32_e64 v7, 0, v9, s[24:25]
	v_add_u32_e32 v7, v7, v8
	v_cmp_eq_u32_e64 s[24:25], v78, v0
	v_lshlrev_b32_e32 v9, 3, v77
	s_and_saveexec_b64 s[26:27], s[24:25]
	s_cbranch_execz .LBB857_87
; %bb.86:
	ds_write_b64 v9, v[6:7] offset:1040
.LBB857_87:
	s_or_b64 exec, exec, s[26:27]
	v_cmp_gt_u32_e64 s[24:25], 4, v0
	s_waitcnt lgkmcnt(0)
	s_barrier
	s_and_saveexec_b64 s[28:29], s[24:25]
	s_cbranch_execz .LBB857_89
; %bb.88:
	v_lshlrev_b32_e32 v8, 3, v0
	ds_read_b64 v[24:25], v8 offset:1040
	v_and_b32_e32 v26, 3, v11
	v_cmp_lt_u32_e64 s[26:27], 1, v26
	s_waitcnt lgkmcnt(0)
	v_mov_b32_dpp v28, v25 row_shr:1 row_mask:0xf bank_mask:0xf
	v_cmp_eq_u32_e64 s[24:25], 0, v24
	v_mov_b32_dpp v27, v24 row_shr:1 row_mask:0xf bank_mask:0xf
	s_nop 0
	v_cndmask_b32_e64 v28, 0, v28, s[24:25]
	v_cmp_eq_u32_e64 s[24:25], 0, v26
	s_nop 1
	v_cndmask_b32_e64 v27, v27, 0, s[24:25]
	v_add_u32_e32 v24, v27, v24
	v_cndmask_b32_e64 v27, v28, 0, s[24:25]
	v_add_u32_e32 v25, v27, v25
	v_cmp_eq_u32_e64 s[24:25], 0, v24
	v_mov_b32_dpp v27, v24 row_shr:2 row_mask:0xf bank_mask:0xf
	v_mov_b32_dpp v28, v25 row_shr:2 row_mask:0xf bank_mask:0xf
	v_cndmask_b32_e64 v26, 0, v27, s[26:27]
	s_and_b64 s[24:25], s[26:27], s[24:25]
	v_add_u32_e32 v24, v26, v24
	v_cndmask_b32_e64 v26, 0, v28, s[24:25]
	v_add_u32_e32 v25, v26, v25
	ds_write_b64 v8, v[24:25] offset:1040
.LBB857_89:
	s_or_b64 exec, exec, s[28:29]
	v_cmp_lt_u32_e64 s[24:25], 63, v0
	v_mov_b32_e32 v24, 0
	v_mov_b32_e32 v8, 0
	s_waitcnt vmcnt(0)
	v_mov_b32_e32 v25, v10
	s_waitcnt lgkmcnt(0)
	s_barrier
	s_and_saveexec_b64 s[26:27], s[24:25]
	s_cbranch_execz .LBB857_91
; %bb.90:
	ds_read_b64 v[8:9], v9 offset:1032
	s_waitcnt lgkmcnt(0)
	v_cmp_eq_u32_e64 s[24:25], 0, v8
	s_nop 1
	v_cndmask_b32_e64 v25, 0, v10, s[24:25]
	v_add_u32_e32 v25, v25, v9
.LBB857_91:
	s_or_b64 exec, exec, s[26:27]
	v_cmp_eq_u32_e64 s[24:25], 0, v6
	v_add_u32_e32 v9, v8, v6
	v_and_b32_e32 v26, 64, v11
	v_cndmask_b32_e64 v6, 0, v25, s[24:25]
	v_add_u32_e32 v6, v6, v7
	v_add_u32_e32 v7, -1, v11
	v_cmp_lt_i32_e64 s[24:25], v7, v26
	v_cmp_eq_u32_e64 s[26:27], 0, v69
	s_nop 0
	v_cndmask_b32_e64 v7, v7, v11, s[24:25]
	v_lshlrev_b32_e32 v7, 2, v7
	ds_bpermute_b32 v9, v7, v9
	ds_bpermute_b32 v6, v7, v6
	v_cmp_eq_u32_e64 s[24:25], 0, v11
	s_waitcnt lgkmcnt(1)
	s_nop 0
	v_cndmask_b32_e64 v7, v9, v8, s[24:25]
	s_waitcnt lgkmcnt(0)
	v_cndmask_b32_e64 v6, v6, v25, s[24:25]
	v_cmp_eq_u32_e64 s[24:25], 0, v0
	s_nop 1
	v_cndmask_b32_e64 v55, v6, v10, s[24:25]
	v_cndmask_b32_e64 v6, 0, v55, s[26:27]
	v_add_u32_e32 v53, v6, v22
	v_cndmask_b32_e64 v6, 0, v53, s[0:1]
	v_add_u32_e32 v51, v6, v23
	;; [unrolled: 2-line block ×8, first 2 shown]
	v_cndmask_b32_e64 v54, v7, 0, s[24:25]
	v_cndmask_b32_e64 v6, 0, v39, s[14:15]
	v_add_u32_e32 v52, v54, v69
	v_add_u32_e32 v37, v6, v72
	v_add_u32_e32 v50, v52, v67
	v_cndmask_b32_e64 v6, 0, v37, s[16:17]
	v_add_u32_e32 v48, v50, v68
	v_add_u32_e32 v35, v6, v19
	v_add_u32_e32 v46, v48, v66
	;; [unrolled: 4-line block ×3, first 2 shown]
	v_cndmask_b32_e64 v6, 0, v33, s[20:21]
	v_add_u32_e32 v40, v42, v65
	v_add_u32_e32 v31, v6, v16
	ds_read_b64 v[6:7], v24 offset:1064
	v_add_u32_e32 v38, v40, v64
	v_add_u32_e32 v36, v38, v57
	v_add_u32_e32 v34, v36, v56
	v_cndmask_b32_e64 v8, 0, v31, s[22:23]
	v_add_u32_e32 v32, v34, v62
	v_add_u32_e32 v29, v8, v70
	;; [unrolled: 1-line block ×3, first 2 shown]
	v_cndmask_b32_e32 v8, 0, v29, vcc
	s_waitcnt lgkmcnt(0)
	v_cmp_eq_u32_e32 vcc, 0, v6
	v_add_u32_e32 v28, v30, v15
	v_add_u32_e32 v27, v8, v17
	v_cndmask_b32_e32 v8, 0, v10, vcc
	v_add_u32_e32 v26, v28, v58
	v_add_u32_e32 v24, v8, v7
	s_and_saveexec_b64 s[0:1], s[24:25]
	s_cbranch_execz .LBB857_93
; %bb.92:
	s_add_u32 s2, s40, 0x400
	v_and_b32_e32 v7, 0xff000000, v24
	v_and_b32_e32 v8, 0xff0000, v24
	s_addc_u32 s3, s41, 0
	v_or_b32_e32 v7, v8, v7
	v_and_b32_e32 v8, 0xff00, v24
	v_and_b32_e32 v10, 0xff, v24
	v_mov_b32_e32 v9, 0
	v_or3_b32 v7, v7, v8, v10
	v_mov_b32_e32 v8, 2
	v_mov_b64_e32 v[10:11], s[2:3]
	;;#ASMSTART
	global_store_dwordx4 v[10:11], v[6:9] off sc1	
s_waitcnt vmcnt(0)
	;;#ASMEND
.LBB857_93:
	s_or_b64 exec, exec, s[0:1]
	v_mov_b32_e32 v8, 0
.LBB857_94:
	s_and_b64 s[0:1], s[34:35], exec
	s_cselect_b32 s1, 0, s39
	s_cselect_b32 s0, 0, s38
	s_cmp_eq_u64 s[0:1], 0
	v_mov_b64_e32 v[16:17], 0
	s_barrier
	s_cbranch_scc1 .LBB857_96
; %bb.95:
	v_mov_b32_e32 v7, 0
	global_load_dwordx2 v[16:17], v7, s[0:1]
.LBB857_96:
	s_waitcnt vmcnt(0)
	v_lshlrev_b64 v[10:11], 1, v[16:17]
	v_mov_b32_e32 v9, 0
	v_cmp_eq_u32_e32 vcc, 0, v69
	v_lshl_add_u64 v[10:11], s[48:49], 0, v[10:11]
	v_lshlrev_b64 v[18:19], 1, v[8:9]
	v_cndmask_b32_e64 v7, 1, 2, vcc
	v_cmp_eq_u32_e32 vcc, 0, v67
	v_lshl_add_u64 v[18:19], v[10:11], 0, v[18:19]
	s_movk_i32 s30, 0x100
	v_cndmask_b32_e64 v10, 1, 2, vcc
	v_cmp_eq_u32_e32 vcc, 0, v68
	v_and_b32_e32 v7, v10, v7
	v_cmp_ne_u32_e64 s[28:29], 0, v69
	v_cndmask_b32_e64 v10, 1, 2, vcc
	v_cmp_eq_u32_e32 vcc, 0, v66
	v_and_b32_e32 v7, v7, v10
	v_cmp_ne_u32_e64 s[26:27], 0, v67
	;; [unrolled: 4-line block ×13, first 2 shown]
	v_cndmask_b32_e64 v10, 1, 2, vcc
	v_and_b32_e32 v7, v7, v10
	v_cmp_gt_u32_e32 vcc, s30, v6
	v_cmp_ne_u32_e64 s[2:3], 0, v58
	v_cmp_ne_u32_e64 s[0:1], 0, v59
	s_mov_b64 s[34:35], -1
	v_cmp_gt_i16_e64 s[30:31], 2, v7
	s_cbranch_vccz .LBB857_103
; %bb.97:
	s_and_saveexec_b64 s[34:35], s[30:31]
	s_cbranch_execz .LBB857_102
; %bb.98:
	v_cmp_ne_u16_e32 vcc, 1, v7
	s_mov_b64 s[36:37], 0
	s_and_saveexec_b64 s[30:31], vcc
	s_xor_b64 s[30:31], exec, s[30:31]
	s_cbranch_execnz .LBB857_147
; %bb.99:
	s_andn2_saveexec_b64 s[30:31], s[30:31]
	s_cbranch_execnz .LBB857_163
.LBB857_100:
	s_or_b64 exec, exec, s[30:31]
	s_and_b64 exec, exec, s[36:37]
	s_cbranch_execz .LBB857_102
.LBB857_101:
	v_sub_u32_e32 v10, v26, v8
	v_mov_b32_e32 v11, 0
	v_lshl_add_u64 v[10:11], v[10:11], 1, v[18:19]
	global_store_short v[10:11], v1, off
.LBB857_102:
	s_or_b64 exec, exec, s[34:35]
	s_mov_b64 s[34:35], 0
.LBB857_103:
	s_and_b64 vcc, exec, s[34:35]
	s_cbranch_vccz .LBB857_125
; %bb.104:
	v_cmp_gt_i16_e32 vcc, 2, v7
	s_and_saveexec_b64 s[30:31], vcc
	s_cbranch_execz .LBB857_109
; %bb.105:
	v_cmp_ne_u16_e32 vcc, 1, v7
	s_mov_b64 s[36:37], 0
	s_and_saveexec_b64 s[34:35], vcc
	s_xor_b64 s[34:35], exec, s[34:35]
	s_cbranch_execnz .LBB857_164
; %bb.106:
	s_andn2_saveexec_b64 s[0:1], s[34:35]
	s_cbranch_execnz .LBB857_180
.LBB857_107:
	s_or_b64 exec, exec, s[0:1]
	s_and_b64 exec, exec, s[36:37]
	s_cbranch_execz .LBB857_109
.LBB857_108:
	v_sub_u32_e32 v2, v26, v8
	v_lshlrev_b32_e32 v2, 1, v2
	ds_write_b16 v2, v1
.LBB857_109:
	s_or_b64 exec, exec, s[30:31]
	v_cmp_lt_u32_e32 vcc, v0, v6
	s_waitcnt lgkmcnt(0)
	s_barrier
	s_and_saveexec_b64 s[0:1], vcc
	s_cbranch_execz .LBB857_124
; %bb.110:
	v_xad_u32 v1, v0, -1, v6
	s_movk_i32 s2, 0x1700
	s_movk_i32 s4, 0x16ff
	v_cmp_gt_u32_e64 s[2:3], s2, v1
	v_cmp_lt_u32_e32 vcc, s4, v1
	v_mov_b32_e32 v2, v0
	s_and_saveexec_b64 s[4:5], vcc
	s_cbranch_execz .LBB857_121
; %bb.111:
	v_sub_u32_e32 v2, v0, v6
	v_or_b32_e32 v2, 0xff, v2
	v_cmp_ge_u32_e32 vcc, v2, v0
	s_mov_b64 s[8:9], -1
	v_mov_b32_e32 v2, v0
	s_and_saveexec_b64 s[6:7], vcc
	s_cbranch_execz .LBB857_120
; %bb.112:
	v_lshrrev_b32_e32 v7, 8, v1
	v_or_b32_e32 v3, 0x300, v0
	v_or_b32_e32 v2, 0x200, v0
	v_add_u32_e32 v4, -3, v7
	v_or_b32_e32 v1, 0x100, v0
	v_lshrrev_b32_e32 v5, 2, v4
	v_mov_b64_e32 v[12:13], v[2:3]
	v_add_u32_e32 v20, 1, v5
	v_cmp_lt_u32_e32 vcc, 11, v4
	v_mov_b32_e32 v23, 0
	v_lshlrev_b32_e32 v14, 1, v0
	v_mov_b64_e32 v[10:11], v[0:1]
	s_and_saveexec_b64 s[8:9], vcc
	s_cbranch_execz .LBB857_116
; %bb.113:
	v_mov_b64_e32 v[12:13], v[2:3]
	v_and_b32_e32 v21, 0x7ffffffc, v20
	s_mov_b32 s12, 0
	s_mov_b64 s[10:11], 0
	v_mov_b32_e32 v5, 0
	v_mov_b32_e32 v22, v14
	v_mov_b64_e32 v[10:11], v[0:1]
.LBB857_114:                            ; =>This Inner Loop Header: Depth=1
	v_mov_b32_e32 v4, v10
	ds_read_u16 v1, v22
	ds_read_u16 v25, v22 offset:512
	ds_read_u16 v94, v22 offset:1024
	;; [unrolled: 1-line block ×7, first 2 shown]
	v_lshl_add_u64 v[86:87], v[4:5], 1, v[18:19]
	v_mov_b32_e32 v4, v11
	v_lshl_add_u64 v[88:89], v[4:5], 1, v[18:19]
	v_mov_b32_e32 v4, v12
	ds_read_u16 v100, v22 offset:4096
	ds_read_u16 v101, v22 offset:4608
	;; [unrolled: 1-line block ×8, first 2 shown]
	v_lshl_add_u64 v[90:91], v[4:5], 1, v[18:19]
	v_mov_b32_e32 v4, v13
	v_add_u32_e32 v2, 0x400, v13
	v_mov_b32_e32 v3, v5
	v_lshl_add_u64 v[92:93], v[4:5], 1, v[18:19]
	v_add_u32_e32 v4, 0x400, v10
	v_add_u32_e32 v70, 0x400, v12
	;; [unrolled: 1-line block ×3, first 2 shown]
	v_mov_b32_e32 v73, v5
	v_mov_b32_e32 v71, v5
	v_add_u32_e32 v21, -4, v21
	v_lshl_add_u64 v[2:3], v[2:3], 1, v[18:19]
	s_waitcnt lgkmcnt(14)
	global_store_short v[86:87], v1, off
	global_store_short v[88:89], v25, off
	s_waitcnt lgkmcnt(13)
	global_store_short v[90:91], v94, off
	s_waitcnt lgkmcnt(12)
	global_store_short v[92:93], v95, off
	v_lshl_add_u64 v[86:87], v[4:5], 1, v[18:19]
	v_add_u32_e32 v4, 0x800, v10
	v_add_u32_e32 v74, 0x800, v13
	;; [unrolled: 1-line block ×4, first 2 shown]
	v_mov_b32_e32 v79, v5
	v_mov_b32_e32 v77, v5
	;; [unrolled: 1-line block ×3, first 2 shown]
	s_add_i32 s12, s12, 16
	v_lshl_add_u64 v[72:73], v[72:73], 1, v[18:19]
	v_lshl_add_u64 v[70:71], v[70:71], 1, v[18:19]
	v_cmp_eq_u32_e32 vcc, 0, v21
	s_waitcnt lgkmcnt(11)
	global_store_short v[86:87], v96, off
	s_waitcnt lgkmcnt(10)
	global_store_short v[72:73], v97, off
	;; [unrolled: 2-line block ×4, first 2 shown]
	v_lshl_add_u64 v[2:3], v[4:5], 1, v[18:19]
	v_add_u32_e32 v4, 0xc00, v10
	v_add_u32_e32 v80, 0xc00, v13
	;; [unrolled: 1-line block ×4, first 2 shown]
	v_mov_b32_e32 v85, v5
	v_mov_b32_e32 v83, v5
	v_mov_b32_e32 v81, v5
	v_add_u32_e32 v22, 0x2000, v22
	v_lshl_add_u64 v[78:79], v[78:79], 1, v[18:19]
	v_lshl_add_u64 v[76:77], v[76:77], 1, v[18:19]
	;; [unrolled: 1-line block ×3, first 2 shown]
	v_add_u32_e32 v11, 0x1000, v11
	v_mov_b32_e32 v23, s12
	v_add_u32_e32 v12, 0x1000, v12
	s_or_b64 s[10:11], vcc, s[10:11]
	v_add_u32_e32 v13, 0x1000, v13
	v_add_u32_e32 v10, 0x1000, v10
	s_waitcnt lgkmcnt(7)
	global_store_short v[2:3], v100, off
	s_waitcnt lgkmcnt(6)
	global_store_short v[78:79], v101, off
	;; [unrolled: 2-line block ×4, first 2 shown]
	v_lshl_add_u64 v[2:3], v[4:5], 1, v[18:19]
	v_lshl_add_u64 v[84:85], v[84:85], 1, v[18:19]
	;; [unrolled: 1-line block ×4, first 2 shown]
	s_waitcnt lgkmcnt(3)
	global_store_short v[2:3], v104, off
	s_waitcnt lgkmcnt(2)
	global_store_short v[84:85], v105, off
	;; [unrolled: 2-line block ×4, first 2 shown]
	s_andn2_b64 exec, exec, s[10:11]
	s_cbranch_execnz .LBB857_114
; %bb.115:
	s_or_b64 exec, exec, s[10:11]
.LBB857_116:
	s_or_b64 exec, exec, s[8:9]
	v_and_b32_e32 v1, 3, v20
	v_cmp_ne_u32_e32 vcc, 0, v1
	s_and_saveexec_b64 s[8:9], vcc
	s_cbranch_execz .LBB857_119
; %bb.117:
	v_lshl_or_b32 v4, v23, 9, v14
	s_mov_b64 s[10:11], 0
	v_mov_b32_e32 v3, 0
.LBB857_118:                            ; =>This Inner Loop Header: Depth=1
	ds_read_u16 v5, v4
	ds_read_u16 v14, v4 offset:512
	ds_read_u16 v25, v4 offset:1024
	;; [unrolled: 1-line block ×3, first 2 shown]
	v_mov_b32_e32 v2, v10
	v_add_u32_e32 v1, -1, v1
	v_lshl_add_u64 v[20:21], v[2:3], 1, v[18:19]
	v_mov_b32_e32 v2, v11
	v_cmp_eq_u32_e32 vcc, 0, v1
	v_lshl_add_u64 v[22:23], v[2:3], 1, v[18:19]
	v_mov_b32_e32 v2, v12
	v_add_u32_e32 v10, 0x400, v10
	v_add_u32_e32 v4, 0x800, v4
	;; [unrolled: 1-line block ×4, first 2 shown]
	s_or_b64 s[10:11], vcc, s[10:11]
	v_lshl_add_u64 v[70:71], v[2:3], 1, v[18:19]
	v_mov_b32_e32 v2, v13
	v_add_u32_e32 v13, 0x400, v13
	v_lshl_add_u64 v[72:73], v[2:3], 1, v[18:19]
	s_waitcnt lgkmcnt(3)
	global_store_short v[20:21], v5, off
	s_waitcnt lgkmcnt(2)
	global_store_short v[22:23], v14, off
	;; [unrolled: 2-line block ×4, first 2 shown]
	s_andn2_b64 exec, exec, s[10:11]
	s_cbranch_execnz .LBB857_118
.LBB857_119:
	s_or_b64 exec, exec, s[8:9]
	v_add_u32_e32 v1, 1, v7
	v_and_b32_e32 v3, 0x1fffffc, v1
	v_cmp_ne_u32_e32 vcc, v1, v3
	v_lshl_or_b32 v2, v3, 8, v0
	s_orn2_b64 s[8:9], vcc, exec
.LBB857_120:
	s_or_b64 exec, exec, s[6:7]
	s_andn2_b64 s[2:3], s[2:3], exec
	s_and_b64 s[6:7], s[8:9], exec
	s_or_b64 s[2:3], s[2:3], s[6:7]
.LBB857_121:
	s_or_b64 exec, exec, s[4:5]
	s_and_b64 exec, exec, s[2:3]
	s_cbranch_execz .LBB857_124
; %bb.122:
	v_lshlrev_b32_e32 v1, 1, v2
	s_mov_b64 s[2:3], 0
	v_mov_b32_e32 v3, 0
.LBB857_123:                            ; =>This Inner Loop Header: Depth=1
	ds_read_u16 v7, v1
	v_lshl_add_u64 v[4:5], v[2:3], 1, v[18:19]
	v_add_u32_e32 v2, 0x100, v2
	v_cmp_ge_u32_e32 vcc, v2, v6
	v_add_u32_e32 v1, 0x200, v1
	s_or_b64 s[2:3], vcc, s[2:3]
	s_waitcnt lgkmcnt(0)
	global_store_short v[4:5], v7, off
	s_andn2_b64 exec, exec, s[2:3]
	s_cbranch_execnz .LBB857_123
.LBB857_124:
	s_or_b64 exec, exec, s[0:1]
.LBB857_125:
	s_cmpk_lg_i32 s33, 0xf00
	s_cselect_b64 s[0:1], -1, 0
	v_cndmask_b32_e64 v7, 0, 1, s[46:47]
	s_and_b64 s[0:1], s[44:45], s[0:1]
	v_cmp_eq_u32_e32 vcc, 0, v0
	v_sub_u32_e32 v1, v6, v7
	v_cndmask_b32_e64 v2, 0, 1, s[0:1]
	s_and_b64 s[0:1], vcc, s[46:47]
	v_add_u32_e32 v1, v1, v2
	v_cndmask_b32_e64 v2, v69, 0, s[0:1]
	s_mul_hi_u32 s0, s33, 0x88888889
	s_lshr_b32 s0, s0, 3
	v_mad_i32_i24 v3, v0, -15, s33
	v_cmp_eq_u32_e32 vcc, s0, v0
	v_cmp_ne_u32_e64 s[0:1], 0, v3
	s_and_b64 vcc, s[44:45], vcc
	s_movk_i32 s30, 0x100
	v_cndmask_b32_e64 v4, 1, v2, s[0:1]
	v_cmp_ne_u32_e64 s[0:1], 1, v3
	s_mov_b64 s[34:35], -1
	s_nop 0
	v_cndmask_b32_e64 v5, 1, v67, s[0:1]
	v_cmp_ne_u32_e64 s[0:1], 2, v3
	s_barrier
	s_nop 0
	v_cndmask_b32_e64 v10, 1, v68, s[0:1]
	v_cmp_ne_u32_e64 s[0:1], 3, v3
	v_cndmask_b32_e32 v10, v68, v10, vcc
	v_cmp_ne_u32_e64 s[24:25], 0, v10
	v_cndmask_b32_e64 v11, 1, v66, s[0:1]
	v_cmp_ne_u32_e64 s[0:1], 4, v3
	v_cndmask_b32_e32 v11, v66, v11, vcc
	v_cmp_ne_u32_e64 s[22:23], 0, v11
	v_cndmask_b32_e64 v12, 1, v63, s[0:1]
	v_cmp_ne_u32_e64 s[0:1], 5, v3
	v_cndmask_b32_e32 v12, v63, v12, vcc
	v_cmp_ne_u32_e64 s[20:21], 0, v12
	v_cndmask_b32_e64 v13, 1, v60, s[0:1]
	v_cmp_ne_u32_e64 s[0:1], 6, v3
	v_cndmask_b32_e32 v13, v60, v13, vcc
	v_cmp_ne_u32_e64 s[18:19], 0, v13
	v_cndmask_b32_e64 v14, 1, v65, s[0:1]
	v_cmp_ne_u32_e64 s[0:1], 7, v3
	v_cndmask_b32_e32 v14, v65, v14, vcc
	v_cmp_ne_u32_e64 s[16:17], 0, v14
	v_cndmask_b32_e64 v18, 1, v64, s[0:1]
	v_cmp_ne_u32_e64 s[0:1], 8, v3
	v_cndmask_b32_e32 v18, v64, v18, vcc
	v_cmp_ne_u32_e64 s[14:15], 0, v18
	v_cndmask_b32_e64 v19, 1, v57, s[0:1]
	v_cmp_ne_u32_e64 s[0:1], 9, v3
	v_cndmask_b32_e32 v19, v57, v19, vcc
	v_cmp_ne_u32_e64 s[12:13], 0, v19
	v_cndmask_b32_e64 v20, 1, v56, s[0:1]
	v_cmp_ne_u32_e64 s[0:1], 10, v3
	v_cndmask_b32_e32 v20, v56, v20, vcc
	v_cndmask_b32_e32 v56, v2, v4, vcc
	v_cndmask_b32_e64 v21, 1, v62, s[0:1]
	v_cmp_ne_u32_e64 s[0:1], 11, v3
	v_cndmask_b32_e32 v21, v62, v21, vcc
	v_cmp_ne_u32_e64 s[28:29], 0, v56
	v_cndmask_b32_e64 v22, 1, v61, s[0:1]
	v_cmp_ne_u32_e64 s[0:1], 12, v3
	v_cndmask_b32_e32 v22, v61, v22, vcc
	v_cmp_ne_u32_e64 s[10:11], 0, v20
	v_cndmask_b32_e64 v23, 1, v15, s[0:1]
	v_cmp_ne_u32_e64 s[0:1], 13, v3
	v_cndmask_b32_e32 v15, v15, v23, vcc
	v_cndmask_b32_e32 v23, v67, v5, vcc
	v_cndmask_b32_e64 v25, 1, v58, s[0:1]
	v_cmp_ne_u32_e64 s[0:1], 14, v3
	v_cndmask_b32_e32 v25, v58, v25, vcc
	v_cmp_ne_u32_e64 s[26:27], 0, v23
	v_cndmask_b32_e64 v3, 1, v59, s[0:1]
	v_cndmask_b32_e32 v59, v59, v3, vcc
	v_cmp_eq_u32_e32 vcc, 0, v56
	v_lshlrev_b64 v[2:3], 3, v[16:17]
	v_lshl_add_u64 v[2:3], s[50:51], 0, v[2:3]
	v_cndmask_b32_e64 v56, 1, 2, vcc
	v_cmp_eq_u32_e32 vcc, 0, v23
	v_lshlrev_b64 v[4:5], 3, v[8:9]
	v_lshl_add_u64 v[2:3], v[2:3], 0, v[4:5]
	v_cndmask_b32_e64 v23, 1, 2, vcc
	v_cmp_eq_u32_e32 vcc, 0, v10
	v_and_b32_e32 v23, v23, v56
	v_lshlrev_b32_e32 v4, 3, v7
	v_cndmask_b32_e64 v10, 1, 2, vcc
	v_cmp_eq_u32_e32 vcc, 0, v11
	v_and_b32_e32 v10, v23, v10
	v_mov_b32_e32 v5, 0
	v_cndmask_b32_e64 v11, 1, 2, vcc
	v_cmp_eq_u32_e32 vcc, 0, v12
	v_and_b32_e32 v10, v10, v11
	v_lshl_add_u64 v[4:5], v[4:5], 0, v[2:3]
	v_cndmask_b32_e64 v11, 1, 2, vcc
	v_cmp_eq_u32_e32 vcc, 0, v13
	v_and_b32_e32 v10, v10, v11
	v_lshl_add_u64 v[4:5], v[4:5], 0, -8
	v_cndmask_b32_e64 v11, 1, 2, vcc
	v_cmp_eq_u32_e32 vcc, 0, v14
	v_and_b32_e32 v10, v10, v11
	v_add_u32_e32 v7, v8, v7
	v_cndmask_b32_e64 v11, 1, 2, vcc
	v_cmp_eq_u32_e32 vcc, 0, v18
	v_and_b32_e32 v10, v10, v11
	v_cmp_ne_u32_e64 s[8:9], 0, v21
	v_cndmask_b32_e64 v11, 1, 2, vcc
	v_cmp_eq_u32_e32 vcc, 0, v19
	v_and_b32_e32 v10, v10, v11
	v_cmp_ne_u32_e64 s[6:7], 0, v22
	;; [unrolled: 4-line block ×5, first 2 shown]
	v_cndmask_b32_e64 v11, 1, 2, vcc
	v_cmp_eq_u32_e32 vcc, 0, v15
	v_and_b32_e32 v10, v10, v11
	s_nop 0
	v_cndmask_b32_e64 v11, 1, 2, vcc
	v_cmp_eq_u32_e32 vcc, 0, v25
	v_and_b32_e32 v10, v10, v11
	s_nop 0
	;; [unrolled: 4-line block ×3, first 2 shown]
	v_cndmask_b32_e64 v11, 1, 2, vcc
	v_and_b32_e32 v10, v10, v11
	v_cmp_gt_u32_e32 vcc, s30, v1
	v_cmp_gt_i16_e64 s[30:31], 2, v10
	s_cbranch_vccz .LBB857_132
; %bb.126:
	s_and_saveexec_b64 s[34:35], s[30:31]
	s_cbranch_execz .LBB857_131
; %bb.127:
	v_cmp_ne_u16_e32 vcc, 1, v10
	s_mov_b64 s[36:37], 0
	s_and_saveexec_b64 s[30:31], vcc
	s_xor_b64 s[30:31], exec, s[30:31]
	s_cbranch_execnz .LBB857_181
; %bb.128:
	s_andn2_saveexec_b64 s[30:31], s[30:31]
	s_cbranch_execnz .LBB857_197
.LBB857_129:
	s_or_b64 exec, exec, s[30:31]
	s_and_b64 exec, exec, s[36:37]
	s_cbranch_execz .LBB857_131
.LBB857_130:
	v_mov_b32_e32 v13, 0
	v_sub_u32_e32 v14, v26, v7
	v_mov_b32_e32 v15, v13
	v_mov_b32_e32 v12, v27
	v_lshl_add_u64 v[14:15], v[14:15], 3, v[4:5]
	global_store_dwordx2 v[14:15], v[12:13], off
.LBB857_131:
	s_or_b64 exec, exec, s[34:35]
	s_mov_b64 s[34:35], 0
.LBB857_132:
	s_and_b64 vcc, exec, s[34:35]
	s_cbranch_vccz .LBB857_142
; %bb.133:
	v_cmp_gt_i16_e32 vcc, 2, v10
	s_and_saveexec_b64 s[30:31], vcc
	s_cbranch_execz .LBB857_138
; %bb.134:
	v_cmp_ne_u16_e32 vcc, 1, v10
	s_mov_b64 s[36:37], 0
	s_and_saveexec_b64 s[34:35], vcc
	s_xor_b64 s[34:35], exec, s[34:35]
	s_cbranch_execnz .LBB857_198
; %bb.135:
	s_andn2_saveexec_b64 s[0:1], s[34:35]
	s_cbranch_execnz .LBB857_214
.LBB857_136:
	s_or_b64 exec, exec, s[0:1]
	s_and_b64 exec, exec, s[36:37]
	s_cbranch_execz .LBB857_138
.LBB857_137:
	v_sub_u32_e32 v7, v26, v7
	v_lshlrev_b32_e32 v7, 2, v7
	ds_write_b32 v7, v27
.LBB857_138:
	s_or_b64 exec, exec, s[30:31]
	v_cmp_lt_u32_e32 vcc, v0, v1
	s_waitcnt lgkmcnt(0)
	s_barrier
	s_and_saveexec_b64 s[0:1], vcc
	s_cbranch_execz .LBB857_141
; %bb.139:
	v_lshlrev_b32_e32 v7, 2, v0
	s_mov_b64 s[2:3], 0
	v_mov_b32_e32 v11, 0
	v_mov_b32_e32 v10, v0
.LBB857_140:                            ; =>This Inner Loop Header: Depth=1
	ds_read_b32 v12, v7
	v_lshl_add_u64 v[14:15], v[10:11], 3, v[4:5]
	v_add_u32_e32 v10, 0x100, v10
	v_cmp_ge_u32_e32 vcc, v10, v1
	v_mov_b32_e32 v13, v11
	v_add_u32_e32 v7, 0x400, v7
	s_or_b64 s[2:3], vcc, s[2:3]
	s_waitcnt lgkmcnt(0)
	global_store_dwordx2 v[14:15], v[12:13], off
	s_andn2_b64 exec, exec, s[2:3]
	s_cbranch_execnz .LBB857_140
.LBB857_141:
	s_or_b64 exec, exec, s[0:1]
.LBB857_142:
	s_movk_i32 s0, 0xff
	v_cmp_eq_u32_e32 vcc, s0, v0
	s_and_b64 s[0:1], vcc, s[44:45]
	s_and_saveexec_b64 s[2:3], s[0:1]
	s_cbranch_execz .LBB857_145
; %bb.143:
	v_mov_b32_e32 v7, 0
	v_lshl_add_u64 v[0:1], v[6:7], 0, v[8:9]
	v_lshl_add_u64 v[0:1], v[0:1], 0, v[16:17]
	s_cmpk_lg_i32 s33, 0xf00
	global_store_dwordx2 v7, v[0:1], s[52:53]
	s_cbranch_scc1 .LBB857_145
; %bb.144:
	v_lshlrev_b64 v[0:1], 3, v[6:7]
	v_mov_b32_e32 v25, v7
	v_lshl_add_u64 v[0:1], v[2:3], 0, v[0:1]
	global_store_dwordx2 v[0:1], v[24:25], off offset:-8
.LBB857_145:
	s_endpgm
.LBB857_146:
	s_or_b64 exec, exec, s[4:5]
	v_mov_b32_e32 v69, s3
	s_and_saveexec_b64 s[0:1], s[6:7]
	s_cbranch_execnz .LBB857_54
	s_branch .LBB857_55
.LBB857_147:
	s_and_saveexec_b64 s[36:37], s[28:29]
	s_cbranch_execnz .LBB857_215
; %bb.148:
	s_or_b64 exec, exec, s[36:37]
	s_and_saveexec_b64 s[36:37], s[26:27]
	s_cbranch_execnz .LBB857_216
.LBB857_149:
	s_or_b64 exec, exec, s[36:37]
	s_and_saveexec_b64 s[36:37], s[24:25]
	s_cbranch_execnz .LBB857_217
.LBB857_150:
	s_or_b64 exec, exec, s[36:37]
	s_and_saveexec_b64 s[36:37], s[22:23]
	s_cbranch_execnz .LBB857_218
.LBB857_151:
	s_or_b64 exec, exec, s[36:37]
	s_and_saveexec_b64 s[36:37], s[20:21]
	s_cbranch_execnz .LBB857_219
.LBB857_152:
	s_or_b64 exec, exec, s[36:37]
	s_and_saveexec_b64 s[36:37], s[18:19]
	s_cbranch_execnz .LBB857_220
.LBB857_153:
	s_or_b64 exec, exec, s[36:37]
	s_and_saveexec_b64 s[36:37], s[16:17]
	s_cbranch_execnz .LBB857_221
.LBB857_154:
	s_or_b64 exec, exec, s[36:37]
	s_and_saveexec_b64 s[36:37], s[14:15]
	s_cbranch_execnz .LBB857_222
.LBB857_155:
	s_or_b64 exec, exec, s[36:37]
	s_and_saveexec_b64 s[36:37], s[12:13]
	s_cbranch_execnz .LBB857_223
.LBB857_156:
	s_or_b64 exec, exec, s[36:37]
	s_and_saveexec_b64 s[36:37], s[10:11]
	s_cbranch_execnz .LBB857_224
.LBB857_157:
	s_or_b64 exec, exec, s[36:37]
	s_and_saveexec_b64 s[36:37], s[8:9]
	s_cbranch_execnz .LBB857_225
.LBB857_158:
	s_or_b64 exec, exec, s[36:37]
	s_and_saveexec_b64 s[36:37], s[6:7]
	s_cbranch_execnz .LBB857_226
.LBB857_159:
	s_or_b64 exec, exec, s[36:37]
	s_and_saveexec_b64 s[36:37], s[4:5]
	s_cbranch_execnz .LBB857_227
.LBB857_160:
	s_or_b64 exec, exec, s[36:37]
	s_and_saveexec_b64 s[36:37], s[2:3]
	s_cbranch_execz .LBB857_162
.LBB857_161:
	v_sub_u32_e32 v10, v28, v8
	v_mov_b32_e32 v11, 0
	v_lshl_add_u64 v[10:11], v[10:11], 1, v[18:19]
	global_store_short_d16_hi v[10:11], v14, off
.LBB857_162:
	s_or_b64 exec, exec, s[36:37]
	s_and_b64 s[36:37], s[0:1], exec
	s_andn2_saveexec_b64 s[30:31], s[30:31]
	s_cbranch_execz .LBB857_100
.LBB857_163:
	v_sub_u32_e32 v10, v54, v8
	v_mov_b32_e32 v11, 0
	v_lshl_add_u64 v[20:21], v[10:11], 1, v[18:19]
	v_sub_u32_e32 v10, v52, v8
	global_store_short v[20:21], v2, off
	v_lshl_add_u64 v[20:21], v[10:11], 1, v[18:19]
	v_sub_u32_e32 v10, v50, v8
	global_store_short_d16_hi v[20:21], v2, off
	v_lshl_add_u64 v[20:21], v[10:11], 1, v[18:19]
	v_sub_u32_e32 v10, v48, v8
	global_store_short v[20:21], v3, off
	v_lshl_add_u64 v[20:21], v[10:11], 1, v[18:19]
	v_sub_u32_e32 v10, v46, v8
	global_store_short_d16_hi v[20:21], v3, off
	;; [unrolled: 6-line block ×6, first 2 shown]
	v_lshl_add_u64 v[20:21], v[10:11], 1, v[18:19]
	v_sub_u32_e32 v10, v28, v8
	v_lshl_add_u64 v[10:11], v[10:11], 1, v[18:19]
	s_or_b64 s[36:37], s[36:37], exec
	global_store_short v[20:21], v14, off
	global_store_short_d16_hi v[10:11], v14, off
	s_or_b64 exec, exec, s[30:31]
	s_and_b64 exec, exec, s[36:37]
	s_cbranch_execnz .LBB857_101
	s_branch .LBB857_102
.LBB857_164:
	s_and_saveexec_b64 s[36:37], s[28:29]
	s_cbranch_execnz .LBB857_228
; %bb.165:
	s_or_b64 exec, exec, s[36:37]
	s_and_saveexec_b64 s[28:29], s[26:27]
	s_cbranch_execnz .LBB857_229
.LBB857_166:
	s_or_b64 exec, exec, s[28:29]
	s_and_saveexec_b64 s[26:27], s[24:25]
	s_cbranch_execnz .LBB857_230
.LBB857_167:
	s_or_b64 exec, exec, s[26:27]
	s_and_saveexec_b64 s[24:25], s[22:23]
	s_cbranch_execnz .LBB857_231
.LBB857_168:
	s_or_b64 exec, exec, s[24:25]
	s_and_saveexec_b64 s[22:23], s[20:21]
	s_cbranch_execnz .LBB857_232
.LBB857_169:
	s_or_b64 exec, exec, s[22:23]
	s_and_saveexec_b64 s[20:21], s[18:19]
	s_cbranch_execnz .LBB857_233
.LBB857_170:
	s_or_b64 exec, exec, s[20:21]
	s_and_saveexec_b64 s[18:19], s[16:17]
	s_cbranch_execnz .LBB857_234
.LBB857_171:
	s_or_b64 exec, exec, s[18:19]
	s_and_saveexec_b64 s[16:17], s[14:15]
	s_cbranch_execnz .LBB857_235
.LBB857_172:
	s_or_b64 exec, exec, s[16:17]
	s_and_saveexec_b64 s[14:15], s[12:13]
	s_cbranch_execnz .LBB857_236
.LBB857_173:
	s_or_b64 exec, exec, s[14:15]
	s_and_saveexec_b64 s[12:13], s[10:11]
	s_cbranch_execnz .LBB857_237
.LBB857_174:
	s_or_b64 exec, exec, s[12:13]
	s_and_saveexec_b64 s[10:11], s[8:9]
	s_cbranch_execnz .LBB857_238
.LBB857_175:
	s_or_b64 exec, exec, s[10:11]
	s_and_saveexec_b64 s[8:9], s[6:7]
	s_cbranch_execnz .LBB857_239
.LBB857_176:
	s_or_b64 exec, exec, s[8:9]
	s_and_saveexec_b64 s[6:7], s[4:5]
	s_cbranch_execnz .LBB857_240
.LBB857_177:
	s_or_b64 exec, exec, s[6:7]
	s_and_saveexec_b64 s[4:5], s[2:3]
	s_cbranch_execz .LBB857_179
.LBB857_178:
	v_sub_u32_e32 v2, v28, v8
	v_lshlrev_b32_e32 v2, 1, v2
	ds_write_b16_d16_hi v2, v14
.LBB857_179:
	s_or_b64 exec, exec, s[4:5]
	s_and_b64 s[36:37], s[0:1], exec
                                        ; implicit-def: $vgpr2
                                        ; implicit-def: $vgpr12
	s_andn2_saveexec_b64 s[0:1], s[34:35]
	s_cbranch_execz .LBB857_107
.LBB857_180:
	v_sub_u32_e32 v7, v54, v8
	v_lshlrev_b32_e32 v7, 1, v7
	ds_write_b16 v7, v2
	v_sub_u32_e32 v7, v52, v8
	v_lshlrev_b32_e32 v7, 1, v7
	ds_write_b16_d16_hi v7, v2
	v_sub_u32_e32 v2, v50, v8
	v_lshlrev_b32_e32 v2, 1, v2
	ds_write_b16 v2, v3
	v_sub_u32_e32 v2, v48, v8
	v_lshlrev_b32_e32 v2, 1, v2
	ds_write_b16_d16_hi v2, v3
	;; [unrolled: 6-line block ×6, first 2 shown]
	v_sub_u32_e32 v2, v30, v8
	v_lshlrev_b32_e32 v2, 1, v2
	ds_write_b16 v2, v14
	v_sub_u32_e32 v2, v28, v8
	v_lshlrev_b32_e32 v2, 1, v2
	s_or_b64 s[36:37], s[36:37], exec
	ds_write_b16_d16_hi v2, v14
	s_or_b64 exec, exec, s[0:1]
	s_and_b64 exec, exec, s[36:37]
	s_cbranch_execnz .LBB857_108
	s_branch .LBB857_109
.LBB857_181:
	s_and_saveexec_b64 s[36:37], s[28:29]
	s_cbranch_execnz .LBB857_241
; %bb.182:
	s_or_b64 exec, exec, s[36:37]
	s_and_saveexec_b64 s[36:37], s[26:27]
	s_cbranch_execnz .LBB857_242
.LBB857_183:
	s_or_b64 exec, exec, s[36:37]
	s_and_saveexec_b64 s[36:37], s[24:25]
	s_cbranch_execnz .LBB857_243
.LBB857_184:
	s_or_b64 exec, exec, s[36:37]
	s_and_saveexec_b64 s[36:37], s[22:23]
	s_cbranch_execnz .LBB857_244
.LBB857_185:
	s_or_b64 exec, exec, s[36:37]
	s_and_saveexec_b64 s[36:37], s[20:21]
	s_cbranch_execnz .LBB857_245
.LBB857_186:
	s_or_b64 exec, exec, s[36:37]
	s_and_saveexec_b64 s[36:37], s[18:19]
	s_cbranch_execnz .LBB857_246
.LBB857_187:
	s_or_b64 exec, exec, s[36:37]
	s_and_saveexec_b64 s[36:37], s[16:17]
	s_cbranch_execnz .LBB857_247
.LBB857_188:
	s_or_b64 exec, exec, s[36:37]
	s_and_saveexec_b64 s[36:37], s[14:15]
	s_cbranch_execnz .LBB857_248
.LBB857_189:
	s_or_b64 exec, exec, s[36:37]
	s_and_saveexec_b64 s[36:37], s[12:13]
	s_cbranch_execnz .LBB857_249
.LBB857_190:
	s_or_b64 exec, exec, s[36:37]
	s_and_saveexec_b64 s[36:37], s[10:11]
	s_cbranch_execnz .LBB857_250
.LBB857_191:
	s_or_b64 exec, exec, s[36:37]
	s_and_saveexec_b64 s[36:37], s[8:9]
	s_cbranch_execnz .LBB857_251
.LBB857_192:
	s_or_b64 exec, exec, s[36:37]
	s_and_saveexec_b64 s[36:37], s[6:7]
	s_cbranch_execnz .LBB857_252
.LBB857_193:
	s_or_b64 exec, exec, s[36:37]
	s_and_saveexec_b64 s[36:37], s[4:5]
	s_cbranch_execnz .LBB857_253
.LBB857_194:
	s_or_b64 exec, exec, s[36:37]
	s_and_saveexec_b64 s[36:37], s[2:3]
	s_cbranch_execz .LBB857_196
.LBB857_195:
	v_sub_u32_e32 v12, v28, v7
	v_mov_b32_e32 v13, 0
	v_lshl_add_u64 v[14:15], v[12:13], 3, v[4:5]
	v_mov_b32_e32 v12, v29
	global_store_dwordx2 v[14:15], v[12:13], off
.LBB857_196:
	s_or_b64 exec, exec, s[36:37]
	s_and_b64 s[36:37], s[0:1], exec
	s_andn2_saveexec_b64 s[30:31], s[30:31]
	s_cbranch_execz .LBB857_129
.LBB857_197:
	v_mov_b32_e32 v13, 0
	v_sub_u32_e32 v14, v54, v7
	v_mov_b32_e32 v15, v13
	v_mov_b32_e32 v12, v55
	v_lshl_add_u64 v[14:15], v[14:15], 3, v[4:5]
	global_store_dwordx2 v[14:15], v[12:13], off
	v_sub_u32_e32 v14, v52, v7
	v_mov_b32_e32 v15, v13
	v_mov_b32_e32 v12, v53
	v_lshl_add_u64 v[14:15], v[14:15], 3, v[4:5]
	global_store_dwordx2 v[14:15], v[12:13], off
	v_sub_u32_e32 v14, v50, v7
	v_mov_b32_e32 v15, v13
	v_mov_b32_e32 v12, v51
	v_lshl_add_u64 v[14:15], v[14:15], 3, v[4:5]
	global_store_dwordx2 v[14:15], v[12:13], off
	v_sub_u32_e32 v14, v48, v7
	v_mov_b32_e32 v15, v13
	v_mov_b32_e32 v12, v49
	v_lshl_add_u64 v[14:15], v[14:15], 3, v[4:5]
	global_store_dwordx2 v[14:15], v[12:13], off
	v_sub_u32_e32 v14, v46, v7
	v_mov_b32_e32 v15, v13
	v_mov_b32_e32 v12, v47
	v_lshl_add_u64 v[14:15], v[14:15], 3, v[4:5]
	global_store_dwordx2 v[14:15], v[12:13], off
	v_sub_u32_e32 v14, v44, v7
	v_mov_b32_e32 v15, v13
	v_mov_b32_e32 v12, v45
	v_lshl_add_u64 v[14:15], v[14:15], 3, v[4:5]
	global_store_dwordx2 v[14:15], v[12:13], off
	v_sub_u32_e32 v14, v42, v7
	v_mov_b32_e32 v15, v13
	v_mov_b32_e32 v12, v43
	v_lshl_add_u64 v[14:15], v[14:15], 3, v[4:5]
	global_store_dwordx2 v[14:15], v[12:13], off
	v_sub_u32_e32 v14, v40, v7
	v_mov_b32_e32 v15, v13
	v_mov_b32_e32 v12, v41
	v_lshl_add_u64 v[14:15], v[14:15], 3, v[4:5]
	global_store_dwordx2 v[14:15], v[12:13], off
	v_sub_u32_e32 v14, v38, v7
	v_mov_b32_e32 v15, v13
	v_mov_b32_e32 v12, v39
	v_lshl_add_u64 v[14:15], v[14:15], 3, v[4:5]
	global_store_dwordx2 v[14:15], v[12:13], off
	v_sub_u32_e32 v14, v36, v7
	v_mov_b32_e32 v15, v13
	v_mov_b32_e32 v12, v37
	v_lshl_add_u64 v[14:15], v[14:15], 3, v[4:5]
	global_store_dwordx2 v[14:15], v[12:13], off
	v_sub_u32_e32 v14, v34, v7
	v_mov_b32_e32 v15, v13
	v_mov_b32_e32 v12, v35
	v_lshl_add_u64 v[14:15], v[14:15], 3, v[4:5]
	global_store_dwordx2 v[14:15], v[12:13], off
	v_sub_u32_e32 v14, v32, v7
	v_mov_b32_e32 v15, v13
	v_mov_b32_e32 v12, v33
	v_lshl_add_u64 v[14:15], v[14:15], 3, v[4:5]
	global_store_dwordx2 v[14:15], v[12:13], off
	v_sub_u32_e32 v14, v30, v7
	v_mov_b32_e32 v15, v13
	v_mov_b32_e32 v12, v31
	v_lshl_add_u64 v[14:15], v[14:15], 3, v[4:5]
	global_store_dwordx2 v[14:15], v[12:13], off
	v_sub_u32_e32 v14, v28, v7
	v_mov_b32_e32 v15, v13
	v_mov_b32_e32 v12, v29
	v_lshl_add_u64 v[14:15], v[14:15], 3, v[4:5]
	s_or_b64 s[36:37], s[36:37], exec
	global_store_dwordx2 v[14:15], v[12:13], off
	s_or_b64 exec, exec, s[30:31]
	s_and_b64 exec, exec, s[36:37]
	s_cbranch_execnz .LBB857_130
	s_branch .LBB857_131
.LBB857_198:
	s_and_saveexec_b64 s[36:37], s[28:29]
	s_cbranch_execnz .LBB857_254
; %bb.199:
	s_or_b64 exec, exec, s[36:37]
	s_and_saveexec_b64 s[28:29], s[26:27]
	s_cbranch_execnz .LBB857_255
.LBB857_200:
	s_or_b64 exec, exec, s[28:29]
	s_and_saveexec_b64 s[26:27], s[24:25]
	s_cbranch_execnz .LBB857_256
.LBB857_201:
	s_or_b64 exec, exec, s[26:27]
	s_and_saveexec_b64 s[24:25], s[22:23]
	s_cbranch_execnz .LBB857_257
.LBB857_202:
	s_or_b64 exec, exec, s[24:25]
	s_and_saveexec_b64 s[22:23], s[20:21]
	s_cbranch_execnz .LBB857_258
.LBB857_203:
	s_or_b64 exec, exec, s[22:23]
	s_and_saveexec_b64 s[20:21], s[18:19]
	s_cbranch_execnz .LBB857_259
.LBB857_204:
	s_or_b64 exec, exec, s[20:21]
	s_and_saveexec_b64 s[18:19], s[16:17]
	s_cbranch_execnz .LBB857_260
.LBB857_205:
	s_or_b64 exec, exec, s[18:19]
	s_and_saveexec_b64 s[16:17], s[14:15]
	s_cbranch_execnz .LBB857_261
.LBB857_206:
	s_or_b64 exec, exec, s[16:17]
	s_and_saveexec_b64 s[14:15], s[12:13]
	s_cbranch_execnz .LBB857_262
.LBB857_207:
	s_or_b64 exec, exec, s[14:15]
	s_and_saveexec_b64 s[12:13], s[10:11]
	s_cbranch_execnz .LBB857_263
.LBB857_208:
	s_or_b64 exec, exec, s[12:13]
	s_and_saveexec_b64 s[10:11], s[8:9]
	s_cbranch_execnz .LBB857_264
.LBB857_209:
	s_or_b64 exec, exec, s[10:11]
	s_and_saveexec_b64 s[8:9], s[6:7]
	s_cbranch_execnz .LBB857_265
.LBB857_210:
	s_or_b64 exec, exec, s[8:9]
	s_and_saveexec_b64 s[6:7], s[4:5]
	s_cbranch_execnz .LBB857_266
.LBB857_211:
	s_or_b64 exec, exec, s[6:7]
	s_and_saveexec_b64 s[4:5], s[2:3]
	s_cbranch_execz .LBB857_213
.LBB857_212:
	v_sub_u32_e32 v10, v28, v7
	v_lshlrev_b32_e32 v10, 2, v10
	ds_write_b32 v10, v29
.LBB857_213:
	s_or_b64 exec, exec, s[4:5]
	s_and_b64 s[36:37], s[0:1], exec
                                        ; implicit-def: $vgpr54_vgpr55
                                        ; implicit-def: $vgpr52_vgpr53
                                        ; implicit-def: $vgpr50_vgpr51
                                        ; implicit-def: $vgpr48_vgpr49
                                        ; implicit-def: $vgpr46_vgpr47
                                        ; implicit-def: $vgpr44_vgpr45
                                        ; implicit-def: $vgpr42_vgpr43
                                        ; implicit-def: $vgpr40_vgpr41
                                        ; implicit-def: $vgpr38_vgpr39
                                        ; implicit-def: $vgpr36_vgpr37
                                        ; implicit-def: $vgpr34_vgpr35
                                        ; implicit-def: $vgpr32_vgpr33
                                        ; implicit-def: $vgpr30_vgpr31
                                        ; implicit-def: $vgpr28_vgpr29
	s_andn2_saveexec_b64 s[0:1], s[34:35]
	s_cbranch_execz .LBB857_136
.LBB857_214:
	v_sub_u32_e32 v10, v54, v7
	v_lshlrev_b32_e32 v10, 2, v10
	ds_write_b32 v10, v55
	v_sub_u32_e32 v10, v52, v7
	v_lshlrev_b32_e32 v10, 2, v10
	ds_write_b32 v10, v53
	;; [unrolled: 3-line block ×13, first 2 shown]
	v_sub_u32_e32 v10, v28, v7
	v_lshlrev_b32_e32 v10, 2, v10
	s_or_b64 s[36:37], s[36:37], exec
	ds_write_b32 v10, v29
	s_or_b64 exec, exec, s[0:1]
	s_and_b64 exec, exec, s[36:37]
	s_cbranch_execnz .LBB857_137
	s_branch .LBB857_138
.LBB857_215:
	v_sub_u32_e32 v10, v54, v8
	v_mov_b32_e32 v11, 0
	v_lshl_add_u64 v[10:11], v[10:11], 1, v[18:19]
	global_store_short v[10:11], v2, off
	s_or_b64 exec, exec, s[36:37]
	s_and_saveexec_b64 s[36:37], s[26:27]
	s_cbranch_execz .LBB857_149
.LBB857_216:
	v_sub_u32_e32 v10, v52, v8
	v_mov_b32_e32 v11, 0
	v_lshl_add_u64 v[10:11], v[10:11], 1, v[18:19]
	global_store_short_d16_hi v[10:11], v2, off
	s_or_b64 exec, exec, s[36:37]
	s_and_saveexec_b64 s[36:37], s[24:25]
	s_cbranch_execz .LBB857_150
.LBB857_217:
	v_sub_u32_e32 v10, v50, v8
	v_mov_b32_e32 v11, 0
	v_lshl_add_u64 v[10:11], v[10:11], 1, v[18:19]
	global_store_short v[10:11], v3, off
	s_or_b64 exec, exec, s[36:37]
	s_and_saveexec_b64 s[36:37], s[22:23]
	s_cbranch_execz .LBB857_151
.LBB857_218:
	v_sub_u32_e32 v10, v48, v8
	v_mov_b32_e32 v11, 0
	v_lshl_add_u64 v[10:11], v[10:11], 1, v[18:19]
	global_store_short_d16_hi v[10:11], v3, off
	s_or_b64 exec, exec, s[36:37]
	s_and_saveexec_b64 s[36:37], s[20:21]
	s_cbranch_execz .LBB857_152
.LBB857_219:
	v_sub_u32_e32 v10, v46, v8
	v_mov_b32_e32 v11, 0
	v_lshl_add_u64 v[10:11], v[10:11], 1, v[18:19]
	global_store_short v[10:11], v4, off
	s_or_b64 exec, exec, s[36:37]
	s_and_saveexec_b64 s[36:37], s[18:19]
	s_cbranch_execz .LBB857_153
.LBB857_220:
	v_sub_u32_e32 v10, v44, v8
	v_mov_b32_e32 v11, 0
	v_lshl_add_u64 v[10:11], v[10:11], 1, v[18:19]
	global_store_short_d16_hi v[10:11], v4, off
	s_or_b64 exec, exec, s[36:37]
	s_and_saveexec_b64 s[36:37], s[16:17]
	s_cbranch_execz .LBB857_154
.LBB857_221:
	v_sub_u32_e32 v10, v42, v8
	v_mov_b32_e32 v11, 0
	v_lshl_add_u64 v[10:11], v[10:11], 1, v[18:19]
	global_store_short v[10:11], v5, off
	s_or_b64 exec, exec, s[36:37]
	s_and_saveexec_b64 s[36:37], s[14:15]
	s_cbranch_execz .LBB857_155
.LBB857_222:
	v_sub_u32_e32 v10, v40, v8
	v_mov_b32_e32 v11, 0
	v_lshl_add_u64 v[10:11], v[10:11], 1, v[18:19]
	global_store_short_d16_hi v[10:11], v5, off
	s_or_b64 exec, exec, s[36:37]
	s_and_saveexec_b64 s[36:37], s[12:13]
	s_cbranch_execz .LBB857_156
.LBB857_223:
	v_sub_u32_e32 v10, v38, v8
	v_mov_b32_e32 v11, 0
	v_lshl_add_u64 v[10:11], v[10:11], 1, v[18:19]
	global_store_short v[10:11], v12, off
	s_or_b64 exec, exec, s[36:37]
	s_and_saveexec_b64 s[36:37], s[10:11]
	s_cbranch_execz .LBB857_157
.LBB857_224:
	v_sub_u32_e32 v10, v36, v8
	v_mov_b32_e32 v11, 0
	v_lshl_add_u64 v[10:11], v[10:11], 1, v[18:19]
	global_store_short_d16_hi v[10:11], v12, off
	s_or_b64 exec, exec, s[36:37]
	s_and_saveexec_b64 s[36:37], s[8:9]
	s_cbranch_execz .LBB857_158
.LBB857_225:
	v_sub_u32_e32 v10, v34, v8
	v_mov_b32_e32 v11, 0
	v_lshl_add_u64 v[10:11], v[10:11], 1, v[18:19]
	global_store_short v[10:11], v13, off
	s_or_b64 exec, exec, s[36:37]
	s_and_saveexec_b64 s[36:37], s[6:7]
	s_cbranch_execz .LBB857_159
.LBB857_226:
	v_sub_u32_e32 v10, v32, v8
	v_mov_b32_e32 v11, 0
	v_lshl_add_u64 v[10:11], v[10:11], 1, v[18:19]
	global_store_short_d16_hi v[10:11], v13, off
	s_or_b64 exec, exec, s[36:37]
	s_and_saveexec_b64 s[36:37], s[4:5]
	s_cbranch_execz .LBB857_160
.LBB857_227:
	v_sub_u32_e32 v10, v30, v8
	v_mov_b32_e32 v11, 0
	v_lshl_add_u64 v[10:11], v[10:11], 1, v[18:19]
	global_store_short v[10:11], v14, off
	s_or_b64 exec, exec, s[36:37]
	s_and_saveexec_b64 s[36:37], s[2:3]
	s_cbranch_execnz .LBB857_161
	s_branch .LBB857_162
.LBB857_228:
	v_sub_u32_e32 v7, v54, v8
	v_lshlrev_b32_e32 v7, 1, v7
	ds_write_b16 v7, v2
	s_or_b64 exec, exec, s[36:37]
	s_and_saveexec_b64 s[28:29], s[26:27]
	s_cbranch_execz .LBB857_166
.LBB857_229:
	v_sub_u32_e32 v7, v52, v8
	v_lshlrev_b32_e32 v7, 1, v7
	ds_write_b16_d16_hi v7, v2
	s_or_b64 exec, exec, s[28:29]
	s_and_saveexec_b64 s[26:27], s[24:25]
	s_cbranch_execz .LBB857_167
.LBB857_230:
	v_sub_u32_e32 v2, v50, v8
	v_lshlrev_b32_e32 v2, 1, v2
	ds_write_b16 v2, v3
	s_or_b64 exec, exec, s[26:27]
	s_and_saveexec_b64 s[24:25], s[22:23]
	s_cbranch_execz .LBB857_168
.LBB857_231:
	v_sub_u32_e32 v2, v48, v8
	v_lshlrev_b32_e32 v2, 1, v2
	ds_write_b16_d16_hi v2, v3
	s_or_b64 exec, exec, s[24:25]
	s_and_saveexec_b64 s[22:23], s[20:21]
	s_cbranch_execz .LBB857_169
.LBB857_232:
	v_sub_u32_e32 v2, v46, v8
	v_lshlrev_b32_e32 v2, 1, v2
	ds_write_b16 v2, v4
	s_or_b64 exec, exec, s[22:23]
	s_and_saveexec_b64 s[20:21], s[18:19]
	s_cbranch_execz .LBB857_170
.LBB857_233:
	v_sub_u32_e32 v2, v44, v8
	v_lshlrev_b32_e32 v2, 1, v2
	ds_write_b16_d16_hi v2, v4
	s_or_b64 exec, exec, s[20:21]
	s_and_saveexec_b64 s[18:19], s[16:17]
	s_cbranch_execz .LBB857_171
.LBB857_234:
	v_sub_u32_e32 v2, v42, v8
	v_lshlrev_b32_e32 v2, 1, v2
	ds_write_b16 v2, v5
	s_or_b64 exec, exec, s[18:19]
	s_and_saveexec_b64 s[16:17], s[14:15]
	s_cbranch_execz .LBB857_172
.LBB857_235:
	v_sub_u32_e32 v2, v40, v8
	v_lshlrev_b32_e32 v2, 1, v2
	ds_write_b16_d16_hi v2, v5
	s_or_b64 exec, exec, s[16:17]
	s_and_saveexec_b64 s[14:15], s[12:13]
	s_cbranch_execz .LBB857_173
.LBB857_236:
	v_sub_u32_e32 v2, v38, v8
	v_lshlrev_b32_e32 v2, 1, v2
	ds_write_b16 v2, v12
	s_or_b64 exec, exec, s[14:15]
	s_and_saveexec_b64 s[12:13], s[10:11]
	s_cbranch_execz .LBB857_174
.LBB857_237:
	v_sub_u32_e32 v2, v36, v8
	v_lshlrev_b32_e32 v2, 1, v2
	ds_write_b16_d16_hi v2, v12
	s_or_b64 exec, exec, s[12:13]
	s_and_saveexec_b64 s[10:11], s[8:9]
	s_cbranch_execz .LBB857_175
.LBB857_238:
	v_sub_u32_e32 v2, v34, v8
	v_lshlrev_b32_e32 v2, 1, v2
	ds_write_b16 v2, v13
	s_or_b64 exec, exec, s[10:11]
	s_and_saveexec_b64 s[8:9], s[6:7]
	s_cbranch_execz .LBB857_176
.LBB857_239:
	v_sub_u32_e32 v2, v32, v8
	v_lshlrev_b32_e32 v2, 1, v2
	ds_write_b16_d16_hi v2, v13
	s_or_b64 exec, exec, s[8:9]
	s_and_saveexec_b64 s[6:7], s[4:5]
	s_cbranch_execz .LBB857_177
.LBB857_240:
	v_sub_u32_e32 v2, v30, v8
	v_lshlrev_b32_e32 v2, 1, v2
	ds_write_b16 v2, v14
	s_or_b64 exec, exec, s[6:7]
	s_and_saveexec_b64 s[4:5], s[2:3]
	s_cbranch_execnz .LBB857_178
	s_branch .LBB857_179
.LBB857_241:
	v_sub_u32_e32 v12, v54, v7
	v_mov_b32_e32 v13, 0
	v_lshl_add_u64 v[14:15], v[12:13], 3, v[4:5]
	v_mov_b32_e32 v12, v55
	global_store_dwordx2 v[14:15], v[12:13], off
	s_or_b64 exec, exec, s[36:37]
	s_and_saveexec_b64 s[36:37], s[26:27]
	s_cbranch_execz .LBB857_183
.LBB857_242:
	v_sub_u32_e32 v12, v52, v7
	v_mov_b32_e32 v13, 0
	v_lshl_add_u64 v[14:15], v[12:13], 3, v[4:5]
	v_mov_b32_e32 v12, v53
	global_store_dwordx2 v[14:15], v[12:13], off
	s_or_b64 exec, exec, s[36:37]
	s_and_saveexec_b64 s[36:37], s[24:25]
	s_cbranch_execz .LBB857_184
.LBB857_243:
	v_sub_u32_e32 v12, v50, v7
	v_mov_b32_e32 v13, 0
	v_lshl_add_u64 v[14:15], v[12:13], 3, v[4:5]
	v_mov_b32_e32 v12, v51
	global_store_dwordx2 v[14:15], v[12:13], off
	s_or_b64 exec, exec, s[36:37]
	s_and_saveexec_b64 s[36:37], s[22:23]
	s_cbranch_execz .LBB857_185
.LBB857_244:
	v_sub_u32_e32 v12, v48, v7
	v_mov_b32_e32 v13, 0
	v_lshl_add_u64 v[14:15], v[12:13], 3, v[4:5]
	v_mov_b32_e32 v12, v49
	global_store_dwordx2 v[14:15], v[12:13], off
	s_or_b64 exec, exec, s[36:37]
	s_and_saveexec_b64 s[36:37], s[20:21]
	s_cbranch_execz .LBB857_186
.LBB857_245:
	v_sub_u32_e32 v12, v46, v7
	v_mov_b32_e32 v13, 0
	v_lshl_add_u64 v[14:15], v[12:13], 3, v[4:5]
	v_mov_b32_e32 v12, v47
	global_store_dwordx2 v[14:15], v[12:13], off
	s_or_b64 exec, exec, s[36:37]
	s_and_saveexec_b64 s[36:37], s[18:19]
	s_cbranch_execz .LBB857_187
.LBB857_246:
	v_sub_u32_e32 v12, v44, v7
	v_mov_b32_e32 v13, 0
	v_lshl_add_u64 v[14:15], v[12:13], 3, v[4:5]
	v_mov_b32_e32 v12, v45
	global_store_dwordx2 v[14:15], v[12:13], off
	s_or_b64 exec, exec, s[36:37]
	s_and_saveexec_b64 s[36:37], s[16:17]
	s_cbranch_execz .LBB857_188
.LBB857_247:
	v_sub_u32_e32 v12, v42, v7
	v_mov_b32_e32 v13, 0
	v_lshl_add_u64 v[14:15], v[12:13], 3, v[4:5]
	v_mov_b32_e32 v12, v43
	global_store_dwordx2 v[14:15], v[12:13], off
	s_or_b64 exec, exec, s[36:37]
	s_and_saveexec_b64 s[36:37], s[14:15]
	s_cbranch_execz .LBB857_189
.LBB857_248:
	v_sub_u32_e32 v12, v40, v7
	v_mov_b32_e32 v13, 0
	v_lshl_add_u64 v[14:15], v[12:13], 3, v[4:5]
	v_mov_b32_e32 v12, v41
	global_store_dwordx2 v[14:15], v[12:13], off
	s_or_b64 exec, exec, s[36:37]
	s_and_saveexec_b64 s[36:37], s[12:13]
	s_cbranch_execz .LBB857_190
.LBB857_249:
	v_sub_u32_e32 v12, v38, v7
	v_mov_b32_e32 v13, 0
	v_lshl_add_u64 v[14:15], v[12:13], 3, v[4:5]
	v_mov_b32_e32 v12, v39
	global_store_dwordx2 v[14:15], v[12:13], off
	s_or_b64 exec, exec, s[36:37]
	s_and_saveexec_b64 s[36:37], s[10:11]
	s_cbranch_execz .LBB857_191
.LBB857_250:
	v_sub_u32_e32 v12, v36, v7
	v_mov_b32_e32 v13, 0
	v_lshl_add_u64 v[14:15], v[12:13], 3, v[4:5]
	v_mov_b32_e32 v12, v37
	global_store_dwordx2 v[14:15], v[12:13], off
	s_or_b64 exec, exec, s[36:37]
	s_and_saveexec_b64 s[36:37], s[8:9]
	s_cbranch_execz .LBB857_192
.LBB857_251:
	v_sub_u32_e32 v12, v34, v7
	v_mov_b32_e32 v13, 0
	v_lshl_add_u64 v[14:15], v[12:13], 3, v[4:5]
	v_mov_b32_e32 v12, v35
	global_store_dwordx2 v[14:15], v[12:13], off
	s_or_b64 exec, exec, s[36:37]
	s_and_saveexec_b64 s[36:37], s[6:7]
	s_cbranch_execz .LBB857_193
.LBB857_252:
	v_sub_u32_e32 v12, v32, v7
	v_mov_b32_e32 v13, 0
	v_lshl_add_u64 v[14:15], v[12:13], 3, v[4:5]
	v_mov_b32_e32 v12, v33
	global_store_dwordx2 v[14:15], v[12:13], off
	s_or_b64 exec, exec, s[36:37]
	s_and_saveexec_b64 s[36:37], s[4:5]
	s_cbranch_execz .LBB857_194
.LBB857_253:
	v_sub_u32_e32 v12, v30, v7
	v_mov_b32_e32 v13, 0
	v_lshl_add_u64 v[14:15], v[12:13], 3, v[4:5]
	v_mov_b32_e32 v12, v31
	global_store_dwordx2 v[14:15], v[12:13], off
	s_or_b64 exec, exec, s[36:37]
	s_and_saveexec_b64 s[36:37], s[2:3]
	s_cbranch_execnz .LBB857_195
	s_branch .LBB857_196
.LBB857_254:
	v_sub_u32_e32 v10, v54, v7
	v_lshlrev_b32_e32 v10, 2, v10
	ds_write_b32 v10, v55
	s_or_b64 exec, exec, s[36:37]
	s_and_saveexec_b64 s[28:29], s[26:27]
	s_cbranch_execz .LBB857_200
.LBB857_255:
	v_sub_u32_e32 v10, v52, v7
	v_lshlrev_b32_e32 v10, 2, v10
	ds_write_b32 v10, v53
	s_or_b64 exec, exec, s[28:29]
	s_and_saveexec_b64 s[26:27], s[24:25]
	s_cbranch_execz .LBB857_201
.LBB857_256:
	v_sub_u32_e32 v10, v50, v7
	v_lshlrev_b32_e32 v10, 2, v10
	ds_write_b32 v10, v51
	s_or_b64 exec, exec, s[26:27]
	s_and_saveexec_b64 s[24:25], s[22:23]
	s_cbranch_execz .LBB857_202
.LBB857_257:
	v_sub_u32_e32 v10, v48, v7
	v_lshlrev_b32_e32 v10, 2, v10
	ds_write_b32 v10, v49
	s_or_b64 exec, exec, s[24:25]
	s_and_saveexec_b64 s[22:23], s[20:21]
	s_cbranch_execz .LBB857_203
.LBB857_258:
	v_sub_u32_e32 v10, v46, v7
	v_lshlrev_b32_e32 v10, 2, v10
	ds_write_b32 v10, v47
	s_or_b64 exec, exec, s[22:23]
	s_and_saveexec_b64 s[20:21], s[18:19]
	s_cbranch_execz .LBB857_204
.LBB857_259:
	v_sub_u32_e32 v10, v44, v7
	v_lshlrev_b32_e32 v10, 2, v10
	ds_write_b32 v10, v45
	s_or_b64 exec, exec, s[20:21]
	s_and_saveexec_b64 s[18:19], s[16:17]
	s_cbranch_execz .LBB857_205
.LBB857_260:
	v_sub_u32_e32 v10, v42, v7
	v_lshlrev_b32_e32 v10, 2, v10
	ds_write_b32 v10, v43
	s_or_b64 exec, exec, s[18:19]
	s_and_saveexec_b64 s[16:17], s[14:15]
	s_cbranch_execz .LBB857_206
.LBB857_261:
	v_sub_u32_e32 v10, v40, v7
	v_lshlrev_b32_e32 v10, 2, v10
	ds_write_b32 v10, v41
	s_or_b64 exec, exec, s[16:17]
	s_and_saveexec_b64 s[14:15], s[12:13]
	s_cbranch_execz .LBB857_207
.LBB857_262:
	v_sub_u32_e32 v10, v38, v7
	v_lshlrev_b32_e32 v10, 2, v10
	ds_write_b32 v10, v39
	s_or_b64 exec, exec, s[14:15]
	s_and_saveexec_b64 s[12:13], s[10:11]
	s_cbranch_execz .LBB857_208
.LBB857_263:
	v_sub_u32_e32 v10, v36, v7
	v_lshlrev_b32_e32 v10, 2, v10
	ds_write_b32 v10, v37
	s_or_b64 exec, exec, s[12:13]
	s_and_saveexec_b64 s[10:11], s[8:9]
	s_cbranch_execz .LBB857_209
.LBB857_264:
	v_sub_u32_e32 v10, v34, v7
	v_lshlrev_b32_e32 v10, 2, v10
	ds_write_b32 v10, v35
	s_or_b64 exec, exec, s[10:11]
	s_and_saveexec_b64 s[8:9], s[6:7]
	s_cbranch_execz .LBB857_210
.LBB857_265:
	v_sub_u32_e32 v10, v32, v7
	v_lshlrev_b32_e32 v10, 2, v10
	ds_write_b32 v10, v33
	s_or_b64 exec, exec, s[8:9]
	s_and_saveexec_b64 s[6:7], s[4:5]
	s_cbranch_execz .LBB857_211
.LBB857_266:
	v_sub_u32_e32 v10, v30, v7
	v_lshlrev_b32_e32 v10, 2, v10
	ds_write_b32 v10, v31
	s_or_b64 exec, exec, s[6:7]
	s_and_saveexec_b64 s[4:5], s[2:3]
	s_cbranch_execnz .LBB857_212
	s_branch .LBB857_213
	.section	.rodata,"a",@progbits
	.p2align	6, 0x0
	.amdhsa_kernel _ZN7rocprim17ROCPRIM_400000_NS6detail17trampoline_kernelINS0_14default_configENS1_33run_length_encode_config_selectorIN3c108BFloat16EjNS0_4plusIjEEEEZZNS1_33reduce_by_key_impl_wrapped_configILNS1_25lookback_scan_determinismE0ES3_S9_PKS6_NS0_17constant_iteratorIjlEEPS6_PlSH_S8_NS0_8equal_toIS6_EEEE10hipError_tPvRmT2_T3_mT4_T5_T6_T7_T8_P12ihipStream_tbENKUlT_T0_E_clISt17integral_constantIbLb0EES11_EEDaSW_SX_EUlSW_E_NS1_11comp_targetILNS1_3genE5ELNS1_11target_archE942ELNS1_3gpuE9ELNS1_3repE0EEENS1_30default_config_static_selectorELNS0_4arch9wavefront6targetE1EEEvT1_
		.amdhsa_group_segment_fixed_size 15360
		.amdhsa_private_segment_fixed_size 0
		.amdhsa_kernarg_size 128
		.amdhsa_user_sgpr_count 2
		.amdhsa_user_sgpr_dispatch_ptr 0
		.amdhsa_user_sgpr_queue_ptr 0
		.amdhsa_user_sgpr_kernarg_segment_ptr 1
		.amdhsa_user_sgpr_dispatch_id 0
		.amdhsa_user_sgpr_kernarg_preload_length 0
		.amdhsa_user_sgpr_kernarg_preload_offset 0
		.amdhsa_user_sgpr_private_segment_size 0
		.amdhsa_uses_dynamic_stack 0
		.amdhsa_enable_private_segment 0
		.amdhsa_system_sgpr_workgroup_id_x 1
		.amdhsa_system_sgpr_workgroup_id_y 0
		.amdhsa_system_sgpr_workgroup_id_z 0
		.amdhsa_system_sgpr_workgroup_info 0
		.amdhsa_system_vgpr_workitem_id 0
		.amdhsa_next_free_vgpr 108
		.amdhsa_next_free_sgpr 64
		.amdhsa_accum_offset 108
		.amdhsa_reserve_vcc 1
		.amdhsa_float_round_mode_32 0
		.amdhsa_float_round_mode_16_64 0
		.amdhsa_float_denorm_mode_32 3
		.amdhsa_float_denorm_mode_16_64 3
		.amdhsa_dx10_clamp 1
		.amdhsa_ieee_mode 1
		.amdhsa_fp16_overflow 0
		.amdhsa_tg_split 0
		.amdhsa_exception_fp_ieee_invalid_op 0
		.amdhsa_exception_fp_denorm_src 0
		.amdhsa_exception_fp_ieee_div_zero 0
		.amdhsa_exception_fp_ieee_overflow 0
		.amdhsa_exception_fp_ieee_underflow 0
		.amdhsa_exception_fp_ieee_inexact 0
		.amdhsa_exception_int_div_zero 0
	.end_amdhsa_kernel
	.section	.text._ZN7rocprim17ROCPRIM_400000_NS6detail17trampoline_kernelINS0_14default_configENS1_33run_length_encode_config_selectorIN3c108BFloat16EjNS0_4plusIjEEEEZZNS1_33reduce_by_key_impl_wrapped_configILNS1_25lookback_scan_determinismE0ES3_S9_PKS6_NS0_17constant_iteratorIjlEEPS6_PlSH_S8_NS0_8equal_toIS6_EEEE10hipError_tPvRmT2_T3_mT4_T5_T6_T7_T8_P12ihipStream_tbENKUlT_T0_E_clISt17integral_constantIbLb0EES11_EEDaSW_SX_EUlSW_E_NS1_11comp_targetILNS1_3genE5ELNS1_11target_archE942ELNS1_3gpuE9ELNS1_3repE0EEENS1_30default_config_static_selectorELNS0_4arch9wavefront6targetE1EEEvT1_,"axG",@progbits,_ZN7rocprim17ROCPRIM_400000_NS6detail17trampoline_kernelINS0_14default_configENS1_33run_length_encode_config_selectorIN3c108BFloat16EjNS0_4plusIjEEEEZZNS1_33reduce_by_key_impl_wrapped_configILNS1_25lookback_scan_determinismE0ES3_S9_PKS6_NS0_17constant_iteratorIjlEEPS6_PlSH_S8_NS0_8equal_toIS6_EEEE10hipError_tPvRmT2_T3_mT4_T5_T6_T7_T8_P12ihipStream_tbENKUlT_T0_E_clISt17integral_constantIbLb0EES11_EEDaSW_SX_EUlSW_E_NS1_11comp_targetILNS1_3genE5ELNS1_11target_archE942ELNS1_3gpuE9ELNS1_3repE0EEENS1_30default_config_static_selectorELNS0_4arch9wavefront6targetE1EEEvT1_,comdat
.Lfunc_end857:
	.size	_ZN7rocprim17ROCPRIM_400000_NS6detail17trampoline_kernelINS0_14default_configENS1_33run_length_encode_config_selectorIN3c108BFloat16EjNS0_4plusIjEEEEZZNS1_33reduce_by_key_impl_wrapped_configILNS1_25lookback_scan_determinismE0ES3_S9_PKS6_NS0_17constant_iteratorIjlEEPS6_PlSH_S8_NS0_8equal_toIS6_EEEE10hipError_tPvRmT2_T3_mT4_T5_T6_T7_T8_P12ihipStream_tbENKUlT_T0_E_clISt17integral_constantIbLb0EES11_EEDaSW_SX_EUlSW_E_NS1_11comp_targetILNS1_3genE5ELNS1_11target_archE942ELNS1_3gpuE9ELNS1_3repE0EEENS1_30default_config_static_selectorELNS0_4arch9wavefront6targetE1EEEvT1_, .Lfunc_end857-_ZN7rocprim17ROCPRIM_400000_NS6detail17trampoline_kernelINS0_14default_configENS1_33run_length_encode_config_selectorIN3c108BFloat16EjNS0_4plusIjEEEEZZNS1_33reduce_by_key_impl_wrapped_configILNS1_25lookback_scan_determinismE0ES3_S9_PKS6_NS0_17constant_iteratorIjlEEPS6_PlSH_S8_NS0_8equal_toIS6_EEEE10hipError_tPvRmT2_T3_mT4_T5_T6_T7_T8_P12ihipStream_tbENKUlT_T0_E_clISt17integral_constantIbLb0EES11_EEDaSW_SX_EUlSW_E_NS1_11comp_targetILNS1_3genE5ELNS1_11target_archE942ELNS1_3gpuE9ELNS1_3repE0EEENS1_30default_config_static_selectorELNS0_4arch9wavefront6targetE1EEEvT1_
                                        ; -- End function
	.section	.AMDGPU.csdata,"",@progbits
; Kernel info:
; codeLenInByte = 15360
; NumSgprs: 70
; NumVgprs: 108
; NumAgprs: 0
; TotalNumVgprs: 108
; ScratchSize: 0
; MemoryBound: 0
; FloatMode: 240
; IeeeMode: 1
; LDSByteSize: 15360 bytes/workgroup (compile time only)
; SGPRBlocks: 8
; VGPRBlocks: 13
; NumSGPRsForWavesPerEU: 70
; NumVGPRsForWavesPerEU: 108
; AccumOffset: 108
; Occupancy: 4
; WaveLimiterHint : 1
; COMPUTE_PGM_RSRC2:SCRATCH_EN: 0
; COMPUTE_PGM_RSRC2:USER_SGPR: 2
; COMPUTE_PGM_RSRC2:TRAP_HANDLER: 0
; COMPUTE_PGM_RSRC2:TGID_X_EN: 1
; COMPUTE_PGM_RSRC2:TGID_Y_EN: 0
; COMPUTE_PGM_RSRC2:TGID_Z_EN: 0
; COMPUTE_PGM_RSRC2:TIDIG_COMP_CNT: 0
; COMPUTE_PGM_RSRC3_GFX90A:ACCUM_OFFSET: 26
; COMPUTE_PGM_RSRC3_GFX90A:TG_SPLIT: 0
	.section	.text._ZN7rocprim17ROCPRIM_400000_NS6detail17trampoline_kernelINS0_14default_configENS1_33run_length_encode_config_selectorIN3c108BFloat16EjNS0_4plusIjEEEEZZNS1_33reduce_by_key_impl_wrapped_configILNS1_25lookback_scan_determinismE0ES3_S9_PKS6_NS0_17constant_iteratorIjlEEPS6_PlSH_S8_NS0_8equal_toIS6_EEEE10hipError_tPvRmT2_T3_mT4_T5_T6_T7_T8_P12ihipStream_tbENKUlT_T0_E_clISt17integral_constantIbLb0EES11_EEDaSW_SX_EUlSW_E_NS1_11comp_targetILNS1_3genE4ELNS1_11target_archE910ELNS1_3gpuE8ELNS1_3repE0EEENS1_30default_config_static_selectorELNS0_4arch9wavefront6targetE1EEEvT1_,"axG",@progbits,_ZN7rocprim17ROCPRIM_400000_NS6detail17trampoline_kernelINS0_14default_configENS1_33run_length_encode_config_selectorIN3c108BFloat16EjNS0_4plusIjEEEEZZNS1_33reduce_by_key_impl_wrapped_configILNS1_25lookback_scan_determinismE0ES3_S9_PKS6_NS0_17constant_iteratorIjlEEPS6_PlSH_S8_NS0_8equal_toIS6_EEEE10hipError_tPvRmT2_T3_mT4_T5_T6_T7_T8_P12ihipStream_tbENKUlT_T0_E_clISt17integral_constantIbLb0EES11_EEDaSW_SX_EUlSW_E_NS1_11comp_targetILNS1_3genE4ELNS1_11target_archE910ELNS1_3gpuE8ELNS1_3repE0EEENS1_30default_config_static_selectorELNS0_4arch9wavefront6targetE1EEEvT1_,comdat
	.protected	_ZN7rocprim17ROCPRIM_400000_NS6detail17trampoline_kernelINS0_14default_configENS1_33run_length_encode_config_selectorIN3c108BFloat16EjNS0_4plusIjEEEEZZNS1_33reduce_by_key_impl_wrapped_configILNS1_25lookback_scan_determinismE0ES3_S9_PKS6_NS0_17constant_iteratorIjlEEPS6_PlSH_S8_NS0_8equal_toIS6_EEEE10hipError_tPvRmT2_T3_mT4_T5_T6_T7_T8_P12ihipStream_tbENKUlT_T0_E_clISt17integral_constantIbLb0EES11_EEDaSW_SX_EUlSW_E_NS1_11comp_targetILNS1_3genE4ELNS1_11target_archE910ELNS1_3gpuE8ELNS1_3repE0EEENS1_30default_config_static_selectorELNS0_4arch9wavefront6targetE1EEEvT1_ ; -- Begin function _ZN7rocprim17ROCPRIM_400000_NS6detail17trampoline_kernelINS0_14default_configENS1_33run_length_encode_config_selectorIN3c108BFloat16EjNS0_4plusIjEEEEZZNS1_33reduce_by_key_impl_wrapped_configILNS1_25lookback_scan_determinismE0ES3_S9_PKS6_NS0_17constant_iteratorIjlEEPS6_PlSH_S8_NS0_8equal_toIS6_EEEE10hipError_tPvRmT2_T3_mT4_T5_T6_T7_T8_P12ihipStream_tbENKUlT_T0_E_clISt17integral_constantIbLb0EES11_EEDaSW_SX_EUlSW_E_NS1_11comp_targetILNS1_3genE4ELNS1_11target_archE910ELNS1_3gpuE8ELNS1_3repE0EEENS1_30default_config_static_selectorELNS0_4arch9wavefront6targetE1EEEvT1_
	.globl	_ZN7rocprim17ROCPRIM_400000_NS6detail17trampoline_kernelINS0_14default_configENS1_33run_length_encode_config_selectorIN3c108BFloat16EjNS0_4plusIjEEEEZZNS1_33reduce_by_key_impl_wrapped_configILNS1_25lookback_scan_determinismE0ES3_S9_PKS6_NS0_17constant_iteratorIjlEEPS6_PlSH_S8_NS0_8equal_toIS6_EEEE10hipError_tPvRmT2_T3_mT4_T5_T6_T7_T8_P12ihipStream_tbENKUlT_T0_E_clISt17integral_constantIbLb0EES11_EEDaSW_SX_EUlSW_E_NS1_11comp_targetILNS1_3genE4ELNS1_11target_archE910ELNS1_3gpuE8ELNS1_3repE0EEENS1_30default_config_static_selectorELNS0_4arch9wavefront6targetE1EEEvT1_
	.p2align	8
	.type	_ZN7rocprim17ROCPRIM_400000_NS6detail17trampoline_kernelINS0_14default_configENS1_33run_length_encode_config_selectorIN3c108BFloat16EjNS0_4plusIjEEEEZZNS1_33reduce_by_key_impl_wrapped_configILNS1_25lookback_scan_determinismE0ES3_S9_PKS6_NS0_17constant_iteratorIjlEEPS6_PlSH_S8_NS0_8equal_toIS6_EEEE10hipError_tPvRmT2_T3_mT4_T5_T6_T7_T8_P12ihipStream_tbENKUlT_T0_E_clISt17integral_constantIbLb0EES11_EEDaSW_SX_EUlSW_E_NS1_11comp_targetILNS1_3genE4ELNS1_11target_archE910ELNS1_3gpuE8ELNS1_3repE0EEENS1_30default_config_static_selectorELNS0_4arch9wavefront6targetE1EEEvT1_,@function
_ZN7rocprim17ROCPRIM_400000_NS6detail17trampoline_kernelINS0_14default_configENS1_33run_length_encode_config_selectorIN3c108BFloat16EjNS0_4plusIjEEEEZZNS1_33reduce_by_key_impl_wrapped_configILNS1_25lookback_scan_determinismE0ES3_S9_PKS6_NS0_17constant_iteratorIjlEEPS6_PlSH_S8_NS0_8equal_toIS6_EEEE10hipError_tPvRmT2_T3_mT4_T5_T6_T7_T8_P12ihipStream_tbENKUlT_T0_E_clISt17integral_constantIbLb0EES11_EEDaSW_SX_EUlSW_E_NS1_11comp_targetILNS1_3genE4ELNS1_11target_archE910ELNS1_3gpuE8ELNS1_3repE0EEENS1_30default_config_static_selectorELNS0_4arch9wavefront6targetE1EEEvT1_: ; @_ZN7rocprim17ROCPRIM_400000_NS6detail17trampoline_kernelINS0_14default_configENS1_33run_length_encode_config_selectorIN3c108BFloat16EjNS0_4plusIjEEEEZZNS1_33reduce_by_key_impl_wrapped_configILNS1_25lookback_scan_determinismE0ES3_S9_PKS6_NS0_17constant_iteratorIjlEEPS6_PlSH_S8_NS0_8equal_toIS6_EEEE10hipError_tPvRmT2_T3_mT4_T5_T6_T7_T8_P12ihipStream_tbENKUlT_T0_E_clISt17integral_constantIbLb0EES11_EEDaSW_SX_EUlSW_E_NS1_11comp_targetILNS1_3genE4ELNS1_11target_archE910ELNS1_3gpuE8ELNS1_3repE0EEENS1_30default_config_static_selectorELNS0_4arch9wavefront6targetE1EEEvT1_
; %bb.0:
	.section	.rodata,"a",@progbits
	.p2align	6, 0x0
	.amdhsa_kernel _ZN7rocprim17ROCPRIM_400000_NS6detail17trampoline_kernelINS0_14default_configENS1_33run_length_encode_config_selectorIN3c108BFloat16EjNS0_4plusIjEEEEZZNS1_33reduce_by_key_impl_wrapped_configILNS1_25lookback_scan_determinismE0ES3_S9_PKS6_NS0_17constant_iteratorIjlEEPS6_PlSH_S8_NS0_8equal_toIS6_EEEE10hipError_tPvRmT2_T3_mT4_T5_T6_T7_T8_P12ihipStream_tbENKUlT_T0_E_clISt17integral_constantIbLb0EES11_EEDaSW_SX_EUlSW_E_NS1_11comp_targetILNS1_3genE4ELNS1_11target_archE910ELNS1_3gpuE8ELNS1_3repE0EEENS1_30default_config_static_selectorELNS0_4arch9wavefront6targetE1EEEvT1_
		.amdhsa_group_segment_fixed_size 0
		.amdhsa_private_segment_fixed_size 0
		.amdhsa_kernarg_size 128
		.amdhsa_user_sgpr_count 2
		.amdhsa_user_sgpr_dispatch_ptr 0
		.amdhsa_user_sgpr_queue_ptr 0
		.amdhsa_user_sgpr_kernarg_segment_ptr 1
		.amdhsa_user_sgpr_dispatch_id 0
		.amdhsa_user_sgpr_kernarg_preload_length 0
		.amdhsa_user_sgpr_kernarg_preload_offset 0
		.amdhsa_user_sgpr_private_segment_size 0
		.amdhsa_uses_dynamic_stack 0
		.amdhsa_enable_private_segment 0
		.amdhsa_system_sgpr_workgroup_id_x 1
		.amdhsa_system_sgpr_workgroup_id_y 0
		.amdhsa_system_sgpr_workgroup_id_z 0
		.amdhsa_system_sgpr_workgroup_info 0
		.amdhsa_system_vgpr_workitem_id 0
		.amdhsa_next_free_vgpr 1
		.amdhsa_next_free_sgpr 0
		.amdhsa_accum_offset 4
		.amdhsa_reserve_vcc 0
		.amdhsa_float_round_mode_32 0
		.amdhsa_float_round_mode_16_64 0
		.amdhsa_float_denorm_mode_32 3
		.amdhsa_float_denorm_mode_16_64 3
		.amdhsa_dx10_clamp 1
		.amdhsa_ieee_mode 1
		.amdhsa_fp16_overflow 0
		.amdhsa_tg_split 0
		.amdhsa_exception_fp_ieee_invalid_op 0
		.amdhsa_exception_fp_denorm_src 0
		.amdhsa_exception_fp_ieee_div_zero 0
		.amdhsa_exception_fp_ieee_overflow 0
		.amdhsa_exception_fp_ieee_underflow 0
		.amdhsa_exception_fp_ieee_inexact 0
		.amdhsa_exception_int_div_zero 0
	.end_amdhsa_kernel
	.section	.text._ZN7rocprim17ROCPRIM_400000_NS6detail17trampoline_kernelINS0_14default_configENS1_33run_length_encode_config_selectorIN3c108BFloat16EjNS0_4plusIjEEEEZZNS1_33reduce_by_key_impl_wrapped_configILNS1_25lookback_scan_determinismE0ES3_S9_PKS6_NS0_17constant_iteratorIjlEEPS6_PlSH_S8_NS0_8equal_toIS6_EEEE10hipError_tPvRmT2_T3_mT4_T5_T6_T7_T8_P12ihipStream_tbENKUlT_T0_E_clISt17integral_constantIbLb0EES11_EEDaSW_SX_EUlSW_E_NS1_11comp_targetILNS1_3genE4ELNS1_11target_archE910ELNS1_3gpuE8ELNS1_3repE0EEENS1_30default_config_static_selectorELNS0_4arch9wavefront6targetE1EEEvT1_,"axG",@progbits,_ZN7rocprim17ROCPRIM_400000_NS6detail17trampoline_kernelINS0_14default_configENS1_33run_length_encode_config_selectorIN3c108BFloat16EjNS0_4plusIjEEEEZZNS1_33reduce_by_key_impl_wrapped_configILNS1_25lookback_scan_determinismE0ES3_S9_PKS6_NS0_17constant_iteratorIjlEEPS6_PlSH_S8_NS0_8equal_toIS6_EEEE10hipError_tPvRmT2_T3_mT4_T5_T6_T7_T8_P12ihipStream_tbENKUlT_T0_E_clISt17integral_constantIbLb0EES11_EEDaSW_SX_EUlSW_E_NS1_11comp_targetILNS1_3genE4ELNS1_11target_archE910ELNS1_3gpuE8ELNS1_3repE0EEENS1_30default_config_static_selectorELNS0_4arch9wavefront6targetE1EEEvT1_,comdat
.Lfunc_end858:
	.size	_ZN7rocprim17ROCPRIM_400000_NS6detail17trampoline_kernelINS0_14default_configENS1_33run_length_encode_config_selectorIN3c108BFloat16EjNS0_4plusIjEEEEZZNS1_33reduce_by_key_impl_wrapped_configILNS1_25lookback_scan_determinismE0ES3_S9_PKS6_NS0_17constant_iteratorIjlEEPS6_PlSH_S8_NS0_8equal_toIS6_EEEE10hipError_tPvRmT2_T3_mT4_T5_T6_T7_T8_P12ihipStream_tbENKUlT_T0_E_clISt17integral_constantIbLb0EES11_EEDaSW_SX_EUlSW_E_NS1_11comp_targetILNS1_3genE4ELNS1_11target_archE910ELNS1_3gpuE8ELNS1_3repE0EEENS1_30default_config_static_selectorELNS0_4arch9wavefront6targetE1EEEvT1_, .Lfunc_end858-_ZN7rocprim17ROCPRIM_400000_NS6detail17trampoline_kernelINS0_14default_configENS1_33run_length_encode_config_selectorIN3c108BFloat16EjNS0_4plusIjEEEEZZNS1_33reduce_by_key_impl_wrapped_configILNS1_25lookback_scan_determinismE0ES3_S9_PKS6_NS0_17constant_iteratorIjlEEPS6_PlSH_S8_NS0_8equal_toIS6_EEEE10hipError_tPvRmT2_T3_mT4_T5_T6_T7_T8_P12ihipStream_tbENKUlT_T0_E_clISt17integral_constantIbLb0EES11_EEDaSW_SX_EUlSW_E_NS1_11comp_targetILNS1_3genE4ELNS1_11target_archE910ELNS1_3gpuE8ELNS1_3repE0EEENS1_30default_config_static_selectorELNS0_4arch9wavefront6targetE1EEEvT1_
                                        ; -- End function
	.section	.AMDGPU.csdata,"",@progbits
; Kernel info:
; codeLenInByte = 0
; NumSgprs: 6
; NumVgprs: 0
; NumAgprs: 0
; TotalNumVgprs: 0
; ScratchSize: 0
; MemoryBound: 0
; FloatMode: 240
; IeeeMode: 1
; LDSByteSize: 0 bytes/workgroup (compile time only)
; SGPRBlocks: 0
; VGPRBlocks: 0
; NumSGPRsForWavesPerEU: 6
; NumVGPRsForWavesPerEU: 1
; AccumOffset: 4
; Occupancy: 8
; WaveLimiterHint : 0
; COMPUTE_PGM_RSRC2:SCRATCH_EN: 0
; COMPUTE_PGM_RSRC2:USER_SGPR: 2
; COMPUTE_PGM_RSRC2:TRAP_HANDLER: 0
; COMPUTE_PGM_RSRC2:TGID_X_EN: 1
; COMPUTE_PGM_RSRC2:TGID_Y_EN: 0
; COMPUTE_PGM_RSRC2:TGID_Z_EN: 0
; COMPUTE_PGM_RSRC2:TIDIG_COMP_CNT: 0
; COMPUTE_PGM_RSRC3_GFX90A:ACCUM_OFFSET: 0
; COMPUTE_PGM_RSRC3_GFX90A:TG_SPLIT: 0
	.section	.text._ZN7rocprim17ROCPRIM_400000_NS6detail17trampoline_kernelINS0_14default_configENS1_33run_length_encode_config_selectorIN3c108BFloat16EjNS0_4plusIjEEEEZZNS1_33reduce_by_key_impl_wrapped_configILNS1_25lookback_scan_determinismE0ES3_S9_PKS6_NS0_17constant_iteratorIjlEEPS6_PlSH_S8_NS0_8equal_toIS6_EEEE10hipError_tPvRmT2_T3_mT4_T5_T6_T7_T8_P12ihipStream_tbENKUlT_T0_E_clISt17integral_constantIbLb0EES11_EEDaSW_SX_EUlSW_E_NS1_11comp_targetILNS1_3genE3ELNS1_11target_archE908ELNS1_3gpuE7ELNS1_3repE0EEENS1_30default_config_static_selectorELNS0_4arch9wavefront6targetE1EEEvT1_,"axG",@progbits,_ZN7rocprim17ROCPRIM_400000_NS6detail17trampoline_kernelINS0_14default_configENS1_33run_length_encode_config_selectorIN3c108BFloat16EjNS0_4plusIjEEEEZZNS1_33reduce_by_key_impl_wrapped_configILNS1_25lookback_scan_determinismE0ES3_S9_PKS6_NS0_17constant_iteratorIjlEEPS6_PlSH_S8_NS0_8equal_toIS6_EEEE10hipError_tPvRmT2_T3_mT4_T5_T6_T7_T8_P12ihipStream_tbENKUlT_T0_E_clISt17integral_constantIbLb0EES11_EEDaSW_SX_EUlSW_E_NS1_11comp_targetILNS1_3genE3ELNS1_11target_archE908ELNS1_3gpuE7ELNS1_3repE0EEENS1_30default_config_static_selectorELNS0_4arch9wavefront6targetE1EEEvT1_,comdat
	.protected	_ZN7rocprim17ROCPRIM_400000_NS6detail17trampoline_kernelINS0_14default_configENS1_33run_length_encode_config_selectorIN3c108BFloat16EjNS0_4plusIjEEEEZZNS1_33reduce_by_key_impl_wrapped_configILNS1_25lookback_scan_determinismE0ES3_S9_PKS6_NS0_17constant_iteratorIjlEEPS6_PlSH_S8_NS0_8equal_toIS6_EEEE10hipError_tPvRmT2_T3_mT4_T5_T6_T7_T8_P12ihipStream_tbENKUlT_T0_E_clISt17integral_constantIbLb0EES11_EEDaSW_SX_EUlSW_E_NS1_11comp_targetILNS1_3genE3ELNS1_11target_archE908ELNS1_3gpuE7ELNS1_3repE0EEENS1_30default_config_static_selectorELNS0_4arch9wavefront6targetE1EEEvT1_ ; -- Begin function _ZN7rocprim17ROCPRIM_400000_NS6detail17trampoline_kernelINS0_14default_configENS1_33run_length_encode_config_selectorIN3c108BFloat16EjNS0_4plusIjEEEEZZNS1_33reduce_by_key_impl_wrapped_configILNS1_25lookback_scan_determinismE0ES3_S9_PKS6_NS0_17constant_iteratorIjlEEPS6_PlSH_S8_NS0_8equal_toIS6_EEEE10hipError_tPvRmT2_T3_mT4_T5_T6_T7_T8_P12ihipStream_tbENKUlT_T0_E_clISt17integral_constantIbLb0EES11_EEDaSW_SX_EUlSW_E_NS1_11comp_targetILNS1_3genE3ELNS1_11target_archE908ELNS1_3gpuE7ELNS1_3repE0EEENS1_30default_config_static_selectorELNS0_4arch9wavefront6targetE1EEEvT1_
	.globl	_ZN7rocprim17ROCPRIM_400000_NS6detail17trampoline_kernelINS0_14default_configENS1_33run_length_encode_config_selectorIN3c108BFloat16EjNS0_4plusIjEEEEZZNS1_33reduce_by_key_impl_wrapped_configILNS1_25lookback_scan_determinismE0ES3_S9_PKS6_NS0_17constant_iteratorIjlEEPS6_PlSH_S8_NS0_8equal_toIS6_EEEE10hipError_tPvRmT2_T3_mT4_T5_T6_T7_T8_P12ihipStream_tbENKUlT_T0_E_clISt17integral_constantIbLb0EES11_EEDaSW_SX_EUlSW_E_NS1_11comp_targetILNS1_3genE3ELNS1_11target_archE908ELNS1_3gpuE7ELNS1_3repE0EEENS1_30default_config_static_selectorELNS0_4arch9wavefront6targetE1EEEvT1_
	.p2align	8
	.type	_ZN7rocprim17ROCPRIM_400000_NS6detail17trampoline_kernelINS0_14default_configENS1_33run_length_encode_config_selectorIN3c108BFloat16EjNS0_4plusIjEEEEZZNS1_33reduce_by_key_impl_wrapped_configILNS1_25lookback_scan_determinismE0ES3_S9_PKS6_NS0_17constant_iteratorIjlEEPS6_PlSH_S8_NS0_8equal_toIS6_EEEE10hipError_tPvRmT2_T3_mT4_T5_T6_T7_T8_P12ihipStream_tbENKUlT_T0_E_clISt17integral_constantIbLb0EES11_EEDaSW_SX_EUlSW_E_NS1_11comp_targetILNS1_3genE3ELNS1_11target_archE908ELNS1_3gpuE7ELNS1_3repE0EEENS1_30default_config_static_selectorELNS0_4arch9wavefront6targetE1EEEvT1_,@function
_ZN7rocprim17ROCPRIM_400000_NS6detail17trampoline_kernelINS0_14default_configENS1_33run_length_encode_config_selectorIN3c108BFloat16EjNS0_4plusIjEEEEZZNS1_33reduce_by_key_impl_wrapped_configILNS1_25lookback_scan_determinismE0ES3_S9_PKS6_NS0_17constant_iteratorIjlEEPS6_PlSH_S8_NS0_8equal_toIS6_EEEE10hipError_tPvRmT2_T3_mT4_T5_T6_T7_T8_P12ihipStream_tbENKUlT_T0_E_clISt17integral_constantIbLb0EES11_EEDaSW_SX_EUlSW_E_NS1_11comp_targetILNS1_3genE3ELNS1_11target_archE908ELNS1_3gpuE7ELNS1_3repE0EEENS1_30default_config_static_selectorELNS0_4arch9wavefront6targetE1EEEvT1_: ; @_ZN7rocprim17ROCPRIM_400000_NS6detail17trampoline_kernelINS0_14default_configENS1_33run_length_encode_config_selectorIN3c108BFloat16EjNS0_4plusIjEEEEZZNS1_33reduce_by_key_impl_wrapped_configILNS1_25lookback_scan_determinismE0ES3_S9_PKS6_NS0_17constant_iteratorIjlEEPS6_PlSH_S8_NS0_8equal_toIS6_EEEE10hipError_tPvRmT2_T3_mT4_T5_T6_T7_T8_P12ihipStream_tbENKUlT_T0_E_clISt17integral_constantIbLb0EES11_EEDaSW_SX_EUlSW_E_NS1_11comp_targetILNS1_3genE3ELNS1_11target_archE908ELNS1_3gpuE7ELNS1_3repE0EEENS1_30default_config_static_selectorELNS0_4arch9wavefront6targetE1EEEvT1_
; %bb.0:
	.section	.rodata,"a",@progbits
	.p2align	6, 0x0
	.amdhsa_kernel _ZN7rocprim17ROCPRIM_400000_NS6detail17trampoline_kernelINS0_14default_configENS1_33run_length_encode_config_selectorIN3c108BFloat16EjNS0_4plusIjEEEEZZNS1_33reduce_by_key_impl_wrapped_configILNS1_25lookback_scan_determinismE0ES3_S9_PKS6_NS0_17constant_iteratorIjlEEPS6_PlSH_S8_NS0_8equal_toIS6_EEEE10hipError_tPvRmT2_T3_mT4_T5_T6_T7_T8_P12ihipStream_tbENKUlT_T0_E_clISt17integral_constantIbLb0EES11_EEDaSW_SX_EUlSW_E_NS1_11comp_targetILNS1_3genE3ELNS1_11target_archE908ELNS1_3gpuE7ELNS1_3repE0EEENS1_30default_config_static_selectorELNS0_4arch9wavefront6targetE1EEEvT1_
		.amdhsa_group_segment_fixed_size 0
		.amdhsa_private_segment_fixed_size 0
		.amdhsa_kernarg_size 128
		.amdhsa_user_sgpr_count 2
		.amdhsa_user_sgpr_dispatch_ptr 0
		.amdhsa_user_sgpr_queue_ptr 0
		.amdhsa_user_sgpr_kernarg_segment_ptr 1
		.amdhsa_user_sgpr_dispatch_id 0
		.amdhsa_user_sgpr_kernarg_preload_length 0
		.amdhsa_user_sgpr_kernarg_preload_offset 0
		.amdhsa_user_sgpr_private_segment_size 0
		.amdhsa_uses_dynamic_stack 0
		.amdhsa_enable_private_segment 0
		.amdhsa_system_sgpr_workgroup_id_x 1
		.amdhsa_system_sgpr_workgroup_id_y 0
		.amdhsa_system_sgpr_workgroup_id_z 0
		.amdhsa_system_sgpr_workgroup_info 0
		.amdhsa_system_vgpr_workitem_id 0
		.amdhsa_next_free_vgpr 1
		.amdhsa_next_free_sgpr 0
		.amdhsa_accum_offset 4
		.amdhsa_reserve_vcc 0
		.amdhsa_float_round_mode_32 0
		.amdhsa_float_round_mode_16_64 0
		.amdhsa_float_denorm_mode_32 3
		.amdhsa_float_denorm_mode_16_64 3
		.amdhsa_dx10_clamp 1
		.amdhsa_ieee_mode 1
		.amdhsa_fp16_overflow 0
		.amdhsa_tg_split 0
		.amdhsa_exception_fp_ieee_invalid_op 0
		.amdhsa_exception_fp_denorm_src 0
		.amdhsa_exception_fp_ieee_div_zero 0
		.amdhsa_exception_fp_ieee_overflow 0
		.amdhsa_exception_fp_ieee_underflow 0
		.amdhsa_exception_fp_ieee_inexact 0
		.amdhsa_exception_int_div_zero 0
	.end_amdhsa_kernel
	.section	.text._ZN7rocprim17ROCPRIM_400000_NS6detail17trampoline_kernelINS0_14default_configENS1_33run_length_encode_config_selectorIN3c108BFloat16EjNS0_4plusIjEEEEZZNS1_33reduce_by_key_impl_wrapped_configILNS1_25lookback_scan_determinismE0ES3_S9_PKS6_NS0_17constant_iteratorIjlEEPS6_PlSH_S8_NS0_8equal_toIS6_EEEE10hipError_tPvRmT2_T3_mT4_T5_T6_T7_T8_P12ihipStream_tbENKUlT_T0_E_clISt17integral_constantIbLb0EES11_EEDaSW_SX_EUlSW_E_NS1_11comp_targetILNS1_3genE3ELNS1_11target_archE908ELNS1_3gpuE7ELNS1_3repE0EEENS1_30default_config_static_selectorELNS0_4arch9wavefront6targetE1EEEvT1_,"axG",@progbits,_ZN7rocprim17ROCPRIM_400000_NS6detail17trampoline_kernelINS0_14default_configENS1_33run_length_encode_config_selectorIN3c108BFloat16EjNS0_4plusIjEEEEZZNS1_33reduce_by_key_impl_wrapped_configILNS1_25lookback_scan_determinismE0ES3_S9_PKS6_NS0_17constant_iteratorIjlEEPS6_PlSH_S8_NS0_8equal_toIS6_EEEE10hipError_tPvRmT2_T3_mT4_T5_T6_T7_T8_P12ihipStream_tbENKUlT_T0_E_clISt17integral_constantIbLb0EES11_EEDaSW_SX_EUlSW_E_NS1_11comp_targetILNS1_3genE3ELNS1_11target_archE908ELNS1_3gpuE7ELNS1_3repE0EEENS1_30default_config_static_selectorELNS0_4arch9wavefront6targetE1EEEvT1_,comdat
.Lfunc_end859:
	.size	_ZN7rocprim17ROCPRIM_400000_NS6detail17trampoline_kernelINS0_14default_configENS1_33run_length_encode_config_selectorIN3c108BFloat16EjNS0_4plusIjEEEEZZNS1_33reduce_by_key_impl_wrapped_configILNS1_25lookback_scan_determinismE0ES3_S9_PKS6_NS0_17constant_iteratorIjlEEPS6_PlSH_S8_NS0_8equal_toIS6_EEEE10hipError_tPvRmT2_T3_mT4_T5_T6_T7_T8_P12ihipStream_tbENKUlT_T0_E_clISt17integral_constantIbLb0EES11_EEDaSW_SX_EUlSW_E_NS1_11comp_targetILNS1_3genE3ELNS1_11target_archE908ELNS1_3gpuE7ELNS1_3repE0EEENS1_30default_config_static_selectorELNS0_4arch9wavefront6targetE1EEEvT1_, .Lfunc_end859-_ZN7rocprim17ROCPRIM_400000_NS6detail17trampoline_kernelINS0_14default_configENS1_33run_length_encode_config_selectorIN3c108BFloat16EjNS0_4plusIjEEEEZZNS1_33reduce_by_key_impl_wrapped_configILNS1_25lookback_scan_determinismE0ES3_S9_PKS6_NS0_17constant_iteratorIjlEEPS6_PlSH_S8_NS0_8equal_toIS6_EEEE10hipError_tPvRmT2_T3_mT4_T5_T6_T7_T8_P12ihipStream_tbENKUlT_T0_E_clISt17integral_constantIbLb0EES11_EEDaSW_SX_EUlSW_E_NS1_11comp_targetILNS1_3genE3ELNS1_11target_archE908ELNS1_3gpuE7ELNS1_3repE0EEENS1_30default_config_static_selectorELNS0_4arch9wavefront6targetE1EEEvT1_
                                        ; -- End function
	.section	.AMDGPU.csdata,"",@progbits
; Kernel info:
; codeLenInByte = 0
; NumSgprs: 6
; NumVgprs: 0
; NumAgprs: 0
; TotalNumVgprs: 0
; ScratchSize: 0
; MemoryBound: 0
; FloatMode: 240
; IeeeMode: 1
; LDSByteSize: 0 bytes/workgroup (compile time only)
; SGPRBlocks: 0
; VGPRBlocks: 0
; NumSGPRsForWavesPerEU: 6
; NumVGPRsForWavesPerEU: 1
; AccumOffset: 4
; Occupancy: 8
; WaveLimiterHint : 0
; COMPUTE_PGM_RSRC2:SCRATCH_EN: 0
; COMPUTE_PGM_RSRC2:USER_SGPR: 2
; COMPUTE_PGM_RSRC2:TRAP_HANDLER: 0
; COMPUTE_PGM_RSRC2:TGID_X_EN: 1
; COMPUTE_PGM_RSRC2:TGID_Y_EN: 0
; COMPUTE_PGM_RSRC2:TGID_Z_EN: 0
; COMPUTE_PGM_RSRC2:TIDIG_COMP_CNT: 0
; COMPUTE_PGM_RSRC3_GFX90A:ACCUM_OFFSET: 0
; COMPUTE_PGM_RSRC3_GFX90A:TG_SPLIT: 0
	.section	.text._ZN7rocprim17ROCPRIM_400000_NS6detail17trampoline_kernelINS0_14default_configENS1_33run_length_encode_config_selectorIN3c108BFloat16EjNS0_4plusIjEEEEZZNS1_33reduce_by_key_impl_wrapped_configILNS1_25lookback_scan_determinismE0ES3_S9_PKS6_NS0_17constant_iteratorIjlEEPS6_PlSH_S8_NS0_8equal_toIS6_EEEE10hipError_tPvRmT2_T3_mT4_T5_T6_T7_T8_P12ihipStream_tbENKUlT_T0_E_clISt17integral_constantIbLb0EES11_EEDaSW_SX_EUlSW_E_NS1_11comp_targetILNS1_3genE2ELNS1_11target_archE906ELNS1_3gpuE6ELNS1_3repE0EEENS1_30default_config_static_selectorELNS0_4arch9wavefront6targetE1EEEvT1_,"axG",@progbits,_ZN7rocprim17ROCPRIM_400000_NS6detail17trampoline_kernelINS0_14default_configENS1_33run_length_encode_config_selectorIN3c108BFloat16EjNS0_4plusIjEEEEZZNS1_33reduce_by_key_impl_wrapped_configILNS1_25lookback_scan_determinismE0ES3_S9_PKS6_NS0_17constant_iteratorIjlEEPS6_PlSH_S8_NS0_8equal_toIS6_EEEE10hipError_tPvRmT2_T3_mT4_T5_T6_T7_T8_P12ihipStream_tbENKUlT_T0_E_clISt17integral_constantIbLb0EES11_EEDaSW_SX_EUlSW_E_NS1_11comp_targetILNS1_3genE2ELNS1_11target_archE906ELNS1_3gpuE6ELNS1_3repE0EEENS1_30default_config_static_selectorELNS0_4arch9wavefront6targetE1EEEvT1_,comdat
	.protected	_ZN7rocprim17ROCPRIM_400000_NS6detail17trampoline_kernelINS0_14default_configENS1_33run_length_encode_config_selectorIN3c108BFloat16EjNS0_4plusIjEEEEZZNS1_33reduce_by_key_impl_wrapped_configILNS1_25lookback_scan_determinismE0ES3_S9_PKS6_NS0_17constant_iteratorIjlEEPS6_PlSH_S8_NS0_8equal_toIS6_EEEE10hipError_tPvRmT2_T3_mT4_T5_T6_T7_T8_P12ihipStream_tbENKUlT_T0_E_clISt17integral_constantIbLb0EES11_EEDaSW_SX_EUlSW_E_NS1_11comp_targetILNS1_3genE2ELNS1_11target_archE906ELNS1_3gpuE6ELNS1_3repE0EEENS1_30default_config_static_selectorELNS0_4arch9wavefront6targetE1EEEvT1_ ; -- Begin function _ZN7rocprim17ROCPRIM_400000_NS6detail17trampoline_kernelINS0_14default_configENS1_33run_length_encode_config_selectorIN3c108BFloat16EjNS0_4plusIjEEEEZZNS1_33reduce_by_key_impl_wrapped_configILNS1_25lookback_scan_determinismE0ES3_S9_PKS6_NS0_17constant_iteratorIjlEEPS6_PlSH_S8_NS0_8equal_toIS6_EEEE10hipError_tPvRmT2_T3_mT4_T5_T6_T7_T8_P12ihipStream_tbENKUlT_T0_E_clISt17integral_constantIbLb0EES11_EEDaSW_SX_EUlSW_E_NS1_11comp_targetILNS1_3genE2ELNS1_11target_archE906ELNS1_3gpuE6ELNS1_3repE0EEENS1_30default_config_static_selectorELNS0_4arch9wavefront6targetE1EEEvT1_
	.globl	_ZN7rocprim17ROCPRIM_400000_NS6detail17trampoline_kernelINS0_14default_configENS1_33run_length_encode_config_selectorIN3c108BFloat16EjNS0_4plusIjEEEEZZNS1_33reduce_by_key_impl_wrapped_configILNS1_25lookback_scan_determinismE0ES3_S9_PKS6_NS0_17constant_iteratorIjlEEPS6_PlSH_S8_NS0_8equal_toIS6_EEEE10hipError_tPvRmT2_T3_mT4_T5_T6_T7_T8_P12ihipStream_tbENKUlT_T0_E_clISt17integral_constantIbLb0EES11_EEDaSW_SX_EUlSW_E_NS1_11comp_targetILNS1_3genE2ELNS1_11target_archE906ELNS1_3gpuE6ELNS1_3repE0EEENS1_30default_config_static_selectorELNS0_4arch9wavefront6targetE1EEEvT1_
	.p2align	8
	.type	_ZN7rocprim17ROCPRIM_400000_NS6detail17trampoline_kernelINS0_14default_configENS1_33run_length_encode_config_selectorIN3c108BFloat16EjNS0_4plusIjEEEEZZNS1_33reduce_by_key_impl_wrapped_configILNS1_25lookback_scan_determinismE0ES3_S9_PKS6_NS0_17constant_iteratorIjlEEPS6_PlSH_S8_NS0_8equal_toIS6_EEEE10hipError_tPvRmT2_T3_mT4_T5_T6_T7_T8_P12ihipStream_tbENKUlT_T0_E_clISt17integral_constantIbLb0EES11_EEDaSW_SX_EUlSW_E_NS1_11comp_targetILNS1_3genE2ELNS1_11target_archE906ELNS1_3gpuE6ELNS1_3repE0EEENS1_30default_config_static_selectorELNS0_4arch9wavefront6targetE1EEEvT1_,@function
_ZN7rocprim17ROCPRIM_400000_NS6detail17trampoline_kernelINS0_14default_configENS1_33run_length_encode_config_selectorIN3c108BFloat16EjNS0_4plusIjEEEEZZNS1_33reduce_by_key_impl_wrapped_configILNS1_25lookback_scan_determinismE0ES3_S9_PKS6_NS0_17constant_iteratorIjlEEPS6_PlSH_S8_NS0_8equal_toIS6_EEEE10hipError_tPvRmT2_T3_mT4_T5_T6_T7_T8_P12ihipStream_tbENKUlT_T0_E_clISt17integral_constantIbLb0EES11_EEDaSW_SX_EUlSW_E_NS1_11comp_targetILNS1_3genE2ELNS1_11target_archE906ELNS1_3gpuE6ELNS1_3repE0EEENS1_30default_config_static_selectorELNS0_4arch9wavefront6targetE1EEEvT1_: ; @_ZN7rocprim17ROCPRIM_400000_NS6detail17trampoline_kernelINS0_14default_configENS1_33run_length_encode_config_selectorIN3c108BFloat16EjNS0_4plusIjEEEEZZNS1_33reduce_by_key_impl_wrapped_configILNS1_25lookback_scan_determinismE0ES3_S9_PKS6_NS0_17constant_iteratorIjlEEPS6_PlSH_S8_NS0_8equal_toIS6_EEEE10hipError_tPvRmT2_T3_mT4_T5_T6_T7_T8_P12ihipStream_tbENKUlT_T0_E_clISt17integral_constantIbLb0EES11_EEDaSW_SX_EUlSW_E_NS1_11comp_targetILNS1_3genE2ELNS1_11target_archE906ELNS1_3gpuE6ELNS1_3repE0EEENS1_30default_config_static_selectorELNS0_4arch9wavefront6targetE1EEEvT1_
; %bb.0:
	.section	.rodata,"a",@progbits
	.p2align	6, 0x0
	.amdhsa_kernel _ZN7rocprim17ROCPRIM_400000_NS6detail17trampoline_kernelINS0_14default_configENS1_33run_length_encode_config_selectorIN3c108BFloat16EjNS0_4plusIjEEEEZZNS1_33reduce_by_key_impl_wrapped_configILNS1_25lookback_scan_determinismE0ES3_S9_PKS6_NS0_17constant_iteratorIjlEEPS6_PlSH_S8_NS0_8equal_toIS6_EEEE10hipError_tPvRmT2_T3_mT4_T5_T6_T7_T8_P12ihipStream_tbENKUlT_T0_E_clISt17integral_constantIbLb0EES11_EEDaSW_SX_EUlSW_E_NS1_11comp_targetILNS1_3genE2ELNS1_11target_archE906ELNS1_3gpuE6ELNS1_3repE0EEENS1_30default_config_static_selectorELNS0_4arch9wavefront6targetE1EEEvT1_
		.amdhsa_group_segment_fixed_size 0
		.amdhsa_private_segment_fixed_size 0
		.amdhsa_kernarg_size 128
		.amdhsa_user_sgpr_count 2
		.amdhsa_user_sgpr_dispatch_ptr 0
		.amdhsa_user_sgpr_queue_ptr 0
		.amdhsa_user_sgpr_kernarg_segment_ptr 1
		.amdhsa_user_sgpr_dispatch_id 0
		.amdhsa_user_sgpr_kernarg_preload_length 0
		.amdhsa_user_sgpr_kernarg_preload_offset 0
		.amdhsa_user_sgpr_private_segment_size 0
		.amdhsa_uses_dynamic_stack 0
		.amdhsa_enable_private_segment 0
		.amdhsa_system_sgpr_workgroup_id_x 1
		.amdhsa_system_sgpr_workgroup_id_y 0
		.amdhsa_system_sgpr_workgroup_id_z 0
		.amdhsa_system_sgpr_workgroup_info 0
		.amdhsa_system_vgpr_workitem_id 0
		.amdhsa_next_free_vgpr 1
		.amdhsa_next_free_sgpr 0
		.amdhsa_accum_offset 4
		.amdhsa_reserve_vcc 0
		.amdhsa_float_round_mode_32 0
		.amdhsa_float_round_mode_16_64 0
		.amdhsa_float_denorm_mode_32 3
		.amdhsa_float_denorm_mode_16_64 3
		.amdhsa_dx10_clamp 1
		.amdhsa_ieee_mode 1
		.amdhsa_fp16_overflow 0
		.amdhsa_tg_split 0
		.amdhsa_exception_fp_ieee_invalid_op 0
		.amdhsa_exception_fp_denorm_src 0
		.amdhsa_exception_fp_ieee_div_zero 0
		.amdhsa_exception_fp_ieee_overflow 0
		.amdhsa_exception_fp_ieee_underflow 0
		.amdhsa_exception_fp_ieee_inexact 0
		.amdhsa_exception_int_div_zero 0
	.end_amdhsa_kernel
	.section	.text._ZN7rocprim17ROCPRIM_400000_NS6detail17trampoline_kernelINS0_14default_configENS1_33run_length_encode_config_selectorIN3c108BFloat16EjNS0_4plusIjEEEEZZNS1_33reduce_by_key_impl_wrapped_configILNS1_25lookback_scan_determinismE0ES3_S9_PKS6_NS0_17constant_iteratorIjlEEPS6_PlSH_S8_NS0_8equal_toIS6_EEEE10hipError_tPvRmT2_T3_mT4_T5_T6_T7_T8_P12ihipStream_tbENKUlT_T0_E_clISt17integral_constantIbLb0EES11_EEDaSW_SX_EUlSW_E_NS1_11comp_targetILNS1_3genE2ELNS1_11target_archE906ELNS1_3gpuE6ELNS1_3repE0EEENS1_30default_config_static_selectorELNS0_4arch9wavefront6targetE1EEEvT1_,"axG",@progbits,_ZN7rocprim17ROCPRIM_400000_NS6detail17trampoline_kernelINS0_14default_configENS1_33run_length_encode_config_selectorIN3c108BFloat16EjNS0_4plusIjEEEEZZNS1_33reduce_by_key_impl_wrapped_configILNS1_25lookback_scan_determinismE0ES3_S9_PKS6_NS0_17constant_iteratorIjlEEPS6_PlSH_S8_NS0_8equal_toIS6_EEEE10hipError_tPvRmT2_T3_mT4_T5_T6_T7_T8_P12ihipStream_tbENKUlT_T0_E_clISt17integral_constantIbLb0EES11_EEDaSW_SX_EUlSW_E_NS1_11comp_targetILNS1_3genE2ELNS1_11target_archE906ELNS1_3gpuE6ELNS1_3repE0EEENS1_30default_config_static_selectorELNS0_4arch9wavefront6targetE1EEEvT1_,comdat
.Lfunc_end860:
	.size	_ZN7rocprim17ROCPRIM_400000_NS6detail17trampoline_kernelINS0_14default_configENS1_33run_length_encode_config_selectorIN3c108BFloat16EjNS0_4plusIjEEEEZZNS1_33reduce_by_key_impl_wrapped_configILNS1_25lookback_scan_determinismE0ES3_S9_PKS6_NS0_17constant_iteratorIjlEEPS6_PlSH_S8_NS0_8equal_toIS6_EEEE10hipError_tPvRmT2_T3_mT4_T5_T6_T7_T8_P12ihipStream_tbENKUlT_T0_E_clISt17integral_constantIbLb0EES11_EEDaSW_SX_EUlSW_E_NS1_11comp_targetILNS1_3genE2ELNS1_11target_archE906ELNS1_3gpuE6ELNS1_3repE0EEENS1_30default_config_static_selectorELNS0_4arch9wavefront6targetE1EEEvT1_, .Lfunc_end860-_ZN7rocprim17ROCPRIM_400000_NS6detail17trampoline_kernelINS0_14default_configENS1_33run_length_encode_config_selectorIN3c108BFloat16EjNS0_4plusIjEEEEZZNS1_33reduce_by_key_impl_wrapped_configILNS1_25lookback_scan_determinismE0ES3_S9_PKS6_NS0_17constant_iteratorIjlEEPS6_PlSH_S8_NS0_8equal_toIS6_EEEE10hipError_tPvRmT2_T3_mT4_T5_T6_T7_T8_P12ihipStream_tbENKUlT_T0_E_clISt17integral_constantIbLb0EES11_EEDaSW_SX_EUlSW_E_NS1_11comp_targetILNS1_3genE2ELNS1_11target_archE906ELNS1_3gpuE6ELNS1_3repE0EEENS1_30default_config_static_selectorELNS0_4arch9wavefront6targetE1EEEvT1_
                                        ; -- End function
	.section	.AMDGPU.csdata,"",@progbits
; Kernel info:
; codeLenInByte = 0
; NumSgprs: 6
; NumVgprs: 0
; NumAgprs: 0
; TotalNumVgprs: 0
; ScratchSize: 0
; MemoryBound: 0
; FloatMode: 240
; IeeeMode: 1
; LDSByteSize: 0 bytes/workgroup (compile time only)
; SGPRBlocks: 0
; VGPRBlocks: 0
; NumSGPRsForWavesPerEU: 6
; NumVGPRsForWavesPerEU: 1
; AccumOffset: 4
; Occupancy: 8
; WaveLimiterHint : 0
; COMPUTE_PGM_RSRC2:SCRATCH_EN: 0
; COMPUTE_PGM_RSRC2:USER_SGPR: 2
; COMPUTE_PGM_RSRC2:TRAP_HANDLER: 0
; COMPUTE_PGM_RSRC2:TGID_X_EN: 1
; COMPUTE_PGM_RSRC2:TGID_Y_EN: 0
; COMPUTE_PGM_RSRC2:TGID_Z_EN: 0
; COMPUTE_PGM_RSRC2:TIDIG_COMP_CNT: 0
; COMPUTE_PGM_RSRC3_GFX90A:ACCUM_OFFSET: 0
; COMPUTE_PGM_RSRC3_GFX90A:TG_SPLIT: 0
	.section	.text._ZN7rocprim17ROCPRIM_400000_NS6detail17trampoline_kernelINS0_14default_configENS1_33run_length_encode_config_selectorIN3c108BFloat16EjNS0_4plusIjEEEEZZNS1_33reduce_by_key_impl_wrapped_configILNS1_25lookback_scan_determinismE0ES3_S9_PKS6_NS0_17constant_iteratorIjlEEPS6_PlSH_S8_NS0_8equal_toIS6_EEEE10hipError_tPvRmT2_T3_mT4_T5_T6_T7_T8_P12ihipStream_tbENKUlT_T0_E_clISt17integral_constantIbLb0EES11_EEDaSW_SX_EUlSW_E_NS1_11comp_targetILNS1_3genE10ELNS1_11target_archE1201ELNS1_3gpuE5ELNS1_3repE0EEENS1_30default_config_static_selectorELNS0_4arch9wavefront6targetE1EEEvT1_,"axG",@progbits,_ZN7rocprim17ROCPRIM_400000_NS6detail17trampoline_kernelINS0_14default_configENS1_33run_length_encode_config_selectorIN3c108BFloat16EjNS0_4plusIjEEEEZZNS1_33reduce_by_key_impl_wrapped_configILNS1_25lookback_scan_determinismE0ES3_S9_PKS6_NS0_17constant_iteratorIjlEEPS6_PlSH_S8_NS0_8equal_toIS6_EEEE10hipError_tPvRmT2_T3_mT4_T5_T6_T7_T8_P12ihipStream_tbENKUlT_T0_E_clISt17integral_constantIbLb0EES11_EEDaSW_SX_EUlSW_E_NS1_11comp_targetILNS1_3genE10ELNS1_11target_archE1201ELNS1_3gpuE5ELNS1_3repE0EEENS1_30default_config_static_selectorELNS0_4arch9wavefront6targetE1EEEvT1_,comdat
	.protected	_ZN7rocprim17ROCPRIM_400000_NS6detail17trampoline_kernelINS0_14default_configENS1_33run_length_encode_config_selectorIN3c108BFloat16EjNS0_4plusIjEEEEZZNS1_33reduce_by_key_impl_wrapped_configILNS1_25lookback_scan_determinismE0ES3_S9_PKS6_NS0_17constant_iteratorIjlEEPS6_PlSH_S8_NS0_8equal_toIS6_EEEE10hipError_tPvRmT2_T3_mT4_T5_T6_T7_T8_P12ihipStream_tbENKUlT_T0_E_clISt17integral_constantIbLb0EES11_EEDaSW_SX_EUlSW_E_NS1_11comp_targetILNS1_3genE10ELNS1_11target_archE1201ELNS1_3gpuE5ELNS1_3repE0EEENS1_30default_config_static_selectorELNS0_4arch9wavefront6targetE1EEEvT1_ ; -- Begin function _ZN7rocprim17ROCPRIM_400000_NS6detail17trampoline_kernelINS0_14default_configENS1_33run_length_encode_config_selectorIN3c108BFloat16EjNS0_4plusIjEEEEZZNS1_33reduce_by_key_impl_wrapped_configILNS1_25lookback_scan_determinismE0ES3_S9_PKS6_NS0_17constant_iteratorIjlEEPS6_PlSH_S8_NS0_8equal_toIS6_EEEE10hipError_tPvRmT2_T3_mT4_T5_T6_T7_T8_P12ihipStream_tbENKUlT_T0_E_clISt17integral_constantIbLb0EES11_EEDaSW_SX_EUlSW_E_NS1_11comp_targetILNS1_3genE10ELNS1_11target_archE1201ELNS1_3gpuE5ELNS1_3repE0EEENS1_30default_config_static_selectorELNS0_4arch9wavefront6targetE1EEEvT1_
	.globl	_ZN7rocprim17ROCPRIM_400000_NS6detail17trampoline_kernelINS0_14default_configENS1_33run_length_encode_config_selectorIN3c108BFloat16EjNS0_4plusIjEEEEZZNS1_33reduce_by_key_impl_wrapped_configILNS1_25lookback_scan_determinismE0ES3_S9_PKS6_NS0_17constant_iteratorIjlEEPS6_PlSH_S8_NS0_8equal_toIS6_EEEE10hipError_tPvRmT2_T3_mT4_T5_T6_T7_T8_P12ihipStream_tbENKUlT_T0_E_clISt17integral_constantIbLb0EES11_EEDaSW_SX_EUlSW_E_NS1_11comp_targetILNS1_3genE10ELNS1_11target_archE1201ELNS1_3gpuE5ELNS1_3repE0EEENS1_30default_config_static_selectorELNS0_4arch9wavefront6targetE1EEEvT1_
	.p2align	8
	.type	_ZN7rocprim17ROCPRIM_400000_NS6detail17trampoline_kernelINS0_14default_configENS1_33run_length_encode_config_selectorIN3c108BFloat16EjNS0_4plusIjEEEEZZNS1_33reduce_by_key_impl_wrapped_configILNS1_25lookback_scan_determinismE0ES3_S9_PKS6_NS0_17constant_iteratorIjlEEPS6_PlSH_S8_NS0_8equal_toIS6_EEEE10hipError_tPvRmT2_T3_mT4_T5_T6_T7_T8_P12ihipStream_tbENKUlT_T0_E_clISt17integral_constantIbLb0EES11_EEDaSW_SX_EUlSW_E_NS1_11comp_targetILNS1_3genE10ELNS1_11target_archE1201ELNS1_3gpuE5ELNS1_3repE0EEENS1_30default_config_static_selectorELNS0_4arch9wavefront6targetE1EEEvT1_,@function
_ZN7rocprim17ROCPRIM_400000_NS6detail17trampoline_kernelINS0_14default_configENS1_33run_length_encode_config_selectorIN3c108BFloat16EjNS0_4plusIjEEEEZZNS1_33reduce_by_key_impl_wrapped_configILNS1_25lookback_scan_determinismE0ES3_S9_PKS6_NS0_17constant_iteratorIjlEEPS6_PlSH_S8_NS0_8equal_toIS6_EEEE10hipError_tPvRmT2_T3_mT4_T5_T6_T7_T8_P12ihipStream_tbENKUlT_T0_E_clISt17integral_constantIbLb0EES11_EEDaSW_SX_EUlSW_E_NS1_11comp_targetILNS1_3genE10ELNS1_11target_archE1201ELNS1_3gpuE5ELNS1_3repE0EEENS1_30default_config_static_selectorELNS0_4arch9wavefront6targetE1EEEvT1_: ; @_ZN7rocprim17ROCPRIM_400000_NS6detail17trampoline_kernelINS0_14default_configENS1_33run_length_encode_config_selectorIN3c108BFloat16EjNS0_4plusIjEEEEZZNS1_33reduce_by_key_impl_wrapped_configILNS1_25lookback_scan_determinismE0ES3_S9_PKS6_NS0_17constant_iteratorIjlEEPS6_PlSH_S8_NS0_8equal_toIS6_EEEE10hipError_tPvRmT2_T3_mT4_T5_T6_T7_T8_P12ihipStream_tbENKUlT_T0_E_clISt17integral_constantIbLb0EES11_EEDaSW_SX_EUlSW_E_NS1_11comp_targetILNS1_3genE10ELNS1_11target_archE1201ELNS1_3gpuE5ELNS1_3repE0EEENS1_30default_config_static_selectorELNS0_4arch9wavefront6targetE1EEEvT1_
; %bb.0:
	.section	.rodata,"a",@progbits
	.p2align	6, 0x0
	.amdhsa_kernel _ZN7rocprim17ROCPRIM_400000_NS6detail17trampoline_kernelINS0_14default_configENS1_33run_length_encode_config_selectorIN3c108BFloat16EjNS0_4plusIjEEEEZZNS1_33reduce_by_key_impl_wrapped_configILNS1_25lookback_scan_determinismE0ES3_S9_PKS6_NS0_17constant_iteratorIjlEEPS6_PlSH_S8_NS0_8equal_toIS6_EEEE10hipError_tPvRmT2_T3_mT4_T5_T6_T7_T8_P12ihipStream_tbENKUlT_T0_E_clISt17integral_constantIbLb0EES11_EEDaSW_SX_EUlSW_E_NS1_11comp_targetILNS1_3genE10ELNS1_11target_archE1201ELNS1_3gpuE5ELNS1_3repE0EEENS1_30default_config_static_selectorELNS0_4arch9wavefront6targetE1EEEvT1_
		.amdhsa_group_segment_fixed_size 0
		.amdhsa_private_segment_fixed_size 0
		.amdhsa_kernarg_size 128
		.amdhsa_user_sgpr_count 2
		.amdhsa_user_sgpr_dispatch_ptr 0
		.amdhsa_user_sgpr_queue_ptr 0
		.amdhsa_user_sgpr_kernarg_segment_ptr 1
		.amdhsa_user_sgpr_dispatch_id 0
		.amdhsa_user_sgpr_kernarg_preload_length 0
		.amdhsa_user_sgpr_kernarg_preload_offset 0
		.amdhsa_user_sgpr_private_segment_size 0
		.amdhsa_uses_dynamic_stack 0
		.amdhsa_enable_private_segment 0
		.amdhsa_system_sgpr_workgroup_id_x 1
		.amdhsa_system_sgpr_workgroup_id_y 0
		.amdhsa_system_sgpr_workgroup_id_z 0
		.amdhsa_system_sgpr_workgroup_info 0
		.amdhsa_system_vgpr_workitem_id 0
		.amdhsa_next_free_vgpr 1
		.amdhsa_next_free_sgpr 0
		.amdhsa_accum_offset 4
		.amdhsa_reserve_vcc 0
		.amdhsa_float_round_mode_32 0
		.amdhsa_float_round_mode_16_64 0
		.amdhsa_float_denorm_mode_32 3
		.amdhsa_float_denorm_mode_16_64 3
		.amdhsa_dx10_clamp 1
		.amdhsa_ieee_mode 1
		.amdhsa_fp16_overflow 0
		.amdhsa_tg_split 0
		.amdhsa_exception_fp_ieee_invalid_op 0
		.amdhsa_exception_fp_denorm_src 0
		.amdhsa_exception_fp_ieee_div_zero 0
		.amdhsa_exception_fp_ieee_overflow 0
		.amdhsa_exception_fp_ieee_underflow 0
		.amdhsa_exception_fp_ieee_inexact 0
		.amdhsa_exception_int_div_zero 0
	.end_amdhsa_kernel
	.section	.text._ZN7rocprim17ROCPRIM_400000_NS6detail17trampoline_kernelINS0_14default_configENS1_33run_length_encode_config_selectorIN3c108BFloat16EjNS0_4plusIjEEEEZZNS1_33reduce_by_key_impl_wrapped_configILNS1_25lookback_scan_determinismE0ES3_S9_PKS6_NS0_17constant_iteratorIjlEEPS6_PlSH_S8_NS0_8equal_toIS6_EEEE10hipError_tPvRmT2_T3_mT4_T5_T6_T7_T8_P12ihipStream_tbENKUlT_T0_E_clISt17integral_constantIbLb0EES11_EEDaSW_SX_EUlSW_E_NS1_11comp_targetILNS1_3genE10ELNS1_11target_archE1201ELNS1_3gpuE5ELNS1_3repE0EEENS1_30default_config_static_selectorELNS0_4arch9wavefront6targetE1EEEvT1_,"axG",@progbits,_ZN7rocprim17ROCPRIM_400000_NS6detail17trampoline_kernelINS0_14default_configENS1_33run_length_encode_config_selectorIN3c108BFloat16EjNS0_4plusIjEEEEZZNS1_33reduce_by_key_impl_wrapped_configILNS1_25lookback_scan_determinismE0ES3_S9_PKS6_NS0_17constant_iteratorIjlEEPS6_PlSH_S8_NS0_8equal_toIS6_EEEE10hipError_tPvRmT2_T3_mT4_T5_T6_T7_T8_P12ihipStream_tbENKUlT_T0_E_clISt17integral_constantIbLb0EES11_EEDaSW_SX_EUlSW_E_NS1_11comp_targetILNS1_3genE10ELNS1_11target_archE1201ELNS1_3gpuE5ELNS1_3repE0EEENS1_30default_config_static_selectorELNS0_4arch9wavefront6targetE1EEEvT1_,comdat
.Lfunc_end861:
	.size	_ZN7rocprim17ROCPRIM_400000_NS6detail17trampoline_kernelINS0_14default_configENS1_33run_length_encode_config_selectorIN3c108BFloat16EjNS0_4plusIjEEEEZZNS1_33reduce_by_key_impl_wrapped_configILNS1_25lookback_scan_determinismE0ES3_S9_PKS6_NS0_17constant_iteratorIjlEEPS6_PlSH_S8_NS0_8equal_toIS6_EEEE10hipError_tPvRmT2_T3_mT4_T5_T6_T7_T8_P12ihipStream_tbENKUlT_T0_E_clISt17integral_constantIbLb0EES11_EEDaSW_SX_EUlSW_E_NS1_11comp_targetILNS1_3genE10ELNS1_11target_archE1201ELNS1_3gpuE5ELNS1_3repE0EEENS1_30default_config_static_selectorELNS0_4arch9wavefront6targetE1EEEvT1_, .Lfunc_end861-_ZN7rocprim17ROCPRIM_400000_NS6detail17trampoline_kernelINS0_14default_configENS1_33run_length_encode_config_selectorIN3c108BFloat16EjNS0_4plusIjEEEEZZNS1_33reduce_by_key_impl_wrapped_configILNS1_25lookback_scan_determinismE0ES3_S9_PKS6_NS0_17constant_iteratorIjlEEPS6_PlSH_S8_NS0_8equal_toIS6_EEEE10hipError_tPvRmT2_T3_mT4_T5_T6_T7_T8_P12ihipStream_tbENKUlT_T0_E_clISt17integral_constantIbLb0EES11_EEDaSW_SX_EUlSW_E_NS1_11comp_targetILNS1_3genE10ELNS1_11target_archE1201ELNS1_3gpuE5ELNS1_3repE0EEENS1_30default_config_static_selectorELNS0_4arch9wavefront6targetE1EEEvT1_
                                        ; -- End function
	.section	.AMDGPU.csdata,"",@progbits
; Kernel info:
; codeLenInByte = 0
; NumSgprs: 6
; NumVgprs: 0
; NumAgprs: 0
; TotalNumVgprs: 0
; ScratchSize: 0
; MemoryBound: 0
; FloatMode: 240
; IeeeMode: 1
; LDSByteSize: 0 bytes/workgroup (compile time only)
; SGPRBlocks: 0
; VGPRBlocks: 0
; NumSGPRsForWavesPerEU: 6
; NumVGPRsForWavesPerEU: 1
; AccumOffset: 4
; Occupancy: 8
; WaveLimiterHint : 0
; COMPUTE_PGM_RSRC2:SCRATCH_EN: 0
; COMPUTE_PGM_RSRC2:USER_SGPR: 2
; COMPUTE_PGM_RSRC2:TRAP_HANDLER: 0
; COMPUTE_PGM_RSRC2:TGID_X_EN: 1
; COMPUTE_PGM_RSRC2:TGID_Y_EN: 0
; COMPUTE_PGM_RSRC2:TGID_Z_EN: 0
; COMPUTE_PGM_RSRC2:TIDIG_COMP_CNT: 0
; COMPUTE_PGM_RSRC3_GFX90A:ACCUM_OFFSET: 0
; COMPUTE_PGM_RSRC3_GFX90A:TG_SPLIT: 0
	.section	.text._ZN7rocprim17ROCPRIM_400000_NS6detail17trampoline_kernelINS0_14default_configENS1_33run_length_encode_config_selectorIN3c108BFloat16EjNS0_4plusIjEEEEZZNS1_33reduce_by_key_impl_wrapped_configILNS1_25lookback_scan_determinismE0ES3_S9_PKS6_NS0_17constant_iteratorIjlEEPS6_PlSH_S8_NS0_8equal_toIS6_EEEE10hipError_tPvRmT2_T3_mT4_T5_T6_T7_T8_P12ihipStream_tbENKUlT_T0_E_clISt17integral_constantIbLb0EES11_EEDaSW_SX_EUlSW_E_NS1_11comp_targetILNS1_3genE10ELNS1_11target_archE1200ELNS1_3gpuE4ELNS1_3repE0EEENS1_30default_config_static_selectorELNS0_4arch9wavefront6targetE1EEEvT1_,"axG",@progbits,_ZN7rocprim17ROCPRIM_400000_NS6detail17trampoline_kernelINS0_14default_configENS1_33run_length_encode_config_selectorIN3c108BFloat16EjNS0_4plusIjEEEEZZNS1_33reduce_by_key_impl_wrapped_configILNS1_25lookback_scan_determinismE0ES3_S9_PKS6_NS0_17constant_iteratorIjlEEPS6_PlSH_S8_NS0_8equal_toIS6_EEEE10hipError_tPvRmT2_T3_mT4_T5_T6_T7_T8_P12ihipStream_tbENKUlT_T0_E_clISt17integral_constantIbLb0EES11_EEDaSW_SX_EUlSW_E_NS1_11comp_targetILNS1_3genE10ELNS1_11target_archE1200ELNS1_3gpuE4ELNS1_3repE0EEENS1_30default_config_static_selectorELNS0_4arch9wavefront6targetE1EEEvT1_,comdat
	.protected	_ZN7rocprim17ROCPRIM_400000_NS6detail17trampoline_kernelINS0_14default_configENS1_33run_length_encode_config_selectorIN3c108BFloat16EjNS0_4plusIjEEEEZZNS1_33reduce_by_key_impl_wrapped_configILNS1_25lookback_scan_determinismE0ES3_S9_PKS6_NS0_17constant_iteratorIjlEEPS6_PlSH_S8_NS0_8equal_toIS6_EEEE10hipError_tPvRmT2_T3_mT4_T5_T6_T7_T8_P12ihipStream_tbENKUlT_T0_E_clISt17integral_constantIbLb0EES11_EEDaSW_SX_EUlSW_E_NS1_11comp_targetILNS1_3genE10ELNS1_11target_archE1200ELNS1_3gpuE4ELNS1_3repE0EEENS1_30default_config_static_selectorELNS0_4arch9wavefront6targetE1EEEvT1_ ; -- Begin function _ZN7rocprim17ROCPRIM_400000_NS6detail17trampoline_kernelINS0_14default_configENS1_33run_length_encode_config_selectorIN3c108BFloat16EjNS0_4plusIjEEEEZZNS1_33reduce_by_key_impl_wrapped_configILNS1_25lookback_scan_determinismE0ES3_S9_PKS6_NS0_17constant_iteratorIjlEEPS6_PlSH_S8_NS0_8equal_toIS6_EEEE10hipError_tPvRmT2_T3_mT4_T5_T6_T7_T8_P12ihipStream_tbENKUlT_T0_E_clISt17integral_constantIbLb0EES11_EEDaSW_SX_EUlSW_E_NS1_11comp_targetILNS1_3genE10ELNS1_11target_archE1200ELNS1_3gpuE4ELNS1_3repE0EEENS1_30default_config_static_selectorELNS0_4arch9wavefront6targetE1EEEvT1_
	.globl	_ZN7rocprim17ROCPRIM_400000_NS6detail17trampoline_kernelINS0_14default_configENS1_33run_length_encode_config_selectorIN3c108BFloat16EjNS0_4plusIjEEEEZZNS1_33reduce_by_key_impl_wrapped_configILNS1_25lookback_scan_determinismE0ES3_S9_PKS6_NS0_17constant_iteratorIjlEEPS6_PlSH_S8_NS0_8equal_toIS6_EEEE10hipError_tPvRmT2_T3_mT4_T5_T6_T7_T8_P12ihipStream_tbENKUlT_T0_E_clISt17integral_constantIbLb0EES11_EEDaSW_SX_EUlSW_E_NS1_11comp_targetILNS1_3genE10ELNS1_11target_archE1200ELNS1_3gpuE4ELNS1_3repE0EEENS1_30default_config_static_selectorELNS0_4arch9wavefront6targetE1EEEvT1_
	.p2align	8
	.type	_ZN7rocprim17ROCPRIM_400000_NS6detail17trampoline_kernelINS0_14default_configENS1_33run_length_encode_config_selectorIN3c108BFloat16EjNS0_4plusIjEEEEZZNS1_33reduce_by_key_impl_wrapped_configILNS1_25lookback_scan_determinismE0ES3_S9_PKS6_NS0_17constant_iteratorIjlEEPS6_PlSH_S8_NS0_8equal_toIS6_EEEE10hipError_tPvRmT2_T3_mT4_T5_T6_T7_T8_P12ihipStream_tbENKUlT_T0_E_clISt17integral_constantIbLb0EES11_EEDaSW_SX_EUlSW_E_NS1_11comp_targetILNS1_3genE10ELNS1_11target_archE1200ELNS1_3gpuE4ELNS1_3repE0EEENS1_30default_config_static_selectorELNS0_4arch9wavefront6targetE1EEEvT1_,@function
_ZN7rocprim17ROCPRIM_400000_NS6detail17trampoline_kernelINS0_14default_configENS1_33run_length_encode_config_selectorIN3c108BFloat16EjNS0_4plusIjEEEEZZNS1_33reduce_by_key_impl_wrapped_configILNS1_25lookback_scan_determinismE0ES3_S9_PKS6_NS0_17constant_iteratorIjlEEPS6_PlSH_S8_NS0_8equal_toIS6_EEEE10hipError_tPvRmT2_T3_mT4_T5_T6_T7_T8_P12ihipStream_tbENKUlT_T0_E_clISt17integral_constantIbLb0EES11_EEDaSW_SX_EUlSW_E_NS1_11comp_targetILNS1_3genE10ELNS1_11target_archE1200ELNS1_3gpuE4ELNS1_3repE0EEENS1_30default_config_static_selectorELNS0_4arch9wavefront6targetE1EEEvT1_: ; @_ZN7rocprim17ROCPRIM_400000_NS6detail17trampoline_kernelINS0_14default_configENS1_33run_length_encode_config_selectorIN3c108BFloat16EjNS0_4plusIjEEEEZZNS1_33reduce_by_key_impl_wrapped_configILNS1_25lookback_scan_determinismE0ES3_S9_PKS6_NS0_17constant_iteratorIjlEEPS6_PlSH_S8_NS0_8equal_toIS6_EEEE10hipError_tPvRmT2_T3_mT4_T5_T6_T7_T8_P12ihipStream_tbENKUlT_T0_E_clISt17integral_constantIbLb0EES11_EEDaSW_SX_EUlSW_E_NS1_11comp_targetILNS1_3genE10ELNS1_11target_archE1200ELNS1_3gpuE4ELNS1_3repE0EEENS1_30default_config_static_selectorELNS0_4arch9wavefront6targetE1EEEvT1_
; %bb.0:
	.section	.rodata,"a",@progbits
	.p2align	6, 0x0
	.amdhsa_kernel _ZN7rocprim17ROCPRIM_400000_NS6detail17trampoline_kernelINS0_14default_configENS1_33run_length_encode_config_selectorIN3c108BFloat16EjNS0_4plusIjEEEEZZNS1_33reduce_by_key_impl_wrapped_configILNS1_25lookback_scan_determinismE0ES3_S9_PKS6_NS0_17constant_iteratorIjlEEPS6_PlSH_S8_NS0_8equal_toIS6_EEEE10hipError_tPvRmT2_T3_mT4_T5_T6_T7_T8_P12ihipStream_tbENKUlT_T0_E_clISt17integral_constantIbLb0EES11_EEDaSW_SX_EUlSW_E_NS1_11comp_targetILNS1_3genE10ELNS1_11target_archE1200ELNS1_3gpuE4ELNS1_3repE0EEENS1_30default_config_static_selectorELNS0_4arch9wavefront6targetE1EEEvT1_
		.amdhsa_group_segment_fixed_size 0
		.amdhsa_private_segment_fixed_size 0
		.amdhsa_kernarg_size 128
		.amdhsa_user_sgpr_count 2
		.amdhsa_user_sgpr_dispatch_ptr 0
		.amdhsa_user_sgpr_queue_ptr 0
		.amdhsa_user_sgpr_kernarg_segment_ptr 1
		.amdhsa_user_sgpr_dispatch_id 0
		.amdhsa_user_sgpr_kernarg_preload_length 0
		.amdhsa_user_sgpr_kernarg_preload_offset 0
		.amdhsa_user_sgpr_private_segment_size 0
		.amdhsa_uses_dynamic_stack 0
		.amdhsa_enable_private_segment 0
		.amdhsa_system_sgpr_workgroup_id_x 1
		.amdhsa_system_sgpr_workgroup_id_y 0
		.amdhsa_system_sgpr_workgroup_id_z 0
		.amdhsa_system_sgpr_workgroup_info 0
		.amdhsa_system_vgpr_workitem_id 0
		.amdhsa_next_free_vgpr 1
		.amdhsa_next_free_sgpr 0
		.amdhsa_accum_offset 4
		.amdhsa_reserve_vcc 0
		.amdhsa_float_round_mode_32 0
		.amdhsa_float_round_mode_16_64 0
		.amdhsa_float_denorm_mode_32 3
		.amdhsa_float_denorm_mode_16_64 3
		.amdhsa_dx10_clamp 1
		.amdhsa_ieee_mode 1
		.amdhsa_fp16_overflow 0
		.amdhsa_tg_split 0
		.amdhsa_exception_fp_ieee_invalid_op 0
		.amdhsa_exception_fp_denorm_src 0
		.amdhsa_exception_fp_ieee_div_zero 0
		.amdhsa_exception_fp_ieee_overflow 0
		.amdhsa_exception_fp_ieee_underflow 0
		.amdhsa_exception_fp_ieee_inexact 0
		.amdhsa_exception_int_div_zero 0
	.end_amdhsa_kernel
	.section	.text._ZN7rocprim17ROCPRIM_400000_NS6detail17trampoline_kernelINS0_14default_configENS1_33run_length_encode_config_selectorIN3c108BFloat16EjNS0_4plusIjEEEEZZNS1_33reduce_by_key_impl_wrapped_configILNS1_25lookback_scan_determinismE0ES3_S9_PKS6_NS0_17constant_iteratorIjlEEPS6_PlSH_S8_NS0_8equal_toIS6_EEEE10hipError_tPvRmT2_T3_mT4_T5_T6_T7_T8_P12ihipStream_tbENKUlT_T0_E_clISt17integral_constantIbLb0EES11_EEDaSW_SX_EUlSW_E_NS1_11comp_targetILNS1_3genE10ELNS1_11target_archE1200ELNS1_3gpuE4ELNS1_3repE0EEENS1_30default_config_static_selectorELNS0_4arch9wavefront6targetE1EEEvT1_,"axG",@progbits,_ZN7rocprim17ROCPRIM_400000_NS6detail17trampoline_kernelINS0_14default_configENS1_33run_length_encode_config_selectorIN3c108BFloat16EjNS0_4plusIjEEEEZZNS1_33reduce_by_key_impl_wrapped_configILNS1_25lookback_scan_determinismE0ES3_S9_PKS6_NS0_17constant_iteratorIjlEEPS6_PlSH_S8_NS0_8equal_toIS6_EEEE10hipError_tPvRmT2_T3_mT4_T5_T6_T7_T8_P12ihipStream_tbENKUlT_T0_E_clISt17integral_constantIbLb0EES11_EEDaSW_SX_EUlSW_E_NS1_11comp_targetILNS1_3genE10ELNS1_11target_archE1200ELNS1_3gpuE4ELNS1_3repE0EEENS1_30default_config_static_selectorELNS0_4arch9wavefront6targetE1EEEvT1_,comdat
.Lfunc_end862:
	.size	_ZN7rocprim17ROCPRIM_400000_NS6detail17trampoline_kernelINS0_14default_configENS1_33run_length_encode_config_selectorIN3c108BFloat16EjNS0_4plusIjEEEEZZNS1_33reduce_by_key_impl_wrapped_configILNS1_25lookback_scan_determinismE0ES3_S9_PKS6_NS0_17constant_iteratorIjlEEPS6_PlSH_S8_NS0_8equal_toIS6_EEEE10hipError_tPvRmT2_T3_mT4_T5_T6_T7_T8_P12ihipStream_tbENKUlT_T0_E_clISt17integral_constantIbLb0EES11_EEDaSW_SX_EUlSW_E_NS1_11comp_targetILNS1_3genE10ELNS1_11target_archE1200ELNS1_3gpuE4ELNS1_3repE0EEENS1_30default_config_static_selectorELNS0_4arch9wavefront6targetE1EEEvT1_, .Lfunc_end862-_ZN7rocprim17ROCPRIM_400000_NS6detail17trampoline_kernelINS0_14default_configENS1_33run_length_encode_config_selectorIN3c108BFloat16EjNS0_4plusIjEEEEZZNS1_33reduce_by_key_impl_wrapped_configILNS1_25lookback_scan_determinismE0ES3_S9_PKS6_NS0_17constant_iteratorIjlEEPS6_PlSH_S8_NS0_8equal_toIS6_EEEE10hipError_tPvRmT2_T3_mT4_T5_T6_T7_T8_P12ihipStream_tbENKUlT_T0_E_clISt17integral_constantIbLb0EES11_EEDaSW_SX_EUlSW_E_NS1_11comp_targetILNS1_3genE10ELNS1_11target_archE1200ELNS1_3gpuE4ELNS1_3repE0EEENS1_30default_config_static_selectorELNS0_4arch9wavefront6targetE1EEEvT1_
                                        ; -- End function
	.section	.AMDGPU.csdata,"",@progbits
; Kernel info:
; codeLenInByte = 0
; NumSgprs: 6
; NumVgprs: 0
; NumAgprs: 0
; TotalNumVgprs: 0
; ScratchSize: 0
; MemoryBound: 0
; FloatMode: 240
; IeeeMode: 1
; LDSByteSize: 0 bytes/workgroup (compile time only)
; SGPRBlocks: 0
; VGPRBlocks: 0
; NumSGPRsForWavesPerEU: 6
; NumVGPRsForWavesPerEU: 1
; AccumOffset: 4
; Occupancy: 8
; WaveLimiterHint : 0
; COMPUTE_PGM_RSRC2:SCRATCH_EN: 0
; COMPUTE_PGM_RSRC2:USER_SGPR: 2
; COMPUTE_PGM_RSRC2:TRAP_HANDLER: 0
; COMPUTE_PGM_RSRC2:TGID_X_EN: 1
; COMPUTE_PGM_RSRC2:TGID_Y_EN: 0
; COMPUTE_PGM_RSRC2:TGID_Z_EN: 0
; COMPUTE_PGM_RSRC2:TIDIG_COMP_CNT: 0
; COMPUTE_PGM_RSRC3_GFX90A:ACCUM_OFFSET: 0
; COMPUTE_PGM_RSRC3_GFX90A:TG_SPLIT: 0
	.section	.text._ZN7rocprim17ROCPRIM_400000_NS6detail17trampoline_kernelINS0_14default_configENS1_33run_length_encode_config_selectorIN3c108BFloat16EjNS0_4plusIjEEEEZZNS1_33reduce_by_key_impl_wrapped_configILNS1_25lookback_scan_determinismE0ES3_S9_PKS6_NS0_17constant_iteratorIjlEEPS6_PlSH_S8_NS0_8equal_toIS6_EEEE10hipError_tPvRmT2_T3_mT4_T5_T6_T7_T8_P12ihipStream_tbENKUlT_T0_E_clISt17integral_constantIbLb0EES11_EEDaSW_SX_EUlSW_E_NS1_11comp_targetILNS1_3genE9ELNS1_11target_archE1100ELNS1_3gpuE3ELNS1_3repE0EEENS1_30default_config_static_selectorELNS0_4arch9wavefront6targetE1EEEvT1_,"axG",@progbits,_ZN7rocprim17ROCPRIM_400000_NS6detail17trampoline_kernelINS0_14default_configENS1_33run_length_encode_config_selectorIN3c108BFloat16EjNS0_4plusIjEEEEZZNS1_33reduce_by_key_impl_wrapped_configILNS1_25lookback_scan_determinismE0ES3_S9_PKS6_NS0_17constant_iteratorIjlEEPS6_PlSH_S8_NS0_8equal_toIS6_EEEE10hipError_tPvRmT2_T3_mT4_T5_T6_T7_T8_P12ihipStream_tbENKUlT_T0_E_clISt17integral_constantIbLb0EES11_EEDaSW_SX_EUlSW_E_NS1_11comp_targetILNS1_3genE9ELNS1_11target_archE1100ELNS1_3gpuE3ELNS1_3repE0EEENS1_30default_config_static_selectorELNS0_4arch9wavefront6targetE1EEEvT1_,comdat
	.protected	_ZN7rocprim17ROCPRIM_400000_NS6detail17trampoline_kernelINS0_14default_configENS1_33run_length_encode_config_selectorIN3c108BFloat16EjNS0_4plusIjEEEEZZNS1_33reduce_by_key_impl_wrapped_configILNS1_25lookback_scan_determinismE0ES3_S9_PKS6_NS0_17constant_iteratorIjlEEPS6_PlSH_S8_NS0_8equal_toIS6_EEEE10hipError_tPvRmT2_T3_mT4_T5_T6_T7_T8_P12ihipStream_tbENKUlT_T0_E_clISt17integral_constantIbLb0EES11_EEDaSW_SX_EUlSW_E_NS1_11comp_targetILNS1_3genE9ELNS1_11target_archE1100ELNS1_3gpuE3ELNS1_3repE0EEENS1_30default_config_static_selectorELNS0_4arch9wavefront6targetE1EEEvT1_ ; -- Begin function _ZN7rocprim17ROCPRIM_400000_NS6detail17trampoline_kernelINS0_14default_configENS1_33run_length_encode_config_selectorIN3c108BFloat16EjNS0_4plusIjEEEEZZNS1_33reduce_by_key_impl_wrapped_configILNS1_25lookback_scan_determinismE0ES3_S9_PKS6_NS0_17constant_iteratorIjlEEPS6_PlSH_S8_NS0_8equal_toIS6_EEEE10hipError_tPvRmT2_T3_mT4_T5_T6_T7_T8_P12ihipStream_tbENKUlT_T0_E_clISt17integral_constantIbLb0EES11_EEDaSW_SX_EUlSW_E_NS1_11comp_targetILNS1_3genE9ELNS1_11target_archE1100ELNS1_3gpuE3ELNS1_3repE0EEENS1_30default_config_static_selectorELNS0_4arch9wavefront6targetE1EEEvT1_
	.globl	_ZN7rocprim17ROCPRIM_400000_NS6detail17trampoline_kernelINS0_14default_configENS1_33run_length_encode_config_selectorIN3c108BFloat16EjNS0_4plusIjEEEEZZNS1_33reduce_by_key_impl_wrapped_configILNS1_25lookback_scan_determinismE0ES3_S9_PKS6_NS0_17constant_iteratorIjlEEPS6_PlSH_S8_NS0_8equal_toIS6_EEEE10hipError_tPvRmT2_T3_mT4_T5_T6_T7_T8_P12ihipStream_tbENKUlT_T0_E_clISt17integral_constantIbLb0EES11_EEDaSW_SX_EUlSW_E_NS1_11comp_targetILNS1_3genE9ELNS1_11target_archE1100ELNS1_3gpuE3ELNS1_3repE0EEENS1_30default_config_static_selectorELNS0_4arch9wavefront6targetE1EEEvT1_
	.p2align	8
	.type	_ZN7rocprim17ROCPRIM_400000_NS6detail17trampoline_kernelINS0_14default_configENS1_33run_length_encode_config_selectorIN3c108BFloat16EjNS0_4plusIjEEEEZZNS1_33reduce_by_key_impl_wrapped_configILNS1_25lookback_scan_determinismE0ES3_S9_PKS6_NS0_17constant_iteratorIjlEEPS6_PlSH_S8_NS0_8equal_toIS6_EEEE10hipError_tPvRmT2_T3_mT4_T5_T6_T7_T8_P12ihipStream_tbENKUlT_T0_E_clISt17integral_constantIbLb0EES11_EEDaSW_SX_EUlSW_E_NS1_11comp_targetILNS1_3genE9ELNS1_11target_archE1100ELNS1_3gpuE3ELNS1_3repE0EEENS1_30default_config_static_selectorELNS0_4arch9wavefront6targetE1EEEvT1_,@function
_ZN7rocprim17ROCPRIM_400000_NS6detail17trampoline_kernelINS0_14default_configENS1_33run_length_encode_config_selectorIN3c108BFloat16EjNS0_4plusIjEEEEZZNS1_33reduce_by_key_impl_wrapped_configILNS1_25lookback_scan_determinismE0ES3_S9_PKS6_NS0_17constant_iteratorIjlEEPS6_PlSH_S8_NS0_8equal_toIS6_EEEE10hipError_tPvRmT2_T3_mT4_T5_T6_T7_T8_P12ihipStream_tbENKUlT_T0_E_clISt17integral_constantIbLb0EES11_EEDaSW_SX_EUlSW_E_NS1_11comp_targetILNS1_3genE9ELNS1_11target_archE1100ELNS1_3gpuE3ELNS1_3repE0EEENS1_30default_config_static_selectorELNS0_4arch9wavefront6targetE1EEEvT1_: ; @_ZN7rocprim17ROCPRIM_400000_NS6detail17trampoline_kernelINS0_14default_configENS1_33run_length_encode_config_selectorIN3c108BFloat16EjNS0_4plusIjEEEEZZNS1_33reduce_by_key_impl_wrapped_configILNS1_25lookback_scan_determinismE0ES3_S9_PKS6_NS0_17constant_iteratorIjlEEPS6_PlSH_S8_NS0_8equal_toIS6_EEEE10hipError_tPvRmT2_T3_mT4_T5_T6_T7_T8_P12ihipStream_tbENKUlT_T0_E_clISt17integral_constantIbLb0EES11_EEDaSW_SX_EUlSW_E_NS1_11comp_targetILNS1_3genE9ELNS1_11target_archE1100ELNS1_3gpuE3ELNS1_3repE0EEENS1_30default_config_static_selectorELNS0_4arch9wavefront6targetE1EEEvT1_
; %bb.0:
	.section	.rodata,"a",@progbits
	.p2align	6, 0x0
	.amdhsa_kernel _ZN7rocprim17ROCPRIM_400000_NS6detail17trampoline_kernelINS0_14default_configENS1_33run_length_encode_config_selectorIN3c108BFloat16EjNS0_4plusIjEEEEZZNS1_33reduce_by_key_impl_wrapped_configILNS1_25lookback_scan_determinismE0ES3_S9_PKS6_NS0_17constant_iteratorIjlEEPS6_PlSH_S8_NS0_8equal_toIS6_EEEE10hipError_tPvRmT2_T3_mT4_T5_T6_T7_T8_P12ihipStream_tbENKUlT_T0_E_clISt17integral_constantIbLb0EES11_EEDaSW_SX_EUlSW_E_NS1_11comp_targetILNS1_3genE9ELNS1_11target_archE1100ELNS1_3gpuE3ELNS1_3repE0EEENS1_30default_config_static_selectorELNS0_4arch9wavefront6targetE1EEEvT1_
		.amdhsa_group_segment_fixed_size 0
		.amdhsa_private_segment_fixed_size 0
		.amdhsa_kernarg_size 128
		.amdhsa_user_sgpr_count 2
		.amdhsa_user_sgpr_dispatch_ptr 0
		.amdhsa_user_sgpr_queue_ptr 0
		.amdhsa_user_sgpr_kernarg_segment_ptr 1
		.amdhsa_user_sgpr_dispatch_id 0
		.amdhsa_user_sgpr_kernarg_preload_length 0
		.amdhsa_user_sgpr_kernarg_preload_offset 0
		.amdhsa_user_sgpr_private_segment_size 0
		.amdhsa_uses_dynamic_stack 0
		.amdhsa_enable_private_segment 0
		.amdhsa_system_sgpr_workgroup_id_x 1
		.amdhsa_system_sgpr_workgroup_id_y 0
		.amdhsa_system_sgpr_workgroup_id_z 0
		.amdhsa_system_sgpr_workgroup_info 0
		.amdhsa_system_vgpr_workitem_id 0
		.amdhsa_next_free_vgpr 1
		.amdhsa_next_free_sgpr 0
		.amdhsa_accum_offset 4
		.amdhsa_reserve_vcc 0
		.amdhsa_float_round_mode_32 0
		.amdhsa_float_round_mode_16_64 0
		.amdhsa_float_denorm_mode_32 3
		.amdhsa_float_denorm_mode_16_64 3
		.amdhsa_dx10_clamp 1
		.amdhsa_ieee_mode 1
		.amdhsa_fp16_overflow 0
		.amdhsa_tg_split 0
		.amdhsa_exception_fp_ieee_invalid_op 0
		.amdhsa_exception_fp_denorm_src 0
		.amdhsa_exception_fp_ieee_div_zero 0
		.amdhsa_exception_fp_ieee_overflow 0
		.amdhsa_exception_fp_ieee_underflow 0
		.amdhsa_exception_fp_ieee_inexact 0
		.amdhsa_exception_int_div_zero 0
	.end_amdhsa_kernel
	.section	.text._ZN7rocprim17ROCPRIM_400000_NS6detail17trampoline_kernelINS0_14default_configENS1_33run_length_encode_config_selectorIN3c108BFloat16EjNS0_4plusIjEEEEZZNS1_33reduce_by_key_impl_wrapped_configILNS1_25lookback_scan_determinismE0ES3_S9_PKS6_NS0_17constant_iteratorIjlEEPS6_PlSH_S8_NS0_8equal_toIS6_EEEE10hipError_tPvRmT2_T3_mT4_T5_T6_T7_T8_P12ihipStream_tbENKUlT_T0_E_clISt17integral_constantIbLb0EES11_EEDaSW_SX_EUlSW_E_NS1_11comp_targetILNS1_3genE9ELNS1_11target_archE1100ELNS1_3gpuE3ELNS1_3repE0EEENS1_30default_config_static_selectorELNS0_4arch9wavefront6targetE1EEEvT1_,"axG",@progbits,_ZN7rocprim17ROCPRIM_400000_NS6detail17trampoline_kernelINS0_14default_configENS1_33run_length_encode_config_selectorIN3c108BFloat16EjNS0_4plusIjEEEEZZNS1_33reduce_by_key_impl_wrapped_configILNS1_25lookback_scan_determinismE0ES3_S9_PKS6_NS0_17constant_iteratorIjlEEPS6_PlSH_S8_NS0_8equal_toIS6_EEEE10hipError_tPvRmT2_T3_mT4_T5_T6_T7_T8_P12ihipStream_tbENKUlT_T0_E_clISt17integral_constantIbLb0EES11_EEDaSW_SX_EUlSW_E_NS1_11comp_targetILNS1_3genE9ELNS1_11target_archE1100ELNS1_3gpuE3ELNS1_3repE0EEENS1_30default_config_static_selectorELNS0_4arch9wavefront6targetE1EEEvT1_,comdat
.Lfunc_end863:
	.size	_ZN7rocprim17ROCPRIM_400000_NS6detail17trampoline_kernelINS0_14default_configENS1_33run_length_encode_config_selectorIN3c108BFloat16EjNS0_4plusIjEEEEZZNS1_33reduce_by_key_impl_wrapped_configILNS1_25lookback_scan_determinismE0ES3_S9_PKS6_NS0_17constant_iteratorIjlEEPS6_PlSH_S8_NS0_8equal_toIS6_EEEE10hipError_tPvRmT2_T3_mT4_T5_T6_T7_T8_P12ihipStream_tbENKUlT_T0_E_clISt17integral_constantIbLb0EES11_EEDaSW_SX_EUlSW_E_NS1_11comp_targetILNS1_3genE9ELNS1_11target_archE1100ELNS1_3gpuE3ELNS1_3repE0EEENS1_30default_config_static_selectorELNS0_4arch9wavefront6targetE1EEEvT1_, .Lfunc_end863-_ZN7rocprim17ROCPRIM_400000_NS6detail17trampoline_kernelINS0_14default_configENS1_33run_length_encode_config_selectorIN3c108BFloat16EjNS0_4plusIjEEEEZZNS1_33reduce_by_key_impl_wrapped_configILNS1_25lookback_scan_determinismE0ES3_S9_PKS6_NS0_17constant_iteratorIjlEEPS6_PlSH_S8_NS0_8equal_toIS6_EEEE10hipError_tPvRmT2_T3_mT4_T5_T6_T7_T8_P12ihipStream_tbENKUlT_T0_E_clISt17integral_constantIbLb0EES11_EEDaSW_SX_EUlSW_E_NS1_11comp_targetILNS1_3genE9ELNS1_11target_archE1100ELNS1_3gpuE3ELNS1_3repE0EEENS1_30default_config_static_selectorELNS0_4arch9wavefront6targetE1EEEvT1_
                                        ; -- End function
	.section	.AMDGPU.csdata,"",@progbits
; Kernel info:
; codeLenInByte = 0
; NumSgprs: 6
; NumVgprs: 0
; NumAgprs: 0
; TotalNumVgprs: 0
; ScratchSize: 0
; MemoryBound: 0
; FloatMode: 240
; IeeeMode: 1
; LDSByteSize: 0 bytes/workgroup (compile time only)
; SGPRBlocks: 0
; VGPRBlocks: 0
; NumSGPRsForWavesPerEU: 6
; NumVGPRsForWavesPerEU: 1
; AccumOffset: 4
; Occupancy: 8
; WaveLimiterHint : 0
; COMPUTE_PGM_RSRC2:SCRATCH_EN: 0
; COMPUTE_PGM_RSRC2:USER_SGPR: 2
; COMPUTE_PGM_RSRC2:TRAP_HANDLER: 0
; COMPUTE_PGM_RSRC2:TGID_X_EN: 1
; COMPUTE_PGM_RSRC2:TGID_Y_EN: 0
; COMPUTE_PGM_RSRC2:TGID_Z_EN: 0
; COMPUTE_PGM_RSRC2:TIDIG_COMP_CNT: 0
; COMPUTE_PGM_RSRC3_GFX90A:ACCUM_OFFSET: 0
; COMPUTE_PGM_RSRC3_GFX90A:TG_SPLIT: 0
	.section	.text._ZN7rocprim17ROCPRIM_400000_NS6detail17trampoline_kernelINS0_14default_configENS1_33run_length_encode_config_selectorIN3c108BFloat16EjNS0_4plusIjEEEEZZNS1_33reduce_by_key_impl_wrapped_configILNS1_25lookback_scan_determinismE0ES3_S9_PKS6_NS0_17constant_iteratorIjlEEPS6_PlSH_S8_NS0_8equal_toIS6_EEEE10hipError_tPvRmT2_T3_mT4_T5_T6_T7_T8_P12ihipStream_tbENKUlT_T0_E_clISt17integral_constantIbLb0EES11_EEDaSW_SX_EUlSW_E_NS1_11comp_targetILNS1_3genE8ELNS1_11target_archE1030ELNS1_3gpuE2ELNS1_3repE0EEENS1_30default_config_static_selectorELNS0_4arch9wavefront6targetE1EEEvT1_,"axG",@progbits,_ZN7rocprim17ROCPRIM_400000_NS6detail17trampoline_kernelINS0_14default_configENS1_33run_length_encode_config_selectorIN3c108BFloat16EjNS0_4plusIjEEEEZZNS1_33reduce_by_key_impl_wrapped_configILNS1_25lookback_scan_determinismE0ES3_S9_PKS6_NS0_17constant_iteratorIjlEEPS6_PlSH_S8_NS0_8equal_toIS6_EEEE10hipError_tPvRmT2_T3_mT4_T5_T6_T7_T8_P12ihipStream_tbENKUlT_T0_E_clISt17integral_constantIbLb0EES11_EEDaSW_SX_EUlSW_E_NS1_11comp_targetILNS1_3genE8ELNS1_11target_archE1030ELNS1_3gpuE2ELNS1_3repE0EEENS1_30default_config_static_selectorELNS0_4arch9wavefront6targetE1EEEvT1_,comdat
	.protected	_ZN7rocprim17ROCPRIM_400000_NS6detail17trampoline_kernelINS0_14default_configENS1_33run_length_encode_config_selectorIN3c108BFloat16EjNS0_4plusIjEEEEZZNS1_33reduce_by_key_impl_wrapped_configILNS1_25lookback_scan_determinismE0ES3_S9_PKS6_NS0_17constant_iteratorIjlEEPS6_PlSH_S8_NS0_8equal_toIS6_EEEE10hipError_tPvRmT2_T3_mT4_T5_T6_T7_T8_P12ihipStream_tbENKUlT_T0_E_clISt17integral_constantIbLb0EES11_EEDaSW_SX_EUlSW_E_NS1_11comp_targetILNS1_3genE8ELNS1_11target_archE1030ELNS1_3gpuE2ELNS1_3repE0EEENS1_30default_config_static_selectorELNS0_4arch9wavefront6targetE1EEEvT1_ ; -- Begin function _ZN7rocprim17ROCPRIM_400000_NS6detail17trampoline_kernelINS0_14default_configENS1_33run_length_encode_config_selectorIN3c108BFloat16EjNS0_4plusIjEEEEZZNS1_33reduce_by_key_impl_wrapped_configILNS1_25lookback_scan_determinismE0ES3_S9_PKS6_NS0_17constant_iteratorIjlEEPS6_PlSH_S8_NS0_8equal_toIS6_EEEE10hipError_tPvRmT2_T3_mT4_T5_T6_T7_T8_P12ihipStream_tbENKUlT_T0_E_clISt17integral_constantIbLb0EES11_EEDaSW_SX_EUlSW_E_NS1_11comp_targetILNS1_3genE8ELNS1_11target_archE1030ELNS1_3gpuE2ELNS1_3repE0EEENS1_30default_config_static_selectorELNS0_4arch9wavefront6targetE1EEEvT1_
	.globl	_ZN7rocprim17ROCPRIM_400000_NS6detail17trampoline_kernelINS0_14default_configENS1_33run_length_encode_config_selectorIN3c108BFloat16EjNS0_4plusIjEEEEZZNS1_33reduce_by_key_impl_wrapped_configILNS1_25lookback_scan_determinismE0ES3_S9_PKS6_NS0_17constant_iteratorIjlEEPS6_PlSH_S8_NS0_8equal_toIS6_EEEE10hipError_tPvRmT2_T3_mT4_T5_T6_T7_T8_P12ihipStream_tbENKUlT_T0_E_clISt17integral_constantIbLb0EES11_EEDaSW_SX_EUlSW_E_NS1_11comp_targetILNS1_3genE8ELNS1_11target_archE1030ELNS1_3gpuE2ELNS1_3repE0EEENS1_30default_config_static_selectorELNS0_4arch9wavefront6targetE1EEEvT1_
	.p2align	8
	.type	_ZN7rocprim17ROCPRIM_400000_NS6detail17trampoline_kernelINS0_14default_configENS1_33run_length_encode_config_selectorIN3c108BFloat16EjNS0_4plusIjEEEEZZNS1_33reduce_by_key_impl_wrapped_configILNS1_25lookback_scan_determinismE0ES3_S9_PKS6_NS0_17constant_iteratorIjlEEPS6_PlSH_S8_NS0_8equal_toIS6_EEEE10hipError_tPvRmT2_T3_mT4_T5_T6_T7_T8_P12ihipStream_tbENKUlT_T0_E_clISt17integral_constantIbLb0EES11_EEDaSW_SX_EUlSW_E_NS1_11comp_targetILNS1_3genE8ELNS1_11target_archE1030ELNS1_3gpuE2ELNS1_3repE0EEENS1_30default_config_static_selectorELNS0_4arch9wavefront6targetE1EEEvT1_,@function
_ZN7rocprim17ROCPRIM_400000_NS6detail17trampoline_kernelINS0_14default_configENS1_33run_length_encode_config_selectorIN3c108BFloat16EjNS0_4plusIjEEEEZZNS1_33reduce_by_key_impl_wrapped_configILNS1_25lookback_scan_determinismE0ES3_S9_PKS6_NS0_17constant_iteratorIjlEEPS6_PlSH_S8_NS0_8equal_toIS6_EEEE10hipError_tPvRmT2_T3_mT4_T5_T6_T7_T8_P12ihipStream_tbENKUlT_T0_E_clISt17integral_constantIbLb0EES11_EEDaSW_SX_EUlSW_E_NS1_11comp_targetILNS1_3genE8ELNS1_11target_archE1030ELNS1_3gpuE2ELNS1_3repE0EEENS1_30default_config_static_selectorELNS0_4arch9wavefront6targetE1EEEvT1_: ; @_ZN7rocprim17ROCPRIM_400000_NS6detail17trampoline_kernelINS0_14default_configENS1_33run_length_encode_config_selectorIN3c108BFloat16EjNS0_4plusIjEEEEZZNS1_33reduce_by_key_impl_wrapped_configILNS1_25lookback_scan_determinismE0ES3_S9_PKS6_NS0_17constant_iteratorIjlEEPS6_PlSH_S8_NS0_8equal_toIS6_EEEE10hipError_tPvRmT2_T3_mT4_T5_T6_T7_T8_P12ihipStream_tbENKUlT_T0_E_clISt17integral_constantIbLb0EES11_EEDaSW_SX_EUlSW_E_NS1_11comp_targetILNS1_3genE8ELNS1_11target_archE1030ELNS1_3gpuE2ELNS1_3repE0EEENS1_30default_config_static_selectorELNS0_4arch9wavefront6targetE1EEEvT1_
; %bb.0:
	.section	.rodata,"a",@progbits
	.p2align	6, 0x0
	.amdhsa_kernel _ZN7rocprim17ROCPRIM_400000_NS6detail17trampoline_kernelINS0_14default_configENS1_33run_length_encode_config_selectorIN3c108BFloat16EjNS0_4plusIjEEEEZZNS1_33reduce_by_key_impl_wrapped_configILNS1_25lookback_scan_determinismE0ES3_S9_PKS6_NS0_17constant_iteratorIjlEEPS6_PlSH_S8_NS0_8equal_toIS6_EEEE10hipError_tPvRmT2_T3_mT4_T5_T6_T7_T8_P12ihipStream_tbENKUlT_T0_E_clISt17integral_constantIbLb0EES11_EEDaSW_SX_EUlSW_E_NS1_11comp_targetILNS1_3genE8ELNS1_11target_archE1030ELNS1_3gpuE2ELNS1_3repE0EEENS1_30default_config_static_selectorELNS0_4arch9wavefront6targetE1EEEvT1_
		.amdhsa_group_segment_fixed_size 0
		.amdhsa_private_segment_fixed_size 0
		.amdhsa_kernarg_size 128
		.amdhsa_user_sgpr_count 2
		.amdhsa_user_sgpr_dispatch_ptr 0
		.amdhsa_user_sgpr_queue_ptr 0
		.amdhsa_user_sgpr_kernarg_segment_ptr 1
		.amdhsa_user_sgpr_dispatch_id 0
		.amdhsa_user_sgpr_kernarg_preload_length 0
		.amdhsa_user_sgpr_kernarg_preload_offset 0
		.amdhsa_user_sgpr_private_segment_size 0
		.amdhsa_uses_dynamic_stack 0
		.amdhsa_enable_private_segment 0
		.amdhsa_system_sgpr_workgroup_id_x 1
		.amdhsa_system_sgpr_workgroup_id_y 0
		.amdhsa_system_sgpr_workgroup_id_z 0
		.amdhsa_system_sgpr_workgroup_info 0
		.amdhsa_system_vgpr_workitem_id 0
		.amdhsa_next_free_vgpr 1
		.amdhsa_next_free_sgpr 0
		.amdhsa_accum_offset 4
		.amdhsa_reserve_vcc 0
		.amdhsa_float_round_mode_32 0
		.amdhsa_float_round_mode_16_64 0
		.amdhsa_float_denorm_mode_32 3
		.amdhsa_float_denorm_mode_16_64 3
		.amdhsa_dx10_clamp 1
		.amdhsa_ieee_mode 1
		.amdhsa_fp16_overflow 0
		.amdhsa_tg_split 0
		.amdhsa_exception_fp_ieee_invalid_op 0
		.amdhsa_exception_fp_denorm_src 0
		.amdhsa_exception_fp_ieee_div_zero 0
		.amdhsa_exception_fp_ieee_overflow 0
		.amdhsa_exception_fp_ieee_underflow 0
		.amdhsa_exception_fp_ieee_inexact 0
		.amdhsa_exception_int_div_zero 0
	.end_amdhsa_kernel
	.section	.text._ZN7rocprim17ROCPRIM_400000_NS6detail17trampoline_kernelINS0_14default_configENS1_33run_length_encode_config_selectorIN3c108BFloat16EjNS0_4plusIjEEEEZZNS1_33reduce_by_key_impl_wrapped_configILNS1_25lookback_scan_determinismE0ES3_S9_PKS6_NS0_17constant_iteratorIjlEEPS6_PlSH_S8_NS0_8equal_toIS6_EEEE10hipError_tPvRmT2_T3_mT4_T5_T6_T7_T8_P12ihipStream_tbENKUlT_T0_E_clISt17integral_constantIbLb0EES11_EEDaSW_SX_EUlSW_E_NS1_11comp_targetILNS1_3genE8ELNS1_11target_archE1030ELNS1_3gpuE2ELNS1_3repE0EEENS1_30default_config_static_selectorELNS0_4arch9wavefront6targetE1EEEvT1_,"axG",@progbits,_ZN7rocprim17ROCPRIM_400000_NS6detail17trampoline_kernelINS0_14default_configENS1_33run_length_encode_config_selectorIN3c108BFloat16EjNS0_4plusIjEEEEZZNS1_33reduce_by_key_impl_wrapped_configILNS1_25lookback_scan_determinismE0ES3_S9_PKS6_NS0_17constant_iteratorIjlEEPS6_PlSH_S8_NS0_8equal_toIS6_EEEE10hipError_tPvRmT2_T3_mT4_T5_T6_T7_T8_P12ihipStream_tbENKUlT_T0_E_clISt17integral_constantIbLb0EES11_EEDaSW_SX_EUlSW_E_NS1_11comp_targetILNS1_3genE8ELNS1_11target_archE1030ELNS1_3gpuE2ELNS1_3repE0EEENS1_30default_config_static_selectorELNS0_4arch9wavefront6targetE1EEEvT1_,comdat
.Lfunc_end864:
	.size	_ZN7rocprim17ROCPRIM_400000_NS6detail17trampoline_kernelINS0_14default_configENS1_33run_length_encode_config_selectorIN3c108BFloat16EjNS0_4plusIjEEEEZZNS1_33reduce_by_key_impl_wrapped_configILNS1_25lookback_scan_determinismE0ES3_S9_PKS6_NS0_17constant_iteratorIjlEEPS6_PlSH_S8_NS0_8equal_toIS6_EEEE10hipError_tPvRmT2_T3_mT4_T5_T6_T7_T8_P12ihipStream_tbENKUlT_T0_E_clISt17integral_constantIbLb0EES11_EEDaSW_SX_EUlSW_E_NS1_11comp_targetILNS1_3genE8ELNS1_11target_archE1030ELNS1_3gpuE2ELNS1_3repE0EEENS1_30default_config_static_selectorELNS0_4arch9wavefront6targetE1EEEvT1_, .Lfunc_end864-_ZN7rocprim17ROCPRIM_400000_NS6detail17trampoline_kernelINS0_14default_configENS1_33run_length_encode_config_selectorIN3c108BFloat16EjNS0_4plusIjEEEEZZNS1_33reduce_by_key_impl_wrapped_configILNS1_25lookback_scan_determinismE0ES3_S9_PKS6_NS0_17constant_iteratorIjlEEPS6_PlSH_S8_NS0_8equal_toIS6_EEEE10hipError_tPvRmT2_T3_mT4_T5_T6_T7_T8_P12ihipStream_tbENKUlT_T0_E_clISt17integral_constantIbLb0EES11_EEDaSW_SX_EUlSW_E_NS1_11comp_targetILNS1_3genE8ELNS1_11target_archE1030ELNS1_3gpuE2ELNS1_3repE0EEENS1_30default_config_static_selectorELNS0_4arch9wavefront6targetE1EEEvT1_
                                        ; -- End function
	.section	.AMDGPU.csdata,"",@progbits
; Kernel info:
; codeLenInByte = 0
; NumSgprs: 6
; NumVgprs: 0
; NumAgprs: 0
; TotalNumVgprs: 0
; ScratchSize: 0
; MemoryBound: 0
; FloatMode: 240
; IeeeMode: 1
; LDSByteSize: 0 bytes/workgroup (compile time only)
; SGPRBlocks: 0
; VGPRBlocks: 0
; NumSGPRsForWavesPerEU: 6
; NumVGPRsForWavesPerEU: 1
; AccumOffset: 4
; Occupancy: 8
; WaveLimiterHint : 0
; COMPUTE_PGM_RSRC2:SCRATCH_EN: 0
; COMPUTE_PGM_RSRC2:USER_SGPR: 2
; COMPUTE_PGM_RSRC2:TRAP_HANDLER: 0
; COMPUTE_PGM_RSRC2:TGID_X_EN: 1
; COMPUTE_PGM_RSRC2:TGID_Y_EN: 0
; COMPUTE_PGM_RSRC2:TGID_Z_EN: 0
; COMPUTE_PGM_RSRC2:TIDIG_COMP_CNT: 0
; COMPUTE_PGM_RSRC3_GFX90A:ACCUM_OFFSET: 0
; COMPUTE_PGM_RSRC3_GFX90A:TG_SPLIT: 0
	.section	.text._ZN7rocprim17ROCPRIM_400000_NS6detail17trampoline_kernelINS0_14default_configENS1_33run_length_encode_config_selectorIN3c108BFloat16EjNS0_4plusIjEEEEZZNS1_33reduce_by_key_impl_wrapped_configILNS1_25lookback_scan_determinismE0ES3_S9_PKS6_NS0_17constant_iteratorIjlEEPS6_PlSH_S8_NS0_8equal_toIS6_EEEE10hipError_tPvRmT2_T3_mT4_T5_T6_T7_T8_P12ihipStream_tbENKUlT_T0_E_clISt17integral_constantIbLb1EES11_EEDaSW_SX_EUlSW_E_NS1_11comp_targetILNS1_3genE0ELNS1_11target_archE4294967295ELNS1_3gpuE0ELNS1_3repE0EEENS1_30default_config_static_selectorELNS0_4arch9wavefront6targetE1EEEvT1_,"axG",@progbits,_ZN7rocprim17ROCPRIM_400000_NS6detail17trampoline_kernelINS0_14default_configENS1_33run_length_encode_config_selectorIN3c108BFloat16EjNS0_4plusIjEEEEZZNS1_33reduce_by_key_impl_wrapped_configILNS1_25lookback_scan_determinismE0ES3_S9_PKS6_NS0_17constant_iteratorIjlEEPS6_PlSH_S8_NS0_8equal_toIS6_EEEE10hipError_tPvRmT2_T3_mT4_T5_T6_T7_T8_P12ihipStream_tbENKUlT_T0_E_clISt17integral_constantIbLb1EES11_EEDaSW_SX_EUlSW_E_NS1_11comp_targetILNS1_3genE0ELNS1_11target_archE4294967295ELNS1_3gpuE0ELNS1_3repE0EEENS1_30default_config_static_selectorELNS0_4arch9wavefront6targetE1EEEvT1_,comdat
	.protected	_ZN7rocprim17ROCPRIM_400000_NS6detail17trampoline_kernelINS0_14default_configENS1_33run_length_encode_config_selectorIN3c108BFloat16EjNS0_4plusIjEEEEZZNS1_33reduce_by_key_impl_wrapped_configILNS1_25lookback_scan_determinismE0ES3_S9_PKS6_NS0_17constant_iteratorIjlEEPS6_PlSH_S8_NS0_8equal_toIS6_EEEE10hipError_tPvRmT2_T3_mT4_T5_T6_T7_T8_P12ihipStream_tbENKUlT_T0_E_clISt17integral_constantIbLb1EES11_EEDaSW_SX_EUlSW_E_NS1_11comp_targetILNS1_3genE0ELNS1_11target_archE4294967295ELNS1_3gpuE0ELNS1_3repE0EEENS1_30default_config_static_selectorELNS0_4arch9wavefront6targetE1EEEvT1_ ; -- Begin function _ZN7rocprim17ROCPRIM_400000_NS6detail17trampoline_kernelINS0_14default_configENS1_33run_length_encode_config_selectorIN3c108BFloat16EjNS0_4plusIjEEEEZZNS1_33reduce_by_key_impl_wrapped_configILNS1_25lookback_scan_determinismE0ES3_S9_PKS6_NS0_17constant_iteratorIjlEEPS6_PlSH_S8_NS0_8equal_toIS6_EEEE10hipError_tPvRmT2_T3_mT4_T5_T6_T7_T8_P12ihipStream_tbENKUlT_T0_E_clISt17integral_constantIbLb1EES11_EEDaSW_SX_EUlSW_E_NS1_11comp_targetILNS1_3genE0ELNS1_11target_archE4294967295ELNS1_3gpuE0ELNS1_3repE0EEENS1_30default_config_static_selectorELNS0_4arch9wavefront6targetE1EEEvT1_
	.globl	_ZN7rocprim17ROCPRIM_400000_NS6detail17trampoline_kernelINS0_14default_configENS1_33run_length_encode_config_selectorIN3c108BFloat16EjNS0_4plusIjEEEEZZNS1_33reduce_by_key_impl_wrapped_configILNS1_25lookback_scan_determinismE0ES3_S9_PKS6_NS0_17constant_iteratorIjlEEPS6_PlSH_S8_NS0_8equal_toIS6_EEEE10hipError_tPvRmT2_T3_mT4_T5_T6_T7_T8_P12ihipStream_tbENKUlT_T0_E_clISt17integral_constantIbLb1EES11_EEDaSW_SX_EUlSW_E_NS1_11comp_targetILNS1_3genE0ELNS1_11target_archE4294967295ELNS1_3gpuE0ELNS1_3repE0EEENS1_30default_config_static_selectorELNS0_4arch9wavefront6targetE1EEEvT1_
	.p2align	8
	.type	_ZN7rocprim17ROCPRIM_400000_NS6detail17trampoline_kernelINS0_14default_configENS1_33run_length_encode_config_selectorIN3c108BFloat16EjNS0_4plusIjEEEEZZNS1_33reduce_by_key_impl_wrapped_configILNS1_25lookback_scan_determinismE0ES3_S9_PKS6_NS0_17constant_iteratorIjlEEPS6_PlSH_S8_NS0_8equal_toIS6_EEEE10hipError_tPvRmT2_T3_mT4_T5_T6_T7_T8_P12ihipStream_tbENKUlT_T0_E_clISt17integral_constantIbLb1EES11_EEDaSW_SX_EUlSW_E_NS1_11comp_targetILNS1_3genE0ELNS1_11target_archE4294967295ELNS1_3gpuE0ELNS1_3repE0EEENS1_30default_config_static_selectorELNS0_4arch9wavefront6targetE1EEEvT1_,@function
_ZN7rocprim17ROCPRIM_400000_NS6detail17trampoline_kernelINS0_14default_configENS1_33run_length_encode_config_selectorIN3c108BFloat16EjNS0_4plusIjEEEEZZNS1_33reduce_by_key_impl_wrapped_configILNS1_25lookback_scan_determinismE0ES3_S9_PKS6_NS0_17constant_iteratorIjlEEPS6_PlSH_S8_NS0_8equal_toIS6_EEEE10hipError_tPvRmT2_T3_mT4_T5_T6_T7_T8_P12ihipStream_tbENKUlT_T0_E_clISt17integral_constantIbLb1EES11_EEDaSW_SX_EUlSW_E_NS1_11comp_targetILNS1_3genE0ELNS1_11target_archE4294967295ELNS1_3gpuE0ELNS1_3repE0EEENS1_30default_config_static_selectorELNS0_4arch9wavefront6targetE1EEEvT1_: ; @_ZN7rocprim17ROCPRIM_400000_NS6detail17trampoline_kernelINS0_14default_configENS1_33run_length_encode_config_selectorIN3c108BFloat16EjNS0_4plusIjEEEEZZNS1_33reduce_by_key_impl_wrapped_configILNS1_25lookback_scan_determinismE0ES3_S9_PKS6_NS0_17constant_iteratorIjlEEPS6_PlSH_S8_NS0_8equal_toIS6_EEEE10hipError_tPvRmT2_T3_mT4_T5_T6_T7_T8_P12ihipStream_tbENKUlT_T0_E_clISt17integral_constantIbLb1EES11_EEDaSW_SX_EUlSW_E_NS1_11comp_targetILNS1_3genE0ELNS1_11target_archE4294967295ELNS1_3gpuE0ELNS1_3repE0EEENS1_30default_config_static_selectorELNS0_4arch9wavefront6targetE1EEEvT1_
; %bb.0:
	.section	.rodata,"a",@progbits
	.p2align	6, 0x0
	.amdhsa_kernel _ZN7rocprim17ROCPRIM_400000_NS6detail17trampoline_kernelINS0_14default_configENS1_33run_length_encode_config_selectorIN3c108BFloat16EjNS0_4plusIjEEEEZZNS1_33reduce_by_key_impl_wrapped_configILNS1_25lookback_scan_determinismE0ES3_S9_PKS6_NS0_17constant_iteratorIjlEEPS6_PlSH_S8_NS0_8equal_toIS6_EEEE10hipError_tPvRmT2_T3_mT4_T5_T6_T7_T8_P12ihipStream_tbENKUlT_T0_E_clISt17integral_constantIbLb1EES11_EEDaSW_SX_EUlSW_E_NS1_11comp_targetILNS1_3genE0ELNS1_11target_archE4294967295ELNS1_3gpuE0ELNS1_3repE0EEENS1_30default_config_static_selectorELNS0_4arch9wavefront6targetE1EEEvT1_
		.amdhsa_group_segment_fixed_size 0
		.amdhsa_private_segment_fixed_size 0
		.amdhsa_kernarg_size 128
		.amdhsa_user_sgpr_count 2
		.amdhsa_user_sgpr_dispatch_ptr 0
		.amdhsa_user_sgpr_queue_ptr 0
		.amdhsa_user_sgpr_kernarg_segment_ptr 1
		.amdhsa_user_sgpr_dispatch_id 0
		.amdhsa_user_sgpr_kernarg_preload_length 0
		.amdhsa_user_sgpr_kernarg_preload_offset 0
		.amdhsa_user_sgpr_private_segment_size 0
		.amdhsa_uses_dynamic_stack 0
		.amdhsa_enable_private_segment 0
		.amdhsa_system_sgpr_workgroup_id_x 1
		.amdhsa_system_sgpr_workgroup_id_y 0
		.amdhsa_system_sgpr_workgroup_id_z 0
		.amdhsa_system_sgpr_workgroup_info 0
		.amdhsa_system_vgpr_workitem_id 0
		.amdhsa_next_free_vgpr 1
		.amdhsa_next_free_sgpr 0
		.amdhsa_accum_offset 4
		.amdhsa_reserve_vcc 0
		.amdhsa_float_round_mode_32 0
		.amdhsa_float_round_mode_16_64 0
		.amdhsa_float_denorm_mode_32 3
		.amdhsa_float_denorm_mode_16_64 3
		.amdhsa_dx10_clamp 1
		.amdhsa_ieee_mode 1
		.amdhsa_fp16_overflow 0
		.amdhsa_tg_split 0
		.amdhsa_exception_fp_ieee_invalid_op 0
		.amdhsa_exception_fp_denorm_src 0
		.amdhsa_exception_fp_ieee_div_zero 0
		.amdhsa_exception_fp_ieee_overflow 0
		.amdhsa_exception_fp_ieee_underflow 0
		.amdhsa_exception_fp_ieee_inexact 0
		.amdhsa_exception_int_div_zero 0
	.end_amdhsa_kernel
	.section	.text._ZN7rocprim17ROCPRIM_400000_NS6detail17trampoline_kernelINS0_14default_configENS1_33run_length_encode_config_selectorIN3c108BFloat16EjNS0_4plusIjEEEEZZNS1_33reduce_by_key_impl_wrapped_configILNS1_25lookback_scan_determinismE0ES3_S9_PKS6_NS0_17constant_iteratorIjlEEPS6_PlSH_S8_NS0_8equal_toIS6_EEEE10hipError_tPvRmT2_T3_mT4_T5_T6_T7_T8_P12ihipStream_tbENKUlT_T0_E_clISt17integral_constantIbLb1EES11_EEDaSW_SX_EUlSW_E_NS1_11comp_targetILNS1_3genE0ELNS1_11target_archE4294967295ELNS1_3gpuE0ELNS1_3repE0EEENS1_30default_config_static_selectorELNS0_4arch9wavefront6targetE1EEEvT1_,"axG",@progbits,_ZN7rocprim17ROCPRIM_400000_NS6detail17trampoline_kernelINS0_14default_configENS1_33run_length_encode_config_selectorIN3c108BFloat16EjNS0_4plusIjEEEEZZNS1_33reduce_by_key_impl_wrapped_configILNS1_25lookback_scan_determinismE0ES3_S9_PKS6_NS0_17constant_iteratorIjlEEPS6_PlSH_S8_NS0_8equal_toIS6_EEEE10hipError_tPvRmT2_T3_mT4_T5_T6_T7_T8_P12ihipStream_tbENKUlT_T0_E_clISt17integral_constantIbLb1EES11_EEDaSW_SX_EUlSW_E_NS1_11comp_targetILNS1_3genE0ELNS1_11target_archE4294967295ELNS1_3gpuE0ELNS1_3repE0EEENS1_30default_config_static_selectorELNS0_4arch9wavefront6targetE1EEEvT1_,comdat
.Lfunc_end865:
	.size	_ZN7rocprim17ROCPRIM_400000_NS6detail17trampoline_kernelINS0_14default_configENS1_33run_length_encode_config_selectorIN3c108BFloat16EjNS0_4plusIjEEEEZZNS1_33reduce_by_key_impl_wrapped_configILNS1_25lookback_scan_determinismE0ES3_S9_PKS6_NS0_17constant_iteratorIjlEEPS6_PlSH_S8_NS0_8equal_toIS6_EEEE10hipError_tPvRmT2_T3_mT4_T5_T6_T7_T8_P12ihipStream_tbENKUlT_T0_E_clISt17integral_constantIbLb1EES11_EEDaSW_SX_EUlSW_E_NS1_11comp_targetILNS1_3genE0ELNS1_11target_archE4294967295ELNS1_3gpuE0ELNS1_3repE0EEENS1_30default_config_static_selectorELNS0_4arch9wavefront6targetE1EEEvT1_, .Lfunc_end865-_ZN7rocprim17ROCPRIM_400000_NS6detail17trampoline_kernelINS0_14default_configENS1_33run_length_encode_config_selectorIN3c108BFloat16EjNS0_4plusIjEEEEZZNS1_33reduce_by_key_impl_wrapped_configILNS1_25lookback_scan_determinismE0ES3_S9_PKS6_NS0_17constant_iteratorIjlEEPS6_PlSH_S8_NS0_8equal_toIS6_EEEE10hipError_tPvRmT2_T3_mT4_T5_T6_T7_T8_P12ihipStream_tbENKUlT_T0_E_clISt17integral_constantIbLb1EES11_EEDaSW_SX_EUlSW_E_NS1_11comp_targetILNS1_3genE0ELNS1_11target_archE4294967295ELNS1_3gpuE0ELNS1_3repE0EEENS1_30default_config_static_selectorELNS0_4arch9wavefront6targetE1EEEvT1_
                                        ; -- End function
	.section	.AMDGPU.csdata,"",@progbits
; Kernel info:
; codeLenInByte = 0
; NumSgprs: 6
; NumVgprs: 0
; NumAgprs: 0
; TotalNumVgprs: 0
; ScratchSize: 0
; MemoryBound: 0
; FloatMode: 240
; IeeeMode: 1
; LDSByteSize: 0 bytes/workgroup (compile time only)
; SGPRBlocks: 0
; VGPRBlocks: 0
; NumSGPRsForWavesPerEU: 6
; NumVGPRsForWavesPerEU: 1
; AccumOffset: 4
; Occupancy: 8
; WaveLimiterHint : 0
; COMPUTE_PGM_RSRC2:SCRATCH_EN: 0
; COMPUTE_PGM_RSRC2:USER_SGPR: 2
; COMPUTE_PGM_RSRC2:TRAP_HANDLER: 0
; COMPUTE_PGM_RSRC2:TGID_X_EN: 1
; COMPUTE_PGM_RSRC2:TGID_Y_EN: 0
; COMPUTE_PGM_RSRC2:TGID_Z_EN: 0
; COMPUTE_PGM_RSRC2:TIDIG_COMP_CNT: 0
; COMPUTE_PGM_RSRC3_GFX90A:ACCUM_OFFSET: 0
; COMPUTE_PGM_RSRC3_GFX90A:TG_SPLIT: 0
	.section	.text._ZN7rocprim17ROCPRIM_400000_NS6detail17trampoline_kernelINS0_14default_configENS1_33run_length_encode_config_selectorIN3c108BFloat16EjNS0_4plusIjEEEEZZNS1_33reduce_by_key_impl_wrapped_configILNS1_25lookback_scan_determinismE0ES3_S9_PKS6_NS0_17constant_iteratorIjlEEPS6_PlSH_S8_NS0_8equal_toIS6_EEEE10hipError_tPvRmT2_T3_mT4_T5_T6_T7_T8_P12ihipStream_tbENKUlT_T0_E_clISt17integral_constantIbLb1EES11_EEDaSW_SX_EUlSW_E_NS1_11comp_targetILNS1_3genE5ELNS1_11target_archE942ELNS1_3gpuE9ELNS1_3repE0EEENS1_30default_config_static_selectorELNS0_4arch9wavefront6targetE1EEEvT1_,"axG",@progbits,_ZN7rocprim17ROCPRIM_400000_NS6detail17trampoline_kernelINS0_14default_configENS1_33run_length_encode_config_selectorIN3c108BFloat16EjNS0_4plusIjEEEEZZNS1_33reduce_by_key_impl_wrapped_configILNS1_25lookback_scan_determinismE0ES3_S9_PKS6_NS0_17constant_iteratorIjlEEPS6_PlSH_S8_NS0_8equal_toIS6_EEEE10hipError_tPvRmT2_T3_mT4_T5_T6_T7_T8_P12ihipStream_tbENKUlT_T0_E_clISt17integral_constantIbLb1EES11_EEDaSW_SX_EUlSW_E_NS1_11comp_targetILNS1_3genE5ELNS1_11target_archE942ELNS1_3gpuE9ELNS1_3repE0EEENS1_30default_config_static_selectorELNS0_4arch9wavefront6targetE1EEEvT1_,comdat
	.protected	_ZN7rocprim17ROCPRIM_400000_NS6detail17trampoline_kernelINS0_14default_configENS1_33run_length_encode_config_selectorIN3c108BFloat16EjNS0_4plusIjEEEEZZNS1_33reduce_by_key_impl_wrapped_configILNS1_25lookback_scan_determinismE0ES3_S9_PKS6_NS0_17constant_iteratorIjlEEPS6_PlSH_S8_NS0_8equal_toIS6_EEEE10hipError_tPvRmT2_T3_mT4_T5_T6_T7_T8_P12ihipStream_tbENKUlT_T0_E_clISt17integral_constantIbLb1EES11_EEDaSW_SX_EUlSW_E_NS1_11comp_targetILNS1_3genE5ELNS1_11target_archE942ELNS1_3gpuE9ELNS1_3repE0EEENS1_30default_config_static_selectorELNS0_4arch9wavefront6targetE1EEEvT1_ ; -- Begin function _ZN7rocprim17ROCPRIM_400000_NS6detail17trampoline_kernelINS0_14default_configENS1_33run_length_encode_config_selectorIN3c108BFloat16EjNS0_4plusIjEEEEZZNS1_33reduce_by_key_impl_wrapped_configILNS1_25lookback_scan_determinismE0ES3_S9_PKS6_NS0_17constant_iteratorIjlEEPS6_PlSH_S8_NS0_8equal_toIS6_EEEE10hipError_tPvRmT2_T3_mT4_T5_T6_T7_T8_P12ihipStream_tbENKUlT_T0_E_clISt17integral_constantIbLb1EES11_EEDaSW_SX_EUlSW_E_NS1_11comp_targetILNS1_3genE5ELNS1_11target_archE942ELNS1_3gpuE9ELNS1_3repE0EEENS1_30default_config_static_selectorELNS0_4arch9wavefront6targetE1EEEvT1_
	.globl	_ZN7rocprim17ROCPRIM_400000_NS6detail17trampoline_kernelINS0_14default_configENS1_33run_length_encode_config_selectorIN3c108BFloat16EjNS0_4plusIjEEEEZZNS1_33reduce_by_key_impl_wrapped_configILNS1_25lookback_scan_determinismE0ES3_S9_PKS6_NS0_17constant_iteratorIjlEEPS6_PlSH_S8_NS0_8equal_toIS6_EEEE10hipError_tPvRmT2_T3_mT4_T5_T6_T7_T8_P12ihipStream_tbENKUlT_T0_E_clISt17integral_constantIbLb1EES11_EEDaSW_SX_EUlSW_E_NS1_11comp_targetILNS1_3genE5ELNS1_11target_archE942ELNS1_3gpuE9ELNS1_3repE0EEENS1_30default_config_static_selectorELNS0_4arch9wavefront6targetE1EEEvT1_
	.p2align	8
	.type	_ZN7rocprim17ROCPRIM_400000_NS6detail17trampoline_kernelINS0_14default_configENS1_33run_length_encode_config_selectorIN3c108BFloat16EjNS0_4plusIjEEEEZZNS1_33reduce_by_key_impl_wrapped_configILNS1_25lookback_scan_determinismE0ES3_S9_PKS6_NS0_17constant_iteratorIjlEEPS6_PlSH_S8_NS0_8equal_toIS6_EEEE10hipError_tPvRmT2_T3_mT4_T5_T6_T7_T8_P12ihipStream_tbENKUlT_T0_E_clISt17integral_constantIbLb1EES11_EEDaSW_SX_EUlSW_E_NS1_11comp_targetILNS1_3genE5ELNS1_11target_archE942ELNS1_3gpuE9ELNS1_3repE0EEENS1_30default_config_static_selectorELNS0_4arch9wavefront6targetE1EEEvT1_,@function
_ZN7rocprim17ROCPRIM_400000_NS6detail17trampoline_kernelINS0_14default_configENS1_33run_length_encode_config_selectorIN3c108BFloat16EjNS0_4plusIjEEEEZZNS1_33reduce_by_key_impl_wrapped_configILNS1_25lookback_scan_determinismE0ES3_S9_PKS6_NS0_17constant_iteratorIjlEEPS6_PlSH_S8_NS0_8equal_toIS6_EEEE10hipError_tPvRmT2_T3_mT4_T5_T6_T7_T8_P12ihipStream_tbENKUlT_T0_E_clISt17integral_constantIbLb1EES11_EEDaSW_SX_EUlSW_E_NS1_11comp_targetILNS1_3genE5ELNS1_11target_archE942ELNS1_3gpuE9ELNS1_3repE0EEENS1_30default_config_static_selectorELNS0_4arch9wavefront6targetE1EEEvT1_: ; @_ZN7rocprim17ROCPRIM_400000_NS6detail17trampoline_kernelINS0_14default_configENS1_33run_length_encode_config_selectorIN3c108BFloat16EjNS0_4plusIjEEEEZZNS1_33reduce_by_key_impl_wrapped_configILNS1_25lookback_scan_determinismE0ES3_S9_PKS6_NS0_17constant_iteratorIjlEEPS6_PlSH_S8_NS0_8equal_toIS6_EEEE10hipError_tPvRmT2_T3_mT4_T5_T6_T7_T8_P12ihipStream_tbENKUlT_T0_E_clISt17integral_constantIbLb1EES11_EEDaSW_SX_EUlSW_E_NS1_11comp_targetILNS1_3genE5ELNS1_11target_archE942ELNS1_3gpuE9ELNS1_3repE0EEENS1_30default_config_static_selectorELNS0_4arch9wavefront6targetE1EEEvT1_
; %bb.0:
	s_load_dword s10, s[0:1], 0x10
	s_load_dwordx4 s[48:51], s[0:1], 0x20
	s_load_dwordx2 s[56:57], s[0:1], 0x30
	s_load_dwordx2 s[58:59], s[0:1], 0x70
	s_load_dwordx4 s[52:55], s[0:1], 0x60
	s_load_dwordx8 s[40:47], s[0:1], 0x40
	v_cmp_ne_u32_e64 s[2:3], 0, v0
	v_cmp_eq_u32_e64 s[34:35], 0, v0
	s_and_saveexec_b64 s[4:5], s[34:35]
	s_cbranch_execz .LBB866_4
; %bb.1:
	s_mov_b64 s[8:9], exec
	v_mbcnt_lo_u32_b32 v1, s8, 0
	v_mbcnt_hi_u32_b32 v1, s9, v1
	v_cmp_eq_u32_e32 vcc, 0, v1
                                        ; implicit-def: $vgpr2
	s_and_saveexec_b64 s[6:7], vcc
	s_cbranch_execz .LBB866_3
; %bb.2:
	s_load_dwordx2 s[12:13], s[0:1], 0x78
	s_bcnt1_i32_b64 s8, s[8:9]
	v_mov_b32_e32 v2, 0
	v_mov_b32_e32 v3, s8
	s_waitcnt lgkmcnt(0)
	global_atomic_add v2, v2, v3, s[12:13] sc0
.LBB866_3:
	s_or_b64 exec, exec, s[6:7]
	s_waitcnt vmcnt(0)
	v_readfirstlane_b32 s6, v2
	v_mov_b32_e32 v2, 0
	s_nop 0
	v_add_u32_e32 v1, s6, v1
	ds_write_b32 v2, v1
.LBB866_4:
	s_or_b64 exec, exec, s[4:5]
	s_load_dwordx4 s[4:7], s[0:1], 0x0
	v_mov_b32_e32 v3, 0
	s_waitcnt lgkmcnt(0)
	s_barrier
	ds_read_b32 v1, v3
	s_mul_i32 s0, s44, s43
	s_mul_hi_u32 s1, s44, s42
	s_add_i32 s0, s1, s0
	s_mul_i32 s1, s45, s42
	s_add_i32 s8, s0, s1
	s_lshl_b64 s[0:1], s[6:7], 1
	s_add_u32 s0, s4, s0
	s_movk_i32 s4, 0xf00
	s_waitcnt lgkmcnt(0)
	v_mul_lo_u32 v2, v1, s4
	s_mul_i32 s9, s44, s42
	s_addc_u32 s1, s5, s1
	v_readfirstlane_b32 s60, v1
	v_lshlrev_b64 v[4:5], 1, v[2:3]
	v_lshl_add_u64 v[6:7], s[0:1], 0, v[4:5]
	s_add_u32 s0, s9, s60
	s_addc_u32 s1, s8, 0
	s_add_u32 s8, s46, -1
	s_addc_u32 s9, s47, -1
	s_cmp_eq_u64 s[0:1], s[8:9]
	s_cselect_b64 s[44:45], -1, 0
	s_cmp_lg_u64 s[0:1], s[8:9]
	s_mov_b64 s[6:7], -1
	s_cselect_b64 s[4:5], -1, 0
	s_mul_i32 s33, s8, 0xfffff100
	s_and_b64 vcc, exec, s[44:45]
	s_barrier
	s_cbranch_vccnz .LBB866_6
; %bb.5:
	v_lshlrev_b32_e32 v2, 1, v0
	v_lshl_add_u64 v[4:5], v[6:7], 0, v[2:3]
	v_add_co_u32_e32 v4, vcc, 0x1000, v4
	v_readfirstlane_b32 s6, v6
	v_readfirstlane_b32 s7, v7
	v_addc_co_u32_e32 v5, vcc, 0, v5, vcc
	s_nop 3
	global_load_ushort v1, v2, s[6:7]
	global_load_ushort v3, v2, s[6:7] offset:512
	global_load_ushort v12, v2, s[6:7] offset:1024
	global_load_ushort v13, v2, s[6:7] offset:1536
	global_load_ushort v14, v2, s[6:7] offset:2048
	global_load_ushort v17, v2, s[6:7] offset:2560
	global_load_ushort v18, v2, s[6:7] offset:3072
	global_load_ushort v19, v2, s[6:7] offset:3584
	global_load_ushort v20, v[4:5], off
	global_load_ushort v21, v[4:5], off offset:512
	global_load_ushort v24, v[4:5], off offset:1024
	;; [unrolled: 1-line block ×6, first 2 shown]
	v_mad_u32_u24 v30, v0, 28, v2
	s_movk_i32 s6, 0xffe6
	v_mul_u32_u24_e32 v8, 15, v0
	v_mad_u32_u24 v16, v0, 15, 2
	v_mad_u32_u24 v11, v0, 15, 4
	;; [unrolled: 1-line block ×7, first 2 shown]
	v_mov_b32_e32 v29, s10
	v_mad_i32_i24 v31, v0, s6, v30
	s_waitcnt vmcnt(14)
	ds_write_b16 v2, v1
	s_waitcnt vmcnt(13)
	ds_write_b16 v2, v3 offset:512
	s_waitcnt vmcnt(12)
	ds_write_b16 v2, v12 offset:1024
	;; [unrolled: 2-line block ×14, first 2 shown]
	s_waitcnt lgkmcnt(0)
	s_barrier
	ds_read_b128 v[2:5], v30
	ds_read_b96 v[12:14], v30 offset:16
	ds_read_u16 v1, v30 offset:28
	s_waitcnt lgkmcnt(0)
	s_barrier
	ds_write2st64_b32 v31, v29, v29 offset1:4
	ds_write2st64_b32 v31, v29, v29 offset0:8 offset1:12
	ds_write2st64_b32 v31, v29, v29 offset0:16 offset1:20
	;; [unrolled: 1-line block ×6, first 2 shown]
	ds_write_b32 v31, v29 offset:14336
	s_waitcnt lgkmcnt(0)
	s_barrier
	s_add_i32 s33, s33, s52
	s_cbranch_execz .LBB866_7
	s_branch .LBB866_38
.LBB866_6:
                                        ; implicit-def: $vgpr14
                                        ; implicit-def: $vgpr5
                                        ; implicit-def: $vgpr15
                                        ; implicit-def: $vgpr22
                                        ; implicit-def: $vgpr23
                                        ; implicit-def: $vgpr9
                                        ; implicit-def: $vgpr10
                                        ; implicit-def: $vgpr11
                                        ; implicit-def: $vgpr16
                                        ; implicit-def: $vgpr8
                                        ; implicit-def: $vgpr1
	s_andn2_b64 vcc, exec, s[6:7]
	s_add_i32 s33, s33, s52
	s_cbranch_vccnz .LBB866_38
.LBB866_7:
	v_cmp_gt_u32_e32 vcc, s33, v0
                                        ; implicit-def: $vgpr1
	s_and_saveexec_b64 s[6:7], vcc
	s_cbranch_execz .LBB866_9
; %bb.8:
	v_lshlrev_b32_e32 v1, 1, v0
	v_readfirstlane_b32 s8, v6
	v_readfirstlane_b32 s9, v7
	s_nop 4
	global_load_ushort v1, v1, s[8:9]
.LBB866_9:
	s_or_b64 exec, exec, s[6:7]
	v_or_b32_e32 v2, 0x100, v0
	v_cmp_gt_u32_e32 vcc, s33, v2
                                        ; implicit-def: $vgpr2
	s_and_saveexec_b64 s[6:7], vcc
	s_cbranch_execz .LBB866_11
; %bb.10:
	v_lshlrev_b32_e32 v2, 1, v0
	v_readfirstlane_b32 s8, v6
	v_readfirstlane_b32 s9, v7
	s_nop 4
	global_load_ushort v2, v2, s[8:9] offset:512
.LBB866_11:
	s_or_b64 exec, exec, s[6:7]
	v_or_b32_e32 v3, 0x200, v0
	v_cmp_gt_u32_e32 vcc, s33, v3
                                        ; implicit-def: $vgpr3
	s_and_saveexec_b64 s[6:7], vcc
	s_cbranch_execz .LBB866_13
; %bb.12:
	v_lshlrev_b32_e32 v3, 1, v0
	v_readfirstlane_b32 s8, v6
	v_readfirstlane_b32 s9, v7
	s_nop 4
	global_load_ushort v3, v3, s[8:9] offset:1024
.LBB866_13:
	s_or_b64 exec, exec, s[6:7]
	v_or_b32_e32 v4, 0x300, v0
	v_cmp_gt_u32_e32 vcc, s33, v4
                                        ; implicit-def: $vgpr4
	s_and_saveexec_b64 s[6:7], vcc
	s_cbranch_execz .LBB866_15
; %bb.14:
	v_lshlrev_b32_e32 v4, 1, v0
	v_readfirstlane_b32 s8, v6
	v_readfirstlane_b32 s9, v7
	s_nop 4
	global_load_ushort v4, v4, s[8:9] offset:1536
.LBB866_15:
	s_or_b64 exec, exec, s[6:7]
	v_or_b32_e32 v5, 0x400, v0
	v_cmp_gt_u32_e32 vcc, s33, v5
                                        ; implicit-def: $vgpr5
	s_and_saveexec_b64 s[6:7], vcc
	s_cbranch_execz .LBB866_17
; %bb.16:
	v_lshlrev_b32_e32 v5, 1, v0
	v_readfirstlane_b32 s8, v6
	v_readfirstlane_b32 s9, v7
	s_nop 4
	global_load_ushort v5, v5, s[8:9] offset:2048
.LBB866_17:
	s_or_b64 exec, exec, s[6:7]
	v_or_b32_e32 v8, 0x500, v0
	v_cmp_gt_u32_e32 vcc, s33, v8
                                        ; implicit-def: $vgpr8
	s_and_saveexec_b64 s[6:7], vcc
	s_cbranch_execz .LBB866_19
; %bb.18:
	v_lshlrev_b32_e32 v8, 1, v0
	v_readfirstlane_b32 s8, v6
	v_readfirstlane_b32 s9, v7
	s_nop 4
	global_load_ushort v8, v8, s[8:9] offset:2560
.LBB866_19:
	s_or_b64 exec, exec, s[6:7]
	v_or_b32_e32 v9, 0x600, v0
	v_cmp_gt_u32_e32 vcc, s33, v9
                                        ; implicit-def: $vgpr9
	s_and_saveexec_b64 s[6:7], vcc
	s_cbranch_execz .LBB866_21
; %bb.20:
	v_lshlrev_b32_e32 v9, 1, v0
	v_readfirstlane_b32 s8, v6
	v_readfirstlane_b32 s9, v7
	s_nop 4
	global_load_ushort v9, v9, s[8:9] offset:3072
.LBB866_21:
	s_or_b64 exec, exec, s[6:7]
	v_or_b32_e32 v10, 0x700, v0
	v_cmp_gt_u32_e32 vcc, s33, v10
                                        ; implicit-def: $vgpr10
	s_and_saveexec_b64 s[6:7], vcc
	s_cbranch_execz .LBB866_23
; %bb.22:
	v_lshlrev_b32_e32 v10, 1, v0
	v_readfirstlane_b32 s8, v6
	v_readfirstlane_b32 s9, v7
	s_nop 4
	global_load_ushort v10, v10, s[8:9] offset:3584
.LBB866_23:
	s_or_b64 exec, exec, s[6:7]
	v_or_b32_e32 v12, 0x800, v0
	v_cmp_gt_u32_e32 vcc, s33, v12
                                        ; implicit-def: $vgpr11
	s_and_saveexec_b64 s[6:7], vcc
	s_cbranch_execz .LBB866_25
; %bb.24:
	v_lshlrev_b32_e32 v11, 1, v12
	v_readfirstlane_b32 s8, v6
	v_readfirstlane_b32 s9, v7
	s_nop 4
	global_load_ushort v11, v11, s[8:9]
.LBB866_25:
	s_or_b64 exec, exec, s[6:7]
	v_or_b32_e32 v13, 0x900, v0
	v_cmp_gt_u32_e32 vcc, s33, v13
                                        ; implicit-def: $vgpr12
	s_and_saveexec_b64 s[6:7], vcc
	s_cbranch_execz .LBB866_27
; %bb.26:
	v_lshlrev_b32_e32 v12, 1, v13
	v_readfirstlane_b32 s8, v6
	v_readfirstlane_b32 s9, v7
	s_nop 4
	global_load_ushort v12, v12, s[8:9]
.LBB866_27:
	s_or_b64 exec, exec, s[6:7]
	v_or_b32_e32 v14, 0xa00, v0
	v_cmp_gt_u32_e32 vcc, s33, v14
                                        ; implicit-def: $vgpr13
	s_and_saveexec_b64 s[6:7], vcc
	s_cbranch_execz .LBB866_29
; %bb.28:
	v_lshlrev_b32_e32 v13, 1, v14
	v_readfirstlane_b32 s8, v6
	v_readfirstlane_b32 s9, v7
	s_nop 4
	global_load_ushort v13, v13, s[8:9]
.LBB866_29:
	s_or_b64 exec, exec, s[6:7]
	v_or_b32_e32 v15, 0xb00, v0
	v_cmp_gt_u32_e32 vcc, s33, v15
                                        ; implicit-def: $vgpr14
	s_and_saveexec_b64 s[6:7], vcc
	s_cbranch_execz .LBB866_31
; %bb.30:
	v_lshlrev_b32_e32 v14, 1, v15
	v_readfirstlane_b32 s8, v6
	v_readfirstlane_b32 s9, v7
	s_nop 4
	global_load_ushort v14, v14, s[8:9]
.LBB866_31:
	s_or_b64 exec, exec, s[6:7]
	v_or_b32_e32 v16, 0xc00, v0
	v_cmp_gt_u32_e32 vcc, s33, v16
                                        ; implicit-def: $vgpr15
	s_and_saveexec_b64 s[6:7], vcc
	s_cbranch_execz .LBB866_33
; %bb.32:
	v_lshlrev_b32_e32 v15, 1, v16
	v_readfirstlane_b32 s8, v6
	v_readfirstlane_b32 s9, v7
	s_nop 4
	global_load_ushort v15, v15, s[8:9]
.LBB866_33:
	s_or_b64 exec, exec, s[6:7]
	v_or_b32_e32 v17, 0xd00, v0
	v_cmp_gt_u32_e32 vcc, s33, v17
                                        ; implicit-def: $vgpr16
	s_and_saveexec_b64 s[6:7], vcc
	s_cbranch_execz .LBB866_35
; %bb.34:
	v_lshlrev_b32_e32 v16, 1, v17
	v_readfirstlane_b32 s8, v6
	v_readfirstlane_b32 s9, v7
	s_nop 4
	global_load_ushort v16, v16, s[8:9]
.LBB866_35:
	s_or_b64 exec, exec, s[6:7]
	v_or_b32_e32 v18, 0xe00, v0
	v_cmp_gt_u32_e32 vcc, s33, v18
                                        ; implicit-def: $vgpr17
	s_and_saveexec_b64 s[6:7], vcc
	s_cbranch_execz .LBB866_37
; %bb.36:
	v_lshlrev_b32_e32 v17, 1, v18
	v_readfirstlane_b32 s8, v6
	v_readfirstlane_b32 s9, v7
	s_nop 4
	global_load_ushort v17, v17, s[8:9]
.LBB866_37:
	s_or_b64 exec, exec, s[6:7]
	v_lshlrev_b32_e32 v18, 1, v0
	s_waitcnt vmcnt(0)
	ds_write_b16 v18, v1
	ds_write_b16 v18, v2 offset:512
	ds_write_b16 v18, v3 offset:1024
	ds_write_b16 v18, v4 offset:1536
	ds_write_b16 v18, v5 offset:2048
	ds_write_b16 v18, v8 offset:2560
	ds_write_b16 v18, v9 offset:3072
	ds_write_b16 v18, v10 offset:3584
	ds_write_b16 v18, v11 offset:4096
	ds_write_b16 v18, v12 offset:4608
	ds_write_b16 v18, v13 offset:5120
	ds_write_b16 v18, v14 offset:5632
	ds_write_b16 v18, v15 offset:6144
	ds_write_b16 v18, v16 offset:6656
	ds_write_b16 v18, v17 offset:7168
	v_mad_u32_u24 v17, v0, 28, v18
	s_waitcnt lgkmcnt(0)
	s_barrier
	ds_read_b128 v[2:5], v17
	ds_read_b96 v[12:14], v17 offset:16
	ds_read_u16 v1, v17 offset:28
	s_movk_i32 s6, 0xffe6
	v_mul_u32_u24_e32 v8, 15, v0
	v_mad_u32_u24 v16, v0, 15, 2
	v_mad_u32_u24 v11, v0, 15, 4
	;; [unrolled: 1-line block ×7, first 2 shown]
	v_mad_i32_i24 v17, v0, s6, v17
	v_mov_b32_e32 v18, s10
	s_waitcnt lgkmcnt(0)
	s_barrier
	ds_write2st64_b32 v17, v18, v18 offset1:4
	ds_write2st64_b32 v17, v18, v18 offset0:8 offset1:12
	ds_write2st64_b32 v17, v18, v18 offset0:16 offset1:20
	;; [unrolled: 1-line block ×6, first 2 shown]
	ds_write_b32 v17, v18 offset:14336
	s_waitcnt lgkmcnt(0)
	s_barrier
.LBB866_38:
	v_lshlrev_b32_e32 v8, 2, v8
	v_lshlrev_b32_e32 v24, 2, v16
	ds_read2_b32 v[20:21], v8 offset0:3 offset1:5
	ds_read2_b32 v[18:19], v8 offset0:7 offset1:9
	ds_read2_b32 v[16:17], v8 offset0:11 offset1:13
	v_lshlrev_b32_e32 v11, 2, v11
	v_lshlrev_b32_e32 v10, 2, v10
	;; [unrolled: 1-line block ×6, first 2 shown]
	ds_read2_b32 v[22:23], v8 offset1:1
	ds_read_b32 v75, v24
	ds_read_b32 v74, v11
	;; [unrolled: 1-line block ×7, first 2 shown]
	s_cmp_eq_u64 s[0:1], 0
	s_cselect_b64 s[46:47], -1, 0
	s_cmp_lg_u64 s[0:1], 0
	s_mov_b64 s[6:7], 0
	s_cselect_b64 s[8:9], -1, 0
	s_and_b64 vcc, exec, s[4:5]
	s_waitcnt lgkmcnt(0)
	s_barrier
	s_cbranch_vccz .LBB866_44
; %bb.39:
	s_and_b64 vcc, exec, s[8:9]
	s_cbranch_vccz .LBB866_45
; %bb.40:
	global_load_ushort v8, v[6:7], off offset:-2
	v_lshlrev_b32_e32 v9, 1, v0
	ds_write_b16 v9, v1
	s_waitcnt lgkmcnt(0)
	s_barrier
	s_and_saveexec_b64 s[4:5], s[2:3]
	s_cbranch_execz .LBB866_42
; %bb.41:
	s_waitcnt vmcnt(0)
	v_add_u32_e32 v8, -2, v9
	ds_read_u16 v8, v8
.LBB866_42:
	s_or_b64 exec, exec, s[4:5]
	v_and_b32_e32 v32, 0xffff0000, v2
	v_lshlrev_b32_e32 v33, 16, v2
	v_lshlrev_b32_e32 v34, 16, v3
	v_cmp_neq_f32_e32 vcc, v32, v33
	v_and_b32_e32 v31, 0xffff0000, v3
	v_lshlrev_b32_e32 v29, 16, v4
	v_cndmask_b32_e64 v67, 0, 1, vcc
	v_cmp_neq_f32_e32 vcc, v32, v34
	v_and_b32_e32 v28, 0xffff0000, v4
	v_lshlrev_b32_e32 v30, 16, v5
	v_cndmask_b32_e64 v68, 0, 1, vcc
	;; [unrolled: 4-line block ×6, first 2 shown]
	v_cmp_neq_f32_e32 vcc, v30, v27
	s_waitcnt vmcnt(0) lgkmcnt(0)
	v_lshlrev_b32_e32 v8, 16, v8
	v_cmp_neq_f32_e64 s[4:5], v33, v8
	v_cndmask_b32_e64 v64, 0, 1, vcc
	v_cmp_neq_f32_e32 vcc, v25, v27
	s_mov_b64 s[6:7], -1
	s_nop 0
	v_cndmask_b32_e64 v57, 0, 1, vcc
	v_cmp_neq_f32_e32 vcc, v24, v25
	s_nop 1
	v_cndmask_b32_e64 v56, 0, 1, vcc
	v_cmp_neq_f32_e32 vcc, v24, v26
	s_nop 1
	v_cndmask_b32_e64 v62, 0, 1, vcc
	v_cmp_neq_f32_e32 vcc, v26, v15
	s_nop 1
	v_cndmask_b32_e64 v61, 0, 1, vcc
	v_cmp_neq_f32_e32 vcc, v10, v15
	s_nop 1
	v_cndmask_b32_e64 v15, 0, 1, vcc
	v_cmp_neq_f32_e32 vcc, v9, v10
	s_nop 1
	v_cndmask_b32_e64 v58, 0, 1, vcc
	v_cmp_neq_f32_e32 vcc, v9, v11
	s_nop 1
	v_cndmask_b32_e64 v59, 0, 1, vcc
.LBB866_43:
                                        ; implicit-def: $sgpr12
	s_branch .LBB866_57
.LBB866_44:
                                        ; implicit-def: $sgpr4_sgpr5
                                        ; implicit-def: $vgpr59
                                        ; implicit-def: $vgpr58
                                        ; implicit-def: $vgpr15
                                        ; implicit-def: $vgpr61
                                        ; implicit-def: $vgpr62
                                        ; implicit-def: $vgpr56
                                        ; implicit-def: $vgpr57
                                        ; implicit-def: $vgpr64
                                        ; implicit-def: $vgpr65
                                        ; implicit-def: $vgpr60
                                        ; implicit-def: $vgpr63
                                        ; implicit-def: $vgpr66
                                        ; implicit-def: $vgpr68
                                        ; implicit-def: $vgpr67
                                        ; implicit-def: $sgpr12
	s_cbranch_execnz .LBB866_49
	s_branch .LBB866_57
.LBB866_45:
                                        ; implicit-def: $sgpr4_sgpr5
                                        ; implicit-def: $vgpr59
                                        ; implicit-def: $vgpr58
                                        ; implicit-def: $vgpr15
                                        ; implicit-def: $vgpr61
                                        ; implicit-def: $vgpr62
                                        ; implicit-def: $vgpr56
                                        ; implicit-def: $vgpr57
                                        ; implicit-def: $vgpr64
                                        ; implicit-def: $vgpr65
                                        ; implicit-def: $vgpr60
                                        ; implicit-def: $vgpr63
                                        ; implicit-def: $vgpr66
                                        ; implicit-def: $vgpr68
                                        ; implicit-def: $vgpr67
	s_cbranch_execz .LBB866_43
; %bb.46:
	v_and_b32_e32 v33, 0xffff0000, v2
	v_lshlrev_b32_e32 v9, 16, v2
	v_lshlrev_b32_e32 v34, 16, v3
	v_cmp_neq_f32_e32 vcc, v33, v9
	v_and_b32_e32 v32, 0xffff0000, v3
	v_lshlrev_b32_e32 v30, 16, v4
	v_cndmask_b32_e64 v67, 0, 1, vcc
	v_cmp_neq_f32_e32 vcc, v33, v34
	v_and_b32_e32 v29, 0xffff0000, v4
	v_lshlrev_b32_e32 v31, 16, v5
	v_cndmask_b32_e64 v68, 0, 1, vcc
	;; [unrolled: 4-line block ×6, first 2 shown]
	v_cmp_neq_f32_e32 vcc, v31, v28
	s_mov_b32 s12, 1
	v_lshlrev_b32_e32 v8, 1, v0
	v_cndmask_b32_e64 v64, 0, 1, vcc
	v_cmp_neq_f32_e32 vcc, v26, v28
	ds_write_b16 v8, v1
	s_waitcnt lgkmcnt(0)
	v_cndmask_b32_e64 v57, 0, 1, vcc
	v_cmp_neq_f32_e32 vcc, v25, v26
	s_barrier
	s_nop 0
	v_cndmask_b32_e64 v56, 0, 1, vcc
	v_cmp_neq_f32_e32 vcc, v25, v27
                                        ; implicit-def: $sgpr4_sgpr5
	s_nop 1
	v_cndmask_b32_e64 v62, 0, 1, vcc
	v_cmp_neq_f32_e32 vcc, v27, v15
	s_nop 1
	v_cndmask_b32_e64 v61, 0, 1, vcc
	v_cmp_neq_f32_e32 vcc, v11, v15
	;; [unrolled: 3-line block ×4, first 2 shown]
	s_nop 1
	v_cndmask_b32_e64 v59, 0, 1, vcc
	s_and_saveexec_b64 s[10:11], s[2:3]
	s_xor_b64 s[10:11], exec, s[10:11]
	s_cbranch_execz .LBB866_48
; %bb.47:
	v_add_u32_e32 v8, -2, v8
	ds_read_u16 v8, v8
	s_or_b64 s[6:7], s[6:7], exec
	s_waitcnt lgkmcnt(0)
	v_lshlrev_b32_e32 v8, 16, v8
	v_cmp_neq_f32_e32 vcc, v9, v8
	s_and_b64 s[4:5], vcc, exec
.LBB866_48:
	s_or_b64 exec, exec, s[10:11]
	s_branch .LBB866_57
.LBB866_49:
	s_mul_hi_u32 s4, s0, 0xfffff100
	s_mulk_i32 s1, 0xf100
	s_sub_i32 s4, s4, s0
	s_add_i32 s4, s4, s1
	s_mulk_i32 s0, 0xf100
	s_add_u32 s52, s0, s52
	s_addc_u32 s53, s4, s53
	s_and_b64 vcc, exec, s[8:9]
	s_cbranch_vccz .LBB866_54
; %bb.50:
	global_load_ushort v8, v[6:7], off offset:-2
	v_lshlrev_b32_e32 v7, 1, v0
	v_mul_u32_u24_e32 v6, 15, v0
	ds_write_b16 v7, v1
	s_waitcnt lgkmcnt(0)
	s_barrier
	s_and_saveexec_b64 s[0:1], s[2:3]
	s_cbranch_execz .LBB866_52
; %bb.51:
	v_add_u32_e32 v7, -2, v7
	s_waitcnt vmcnt(0)
	ds_read_u16 v8, v7
.LBB866_52:
	s_or_b64 exec, exec, s[0:1]
	s_mov_b32 s0, 0xe000d
	v_pk_add_u16 v9, v6, s0 op_sel_hi:[0,1]
	v_mov_b32_e32 v25, 0
	v_alignbit_b32 v10, 0, v9, 16
	v_and_b32_e32 v24, 0xffff, v9
	v_mov_b32_e32 v11, v25
	v_cmp_gt_u64_e32 vcc, s[52:53], v[24:25]
	v_cmp_gt_u64_e64 s[4:5], s[52:53], v[10:11]
	v_lshlrev_b32_e32 v10, 16, v14
	v_add_u32_e32 v24, 12, v6
	v_and_b32_e32 v26, 0xffff0000, v13
	v_cmp_gt_u64_e64 s[0:1], s[52:53], v[24:25]
	v_cmp_neq_f32_e64 s[10:11], v26, v10
	s_and_b64 s[0:1], s[0:1], s[10:11]
	v_cndmask_b32_e64 v15, 0, 1, s[0:1]
	s_mov_b32 s0, 0xb000a
	v_and_b32_e32 v7, 0xffff0000, v14
	v_lshlrev_b32_e32 v9, 16, v1
	v_pk_add_u16 v11, v6, s0 op_sel_hi:[0,1]
	v_cmp_neq_f32_e64 s[8:9], v7, v10
	v_cmp_neq_f32_e64 s[6:7], v7, v9
	v_lshlrev_b32_e32 v7, 16, v13
	v_and_b32_e32 v9, 0xffff0000, v12
	v_and_b32_e32 v24, 0xffff, v11
	v_cmp_gt_u64_e64 s[0:1], s[52:53], v[24:25]
	v_cmp_neq_f32_e64 s[12:13], v7, v9
	v_cmp_neq_f32_e64 s[14:15], v7, v26
	v_add_u32_e32 v24, 9, v6
	v_lshlrev_b32_e32 v7, 16, v12
	v_cmp_gt_u64_e64 s[16:17], s[52:53], v[24:25]
	v_cmp_neq_f32_e64 s[18:19], v9, v7
	s_and_b64 s[16:17], s[16:17], s[18:19]
	v_add_u32_e32 v24, 8, v6
	v_and_b32_e32 v27, 0xffff0000, v5
	v_cndmask_b32_e64 v56, 0, 1, s[16:17]
	v_cmp_gt_u64_e64 s[16:17], s[52:53], v[24:25]
	v_cmp_neq_f32_e64 s[18:19], v27, v7
	s_and_b64 s[16:17], s[16:17], s[18:19]
	v_cndmask_b32_e64 v57, 0, 1, s[16:17]
	s_mov_b32 s16, 0x70006
	v_pk_add_u16 v7, v6, s16 op_sel_hi:[0,1]
	v_alignbit_b32 v10, 0, v11, 16
	v_mov_b32_e32 v11, v25
	v_and_b32_e32 v24, 0xffff, v7
	v_cmp_gt_u64_e64 s[10:11], s[52:53], v[10:11]
	v_and_b32_e32 v26, 0xffff0000, v4
	v_alignbit_b32 v10, 0, v7, 16
	v_cmp_gt_u64_e64 s[16:17], s[52:53], v[24:25]
	v_add_u32_e32 v24, 5, v6
	v_lshlrev_b32_e32 v7, 16, v4
	v_lshlrev_b32_e32 v9, 16, v5
	v_cmp_gt_u64_e64 s[24:25], s[52:53], v[24:25]
	v_cmp_neq_f32_e64 s[26:27], v26, v7
	v_cmp_neq_f32_e64 s[22:23], v9, v27
	s_and_b64 s[24:25], s[24:25], s[26:27]
	v_add_u32_e32 v24, 4, v6
	v_and_b32_e32 v27, 0xffff0000, v3
	v_cndmask_b32_e64 v60, 0, 1, s[24:25]
	v_cmp_gt_u64_e64 s[24:25], s[52:53], v[24:25]
	v_cmp_neq_f32_e64 s[26:27], v27, v7
	s_and_b64 s[24:25], s[24:25], s[26:27]
	v_cndmask_b32_e64 v63, 0, 1, s[24:25]
	s_mov_b32 s24, 0x30002
	v_pk_add_u16 v7, v6, s24 op_sel_hi:[0,1]
	s_and_b64 s[0:1], s[0:1], s[12:13]
	v_cmp_neq_f32_e64 s[20:21], v9, v26
	v_lshlrev_b32_e32 v9, 16, v3
	v_and_b32_e32 v26, 0xffff0000, v2
	v_and_b32_e32 v24, 0xffff, v7
	v_cndmask_b32_e64 v62, 0, 1, s[0:1]
	s_and_b64 s[0:1], s[10:11], s[14:15]
	v_cmp_gt_u64_e64 s[18:19], s[52:53], v[10:11]
	v_alignbit_b32 v10, 0, v7, 16
	v_cmp_gt_u64_e64 s[24:25], s[52:53], v[24:25]
	v_cmp_neq_f32_e64 s[28:29], v9, v26
	v_cmp_neq_f32_e64 s[30:31], v9, v27
	v_add_u32_e32 v24, 1, v6
	v_lshlrev_b32_e32 v9, 16, v2
	v_cndmask_b32_e64 v61, 0, 1, s[0:1]
	s_and_b64 s[0:1], vcc, s[8:9]
	v_mov_b32_e32 v7, v25
	v_cmp_gt_u64_e64 s[26:27], s[52:53], v[10:11]
	v_cmp_gt_u64_e64 s[36:37], s[52:53], v[24:25]
	v_cmp_neq_f32_e64 s[38:39], v26, v9
	s_and_b64 s[24:25], s[24:25], s[28:29]
	s_and_b64 s[16:17], s[16:17], s[20:21]
	v_cndmask_b32_e64 v58, 0, 1, s[0:1]
	s_and_b64 s[0:1], s[4:5], s[6:7]
	v_cmp_gt_u64_e32 vcc, s[52:53], v[6:7]
	s_waitcnt vmcnt(0) lgkmcnt(0)
	v_lshlrev_b32_e32 v6, 16, v8
	s_and_b64 s[36:37], s[36:37], s[38:39]
	v_cndmask_b32_e64 v68, 0, 1, s[24:25]
	s_and_b64 s[24:25], s[26:27], s[30:31]
	v_cndmask_b32_e64 v65, 0, 1, s[16:17]
	;; [unrolled: 2-line block ×3, first 2 shown]
	v_cmp_neq_f32_e64 s[0:1], v6, v9
	v_cndmask_b32_e64 v67, 0, 1, s[36:37]
	v_cndmask_b32_e64 v66, 0, 1, s[24:25]
	;; [unrolled: 1-line block ×3, first 2 shown]
	s_and_b64 s[4:5], vcc, s[0:1]
	s_mov_b64 s[6:7], -1
.LBB866_53:
                                        ; implicit-def: $sgpr12
	v_mov_b32_e32 v69, s12
	s_and_saveexec_b64 s[0:1], s[6:7]
	s_cbranch_execnz .LBB866_58
	s_branch .LBB866_59
.LBB866_54:
                                        ; implicit-def: $sgpr4_sgpr5
                                        ; implicit-def: $vgpr59
                                        ; implicit-def: $vgpr58
                                        ; implicit-def: $vgpr15
                                        ; implicit-def: $vgpr61
                                        ; implicit-def: $vgpr62
                                        ; implicit-def: $vgpr56
                                        ; implicit-def: $vgpr57
                                        ; implicit-def: $vgpr64
                                        ; implicit-def: $vgpr65
                                        ; implicit-def: $vgpr60
                                        ; implicit-def: $vgpr63
                                        ; implicit-def: $vgpr66
                                        ; implicit-def: $vgpr68
                                        ; implicit-def: $vgpr67
	s_cbranch_execz .LBB866_53
; %bb.55:
	v_mad_u32_u24 v6, v0, 15, 14
	v_mov_b32_e32 v7, 0
	v_cmp_gt_u64_e32 vcc, s[52:53], v[6:7]
	v_mad_u32_u24 v6, v0, 15, 13
	v_lshlrev_b32_e32 v9, 16, v1
	v_cmp_gt_u64_e64 s[0:1], s[52:53], v[6:7]
	v_and_b32_e32 v6, 0xffff0000, v14
	v_lshlrev_b32_e32 v10, 16, v14
	v_cmp_neq_f32_e64 s[4:5], v6, v9
	s_and_b64 s[4:5], vcc, s[4:5]
	v_cmp_neq_f32_e32 vcc, v10, v6
	v_mad_u32_u24 v6, v0, 15, 12
	s_and_b64 s[0:1], s[0:1], vcc
	v_cmp_gt_u64_e32 vcc, s[52:53], v[6:7]
	v_mad_u32_u24 v6, v0, 15, 11
	v_cndmask_b32_e64 v58, 0, 1, s[0:1]
	v_cmp_gt_u64_e64 s[0:1], s[52:53], v[6:7]
	v_and_b32_e32 v6, 0xffff0000, v13
	v_cndmask_b32_e64 v59, 0, 1, s[4:5]
	v_lshlrev_b32_e32 v9, 16, v13
	v_cmp_neq_f32_e64 s[4:5], v6, v10
	s_and_b64 s[4:5], vcc, s[4:5]
	v_cmp_neq_f32_e32 vcc, v9, v6
	v_mad_u32_u24 v6, v0, 15, 10
	s_and_b64 s[0:1], s[0:1], vcc
	v_cmp_gt_u64_e32 vcc, s[52:53], v[6:7]
	v_mad_u32_u24 v6, v0, 15, 9
	v_cndmask_b32_e64 v61, 0, 1, s[0:1]
	v_cmp_gt_u64_e64 s[0:1], s[52:53], v[6:7]
	v_and_b32_e32 v6, 0xffff0000, v12
	v_cndmask_b32_e64 v15, 0, 1, s[4:5]
	;; [unrolled: 12-line block ×6, first 2 shown]
	v_lshlrev_b32_e32 v9, 16, v2
	v_cmp_neq_f32_e64 s[4:5], v6, v11
	s_and_b64 s[4:5], vcc, s[4:5]
	v_cmp_neq_f32_e32 vcc, v9, v6
	s_and_b64 s[0:1], s[0:1], vcc
	s_mov_b32 s12, 1
	v_lshlrev_b32_e32 v8, 1, v0
	v_cndmask_b32_e64 v68, 0, 1, s[4:5]
	v_cndmask_b32_e64 v67, 0, 1, s[0:1]
	ds_write_b16 v8, v1
	s_waitcnt lgkmcnt(0)
	s_barrier
	s_waitcnt lgkmcnt(0)
                                        ; implicit-def: $sgpr4_sgpr5
	s_and_saveexec_b64 s[8:9], s[2:3]
	s_cbranch_execz .LBB866_154
; %bb.56:
	v_add_u32_e32 v6, -2, v8
	ds_read_u16 v8, v6
	v_mul_u32_u24_e32 v6, 15, v0
	v_cmp_gt_u64_e32 vcc, s[52:53], v[6:7]
	s_or_b64 s[6:7], s[6:7], exec
	s_waitcnt lgkmcnt(0)
	v_lshlrev_b32_e32 v6, 16, v8
	v_cmp_neq_f32_e64 s[0:1], v9, v6
	s_and_b64 s[0:1], vcc, s[0:1]
	s_and_b64 s[4:5], s[0:1], exec
	s_or_b64 exec, exec, s[8:9]
.LBB866_57:
	v_mov_b32_e32 v69, s12
	s_and_saveexec_b64 s[0:1], s[6:7]
.LBB866_58:
	v_cndmask_b32_e64 v69, 0, 1, s[4:5]
.LBB866_59:
	s_or_b64 exec, exec, s[0:1]
	s_cmp_eq_u64 s[42:43], 0
	v_add3_u32 v6, v67, v69, v68
	s_cselect_b64 s[30:31], -1, 0
	s_cmp_lg_u32 s60, 0
	v_cmp_eq_u32_e64 s[26:27], 0, v67
	v_cmp_eq_u32_e64 s[24:25], 0, v68
	;; [unrolled: 1-line block ×3, first 2 shown]
	v_add3_u32 v80, v6, v66, v63
	v_cmp_eq_u32_e64 s[20:21], 0, v63
	v_cmp_eq_u32_e64 s[18:19], 0, v60
	;; [unrolled: 1-line block ×10, first 2 shown]
	v_cmp_eq_u32_e32 vcc, 0, v59
	v_mbcnt_lo_u32_b32 v79, -1, 0
	v_lshrrev_b32_e32 v77, 6, v0
	v_or_b32_e32 v78, 63, v0
	s_cbranch_scc0 .LBB866_90
; %bb.60:
	v_cndmask_b32_e64 v6, 0, v22, s[26:27]
	v_add_u32_e32 v6, v6, v23
	v_cndmask_b32_e64 v6, 0, v6, s[24:25]
	v_add_u32_e32 v6, v6, v75
	;; [unrolled: 2-line block ×11, first 2 shown]
	v_cndmask_b32_e64 v6, 0, v6, s[4:5]
	v_add3_u32 v7, v80, v60, v65
	v_add_u32_e32 v6, v6, v70
	v_add3_u32 v7, v7, v64, v57
	v_cndmask_b32_e64 v6, 0, v6, s[2:3]
	v_add3_u32 v7, v7, v56, v62
	v_add_u32_e32 v6, v6, v17
	v_add3_u32 v7, v7, v61, v15
	v_cndmask_b32_e32 v6, 0, v6, vcc
	v_add3_u32 v7, v7, v58, v59
	v_add_u32_e32 v6, v6, v76
	v_mbcnt_hi_u32_b32 v27, -1, v79
	v_and_b32_e32 v8, 15, v27
	v_mov_b32_dpp v10, v6 row_shr:1 row_mask:0xf bank_mask:0xf
	v_cmp_eq_u32_e32 vcc, 0, v7
	v_mov_b32_dpp v9, v7 row_shr:1 row_mask:0xf bank_mask:0xf
	v_cmp_lt_u32_e64 s[0:1], 1, v8
	v_cndmask_b32_e32 v10, 0, v10, vcc
	v_cmp_eq_u32_e32 vcc, 0, v8
	s_nop 1
	v_cndmask_b32_e64 v9, v9, 0, vcc
	v_add_u32_e32 v7, v9, v7
	v_cndmask_b32_e64 v9, v10, 0, vcc
	v_add_u32_e32 v6, v9, v6
	v_cmp_eq_u32_e32 vcc, 0, v7
	v_mov_b32_dpp v9, v7 row_shr:2 row_mask:0xf bank_mask:0xf
	v_mov_b32_dpp v10, v6 row_shr:2 row_mask:0xf bank_mask:0xf
	v_cndmask_b32_e64 v9, 0, v9, s[0:1]
	s_and_b64 vcc, s[0:1], vcc
	v_cndmask_b32_e32 v10, 0, v10, vcc
	v_add_u32_e32 v7, v7, v9
	v_add_u32_e32 v6, v10, v6
	v_cmp_eq_u32_e32 vcc, 0, v7
	v_mov_b32_dpp v9, v7 row_shr:4 row_mask:0xf bank_mask:0xf
	v_cmp_lt_u32_e64 s[0:1], 3, v8
	v_mov_b32_dpp v10, v6 row_shr:4 row_mask:0xf bank_mask:0xf
	s_and_b64 vcc, s[0:1], vcc
	v_cndmask_b32_e64 v9, 0, v9, s[0:1]
	v_cndmask_b32_e32 v10, 0, v10, vcc
	v_add_u32_e32 v7, v9, v7
	v_add_u32_e32 v6, v6, v10
	v_cmp_eq_u32_e32 vcc, 0, v7
	v_cmp_lt_u32_e64 s[0:1], 7, v8
	v_mov_b32_dpp v9, v7 row_shr:8 row_mask:0xf bank_mask:0xf
	v_mov_b32_dpp v10, v6 row_shr:8 row_mask:0xf bank_mask:0xf
	s_and_b64 vcc, s[0:1], vcc
	v_cndmask_b32_e64 v8, 0, v9, s[0:1]
	v_cndmask_b32_e32 v9, 0, v10, vcc
	v_add_u32_e32 v6, v9, v6
	v_add_u32_e32 v7, v8, v7
	v_bfe_i32 v10, v27, 4, 1
	v_mov_b32_dpp v9, v6 row_bcast:15 row_mask:0xf bank_mask:0xf
	v_mov_b32_dpp v8, v7 row_bcast:15 row_mask:0xf bank_mask:0xf
	v_cmp_eq_u32_e32 vcc, 0, v7
	v_and_b32_e32 v8, v10, v8
	v_add_u32_e32 v7, v8, v7
	v_cndmask_b32_e32 v9, 0, v9, vcc
	v_and_b32_e32 v8, v10, v9
	v_add_u32_e32 v8, v8, v6
	v_mov_b32_dpp v6, v7 row_bcast:31 row_mask:0xf bank_mask:0xf
	v_cmp_eq_u32_e32 vcc, 0, v7
	v_cmp_lt_u32_e64 s[0:1], 31, v27
	v_mov_b32_dpp v9, v8 row_bcast:31 row_mask:0xf bank_mask:0xf
	s_and_b64 vcc, s[0:1], vcc
	v_cndmask_b32_e64 v6, 0, v6, s[0:1]
	v_add_u32_e32 v6, v6, v7
	v_cndmask_b32_e32 v7, 0, v9, vcc
	v_add_u32_e32 v7, v7, v8
	v_cmp_eq_u32_e32 vcc, v78, v0
	v_lshlrev_b32_e32 v8, 3, v77
	s_and_saveexec_b64 s[0:1], vcc
	s_cbranch_execz .LBB866_62
; %bb.61:
	ds_write_b64 v8, v[6:7] offset:1040
.LBB866_62:
	s_or_b64 exec, exec, s[0:1]
	v_cmp_gt_u32_e32 vcc, 4, v0
	s_waitcnt lgkmcnt(0)
	s_barrier
	s_and_saveexec_b64 s[28:29], vcc
	s_cbranch_execz .LBB866_64
; %bb.63:
	v_lshlrev_b32_e32 v9, 3, v0
	ds_read_b64 v[10:11], v9 offset:1040
	v_and_b32_e32 v24, 3, v27
	v_cmp_lt_u32_e64 s[0:1], 1, v24
	s_waitcnt lgkmcnt(0)
	v_mov_b32_dpp v26, v11 row_shr:1 row_mask:0xf bank_mask:0xf
	v_cmp_eq_u32_e32 vcc, 0, v10
	v_mov_b32_dpp v25, v10 row_shr:1 row_mask:0xf bank_mask:0xf
	s_nop 0
	v_cndmask_b32_e32 v26, 0, v26, vcc
	v_cmp_eq_u32_e32 vcc, 0, v24
	s_nop 1
	v_cndmask_b32_e64 v25, v25, 0, vcc
	v_add_u32_e32 v10, v25, v10
	v_cndmask_b32_e64 v25, v26, 0, vcc
	v_add_u32_e32 v11, v25, v11
	v_cmp_eq_u32_e32 vcc, 0, v10
	v_mov_b32_dpp v25, v10 row_shr:2 row_mask:0xf bank_mask:0xf
	v_mov_b32_dpp v26, v11 row_shr:2 row_mask:0xf bank_mask:0xf
	v_cndmask_b32_e64 v24, 0, v25, s[0:1]
	s_and_b64 vcc, s[0:1], vcc
	v_add_u32_e32 v10, v24, v10
	v_cndmask_b32_e32 v24, 0, v26, vcc
	v_add_u32_e32 v11, v24, v11
	ds_write_b64 v9, v[10:11] offset:1040
.LBB866_64:
	s_or_b64 exec, exec, s[28:29]
	v_cmp_gt_u32_e32 vcc, 64, v0
	v_cmp_lt_u32_e64 s[0:1], 63, v0
	v_mov_b32_e32 v24, 0
	v_mov_b32_e32 v25, 0
	s_waitcnt lgkmcnt(0)
	s_barrier
	s_and_saveexec_b64 s[28:29], s[0:1]
	s_cbranch_execz .LBB866_66
; %bb.65:
	ds_read_b64 v[24:25], v8 offset:1032
	v_cmp_eq_u32_e64 s[0:1], 0, v6
	s_waitcnt lgkmcnt(0)
	v_add_u32_e32 v8, v24, v6
	v_cndmask_b32_e64 v6, 0, v25, s[0:1]
	v_add_u32_e32 v7, v6, v7
	v_mov_b32_e32 v6, v8
.LBB866_66:
	s_or_b64 exec, exec, s[28:29]
	v_add_u32_e32 v8, -1, v27
	v_and_b32_e32 v9, 64, v27
	v_cmp_lt_i32_e64 s[0:1], v8, v9
	v_cmp_eq_u32_e64 s[28:29], 0, v27
	s_nop 0
	v_cndmask_b32_e64 v8, v8, v27, s[0:1]
	v_lshlrev_b32_e32 v8, 2, v8
	ds_bpermute_b32 v32, v8, v6
	ds_bpermute_b32 v33, v8, v7
	s_and_saveexec_b64 s[36:37], vcc
	s_cbranch_execz .LBB866_89
; %bb.67:
	v_mov_b32_e32 v11, 0
	ds_read_b64 v[6:7], v11 offset:1064
	s_waitcnt lgkmcnt(0)
	v_readfirstlane_b32 s42, v6
	v_readfirstlane_b32 s43, v7
	s_and_saveexec_b64 s[0:1], s[28:29]
	s_cbranch_execz .LBB866_69
; %bb.68:
	s_add_i32 s38, s60, 64
	s_mov_b32 s39, 0
	s_lshl_b64 s[52:53], s[38:39], 4
	s_add_u32 s52, s40, s52
	s_addc_u32 s53, s41, s53
	s_and_b32 s63, s43, 0xff000000
	s_mov_b32 s62, s39
	s_and_b32 s65, s43, 0xff0000
	s_mov_b32 s64, s39
	s_or_b64 s[62:63], s[64:65], s[62:63]
	s_and_b32 s65, s43, 0xff00
	s_or_b64 s[62:63], s[62:63], s[64:65]
	s_and_b32 s65, s43, 0xff
	s_or_b64 s[38:39], s[62:63], s[64:65]
	v_mov_b32_e32 v8, s42
	v_mov_b32_e32 v9, s39
	;; [unrolled: 1-line block ×3, first 2 shown]
	v_mov_b64_e32 v[6:7], s[52:53]
	;;#ASMSTART
	global_store_dwordx4 v[6:7], v[8:11] off sc1	
s_waitcnt vmcnt(0)
	;;#ASMEND
.LBB866_69:
	s_or_b64 exec, exec, s[0:1]
	v_xad_u32 v26, v27, -1, s60
	v_add_u32_e32 v10, 64, v26
	v_lshl_add_u64 v[28:29], v[10:11], 4, s[40:41]
	;;#ASMSTART
	global_load_dwordx4 v[6:9], v[28:29] off sc1	
s_waitcnt vmcnt(0)
	;;#ASMEND
	s_nop 0
	v_and_b32_e32 v9, 0xff, v7
	v_and_b32_e32 v10, 0xff00, v7
	v_or3_b32 v6, v6, 0, 0
	v_and_b32_e32 v30, 0xff000000, v7
	v_or3_b32 v9, 0, v9, v10
	;; [unrolled: 2-line block ×3, first 2 shown]
	v_or3_b32 v6, v6, 0, 0
	v_cmp_eq_u16_sdwa s[38:39], v8, v11 src0_sel:BYTE_0 src1_sel:DWORD
	s_and_saveexec_b64 s[0:1], s[38:39]
	s_cbranch_execz .LBB866_75
; %bb.70:
	s_mov_b32 s52, 1
	s_mov_b64 s[38:39], 0
	v_mov_b32_e32 v10, 0
.LBB866_71:                             ; =>This Loop Header: Depth=1
                                        ;     Child Loop BB866_72 Depth 2
	s_max_u32 s53, s52, 1
.LBB866_72:                             ;   Parent Loop BB866_71 Depth=1
                                        ; =>  This Inner Loop Header: Depth=2
	s_add_i32 s53, s53, -1
	s_cmp_eq_u32 s53, 0
	s_sleep 1
	s_cbranch_scc0 .LBB866_72
; %bb.73:                               ;   in Loop: Header=BB866_71 Depth=1
	s_cmp_lt_u32 s52, 32
	s_cselect_b64 s[62:63], -1, 0
	s_cmp_lg_u64 s[62:63], 0
	s_addc_u32 s52, s52, 0
	;;#ASMSTART
	global_load_dwordx4 v[6:9], v[28:29] off sc1	
s_waitcnt vmcnt(0)
	;;#ASMEND
	s_nop 0
	v_cmp_ne_u16_sdwa s[62:63], v8, v10 src0_sel:BYTE_0 src1_sel:DWORD
	s_or_b64 s[38:39], s[62:63], s[38:39]
	s_andn2_b64 exec, exec, s[38:39]
	s_cbranch_execnz .LBB866_71
; %bb.74:
	s_or_b64 exec, exec, s[38:39]
.LBB866_75:
	s_or_b64 exec, exec, s[0:1]
	v_mov_b32_e32 v34, 2
	v_cmp_eq_u16_sdwa s[0:1], v8, v34 src0_sel:BYTE_0 src1_sel:DWORD
	v_lshlrev_b64 v[28:29], v27, -1
	v_and_b32_e32 v35, 63, v27
	v_and_b32_e32 v9, s1, v29
	v_or_b32_e32 v9, 0x80000000, v9
	v_cmp_ne_u32_e32 vcc, 63, v35
	v_and_b32_e32 v10, s0, v28
	v_ffbl_b32_e32 v9, v9
	v_addc_co_u32_e32 v11, vcc, 0, v27, vcc
	v_add_u32_e32 v9, 32, v9
	v_ffbl_b32_e32 v10, v10
	v_lshlrev_b32_e32 v36, 2, v11
	v_min_u32_e32 v9, v10, v9
	ds_bpermute_b32 v10, v36, v7
	v_cmp_eq_u32_e32 vcc, 0, v6
	v_cmp_lt_u32_e64 s[0:1], v35, v9
	ds_bpermute_b32 v11, v36, v6
	s_and_b64 vcc, s[0:1], vcc
	s_waitcnt lgkmcnt(1)
	v_cndmask_b32_e32 v10, 0, v10, vcc
	v_cmp_gt_u32_e32 vcc, 62, v35
	v_add_u32_e32 v7, v10, v7
	s_waitcnt lgkmcnt(0)
	v_cndmask_b32_e64 v11, 0, v11, s[0:1]
	v_cndmask_b32_e64 v10, 0, 1, vcc
	v_lshlrev_b32_e32 v10, 1, v10
	v_add_lshl_u32 v37, v10, v27, 2
	ds_bpermute_b32 v10, v37, v7
	v_add_u32_e32 v6, v11, v6
	ds_bpermute_b32 v11, v37, v6
	v_add_u32_e32 v38, 2, v35
	v_cmp_eq_u32_e32 vcc, 0, v6
	v_add_u32_e32 v40, 4, v35
	v_add_u32_e32 v42, 8, v35
	s_waitcnt lgkmcnt(1)
	v_cndmask_b32_e32 v10, 0, v10, vcc
	v_cmp_gt_u32_e32 vcc, v38, v9
	v_add_u32_e32 v44, 16, v35
	v_add_u32_e32 v46, 32, v35
	v_cndmask_b32_e64 v10, v10, 0, vcc
	v_add_u32_e32 v7, v10, v7
	s_waitcnt lgkmcnt(0)
	v_cndmask_b32_e64 v10, v11, 0, vcc
	v_cmp_gt_u32_e32 vcc, 60, v35
	v_add_u32_e32 v6, v6, v10
	s_nop 0
	v_cndmask_b32_e64 v11, 0, 1, vcc
	v_lshlrev_b32_e32 v11, 2, v11
	v_add_lshl_u32 v39, v11, v27, 2
	ds_bpermute_b32 v11, v39, v7
	ds_bpermute_b32 v10, v39, v6
	v_cmp_eq_u32_e32 vcc, 0, v6
	s_waitcnt lgkmcnt(1)
	s_nop 0
	v_cndmask_b32_e32 v11, 0, v11, vcc
	v_cmp_gt_u32_e32 vcc, v40, v9
	s_nop 1
	v_cndmask_b32_e64 v11, v11, 0, vcc
	s_waitcnt lgkmcnt(0)
	v_cndmask_b32_e64 v10, v10, 0, vcc
	v_cmp_gt_u32_e32 vcc, 56, v35
	v_add_u32_e32 v7, v7, v11
	v_add_u32_e32 v6, v6, v10
	v_cndmask_b32_e64 v11, 0, 1, vcc
	v_lshlrev_b32_e32 v11, 3, v11
	v_add_lshl_u32 v41, v11, v27, 2
	ds_bpermute_b32 v11, v41, v7
	ds_bpermute_b32 v10, v41, v6
	v_cmp_eq_u32_e32 vcc, 0, v6
	s_waitcnt lgkmcnt(1)
	s_nop 0
	v_cndmask_b32_e32 v11, 0, v11, vcc
	v_cmp_gt_u32_e32 vcc, v42, v9
	s_nop 1
	v_cndmask_b32_e64 v11, v11, 0, vcc
	s_waitcnt lgkmcnt(0)
	v_cndmask_b32_e64 v10, v10, 0, vcc
	v_cmp_gt_u32_e32 vcc, 48, v35
	v_add_u32_e32 v7, v7, v11
	v_add_u32_e32 v6, v6, v10
	;; [unrolled: 17-line block ×3, first 2 shown]
	v_cndmask_b32_e64 v11, 0, 1, vcc
	v_lshlrev_b32_e32 v11, 5, v11
	v_add_lshl_u32 v45, v11, v27, 2
	ds_bpermute_b32 v11, v45, v7
	ds_bpermute_b32 v10, v45, v6
	v_cmp_eq_u32_e32 vcc, 0, v6
	v_mov_b32_e32 v27, 0
	s_waitcnt lgkmcnt(1)
	v_cndmask_b32_e32 v11, 0, v11, vcc
	v_cmp_gt_u32_e32 vcc, v46, v9
	s_nop 1
	v_cndmask_b32_e64 v9, v11, 0, vcc
	v_add_u32_e32 v7, v9, v7
	s_waitcnt lgkmcnt(0)
	v_cndmask_b32_e64 v9, v10, 0, vcc
	v_add_u32_e32 v6, v9, v6
	s_branch .LBB866_77
.LBB866_76:                             ;   in Loop: Header=BB866_77 Depth=1
	s_or_b64 exec, exec, s[0:1]
	v_cmp_eq_u16_sdwa s[0:1], v8, v34 src0_sel:BYTE_0 src1_sel:DWORD
	v_cmp_eq_u32_e32 vcc, 0, v6
	ds_bpermute_b32 v31, v36, v6
	v_and_b32_e32 v9, s1, v29
	v_or_b32_e32 v9, 0x80000000, v9
	v_and_b32_e32 v30, s0, v28
	v_ffbl_b32_e32 v9, v9
	v_add_u32_e32 v9, 32, v9
	v_ffbl_b32_e32 v30, v30
	v_min_u32_e32 v9, v30, v9
	ds_bpermute_b32 v30, v36, v7
	v_cmp_lt_u32_e64 s[0:1], v35, v9
	s_and_b64 vcc, s[0:1], vcc
	v_subrev_u32_e32 v26, 64, v26
	s_waitcnt lgkmcnt(1)
	v_cndmask_b32_e64 v31, 0, v31, s[0:1]
	s_waitcnt lgkmcnt(0)
	v_cndmask_b32_e32 v30, 0, v30, vcc
	v_add_u32_e32 v7, v30, v7
	ds_bpermute_b32 v30, v37, v7
	v_add_u32_e32 v6, v31, v6
	v_cmp_eq_u32_e32 vcc, 0, v6
	ds_bpermute_b32 v31, v37, v6
	s_waitcnt lgkmcnt(1)
	v_cndmask_b32_e32 v30, 0, v30, vcc
	v_cmp_gt_u32_e32 vcc, v38, v9
	s_nop 1
	v_cndmask_b32_e64 v30, v30, 0, vcc
	v_add_u32_e32 v7, v30, v7
	ds_bpermute_b32 v30, v39, v7
	s_waitcnt lgkmcnt(1)
	v_cndmask_b32_e64 v31, v31, 0, vcc
	v_add_u32_e32 v6, v6, v31
	v_cmp_eq_u32_e32 vcc, 0, v6
	ds_bpermute_b32 v31, v39, v6
	s_waitcnt lgkmcnt(1)
	v_cndmask_b32_e32 v30, 0, v30, vcc
	v_cmp_gt_u32_e32 vcc, v40, v9
	s_nop 1
	v_cndmask_b32_e64 v30, v30, 0, vcc
	v_add_u32_e32 v7, v7, v30
	ds_bpermute_b32 v30, v41, v7
	s_waitcnt lgkmcnt(1)
	v_cndmask_b32_e64 v31, v31, 0, vcc
	v_add_u32_e32 v6, v6, v31
	ds_bpermute_b32 v31, v41, v6
	v_cmp_eq_u32_e32 vcc, 0, v6
	s_waitcnt lgkmcnt(1)
	s_nop 0
	v_cndmask_b32_e32 v30, 0, v30, vcc
	v_cmp_gt_u32_e32 vcc, v42, v9
	s_nop 1
	v_cndmask_b32_e64 v30, v30, 0, vcc
	v_add_u32_e32 v7, v7, v30
	ds_bpermute_b32 v30, v43, v7
	s_waitcnt lgkmcnt(1)
	v_cndmask_b32_e64 v31, v31, 0, vcc
	v_add_u32_e32 v6, v6, v31
	ds_bpermute_b32 v31, v43, v6
	v_cmp_eq_u32_e32 vcc, 0, v6
	s_waitcnt lgkmcnt(1)
	s_nop 0
	v_cndmask_b32_e32 v30, 0, v30, vcc
	v_cmp_gt_u32_e32 vcc, v44, v9
	s_nop 1
	v_cndmask_b32_e64 v30, v30, 0, vcc
	v_add_u32_e32 v7, v7, v30
	ds_bpermute_b32 v30, v45, v7
	s_waitcnt lgkmcnt(1)
	v_cndmask_b32_e64 v31, v31, 0, vcc
	v_add_u32_e32 v6, v6, v31
	ds_bpermute_b32 v31, v45, v6
	v_cmp_eq_u32_e32 vcc, 0, v6
	s_waitcnt lgkmcnt(1)
	s_nop 0
	v_cndmask_b32_e32 v30, 0, v30, vcc
	v_cmp_gt_u32_e32 vcc, v46, v9
	s_nop 1
	v_cndmask_b32_e64 v9, v30, 0, vcc
	v_add_u32_e32 v7, v9, v7
	s_waitcnt lgkmcnt(0)
	v_cndmask_b32_e64 v9, v31, 0, vcc
	v_cmp_eq_u32_e32 vcc, 0, v10
	v_add3_u32 v6, v6, v10, v9
	s_nop 0
	v_cndmask_b32_e32 v7, 0, v7, vcc
	v_add_u32_e32 v7, v7, v11
.LBB866_77:                             ; =>This Loop Header: Depth=1
                                        ;     Child Loop BB866_80 Depth 2
                                        ;       Child Loop BB866_81 Depth 3
	v_cmp_ne_u16_sdwa s[0:1], v8, v34 src0_sel:BYTE_0 src1_sel:DWORD
	v_mov_b32_e32 v11, v7
	v_mov_b32_e32 v10, v6
	v_cndmask_b32_e64 v7, 0, 1, s[0:1]
	;;#ASMSTART
	;;#ASMEND
	s_nop 0
	v_cmp_ne_u32_e32 vcc, 0, v7
	s_cmp_lg_u64 vcc, exec
	s_cbranch_scc1 .LBB866_84
; %bb.78:                               ;   in Loop: Header=BB866_77 Depth=1
	v_lshl_add_u64 v[30:31], v[26:27], 4, s[40:41]
	;;#ASMSTART
	global_load_dwordx4 v[6:9], v[30:31] off sc1	
s_waitcnt vmcnt(0)
	;;#ASMEND
	s_nop 0
	v_and_b32_e32 v9, 0xff, v7
	v_and_b32_e32 v47, 0xff00, v7
	v_or3_b32 v6, v6, 0, 0
	v_and_b32_e32 v48, 0xff000000, v7
	v_or3_b32 v9, 0, v9, v47
	;; [unrolled: 2-line block ×3, first 2 shown]
	v_or3_b32 v6, v6, 0, 0
	v_cmp_eq_u16_sdwa s[38:39], v8, v27 src0_sel:BYTE_0 src1_sel:DWORD
	s_and_saveexec_b64 s[0:1], s[38:39]
	s_cbranch_execz .LBB866_76
; %bb.79:                               ;   in Loop: Header=BB866_77 Depth=1
	s_mov_b32 s52, 1
	s_mov_b64 s[38:39], 0
.LBB866_80:                             ;   Parent Loop BB866_77 Depth=1
                                        ; =>  This Loop Header: Depth=2
                                        ;       Child Loop BB866_81 Depth 3
	s_max_u32 s53, s52, 1
.LBB866_81:                             ;   Parent Loop BB866_77 Depth=1
                                        ;     Parent Loop BB866_80 Depth=2
                                        ; =>    This Inner Loop Header: Depth=3
	s_add_i32 s53, s53, -1
	s_cmp_eq_u32 s53, 0
	s_sleep 1
	s_cbranch_scc0 .LBB866_81
; %bb.82:                               ;   in Loop: Header=BB866_80 Depth=2
	s_cmp_lt_u32 s52, 32
	s_cselect_b64 s[62:63], -1, 0
	s_cmp_lg_u64 s[62:63], 0
	s_addc_u32 s52, s52, 0
	;;#ASMSTART
	global_load_dwordx4 v[6:9], v[30:31] off sc1	
s_waitcnt vmcnt(0)
	;;#ASMEND
	s_nop 0
	v_cmp_ne_u16_sdwa s[62:63], v8, v27 src0_sel:BYTE_0 src1_sel:DWORD
	s_or_b64 s[38:39], s[62:63], s[38:39]
	s_andn2_b64 exec, exec, s[38:39]
	s_cbranch_execnz .LBB866_80
; %bb.83:                               ;   in Loop: Header=BB866_77 Depth=1
	s_or_b64 exec, exec, s[38:39]
	s_branch .LBB866_76
.LBB866_84:                             ;   in Loop: Header=BB866_77 Depth=1
                                        ; implicit-def: $vgpr7
                                        ; implicit-def: $vgpr6
                                        ; implicit-def: $vgpr8
	s_cbranch_execz .LBB866_77
; %bb.85:
	s_and_saveexec_b64 s[0:1], s[28:29]
	s_cbranch_execz .LBB866_87
; %bb.86:
	s_cmp_eq_u32 s42, 0
	s_cselect_b64 vcc, -1, 0
	s_mov_b32 s39, 0
	v_cndmask_b32_e32 v6, 0, v11, vcc
	s_add_i32 s38, s60, 64
	v_add_u32_e32 v6, s43, v6
	s_lshl_b64 s[38:39], s[38:39], 4
	s_add_u32 s38, s40, s38
	v_and_b32_e32 v7, 0xff000000, v6
	v_and_b32_e32 v8, 0xff0000, v6
	s_addc_u32 s39, s41, s39
	v_or_b32_e32 v7, v8, v7
	v_and_b32_e32 v8, 0xff00, v6
	v_and_b32_e32 v6, 0xff, v6
	v_add_u32_e32 v26, s42, v10
	v_mov_b32_e32 v29, 0
	v_or3_b32 v27, v7, v8, v6
	v_mov_b32_e32 v28, 2
	v_mov_b64_e32 v[6:7], s[38:39]
	;;#ASMSTART
	global_store_dwordx4 v[6:7], v[26:29] off sc1	
s_waitcnt vmcnt(0)
	;;#ASMEND
	v_mov_b32_e32 v8, s42
	v_mov_b32_e32 v9, s43
	ds_write_b128 v29, v[8:11] offset:1024
.LBB866_87:
	s_or_b64 exec, exec, s[0:1]
	s_and_b64 exec, exec, s[34:35]
	s_cbranch_execz .LBB866_89
; %bb.88:
	v_mov_b32_e32 v6, 0
	ds_write_b64 v6, v[10:11] offset:1064
.LBB866_89:
	s_or_b64 exec, exec, s[36:37]
	v_mov_b32_e32 v8, 0
	s_waitcnt lgkmcnt(0)
	s_barrier
	ds_read_b64 v[6:7], v8 offset:1064
	v_cndmask_b32_e64 v10, v32, v24, s[28:29]
	v_cmp_eq_u32_e32 vcc, 0, v10
	v_cndmask_b32_e64 v9, v33, v25, s[28:29]
	s_waitcnt lgkmcnt(0)
	v_cndmask_b32_e32 v11, 0, v7, vcc
	v_add_u32_e32 v9, v11, v9
	v_cndmask_b32_e64 v55, v9, v7, s[34:35]
	v_cndmask_b32_e64 v7, v10, 0, s[34:35]
	v_cmp_eq_u32_e32 vcc, 0, v69
	v_add_u32_e32 v54, v6, v7
	v_add_u32_e32 v52, v54, v69
	v_cndmask_b32_e32 v6, 0, v55, vcc
	v_add_u32_e32 v53, v6, v22
	v_cndmask_b32_e64 v6, 0, v53, s[26:27]
	v_add_u32_e32 v51, v6, v23
	v_cndmask_b32_e64 v6, 0, v51, s[24:25]
	;; [unrolled: 2-line block ×8, first 2 shown]
	v_add_u32_e32 v37, v6, v72
	v_add_u32_e32 v50, v52, v67
	v_cndmask_b32_e64 v6, 0, v37, s[10:11]
	v_add_u32_e32 v48, v50, v68
	v_add_u32_e32 v35, v6, v19
	v_add_u32_e32 v46, v48, v66
	v_cndmask_b32_e64 v6, 0, v35, s[8:9]
	v_add_u32_e32 v44, v46, v63
	;; [unrolled: 4-line block ×3, first 2 shown]
	v_add_u32_e32 v31, v6, v16
	s_barrier
	ds_read_b128 v[6:9], v8 offset:1024
	v_add_u32_e32 v38, v40, v64
	v_add_u32_e32 v36, v38, v57
	;; [unrolled: 1-line block ×4, first 2 shown]
	v_cndmask_b32_e64 v10, 0, v31, s[4:5]
	v_add_u32_e32 v30, v32, v61
	v_add_u32_e32 v29, v10, v70
	s_waitcnt lgkmcnt(0)
	v_cmp_eq_u32_e32 vcc, 0, v6
	v_add_u32_e32 v28, v30, v15
	v_cndmask_b32_e64 v10, 0, v29, s[2:3]
	v_cndmask_b32_e32 v9, 0, v9, vcc
	v_add_u32_e32 v26, v28, v58
	v_add_u32_e32 v27, v10, v17
	;; [unrolled: 1-line block ×3, first 2 shown]
	s_branch .LBB866_102
.LBB866_90:
                                        ; implicit-def: $vgpr6
                                        ; implicit-def: $vgpr24
                                        ; implicit-def: $vgpr54_vgpr55
                                        ; implicit-def: $vgpr52_vgpr53
                                        ; implicit-def: $vgpr50_vgpr51
                                        ; implicit-def: $vgpr48_vgpr49
                                        ; implicit-def: $vgpr46_vgpr47
                                        ; implicit-def: $vgpr44_vgpr45
                                        ; implicit-def: $vgpr42_vgpr43
                                        ; implicit-def: $vgpr40_vgpr41
                                        ; implicit-def: $vgpr38_vgpr39
                                        ; implicit-def: $vgpr36_vgpr37
                                        ; implicit-def: $vgpr34_vgpr35
                                        ; implicit-def: $vgpr32_vgpr33
                                        ; implicit-def: $vgpr30_vgpr31
                                        ; implicit-def: $vgpr28_vgpr29
                                        ; implicit-def: $vgpr26_vgpr27
	s_cbranch_execz .LBB866_102
; %bb.91:
	s_and_b64 s[0:1], s[30:31], exec
	s_cselect_b32 s1, 0, s59
	s_cselect_b32 s0, 0, s58
	s_cmp_eq_u64 s[0:1], 0
	v_mov_b32_e32 v10, v22
	s_cbranch_scc1 .LBB866_93
; %bb.92:
	v_mov_b32_e32 v6, 0
	global_load_dword v10, v6, s[0:1]
.LBB866_93:
	v_cmp_eq_u32_e64 s[2:3], 0, v67
	v_cmp_eq_u32_e64 s[4:5], 0, v68
	v_cmp_eq_u32_e64 s[6:7], 0, v66
	v_cndmask_b32_e64 v6, 0, v22, s[2:3]
	v_add_u32_e32 v6, v6, v23
	v_cndmask_b32_e64 v6, 0, v6, s[4:5]
	v_add_u32_e32 v6, v6, v75
	v_cndmask_b32_e64 v6, 0, v6, s[6:7]
	v_add_u32_e32 v6, v6, v20
	v_cmp_eq_u32_e64 s[8:9], 0, v63
	v_cmp_eq_u32_e64 s[10:11], 0, v60
	v_cmp_eq_u32_e64 s[12:13], 0, v65
	v_cndmask_b32_e64 v6, 0, v6, s[8:9]
	v_add_u32_e32 v6, v6, v74
	v_cndmask_b32_e64 v6, 0, v6, s[10:11]
	v_add_u32_e32 v6, v6, v21
	v_cndmask_b32_e64 v6, 0, v6, s[12:13]
	v_add_u32_e32 v6, v6, v73
	;; [unrolled: 9-line block ×3, first 2 shown]
	v_cmp_eq_u32_e64 s[20:21], 0, v62
	v_cmp_eq_u32_e64 s[22:23], 0, v61
	;; [unrolled: 1-line block ×3, first 2 shown]
	v_cndmask_b32_e64 v6, 0, v6, s[20:21]
	v_add_u32_e32 v6, v6, v71
	v_cndmask_b32_e64 v6, 0, v6, s[22:23]
	v_add_u32_e32 v6, v6, v16
	v_cndmask_b32_e64 v6, 0, v6, s[24:25]
	v_add3_u32 v7, v80, v60, v65
	v_add_u32_e32 v6, v6, v70
	v_cmp_eq_u32_e32 vcc, 0, v58
	v_add3_u32 v7, v7, v64, v57
	v_add3_u32 v7, v7, v56, v62
	v_cndmask_b32_e32 v6, 0, v6, vcc
	v_add_u32_e32 v6, v6, v17
	v_cmp_eq_u32_e64 s[0:1], 0, v59
	v_add3_u32 v7, v7, v61, v15
	v_add3_u32 v7, v7, v58, v59
	v_cndmask_b32_e64 v6, 0, v6, s[0:1]
	v_add_u32_e32 v6, v6, v76
	v_mbcnt_hi_u32_b32 v11, -1, v79
	v_and_b32_e32 v8, 15, v11
	v_mov_b32_dpp v24, v6 row_shr:1 row_mask:0xf bank_mask:0xf
	v_cmp_eq_u32_e64 s[0:1], 0, v7
	v_mov_b32_dpp v9, v7 row_shr:1 row_mask:0xf bank_mask:0xf
	v_cmp_lt_u32_e64 s[26:27], 1, v8
	v_cndmask_b32_e64 v24, 0, v24, s[0:1]
	v_cmp_eq_u32_e64 s[0:1], 0, v8
	s_nop 1
	v_cndmask_b32_e64 v9, v9, 0, s[0:1]
	v_add_u32_e32 v7, v9, v7
	v_cndmask_b32_e64 v9, v24, 0, s[0:1]
	v_add_u32_e32 v6, v9, v6
	v_cmp_eq_u32_e64 s[0:1], 0, v7
	v_mov_b32_dpp v9, v7 row_shr:2 row_mask:0xf bank_mask:0xf
	v_mov_b32_dpp v24, v6 row_shr:2 row_mask:0xf bank_mask:0xf
	v_cndmask_b32_e64 v9, 0, v9, s[26:27]
	s_and_b64 s[0:1], s[26:27], s[0:1]
	v_cndmask_b32_e64 v24, 0, v24, s[0:1]
	v_add_u32_e32 v7, v7, v9
	v_add_u32_e32 v6, v24, v6
	v_cmp_eq_u32_e64 s[0:1], 0, v7
	v_mov_b32_dpp v9, v7 row_shr:4 row_mask:0xf bank_mask:0xf
	v_cmp_lt_u32_e64 s[26:27], 3, v8
	v_mov_b32_dpp v24, v6 row_shr:4 row_mask:0xf bank_mask:0xf
	s_and_b64 s[0:1], s[26:27], s[0:1]
	v_cndmask_b32_e64 v9, 0, v9, s[26:27]
	v_cndmask_b32_e64 v24, 0, v24, s[0:1]
	v_add_u32_e32 v7, v9, v7
	v_add_u32_e32 v6, v6, v24
	v_cmp_eq_u32_e64 s[0:1], 0, v7
	v_cmp_lt_u32_e64 s[26:27], 7, v8
	v_mov_b32_dpp v9, v7 row_shr:8 row_mask:0xf bank_mask:0xf
	v_mov_b32_dpp v24, v6 row_shr:8 row_mask:0xf bank_mask:0xf
	s_and_b64 s[0:1], s[26:27], s[0:1]
	v_cndmask_b32_e64 v8, 0, v9, s[26:27]
	v_cndmask_b32_e64 v9, 0, v24, s[0:1]
	v_add_u32_e32 v6, v9, v6
	v_add_u32_e32 v7, v8, v7
	v_bfe_i32 v24, v11, 4, 1
	v_mov_b32_dpp v9, v6 row_bcast:15 row_mask:0xf bank_mask:0xf
	v_mov_b32_dpp v8, v7 row_bcast:15 row_mask:0xf bank_mask:0xf
	v_cmp_eq_u32_e64 s[0:1], 0, v7
	v_and_b32_e32 v8, v24, v8
	v_add_u32_e32 v7, v8, v7
	v_cndmask_b32_e64 v9, 0, v9, s[0:1]
	v_and_b32_e32 v8, v24, v9
	v_add_u32_e32 v8, v8, v6
	v_mov_b32_dpp v6, v7 row_bcast:31 row_mask:0xf bank_mask:0xf
	v_cmp_eq_u32_e64 s[0:1], 0, v7
	v_cmp_lt_u32_e64 s[26:27], 31, v11
	v_mov_b32_dpp v9, v8 row_bcast:31 row_mask:0xf bank_mask:0xf
	s_and_b64 s[0:1], s[26:27], s[0:1]
	v_cndmask_b32_e64 v6, 0, v6, s[26:27]
	v_add_u32_e32 v6, v6, v7
	v_cndmask_b32_e64 v7, 0, v9, s[0:1]
	v_add_u32_e32 v7, v7, v8
	v_cmp_eq_u32_e64 s[0:1], v78, v0
	s_and_saveexec_b64 s[26:27], s[0:1]
	s_cbranch_execz .LBB866_95
; %bb.94:
	v_lshlrev_b32_e32 v8, 3, v77
	ds_write_b64 v8, v[6:7] offset:1040
.LBB866_95:
	s_or_b64 exec, exec, s[26:27]
	v_cmp_gt_u32_e64 s[0:1], 4, v0
	s_waitcnt lgkmcnt(0)
	s_barrier
	s_and_saveexec_b64 s[28:29], s[0:1]
	s_cbranch_execz .LBB866_97
; %bb.96:
	v_lshlrev_b32_e32 v24, 3, v0
	ds_read_b64 v[8:9], v24 offset:1040
	v_and_b32_e32 v25, 3, v11
	v_cmp_lt_u32_e64 s[26:27], 1, v25
	s_waitcnt lgkmcnt(0)
	v_mov_b32_dpp v27, v9 row_shr:1 row_mask:0xf bank_mask:0xf
	v_cmp_eq_u32_e64 s[0:1], 0, v8
	v_mov_b32_dpp v26, v8 row_shr:1 row_mask:0xf bank_mask:0xf
	s_nop 0
	v_cndmask_b32_e64 v27, 0, v27, s[0:1]
	v_cmp_eq_u32_e64 s[0:1], 0, v25
	s_nop 1
	v_cndmask_b32_e64 v26, v26, 0, s[0:1]
	v_add_u32_e32 v8, v26, v8
	v_cndmask_b32_e64 v26, v27, 0, s[0:1]
	v_add_u32_e32 v9, v26, v9
	v_cmp_eq_u32_e64 s[0:1], 0, v8
	v_mov_b32_dpp v26, v8 row_shr:2 row_mask:0xf bank_mask:0xf
	v_mov_b32_dpp v27, v9 row_shr:2 row_mask:0xf bank_mask:0xf
	v_cndmask_b32_e64 v25, 0, v26, s[26:27]
	s_and_b64 s[0:1], s[26:27], s[0:1]
	v_add_u32_e32 v8, v25, v8
	v_cndmask_b32_e64 v25, 0, v27, s[0:1]
	v_add_u32_e32 v9, v25, v9
	ds_write_b64 v24, v[8:9] offset:1040
.LBB866_97:
	s_or_b64 exec, exec, s[28:29]
	v_cmp_lt_u32_e64 s[0:1], 63, v0
	v_mov_b32_e32 v24, 0
	v_mov_b32_e32 v8, 0
	s_waitcnt vmcnt(0)
	v_mov_b32_e32 v9, v10
	s_waitcnt lgkmcnt(0)
	s_barrier
	s_and_saveexec_b64 s[26:27], s[0:1]
	s_cbranch_execz .LBB866_99
; %bb.98:
	v_lshlrev_b32_e32 v8, 3, v77
	ds_read_b64 v[8:9], v8 offset:1032
	s_waitcnt lgkmcnt(0)
	v_cmp_eq_u32_e64 s[0:1], 0, v8
	s_nop 1
	v_cndmask_b32_e64 v25, 0, v10, s[0:1]
	v_add_u32_e32 v9, v25, v9
.LBB866_99:
	s_or_b64 exec, exec, s[26:27]
	v_cmp_eq_u32_e64 s[0:1], 0, v6
	v_add_u32_e32 v25, v8, v6
	v_and_b32_e32 v26, 64, v11
	v_cndmask_b32_e64 v6, 0, v9, s[0:1]
	v_add_u32_e32 v6, v6, v7
	v_add_u32_e32 v7, -1, v11
	v_cmp_lt_i32_e64 s[0:1], v7, v26
	s_nop 1
	v_cndmask_b32_e64 v7, v7, v11, s[0:1]
	v_lshlrev_b32_e32 v7, 2, v7
	ds_bpermute_b32 v6, v7, v6
	ds_bpermute_b32 v25, v7, v25
	v_cmp_eq_u32_e64 s[0:1], 0, v11
	s_waitcnt lgkmcnt(1)
	s_nop 0
	v_cndmask_b32_e64 v6, v6, v9, s[0:1]
	s_waitcnt lgkmcnt(0)
	v_cndmask_b32_e64 v7, v25, v8, s[0:1]
	v_cndmask_b32_e64 v55, v6, v10, s[34:35]
	v_cmp_eq_u32_e64 s[0:1], 0, v69
	v_cndmask_b32_e64 v54, v7, 0, s[34:35]
	v_add_u32_e32 v52, v54, v69
	v_cndmask_b32_e64 v6, 0, v55, s[0:1]
	v_add_u32_e32 v53, v6, v22
	;; [unrolled: 2-line block ×10, first 2 shown]
	v_add_u32_e32 v50, v52, v67
	v_cndmask_b32_e64 v6, 0, v37, s[18:19]
	v_add_u32_e32 v48, v50, v68
	v_add_u32_e32 v35, v6, v19
	v_add_u32_e32 v46, v48, v66
	v_cndmask_b32_e64 v6, 0, v35, s[20:21]
	v_add_u32_e32 v44, v46, v63
	v_add_u32_e32 v33, v6, v71
	;; [unrolled: 4-line block ×3, first 2 shown]
	ds_read_b64 v[6:7], v24 offset:1064
	v_add_u32_e32 v38, v40, v64
	v_add_u32_e32 v36, v38, v57
	;; [unrolled: 1-line block ×3, first 2 shown]
	v_cndmask_b32_e64 v8, 0, v31, s[24:25]
	v_add_u32_e32 v32, v34, v62
	v_add_u32_e32 v29, v8, v70
	v_add_u32_e32 v30, v32, v61
	v_cndmask_b32_e32 v8, 0, v29, vcc
	s_waitcnt lgkmcnt(0)
	v_cmp_eq_u32_e32 vcc, 0, v6
	v_add_u32_e32 v28, v30, v15
	v_add_u32_e32 v27, v8, v17
	v_cndmask_b32_e32 v8, 0, v10, vcc
	v_add_u32_e32 v26, v28, v58
	v_add_u32_e32 v24, v8, v7
	s_and_saveexec_b64 s[0:1], s[34:35]
	s_cbranch_execz .LBB866_101
; %bb.100:
	s_add_u32 s2, s40, 0x400
	v_and_b32_e32 v7, 0xff000000, v24
	v_and_b32_e32 v8, 0xff0000, v24
	s_addc_u32 s3, s41, 0
	v_or_b32_e32 v7, v8, v7
	v_and_b32_e32 v8, 0xff00, v24
	v_and_b32_e32 v10, 0xff, v24
	v_mov_b32_e32 v9, 0
	v_or3_b32 v7, v7, v8, v10
	v_mov_b32_e32 v8, 2
	v_mov_b64_e32 v[10:11], s[2:3]
	;;#ASMSTART
	global_store_dwordx4 v[10:11], v[6:9] off sc1	
s_waitcnt vmcnt(0)
	;;#ASMEND
.LBB866_101:
	s_or_b64 exec, exec, s[0:1]
	v_mov_b32_e32 v8, 0
.LBB866_102:
	s_and_b64 s[0:1], s[30:31], exec
	s_cselect_b32 s1, 0, s55
	s_cselect_b32 s0, 0, s54
	s_cmp_eq_u64 s[0:1], 0
	v_mov_b64_e32 v[16:17], 0
	s_barrier
	s_cbranch_scc1 .LBB866_104
; %bb.103:
	v_mov_b32_e32 v7, 0
	global_load_dwordx2 v[16:17], v7, s[0:1]
.LBB866_104:
	s_waitcnt vmcnt(0)
	v_lshlrev_b64 v[10:11], 1, v[16:17]
	v_mov_b32_e32 v9, 0
	v_cmp_eq_u32_e32 vcc, 0, v69
	v_lshl_add_u64 v[10:11], s[48:49], 0, v[10:11]
	v_lshlrev_b64 v[18:19], 1, v[8:9]
	v_cndmask_b32_e64 v7, 1, 2, vcc
	v_cmp_eq_u32_e32 vcc, 0, v67
	v_lshl_add_u64 v[18:19], v[10:11], 0, v[18:19]
	s_movk_i32 s0, 0x100
	v_cndmask_b32_e64 v10, 1, 2, vcc
	v_cmp_eq_u32_e32 vcc, 0, v68
	v_and_b32_e32 v7, v10, v7
	v_cmp_ne_u32_e64 s[30:31], 0, v69
	v_cndmask_b32_e64 v10, 1, 2, vcc
	v_cmp_eq_u32_e32 vcc, 0, v66
	v_and_b32_e32 v7, v7, v10
	v_cmp_ne_u32_e64 s[28:29], 0, v67
	;; [unrolled: 4-line block ×13, first 2 shown]
	v_cndmask_b32_e64 v10, 1, 2, vcc
	v_and_b32_e32 v7, v7, v10
	v_cmp_gt_u32_e32 vcc, s0, v6
	v_cmp_ne_u32_e64 s[4:5], 0, v58
	v_cmp_ne_u32_e64 s[2:3], 0, v59
	s_mov_b64 s[36:37], -1
	v_cmp_gt_i16_e64 s[0:1], 2, v7
	s_cbranch_vccz .LBB866_111
; %bb.105:
	s_and_saveexec_b64 s[36:37], s[0:1]
	s_cbranch_execz .LBB866_110
; %bb.106:
	v_cmp_ne_u16_e32 vcc, 1, v7
	s_mov_b64 s[38:39], 0
	s_and_saveexec_b64 s[0:1], vcc
	s_xor_b64 s[0:1], exec, s[0:1]
	s_cbranch_execnz .LBB866_155
; %bb.107:
	s_andn2_saveexec_b64 s[0:1], s[0:1]
	s_cbranch_execnz .LBB866_171
.LBB866_108:
	s_or_b64 exec, exec, s[0:1]
	s_and_b64 exec, exec, s[38:39]
	s_cbranch_execz .LBB866_110
.LBB866_109:
	v_sub_u32_e32 v10, v26, v8
	v_mov_b32_e32 v11, 0
	v_lshl_add_u64 v[10:11], v[10:11], 1, v[18:19]
	global_store_short v[10:11], v1, off
.LBB866_110:
	s_or_b64 exec, exec, s[36:37]
	s_mov_b64 s[36:37], 0
.LBB866_111:
	s_and_b64 vcc, exec, s[36:37]
	s_cbranch_vccz .LBB866_133
; %bb.112:
	v_cmp_gt_i16_e32 vcc, 2, v7
	s_and_saveexec_b64 s[0:1], vcc
	s_cbranch_execz .LBB866_117
; %bb.113:
	v_cmp_ne_u16_e32 vcc, 1, v7
	s_mov_b64 s[38:39], 0
	s_and_saveexec_b64 s[36:37], vcc
	s_xor_b64 s[36:37], exec, s[36:37]
	s_cbranch_execnz .LBB866_172
; %bb.114:
	s_andn2_saveexec_b64 s[2:3], s[36:37]
	s_cbranch_execnz .LBB866_188
.LBB866_115:
	s_or_b64 exec, exec, s[2:3]
	s_and_b64 exec, exec, s[38:39]
	s_cbranch_execz .LBB866_117
.LBB866_116:
	v_sub_u32_e32 v2, v26, v8
	v_lshlrev_b32_e32 v2, 1, v2
	ds_write_b16 v2, v1
.LBB866_117:
	s_or_b64 exec, exec, s[0:1]
	v_cmp_lt_u32_e32 vcc, v0, v6
	s_waitcnt lgkmcnt(0)
	s_barrier
	s_and_saveexec_b64 s[0:1], vcc
	s_cbranch_execz .LBB866_132
; %bb.118:
	v_xad_u32 v1, v0, -1, v6
	s_movk_i32 s2, 0x1700
	s_movk_i32 s4, 0x16ff
	v_cmp_gt_u32_e64 s[2:3], s2, v1
	v_cmp_lt_u32_e32 vcc, s4, v1
	v_mov_b32_e32 v2, v0
	s_and_saveexec_b64 s[4:5], vcc
	s_cbranch_execz .LBB866_129
; %bb.119:
	v_sub_u32_e32 v2, v0, v6
	v_or_b32_e32 v2, 0xff, v2
	v_cmp_ge_u32_e32 vcc, v2, v0
	s_mov_b64 s[8:9], -1
	v_mov_b32_e32 v2, v0
	s_and_saveexec_b64 s[6:7], vcc
	s_cbranch_execz .LBB866_128
; %bb.120:
	v_lshrrev_b32_e32 v7, 8, v1
	v_or_b32_e32 v3, 0x300, v0
	v_or_b32_e32 v2, 0x200, v0
	v_add_u32_e32 v4, -3, v7
	v_or_b32_e32 v1, 0x100, v0
	v_lshrrev_b32_e32 v5, 2, v4
	v_mov_b64_e32 v[12:13], v[2:3]
	v_add_u32_e32 v20, 1, v5
	v_cmp_lt_u32_e32 vcc, 11, v4
	v_mov_b32_e32 v23, 0
	v_lshlrev_b32_e32 v14, 1, v0
	v_mov_b64_e32 v[10:11], v[0:1]
	s_and_saveexec_b64 s[8:9], vcc
	s_cbranch_execz .LBB866_124
; %bb.121:
	v_mov_b64_e32 v[12:13], v[2:3]
	v_and_b32_e32 v21, 0x7ffffffc, v20
	s_mov_b32 s12, 0
	s_mov_b64 s[10:11], 0
	v_mov_b32_e32 v5, 0
	v_mov_b32_e32 v22, v14
	v_mov_b64_e32 v[10:11], v[0:1]
.LBB866_122:                            ; =>This Inner Loop Header: Depth=1
	v_mov_b32_e32 v4, v10
	ds_read_u16 v1, v22
	ds_read_u16 v25, v22 offset:512
	ds_read_u16 v94, v22 offset:1024
	;; [unrolled: 1-line block ×7, first 2 shown]
	v_lshl_add_u64 v[86:87], v[4:5], 1, v[18:19]
	v_mov_b32_e32 v4, v11
	v_lshl_add_u64 v[88:89], v[4:5], 1, v[18:19]
	v_mov_b32_e32 v4, v12
	ds_read_u16 v100, v22 offset:4096
	ds_read_u16 v101, v22 offset:4608
	;; [unrolled: 1-line block ×8, first 2 shown]
	v_lshl_add_u64 v[90:91], v[4:5], 1, v[18:19]
	v_mov_b32_e32 v4, v13
	v_add_u32_e32 v2, 0x400, v13
	v_mov_b32_e32 v3, v5
	v_lshl_add_u64 v[92:93], v[4:5], 1, v[18:19]
	v_add_u32_e32 v4, 0x400, v10
	v_add_u32_e32 v70, 0x400, v12
	;; [unrolled: 1-line block ×3, first 2 shown]
	v_mov_b32_e32 v73, v5
	v_mov_b32_e32 v71, v5
	v_add_u32_e32 v21, -4, v21
	v_lshl_add_u64 v[2:3], v[2:3], 1, v[18:19]
	s_waitcnt lgkmcnt(14)
	global_store_short v[86:87], v1, off
	global_store_short v[88:89], v25, off
	s_waitcnt lgkmcnt(13)
	global_store_short v[90:91], v94, off
	s_waitcnt lgkmcnt(12)
	global_store_short v[92:93], v95, off
	v_lshl_add_u64 v[86:87], v[4:5], 1, v[18:19]
	v_add_u32_e32 v4, 0x800, v10
	v_add_u32_e32 v74, 0x800, v13
	;; [unrolled: 1-line block ×4, first 2 shown]
	v_mov_b32_e32 v79, v5
	v_mov_b32_e32 v77, v5
	;; [unrolled: 1-line block ×3, first 2 shown]
	s_add_i32 s12, s12, 16
	v_lshl_add_u64 v[72:73], v[72:73], 1, v[18:19]
	v_lshl_add_u64 v[70:71], v[70:71], 1, v[18:19]
	v_cmp_eq_u32_e32 vcc, 0, v21
	s_waitcnt lgkmcnt(11)
	global_store_short v[86:87], v96, off
	s_waitcnt lgkmcnt(10)
	global_store_short v[72:73], v97, off
	;; [unrolled: 2-line block ×4, first 2 shown]
	v_lshl_add_u64 v[2:3], v[4:5], 1, v[18:19]
	v_add_u32_e32 v4, 0xc00, v10
	v_add_u32_e32 v80, 0xc00, v13
	;; [unrolled: 1-line block ×4, first 2 shown]
	v_mov_b32_e32 v85, v5
	v_mov_b32_e32 v83, v5
	;; [unrolled: 1-line block ×3, first 2 shown]
	v_add_u32_e32 v22, 0x2000, v22
	v_lshl_add_u64 v[78:79], v[78:79], 1, v[18:19]
	v_lshl_add_u64 v[76:77], v[76:77], 1, v[18:19]
	;; [unrolled: 1-line block ×3, first 2 shown]
	v_add_u32_e32 v11, 0x1000, v11
	v_mov_b32_e32 v23, s12
	v_add_u32_e32 v12, 0x1000, v12
	s_or_b64 s[10:11], vcc, s[10:11]
	v_add_u32_e32 v13, 0x1000, v13
	v_add_u32_e32 v10, 0x1000, v10
	s_waitcnt lgkmcnt(7)
	global_store_short v[2:3], v100, off
	s_waitcnt lgkmcnt(6)
	global_store_short v[78:79], v101, off
	;; [unrolled: 2-line block ×4, first 2 shown]
	v_lshl_add_u64 v[2:3], v[4:5], 1, v[18:19]
	v_lshl_add_u64 v[84:85], v[84:85], 1, v[18:19]
	;; [unrolled: 1-line block ×4, first 2 shown]
	s_waitcnt lgkmcnt(3)
	global_store_short v[2:3], v104, off
	s_waitcnt lgkmcnt(2)
	global_store_short v[84:85], v105, off
	;; [unrolled: 2-line block ×4, first 2 shown]
	s_andn2_b64 exec, exec, s[10:11]
	s_cbranch_execnz .LBB866_122
; %bb.123:
	s_or_b64 exec, exec, s[10:11]
.LBB866_124:
	s_or_b64 exec, exec, s[8:9]
	v_and_b32_e32 v1, 3, v20
	v_cmp_ne_u32_e32 vcc, 0, v1
	s_and_saveexec_b64 s[8:9], vcc
	s_cbranch_execz .LBB866_127
; %bb.125:
	v_lshl_or_b32 v4, v23, 9, v14
	s_mov_b64 s[10:11], 0
	v_mov_b32_e32 v3, 0
.LBB866_126:                            ; =>This Inner Loop Header: Depth=1
	ds_read_u16 v5, v4
	ds_read_u16 v14, v4 offset:512
	ds_read_u16 v25, v4 offset:1024
	;; [unrolled: 1-line block ×3, first 2 shown]
	v_mov_b32_e32 v2, v10
	v_add_u32_e32 v1, -1, v1
	v_lshl_add_u64 v[20:21], v[2:3], 1, v[18:19]
	v_mov_b32_e32 v2, v11
	v_cmp_eq_u32_e32 vcc, 0, v1
	v_lshl_add_u64 v[22:23], v[2:3], 1, v[18:19]
	v_mov_b32_e32 v2, v12
	v_add_u32_e32 v10, 0x400, v10
	v_add_u32_e32 v4, 0x800, v4
	;; [unrolled: 1-line block ×4, first 2 shown]
	s_or_b64 s[10:11], vcc, s[10:11]
	v_lshl_add_u64 v[70:71], v[2:3], 1, v[18:19]
	v_mov_b32_e32 v2, v13
	v_add_u32_e32 v13, 0x400, v13
	v_lshl_add_u64 v[72:73], v[2:3], 1, v[18:19]
	s_waitcnt lgkmcnt(3)
	global_store_short v[20:21], v5, off
	s_waitcnt lgkmcnt(2)
	global_store_short v[22:23], v14, off
	;; [unrolled: 2-line block ×4, first 2 shown]
	s_andn2_b64 exec, exec, s[10:11]
	s_cbranch_execnz .LBB866_126
.LBB866_127:
	s_or_b64 exec, exec, s[8:9]
	v_add_u32_e32 v1, 1, v7
	v_and_b32_e32 v3, 0x1fffffc, v1
	v_cmp_ne_u32_e32 vcc, v1, v3
	v_lshl_or_b32 v2, v3, 8, v0
	s_orn2_b64 s[8:9], vcc, exec
.LBB866_128:
	s_or_b64 exec, exec, s[6:7]
	s_andn2_b64 s[2:3], s[2:3], exec
	s_and_b64 s[6:7], s[8:9], exec
	s_or_b64 s[2:3], s[2:3], s[6:7]
.LBB866_129:
	s_or_b64 exec, exec, s[4:5]
	s_and_b64 exec, exec, s[2:3]
	s_cbranch_execz .LBB866_132
; %bb.130:
	v_lshlrev_b32_e32 v1, 1, v2
	s_mov_b64 s[2:3], 0
	v_mov_b32_e32 v3, 0
.LBB866_131:                            ; =>This Inner Loop Header: Depth=1
	ds_read_u16 v7, v1
	v_lshl_add_u64 v[4:5], v[2:3], 1, v[18:19]
	v_add_u32_e32 v2, 0x100, v2
	v_cmp_ge_u32_e32 vcc, v2, v6
	v_add_u32_e32 v1, 0x200, v1
	s_or_b64 s[2:3], vcc, s[2:3]
	s_waitcnt lgkmcnt(0)
	global_store_short v[4:5], v7, off
	s_andn2_b64 exec, exec, s[2:3]
	s_cbranch_execnz .LBB866_131
.LBB866_132:
	s_or_b64 exec, exec, s[0:1]
.LBB866_133:
	s_cmpk_lg_i32 s33, 0xf00
	s_cselect_b64 s[0:1], -1, 0
	v_cndmask_b32_e64 v7, 0, 1, s[46:47]
	s_and_b64 s[0:1], s[0:1], s[44:45]
	v_sub_u32_e32 v1, v6, v7
	v_cndmask_b32_e64 v2, 0, 1, s[0:1]
	s_and_b64 s[0:1], s[34:35], s[46:47]
	v_add_u32_e32 v1, v1, v2
	v_cndmask_b32_e64 v2, v69, 0, s[0:1]
	s_mul_hi_u32 s0, s33, 0x88888889
	s_lshr_b32 s0, s0, 3
	v_mad_i32_i24 v3, v0, -15, s33
	v_cmp_eq_u32_e32 vcc, s0, v0
	v_cmp_ne_u32_e64 s[0:1], 0, v3
	s_and_b64 vcc, vcc, s[44:45]
	s_movk_i32 s30, 0x100
	v_cndmask_b32_e64 v4, 1, v2, s[0:1]
	v_cmp_ne_u32_e64 s[0:1], 1, v3
	s_mov_b64 s[34:35], -1
	s_nop 0
	v_cndmask_b32_e64 v5, 1, v67, s[0:1]
	v_cmp_ne_u32_e64 s[0:1], 2, v3
	s_barrier
	s_nop 0
	v_cndmask_b32_e64 v10, 1, v68, s[0:1]
	v_cmp_ne_u32_e64 s[0:1], 3, v3
	v_cndmask_b32_e32 v10, v68, v10, vcc
	v_cmp_ne_u32_e64 s[24:25], 0, v10
	v_cndmask_b32_e64 v11, 1, v66, s[0:1]
	v_cmp_ne_u32_e64 s[0:1], 4, v3
	v_cndmask_b32_e32 v11, v66, v11, vcc
	v_cmp_ne_u32_e64 s[22:23], 0, v11
	;; [unrolled: 4-line block ×7, first 2 shown]
	v_cndmask_b32_e64 v20, 1, v56, s[0:1]
	v_cmp_ne_u32_e64 s[0:1], 10, v3
	v_cndmask_b32_e32 v20, v56, v20, vcc
	v_cndmask_b32_e32 v56, v2, v4, vcc
	v_cndmask_b32_e64 v21, 1, v62, s[0:1]
	v_cmp_ne_u32_e64 s[0:1], 11, v3
	v_cndmask_b32_e32 v21, v62, v21, vcc
	v_cmp_ne_u32_e64 s[28:29], 0, v56
	v_cndmask_b32_e64 v22, 1, v61, s[0:1]
	v_cmp_ne_u32_e64 s[0:1], 12, v3
	v_cndmask_b32_e32 v22, v61, v22, vcc
	v_cmp_ne_u32_e64 s[10:11], 0, v20
	v_cndmask_b32_e64 v23, 1, v15, s[0:1]
	v_cmp_ne_u32_e64 s[0:1], 13, v3
	v_cndmask_b32_e32 v15, v15, v23, vcc
	v_cndmask_b32_e32 v23, v67, v5, vcc
	v_cndmask_b32_e64 v25, 1, v58, s[0:1]
	v_cmp_ne_u32_e64 s[0:1], 14, v3
	v_cndmask_b32_e32 v25, v58, v25, vcc
	v_cmp_ne_u32_e64 s[26:27], 0, v23
	v_cndmask_b32_e64 v3, 1, v59, s[0:1]
	v_cndmask_b32_e32 v59, v59, v3, vcc
	v_cmp_eq_u32_e32 vcc, 0, v56
	v_lshlrev_b64 v[2:3], 3, v[16:17]
	v_lshl_add_u64 v[2:3], s[50:51], 0, v[2:3]
	v_cndmask_b32_e64 v56, 1, 2, vcc
	v_cmp_eq_u32_e32 vcc, 0, v23
	v_lshlrev_b64 v[4:5], 3, v[8:9]
	v_lshl_add_u64 v[2:3], v[2:3], 0, v[4:5]
	v_cndmask_b32_e64 v23, 1, 2, vcc
	v_cmp_eq_u32_e32 vcc, 0, v10
	v_and_b32_e32 v23, v23, v56
	v_lshlrev_b32_e32 v4, 3, v7
	v_cndmask_b32_e64 v10, 1, 2, vcc
	v_cmp_eq_u32_e32 vcc, 0, v11
	v_and_b32_e32 v10, v23, v10
	v_mov_b32_e32 v5, 0
	v_cndmask_b32_e64 v11, 1, 2, vcc
	v_cmp_eq_u32_e32 vcc, 0, v12
	v_and_b32_e32 v10, v10, v11
	v_lshl_add_u64 v[4:5], v[4:5], 0, v[2:3]
	v_cndmask_b32_e64 v11, 1, 2, vcc
	v_cmp_eq_u32_e32 vcc, 0, v13
	v_and_b32_e32 v10, v10, v11
	v_lshl_add_u64 v[4:5], v[4:5], 0, -8
	v_cndmask_b32_e64 v11, 1, 2, vcc
	v_cmp_eq_u32_e32 vcc, 0, v14
	v_and_b32_e32 v10, v10, v11
	v_add_u32_e32 v7, v8, v7
	v_cndmask_b32_e64 v11, 1, 2, vcc
	v_cmp_eq_u32_e32 vcc, 0, v18
	v_and_b32_e32 v10, v10, v11
	v_cmp_ne_u32_e64 s[8:9], 0, v21
	v_cndmask_b32_e64 v11, 1, 2, vcc
	v_cmp_eq_u32_e32 vcc, 0, v19
	v_and_b32_e32 v10, v10, v11
	v_cmp_ne_u32_e64 s[6:7], 0, v22
	;; [unrolled: 4-line block ×5, first 2 shown]
	v_cndmask_b32_e64 v11, 1, 2, vcc
	v_cmp_eq_u32_e32 vcc, 0, v15
	v_and_b32_e32 v10, v10, v11
	s_nop 0
	v_cndmask_b32_e64 v11, 1, 2, vcc
	v_cmp_eq_u32_e32 vcc, 0, v25
	v_and_b32_e32 v10, v10, v11
	s_nop 0
	;; [unrolled: 4-line block ×3, first 2 shown]
	v_cndmask_b32_e64 v11, 1, 2, vcc
	v_and_b32_e32 v10, v10, v11
	v_cmp_gt_u32_e32 vcc, s30, v1
	v_cmp_gt_i16_e64 s[30:31], 2, v10
	s_cbranch_vccz .LBB866_140
; %bb.134:
	s_and_saveexec_b64 s[34:35], s[30:31]
	s_cbranch_execz .LBB866_139
; %bb.135:
	v_cmp_ne_u16_e32 vcc, 1, v10
	s_mov_b64 s[36:37], 0
	s_and_saveexec_b64 s[30:31], vcc
	s_xor_b64 s[30:31], exec, s[30:31]
	s_cbranch_execnz .LBB866_189
; %bb.136:
	s_andn2_saveexec_b64 s[30:31], s[30:31]
	s_cbranch_execnz .LBB866_205
.LBB866_137:
	s_or_b64 exec, exec, s[30:31]
	s_and_b64 exec, exec, s[36:37]
	s_cbranch_execz .LBB866_139
.LBB866_138:
	v_mov_b32_e32 v13, 0
	v_sub_u32_e32 v14, v26, v7
	v_mov_b32_e32 v15, v13
	v_mov_b32_e32 v12, v27
	v_lshl_add_u64 v[14:15], v[14:15], 3, v[4:5]
	global_store_dwordx2 v[14:15], v[12:13], off
.LBB866_139:
	s_or_b64 exec, exec, s[34:35]
	s_mov_b64 s[34:35], 0
.LBB866_140:
	s_and_b64 vcc, exec, s[34:35]
	s_cbranch_vccz .LBB866_150
; %bb.141:
	v_cmp_gt_i16_e32 vcc, 2, v10
	s_and_saveexec_b64 s[30:31], vcc
	s_cbranch_execz .LBB866_146
; %bb.142:
	v_cmp_ne_u16_e32 vcc, 1, v10
	s_mov_b64 s[36:37], 0
	s_and_saveexec_b64 s[34:35], vcc
	s_xor_b64 s[34:35], exec, s[34:35]
	s_cbranch_execnz .LBB866_206
; %bb.143:
	s_andn2_saveexec_b64 s[0:1], s[34:35]
	s_cbranch_execnz .LBB866_222
.LBB866_144:
	s_or_b64 exec, exec, s[0:1]
	s_and_b64 exec, exec, s[36:37]
	s_cbranch_execz .LBB866_146
.LBB866_145:
	v_sub_u32_e32 v7, v26, v7
	v_lshlrev_b32_e32 v7, 2, v7
	ds_write_b32 v7, v27
.LBB866_146:
	s_or_b64 exec, exec, s[30:31]
	v_cmp_lt_u32_e32 vcc, v0, v1
	s_waitcnt lgkmcnt(0)
	s_barrier
	s_and_saveexec_b64 s[0:1], vcc
	s_cbranch_execz .LBB866_149
; %bb.147:
	v_lshlrev_b32_e32 v7, 2, v0
	s_mov_b64 s[2:3], 0
	v_mov_b32_e32 v11, 0
	v_mov_b32_e32 v10, v0
.LBB866_148:                            ; =>This Inner Loop Header: Depth=1
	ds_read_b32 v12, v7
	v_lshl_add_u64 v[14:15], v[10:11], 3, v[4:5]
	v_add_u32_e32 v10, 0x100, v10
	v_cmp_ge_u32_e32 vcc, v10, v1
	v_mov_b32_e32 v13, v11
	v_add_u32_e32 v7, 0x400, v7
	s_or_b64 s[2:3], vcc, s[2:3]
	s_waitcnt lgkmcnt(0)
	global_store_dwordx2 v[14:15], v[12:13], off
	s_andn2_b64 exec, exec, s[2:3]
	s_cbranch_execnz .LBB866_148
.LBB866_149:
	s_or_b64 exec, exec, s[0:1]
.LBB866_150:
	s_movk_i32 s0, 0xff
	v_cmp_eq_u32_e32 vcc, s0, v0
	s_and_b64 s[0:1], vcc, s[44:45]
	s_and_saveexec_b64 s[2:3], s[0:1]
	s_cbranch_execz .LBB866_153
; %bb.151:
	v_mov_b32_e32 v7, 0
	v_lshl_add_u64 v[0:1], v[6:7], 0, v[8:9]
	v_lshl_add_u64 v[0:1], v[0:1], 0, v[16:17]
	s_cmpk_lg_i32 s33, 0xf00
	global_store_dwordx2 v7, v[0:1], s[56:57]
	s_cbranch_scc1 .LBB866_153
; %bb.152:
	v_lshlrev_b64 v[0:1], 3, v[6:7]
	v_mov_b32_e32 v25, v7
	v_lshl_add_u64 v[0:1], v[2:3], 0, v[0:1]
	global_store_dwordx2 v[0:1], v[24:25], off offset:-8
.LBB866_153:
	s_endpgm
.LBB866_154:
	s_or_b64 exec, exec, s[8:9]
	v_mov_b32_e32 v69, s12
	s_and_saveexec_b64 s[0:1], s[6:7]
	s_cbranch_execnz .LBB866_58
	s_branch .LBB866_59
.LBB866_155:
	s_and_saveexec_b64 s[38:39], s[30:31]
	s_cbranch_execnz .LBB866_223
; %bb.156:
	s_or_b64 exec, exec, s[38:39]
	s_and_saveexec_b64 s[38:39], s[28:29]
	s_cbranch_execnz .LBB866_224
.LBB866_157:
	s_or_b64 exec, exec, s[38:39]
	s_and_saveexec_b64 s[38:39], s[26:27]
	s_cbranch_execnz .LBB866_225
.LBB866_158:
	s_or_b64 exec, exec, s[38:39]
	s_and_saveexec_b64 s[38:39], s[24:25]
	s_cbranch_execnz .LBB866_226
.LBB866_159:
	s_or_b64 exec, exec, s[38:39]
	s_and_saveexec_b64 s[38:39], s[22:23]
	s_cbranch_execnz .LBB866_227
.LBB866_160:
	s_or_b64 exec, exec, s[38:39]
	s_and_saveexec_b64 s[38:39], s[20:21]
	s_cbranch_execnz .LBB866_228
.LBB866_161:
	s_or_b64 exec, exec, s[38:39]
	s_and_saveexec_b64 s[38:39], s[18:19]
	s_cbranch_execnz .LBB866_229
.LBB866_162:
	s_or_b64 exec, exec, s[38:39]
	s_and_saveexec_b64 s[38:39], s[16:17]
	s_cbranch_execnz .LBB866_230
.LBB866_163:
	s_or_b64 exec, exec, s[38:39]
	s_and_saveexec_b64 s[38:39], s[14:15]
	s_cbranch_execnz .LBB866_231
.LBB866_164:
	s_or_b64 exec, exec, s[38:39]
	s_and_saveexec_b64 s[38:39], s[12:13]
	s_cbranch_execnz .LBB866_232
.LBB866_165:
	s_or_b64 exec, exec, s[38:39]
	s_and_saveexec_b64 s[38:39], s[10:11]
	s_cbranch_execnz .LBB866_233
.LBB866_166:
	s_or_b64 exec, exec, s[38:39]
	s_and_saveexec_b64 s[38:39], s[8:9]
	s_cbranch_execnz .LBB866_234
.LBB866_167:
	s_or_b64 exec, exec, s[38:39]
	s_and_saveexec_b64 s[38:39], s[6:7]
	s_cbranch_execnz .LBB866_235
.LBB866_168:
	s_or_b64 exec, exec, s[38:39]
	s_and_saveexec_b64 s[38:39], s[4:5]
	s_cbranch_execz .LBB866_170
.LBB866_169:
	v_sub_u32_e32 v10, v28, v8
	v_mov_b32_e32 v11, 0
	v_lshl_add_u64 v[10:11], v[10:11], 1, v[18:19]
	global_store_short_d16_hi v[10:11], v14, off
.LBB866_170:
	s_or_b64 exec, exec, s[38:39]
	s_and_b64 s[38:39], s[2:3], exec
	s_andn2_saveexec_b64 s[0:1], s[0:1]
	s_cbranch_execz .LBB866_108
.LBB866_171:
	v_sub_u32_e32 v10, v54, v8
	v_mov_b32_e32 v11, 0
	v_lshl_add_u64 v[20:21], v[10:11], 1, v[18:19]
	v_sub_u32_e32 v10, v52, v8
	global_store_short v[20:21], v2, off
	v_lshl_add_u64 v[20:21], v[10:11], 1, v[18:19]
	v_sub_u32_e32 v10, v50, v8
	global_store_short_d16_hi v[20:21], v2, off
	v_lshl_add_u64 v[20:21], v[10:11], 1, v[18:19]
	v_sub_u32_e32 v10, v48, v8
	global_store_short v[20:21], v3, off
	v_lshl_add_u64 v[20:21], v[10:11], 1, v[18:19]
	v_sub_u32_e32 v10, v46, v8
	global_store_short_d16_hi v[20:21], v3, off
	;; [unrolled: 6-line block ×6, first 2 shown]
	v_lshl_add_u64 v[20:21], v[10:11], 1, v[18:19]
	v_sub_u32_e32 v10, v28, v8
	v_lshl_add_u64 v[10:11], v[10:11], 1, v[18:19]
	s_or_b64 s[38:39], s[38:39], exec
	global_store_short v[20:21], v14, off
	global_store_short_d16_hi v[10:11], v14, off
	s_or_b64 exec, exec, s[0:1]
	s_and_b64 exec, exec, s[38:39]
	s_cbranch_execnz .LBB866_109
	s_branch .LBB866_110
.LBB866_172:
	s_and_saveexec_b64 s[38:39], s[30:31]
	s_cbranch_execnz .LBB866_236
; %bb.173:
	s_or_b64 exec, exec, s[38:39]
	s_and_saveexec_b64 s[30:31], s[28:29]
	s_cbranch_execnz .LBB866_237
.LBB866_174:
	s_or_b64 exec, exec, s[30:31]
	s_and_saveexec_b64 s[28:29], s[26:27]
	s_cbranch_execnz .LBB866_238
.LBB866_175:
	s_or_b64 exec, exec, s[28:29]
	s_and_saveexec_b64 s[26:27], s[24:25]
	s_cbranch_execnz .LBB866_239
.LBB866_176:
	s_or_b64 exec, exec, s[26:27]
	s_and_saveexec_b64 s[24:25], s[22:23]
	s_cbranch_execnz .LBB866_240
.LBB866_177:
	s_or_b64 exec, exec, s[24:25]
	s_and_saveexec_b64 s[22:23], s[20:21]
	s_cbranch_execnz .LBB866_241
.LBB866_178:
	s_or_b64 exec, exec, s[22:23]
	s_and_saveexec_b64 s[20:21], s[18:19]
	s_cbranch_execnz .LBB866_242
.LBB866_179:
	s_or_b64 exec, exec, s[20:21]
	s_and_saveexec_b64 s[18:19], s[16:17]
	s_cbranch_execnz .LBB866_243
.LBB866_180:
	s_or_b64 exec, exec, s[18:19]
	s_and_saveexec_b64 s[16:17], s[14:15]
	s_cbranch_execnz .LBB866_244
.LBB866_181:
	s_or_b64 exec, exec, s[16:17]
	s_and_saveexec_b64 s[14:15], s[12:13]
	s_cbranch_execnz .LBB866_245
.LBB866_182:
	s_or_b64 exec, exec, s[14:15]
	s_and_saveexec_b64 s[12:13], s[10:11]
	s_cbranch_execnz .LBB866_246
.LBB866_183:
	s_or_b64 exec, exec, s[12:13]
	s_and_saveexec_b64 s[10:11], s[8:9]
	s_cbranch_execnz .LBB866_247
.LBB866_184:
	s_or_b64 exec, exec, s[10:11]
	s_and_saveexec_b64 s[8:9], s[6:7]
	s_cbranch_execnz .LBB866_248
.LBB866_185:
	s_or_b64 exec, exec, s[8:9]
	s_and_saveexec_b64 s[6:7], s[4:5]
	s_cbranch_execz .LBB866_187
.LBB866_186:
	v_sub_u32_e32 v2, v28, v8
	v_lshlrev_b32_e32 v2, 1, v2
	ds_write_b16_d16_hi v2, v14
.LBB866_187:
	s_or_b64 exec, exec, s[6:7]
	s_and_b64 s[38:39], s[2:3], exec
                                        ; implicit-def: $vgpr2
                                        ; implicit-def: $vgpr12
	s_andn2_saveexec_b64 s[2:3], s[36:37]
	s_cbranch_execz .LBB866_115
.LBB866_188:
	v_sub_u32_e32 v7, v54, v8
	v_lshlrev_b32_e32 v7, 1, v7
	ds_write_b16 v7, v2
	v_sub_u32_e32 v7, v52, v8
	v_lshlrev_b32_e32 v7, 1, v7
	ds_write_b16_d16_hi v7, v2
	v_sub_u32_e32 v2, v50, v8
	v_lshlrev_b32_e32 v2, 1, v2
	ds_write_b16 v2, v3
	v_sub_u32_e32 v2, v48, v8
	v_lshlrev_b32_e32 v2, 1, v2
	ds_write_b16_d16_hi v2, v3
	;; [unrolled: 6-line block ×6, first 2 shown]
	v_sub_u32_e32 v2, v30, v8
	v_lshlrev_b32_e32 v2, 1, v2
	ds_write_b16 v2, v14
	v_sub_u32_e32 v2, v28, v8
	v_lshlrev_b32_e32 v2, 1, v2
	s_or_b64 s[38:39], s[38:39], exec
	ds_write_b16_d16_hi v2, v14
	s_or_b64 exec, exec, s[2:3]
	s_and_b64 exec, exec, s[38:39]
	s_cbranch_execnz .LBB866_116
	s_branch .LBB866_117
.LBB866_189:
	s_and_saveexec_b64 s[36:37], s[28:29]
	s_cbranch_execnz .LBB866_249
; %bb.190:
	s_or_b64 exec, exec, s[36:37]
	s_and_saveexec_b64 s[36:37], s[26:27]
	s_cbranch_execnz .LBB866_250
.LBB866_191:
	s_or_b64 exec, exec, s[36:37]
	s_and_saveexec_b64 s[36:37], s[24:25]
	s_cbranch_execnz .LBB866_251
.LBB866_192:
	s_or_b64 exec, exec, s[36:37]
	s_and_saveexec_b64 s[36:37], s[22:23]
	s_cbranch_execnz .LBB866_252
.LBB866_193:
	s_or_b64 exec, exec, s[36:37]
	s_and_saveexec_b64 s[36:37], s[20:21]
	s_cbranch_execnz .LBB866_253
.LBB866_194:
	s_or_b64 exec, exec, s[36:37]
	s_and_saveexec_b64 s[36:37], s[18:19]
	s_cbranch_execnz .LBB866_254
.LBB866_195:
	s_or_b64 exec, exec, s[36:37]
	s_and_saveexec_b64 s[36:37], s[16:17]
	s_cbranch_execnz .LBB866_255
.LBB866_196:
	s_or_b64 exec, exec, s[36:37]
	s_and_saveexec_b64 s[36:37], s[14:15]
	s_cbranch_execnz .LBB866_256
.LBB866_197:
	s_or_b64 exec, exec, s[36:37]
	s_and_saveexec_b64 s[36:37], s[12:13]
	s_cbranch_execnz .LBB866_257
.LBB866_198:
	s_or_b64 exec, exec, s[36:37]
	s_and_saveexec_b64 s[36:37], s[10:11]
	s_cbranch_execnz .LBB866_258
.LBB866_199:
	s_or_b64 exec, exec, s[36:37]
	s_and_saveexec_b64 s[36:37], s[8:9]
	s_cbranch_execnz .LBB866_259
.LBB866_200:
	s_or_b64 exec, exec, s[36:37]
	s_and_saveexec_b64 s[36:37], s[6:7]
	s_cbranch_execnz .LBB866_260
.LBB866_201:
	s_or_b64 exec, exec, s[36:37]
	s_and_saveexec_b64 s[36:37], s[4:5]
	s_cbranch_execnz .LBB866_261
.LBB866_202:
	s_or_b64 exec, exec, s[36:37]
	s_and_saveexec_b64 s[36:37], s[2:3]
	s_cbranch_execz .LBB866_204
.LBB866_203:
	v_sub_u32_e32 v12, v28, v7
	v_mov_b32_e32 v13, 0
	v_lshl_add_u64 v[14:15], v[12:13], 3, v[4:5]
	v_mov_b32_e32 v12, v29
	global_store_dwordx2 v[14:15], v[12:13], off
.LBB866_204:
	s_or_b64 exec, exec, s[36:37]
	s_and_b64 s[36:37], s[0:1], exec
	s_andn2_saveexec_b64 s[30:31], s[30:31]
	s_cbranch_execz .LBB866_137
.LBB866_205:
	v_mov_b32_e32 v13, 0
	v_sub_u32_e32 v14, v54, v7
	v_mov_b32_e32 v15, v13
	v_mov_b32_e32 v12, v55
	v_lshl_add_u64 v[14:15], v[14:15], 3, v[4:5]
	global_store_dwordx2 v[14:15], v[12:13], off
	v_sub_u32_e32 v14, v52, v7
	v_mov_b32_e32 v15, v13
	v_mov_b32_e32 v12, v53
	v_lshl_add_u64 v[14:15], v[14:15], 3, v[4:5]
	global_store_dwordx2 v[14:15], v[12:13], off
	;; [unrolled: 5-line block ×13, first 2 shown]
	v_sub_u32_e32 v14, v28, v7
	v_mov_b32_e32 v15, v13
	v_mov_b32_e32 v12, v29
	v_lshl_add_u64 v[14:15], v[14:15], 3, v[4:5]
	s_or_b64 s[36:37], s[36:37], exec
	global_store_dwordx2 v[14:15], v[12:13], off
	s_or_b64 exec, exec, s[30:31]
	s_and_b64 exec, exec, s[36:37]
	s_cbranch_execnz .LBB866_138
	s_branch .LBB866_139
.LBB866_206:
	s_and_saveexec_b64 s[36:37], s[28:29]
	s_cbranch_execnz .LBB866_262
; %bb.207:
	s_or_b64 exec, exec, s[36:37]
	s_and_saveexec_b64 s[28:29], s[26:27]
	s_cbranch_execnz .LBB866_263
.LBB866_208:
	s_or_b64 exec, exec, s[28:29]
	s_and_saveexec_b64 s[26:27], s[24:25]
	s_cbranch_execnz .LBB866_264
.LBB866_209:
	s_or_b64 exec, exec, s[26:27]
	s_and_saveexec_b64 s[24:25], s[22:23]
	s_cbranch_execnz .LBB866_265
.LBB866_210:
	s_or_b64 exec, exec, s[24:25]
	s_and_saveexec_b64 s[22:23], s[20:21]
	s_cbranch_execnz .LBB866_266
.LBB866_211:
	s_or_b64 exec, exec, s[22:23]
	s_and_saveexec_b64 s[20:21], s[18:19]
	s_cbranch_execnz .LBB866_267
.LBB866_212:
	s_or_b64 exec, exec, s[20:21]
	s_and_saveexec_b64 s[18:19], s[16:17]
	s_cbranch_execnz .LBB866_268
.LBB866_213:
	s_or_b64 exec, exec, s[18:19]
	s_and_saveexec_b64 s[16:17], s[14:15]
	s_cbranch_execnz .LBB866_269
.LBB866_214:
	s_or_b64 exec, exec, s[16:17]
	s_and_saveexec_b64 s[14:15], s[12:13]
	s_cbranch_execnz .LBB866_270
.LBB866_215:
	s_or_b64 exec, exec, s[14:15]
	s_and_saveexec_b64 s[12:13], s[10:11]
	s_cbranch_execnz .LBB866_271
.LBB866_216:
	s_or_b64 exec, exec, s[12:13]
	s_and_saveexec_b64 s[10:11], s[8:9]
	s_cbranch_execnz .LBB866_272
.LBB866_217:
	s_or_b64 exec, exec, s[10:11]
	s_and_saveexec_b64 s[8:9], s[6:7]
	s_cbranch_execnz .LBB866_273
.LBB866_218:
	s_or_b64 exec, exec, s[8:9]
	s_and_saveexec_b64 s[6:7], s[4:5]
	s_cbranch_execnz .LBB866_274
.LBB866_219:
	s_or_b64 exec, exec, s[6:7]
	s_and_saveexec_b64 s[4:5], s[2:3]
	s_cbranch_execz .LBB866_221
.LBB866_220:
	v_sub_u32_e32 v10, v28, v7
	v_lshlrev_b32_e32 v10, 2, v10
	ds_write_b32 v10, v29
.LBB866_221:
	s_or_b64 exec, exec, s[4:5]
	s_and_b64 s[36:37], s[0:1], exec
                                        ; implicit-def: $vgpr54_vgpr55
                                        ; implicit-def: $vgpr52_vgpr53
                                        ; implicit-def: $vgpr50_vgpr51
                                        ; implicit-def: $vgpr48_vgpr49
                                        ; implicit-def: $vgpr46_vgpr47
                                        ; implicit-def: $vgpr44_vgpr45
                                        ; implicit-def: $vgpr42_vgpr43
                                        ; implicit-def: $vgpr40_vgpr41
                                        ; implicit-def: $vgpr38_vgpr39
                                        ; implicit-def: $vgpr36_vgpr37
                                        ; implicit-def: $vgpr34_vgpr35
                                        ; implicit-def: $vgpr32_vgpr33
                                        ; implicit-def: $vgpr30_vgpr31
                                        ; implicit-def: $vgpr28_vgpr29
	s_andn2_saveexec_b64 s[0:1], s[34:35]
	s_cbranch_execz .LBB866_144
.LBB866_222:
	v_sub_u32_e32 v10, v54, v7
	v_lshlrev_b32_e32 v10, 2, v10
	ds_write_b32 v10, v55
	v_sub_u32_e32 v10, v52, v7
	v_lshlrev_b32_e32 v10, 2, v10
	ds_write_b32 v10, v53
	;; [unrolled: 3-line block ×13, first 2 shown]
	v_sub_u32_e32 v10, v28, v7
	v_lshlrev_b32_e32 v10, 2, v10
	s_or_b64 s[36:37], s[36:37], exec
	ds_write_b32 v10, v29
	s_or_b64 exec, exec, s[0:1]
	s_and_b64 exec, exec, s[36:37]
	s_cbranch_execnz .LBB866_145
	s_branch .LBB866_146
.LBB866_223:
	v_sub_u32_e32 v10, v54, v8
	v_mov_b32_e32 v11, 0
	v_lshl_add_u64 v[10:11], v[10:11], 1, v[18:19]
	global_store_short v[10:11], v2, off
	s_or_b64 exec, exec, s[38:39]
	s_and_saveexec_b64 s[38:39], s[28:29]
	s_cbranch_execz .LBB866_157
.LBB866_224:
	v_sub_u32_e32 v10, v52, v8
	v_mov_b32_e32 v11, 0
	v_lshl_add_u64 v[10:11], v[10:11], 1, v[18:19]
	global_store_short_d16_hi v[10:11], v2, off
	s_or_b64 exec, exec, s[38:39]
	s_and_saveexec_b64 s[38:39], s[26:27]
	s_cbranch_execz .LBB866_158
.LBB866_225:
	v_sub_u32_e32 v10, v50, v8
	v_mov_b32_e32 v11, 0
	v_lshl_add_u64 v[10:11], v[10:11], 1, v[18:19]
	global_store_short v[10:11], v3, off
	s_or_b64 exec, exec, s[38:39]
	s_and_saveexec_b64 s[38:39], s[24:25]
	s_cbranch_execz .LBB866_159
.LBB866_226:
	v_sub_u32_e32 v10, v48, v8
	v_mov_b32_e32 v11, 0
	v_lshl_add_u64 v[10:11], v[10:11], 1, v[18:19]
	global_store_short_d16_hi v[10:11], v3, off
	s_or_b64 exec, exec, s[38:39]
	s_and_saveexec_b64 s[38:39], s[22:23]
	s_cbranch_execz .LBB866_160
.LBB866_227:
	v_sub_u32_e32 v10, v46, v8
	v_mov_b32_e32 v11, 0
	v_lshl_add_u64 v[10:11], v[10:11], 1, v[18:19]
	global_store_short v[10:11], v4, off
	s_or_b64 exec, exec, s[38:39]
	s_and_saveexec_b64 s[38:39], s[20:21]
	s_cbranch_execz .LBB866_161
.LBB866_228:
	v_sub_u32_e32 v10, v44, v8
	v_mov_b32_e32 v11, 0
	v_lshl_add_u64 v[10:11], v[10:11], 1, v[18:19]
	global_store_short_d16_hi v[10:11], v4, off
	s_or_b64 exec, exec, s[38:39]
	s_and_saveexec_b64 s[38:39], s[18:19]
	s_cbranch_execz .LBB866_162
.LBB866_229:
	v_sub_u32_e32 v10, v42, v8
	v_mov_b32_e32 v11, 0
	v_lshl_add_u64 v[10:11], v[10:11], 1, v[18:19]
	global_store_short v[10:11], v5, off
	s_or_b64 exec, exec, s[38:39]
	s_and_saveexec_b64 s[38:39], s[16:17]
	s_cbranch_execz .LBB866_163
.LBB866_230:
	v_sub_u32_e32 v10, v40, v8
	v_mov_b32_e32 v11, 0
	v_lshl_add_u64 v[10:11], v[10:11], 1, v[18:19]
	global_store_short_d16_hi v[10:11], v5, off
	s_or_b64 exec, exec, s[38:39]
	s_and_saveexec_b64 s[38:39], s[14:15]
	s_cbranch_execz .LBB866_164
.LBB866_231:
	v_sub_u32_e32 v10, v38, v8
	v_mov_b32_e32 v11, 0
	v_lshl_add_u64 v[10:11], v[10:11], 1, v[18:19]
	global_store_short v[10:11], v12, off
	s_or_b64 exec, exec, s[38:39]
	s_and_saveexec_b64 s[38:39], s[12:13]
	s_cbranch_execz .LBB866_165
.LBB866_232:
	v_sub_u32_e32 v10, v36, v8
	v_mov_b32_e32 v11, 0
	v_lshl_add_u64 v[10:11], v[10:11], 1, v[18:19]
	global_store_short_d16_hi v[10:11], v12, off
	s_or_b64 exec, exec, s[38:39]
	s_and_saveexec_b64 s[38:39], s[10:11]
	s_cbranch_execz .LBB866_166
.LBB866_233:
	v_sub_u32_e32 v10, v34, v8
	v_mov_b32_e32 v11, 0
	v_lshl_add_u64 v[10:11], v[10:11], 1, v[18:19]
	global_store_short v[10:11], v13, off
	s_or_b64 exec, exec, s[38:39]
	s_and_saveexec_b64 s[38:39], s[8:9]
	s_cbranch_execz .LBB866_167
.LBB866_234:
	v_sub_u32_e32 v10, v32, v8
	v_mov_b32_e32 v11, 0
	v_lshl_add_u64 v[10:11], v[10:11], 1, v[18:19]
	global_store_short_d16_hi v[10:11], v13, off
	s_or_b64 exec, exec, s[38:39]
	s_and_saveexec_b64 s[38:39], s[6:7]
	s_cbranch_execz .LBB866_168
.LBB866_235:
	v_sub_u32_e32 v10, v30, v8
	v_mov_b32_e32 v11, 0
	v_lshl_add_u64 v[10:11], v[10:11], 1, v[18:19]
	global_store_short v[10:11], v14, off
	s_or_b64 exec, exec, s[38:39]
	s_and_saveexec_b64 s[38:39], s[4:5]
	s_cbranch_execnz .LBB866_169
	s_branch .LBB866_170
.LBB866_236:
	v_sub_u32_e32 v7, v54, v8
	v_lshlrev_b32_e32 v7, 1, v7
	ds_write_b16 v7, v2
	s_or_b64 exec, exec, s[38:39]
	s_and_saveexec_b64 s[30:31], s[28:29]
	s_cbranch_execz .LBB866_174
.LBB866_237:
	v_sub_u32_e32 v7, v52, v8
	v_lshlrev_b32_e32 v7, 1, v7
	ds_write_b16_d16_hi v7, v2
	s_or_b64 exec, exec, s[30:31]
	s_and_saveexec_b64 s[28:29], s[26:27]
	s_cbranch_execz .LBB866_175
.LBB866_238:
	v_sub_u32_e32 v2, v50, v8
	v_lshlrev_b32_e32 v2, 1, v2
	ds_write_b16 v2, v3
	s_or_b64 exec, exec, s[28:29]
	s_and_saveexec_b64 s[26:27], s[24:25]
	s_cbranch_execz .LBB866_176
.LBB866_239:
	v_sub_u32_e32 v2, v48, v8
	v_lshlrev_b32_e32 v2, 1, v2
	ds_write_b16_d16_hi v2, v3
	s_or_b64 exec, exec, s[26:27]
	s_and_saveexec_b64 s[24:25], s[22:23]
	s_cbranch_execz .LBB866_177
.LBB866_240:
	v_sub_u32_e32 v2, v46, v8
	v_lshlrev_b32_e32 v2, 1, v2
	ds_write_b16 v2, v4
	s_or_b64 exec, exec, s[24:25]
	s_and_saveexec_b64 s[22:23], s[20:21]
	s_cbranch_execz .LBB866_178
.LBB866_241:
	v_sub_u32_e32 v2, v44, v8
	v_lshlrev_b32_e32 v2, 1, v2
	ds_write_b16_d16_hi v2, v4
	s_or_b64 exec, exec, s[22:23]
	s_and_saveexec_b64 s[20:21], s[18:19]
	s_cbranch_execz .LBB866_179
.LBB866_242:
	v_sub_u32_e32 v2, v42, v8
	v_lshlrev_b32_e32 v2, 1, v2
	ds_write_b16 v2, v5
	s_or_b64 exec, exec, s[20:21]
	s_and_saveexec_b64 s[18:19], s[16:17]
	s_cbranch_execz .LBB866_180
.LBB866_243:
	v_sub_u32_e32 v2, v40, v8
	v_lshlrev_b32_e32 v2, 1, v2
	ds_write_b16_d16_hi v2, v5
	s_or_b64 exec, exec, s[18:19]
	s_and_saveexec_b64 s[16:17], s[14:15]
	s_cbranch_execz .LBB866_181
.LBB866_244:
	v_sub_u32_e32 v2, v38, v8
	v_lshlrev_b32_e32 v2, 1, v2
	ds_write_b16 v2, v12
	s_or_b64 exec, exec, s[16:17]
	s_and_saveexec_b64 s[14:15], s[12:13]
	s_cbranch_execz .LBB866_182
.LBB866_245:
	v_sub_u32_e32 v2, v36, v8
	v_lshlrev_b32_e32 v2, 1, v2
	ds_write_b16_d16_hi v2, v12
	s_or_b64 exec, exec, s[14:15]
	s_and_saveexec_b64 s[12:13], s[10:11]
	s_cbranch_execz .LBB866_183
.LBB866_246:
	v_sub_u32_e32 v2, v34, v8
	v_lshlrev_b32_e32 v2, 1, v2
	ds_write_b16 v2, v13
	s_or_b64 exec, exec, s[12:13]
	s_and_saveexec_b64 s[10:11], s[8:9]
	s_cbranch_execz .LBB866_184
.LBB866_247:
	v_sub_u32_e32 v2, v32, v8
	v_lshlrev_b32_e32 v2, 1, v2
	ds_write_b16_d16_hi v2, v13
	s_or_b64 exec, exec, s[10:11]
	s_and_saveexec_b64 s[8:9], s[6:7]
	s_cbranch_execz .LBB866_185
.LBB866_248:
	v_sub_u32_e32 v2, v30, v8
	v_lshlrev_b32_e32 v2, 1, v2
	ds_write_b16 v2, v14
	s_or_b64 exec, exec, s[8:9]
	s_and_saveexec_b64 s[6:7], s[4:5]
	s_cbranch_execnz .LBB866_186
	s_branch .LBB866_187
.LBB866_249:
	v_sub_u32_e32 v12, v54, v7
	v_mov_b32_e32 v13, 0
	v_lshl_add_u64 v[14:15], v[12:13], 3, v[4:5]
	v_mov_b32_e32 v12, v55
	global_store_dwordx2 v[14:15], v[12:13], off
	s_or_b64 exec, exec, s[36:37]
	s_and_saveexec_b64 s[36:37], s[26:27]
	s_cbranch_execz .LBB866_191
.LBB866_250:
	v_sub_u32_e32 v12, v52, v7
	v_mov_b32_e32 v13, 0
	v_lshl_add_u64 v[14:15], v[12:13], 3, v[4:5]
	v_mov_b32_e32 v12, v53
	global_store_dwordx2 v[14:15], v[12:13], off
	s_or_b64 exec, exec, s[36:37]
	s_and_saveexec_b64 s[36:37], s[24:25]
	s_cbranch_execz .LBB866_192
.LBB866_251:
	v_sub_u32_e32 v12, v50, v7
	v_mov_b32_e32 v13, 0
	v_lshl_add_u64 v[14:15], v[12:13], 3, v[4:5]
	v_mov_b32_e32 v12, v51
	global_store_dwordx2 v[14:15], v[12:13], off
	s_or_b64 exec, exec, s[36:37]
	s_and_saveexec_b64 s[36:37], s[22:23]
	s_cbranch_execz .LBB866_193
.LBB866_252:
	v_sub_u32_e32 v12, v48, v7
	v_mov_b32_e32 v13, 0
	v_lshl_add_u64 v[14:15], v[12:13], 3, v[4:5]
	v_mov_b32_e32 v12, v49
	global_store_dwordx2 v[14:15], v[12:13], off
	s_or_b64 exec, exec, s[36:37]
	s_and_saveexec_b64 s[36:37], s[20:21]
	s_cbranch_execz .LBB866_194
.LBB866_253:
	v_sub_u32_e32 v12, v46, v7
	v_mov_b32_e32 v13, 0
	v_lshl_add_u64 v[14:15], v[12:13], 3, v[4:5]
	v_mov_b32_e32 v12, v47
	global_store_dwordx2 v[14:15], v[12:13], off
	s_or_b64 exec, exec, s[36:37]
	s_and_saveexec_b64 s[36:37], s[18:19]
	s_cbranch_execz .LBB866_195
.LBB866_254:
	v_sub_u32_e32 v12, v44, v7
	v_mov_b32_e32 v13, 0
	v_lshl_add_u64 v[14:15], v[12:13], 3, v[4:5]
	v_mov_b32_e32 v12, v45
	global_store_dwordx2 v[14:15], v[12:13], off
	s_or_b64 exec, exec, s[36:37]
	s_and_saveexec_b64 s[36:37], s[16:17]
	s_cbranch_execz .LBB866_196
.LBB866_255:
	v_sub_u32_e32 v12, v42, v7
	v_mov_b32_e32 v13, 0
	v_lshl_add_u64 v[14:15], v[12:13], 3, v[4:5]
	v_mov_b32_e32 v12, v43
	global_store_dwordx2 v[14:15], v[12:13], off
	s_or_b64 exec, exec, s[36:37]
	s_and_saveexec_b64 s[36:37], s[14:15]
	s_cbranch_execz .LBB866_197
.LBB866_256:
	v_sub_u32_e32 v12, v40, v7
	v_mov_b32_e32 v13, 0
	v_lshl_add_u64 v[14:15], v[12:13], 3, v[4:5]
	v_mov_b32_e32 v12, v41
	global_store_dwordx2 v[14:15], v[12:13], off
	s_or_b64 exec, exec, s[36:37]
	s_and_saveexec_b64 s[36:37], s[12:13]
	s_cbranch_execz .LBB866_198
.LBB866_257:
	v_sub_u32_e32 v12, v38, v7
	v_mov_b32_e32 v13, 0
	v_lshl_add_u64 v[14:15], v[12:13], 3, v[4:5]
	v_mov_b32_e32 v12, v39
	global_store_dwordx2 v[14:15], v[12:13], off
	s_or_b64 exec, exec, s[36:37]
	s_and_saveexec_b64 s[36:37], s[10:11]
	s_cbranch_execz .LBB866_199
.LBB866_258:
	v_sub_u32_e32 v12, v36, v7
	v_mov_b32_e32 v13, 0
	v_lshl_add_u64 v[14:15], v[12:13], 3, v[4:5]
	v_mov_b32_e32 v12, v37
	global_store_dwordx2 v[14:15], v[12:13], off
	s_or_b64 exec, exec, s[36:37]
	s_and_saveexec_b64 s[36:37], s[8:9]
	s_cbranch_execz .LBB866_200
.LBB866_259:
	v_sub_u32_e32 v12, v34, v7
	v_mov_b32_e32 v13, 0
	v_lshl_add_u64 v[14:15], v[12:13], 3, v[4:5]
	v_mov_b32_e32 v12, v35
	global_store_dwordx2 v[14:15], v[12:13], off
	s_or_b64 exec, exec, s[36:37]
	s_and_saveexec_b64 s[36:37], s[6:7]
	s_cbranch_execz .LBB866_201
.LBB866_260:
	v_sub_u32_e32 v12, v32, v7
	v_mov_b32_e32 v13, 0
	v_lshl_add_u64 v[14:15], v[12:13], 3, v[4:5]
	v_mov_b32_e32 v12, v33
	global_store_dwordx2 v[14:15], v[12:13], off
	s_or_b64 exec, exec, s[36:37]
	s_and_saveexec_b64 s[36:37], s[4:5]
	s_cbranch_execz .LBB866_202
.LBB866_261:
	v_sub_u32_e32 v12, v30, v7
	v_mov_b32_e32 v13, 0
	v_lshl_add_u64 v[14:15], v[12:13], 3, v[4:5]
	v_mov_b32_e32 v12, v31
	global_store_dwordx2 v[14:15], v[12:13], off
	s_or_b64 exec, exec, s[36:37]
	s_and_saveexec_b64 s[36:37], s[2:3]
	s_cbranch_execnz .LBB866_203
	s_branch .LBB866_204
.LBB866_262:
	v_sub_u32_e32 v10, v54, v7
	v_lshlrev_b32_e32 v10, 2, v10
	ds_write_b32 v10, v55
	s_or_b64 exec, exec, s[36:37]
	s_and_saveexec_b64 s[28:29], s[26:27]
	s_cbranch_execz .LBB866_208
.LBB866_263:
	v_sub_u32_e32 v10, v52, v7
	v_lshlrev_b32_e32 v10, 2, v10
	ds_write_b32 v10, v53
	s_or_b64 exec, exec, s[28:29]
	s_and_saveexec_b64 s[26:27], s[24:25]
	s_cbranch_execz .LBB866_209
.LBB866_264:
	v_sub_u32_e32 v10, v50, v7
	v_lshlrev_b32_e32 v10, 2, v10
	ds_write_b32 v10, v51
	s_or_b64 exec, exec, s[26:27]
	s_and_saveexec_b64 s[24:25], s[22:23]
	s_cbranch_execz .LBB866_210
.LBB866_265:
	v_sub_u32_e32 v10, v48, v7
	v_lshlrev_b32_e32 v10, 2, v10
	ds_write_b32 v10, v49
	s_or_b64 exec, exec, s[24:25]
	s_and_saveexec_b64 s[22:23], s[20:21]
	s_cbranch_execz .LBB866_211
.LBB866_266:
	v_sub_u32_e32 v10, v46, v7
	v_lshlrev_b32_e32 v10, 2, v10
	ds_write_b32 v10, v47
	s_or_b64 exec, exec, s[22:23]
	s_and_saveexec_b64 s[20:21], s[18:19]
	s_cbranch_execz .LBB866_212
.LBB866_267:
	v_sub_u32_e32 v10, v44, v7
	v_lshlrev_b32_e32 v10, 2, v10
	ds_write_b32 v10, v45
	s_or_b64 exec, exec, s[20:21]
	s_and_saveexec_b64 s[18:19], s[16:17]
	s_cbranch_execz .LBB866_213
.LBB866_268:
	v_sub_u32_e32 v10, v42, v7
	v_lshlrev_b32_e32 v10, 2, v10
	ds_write_b32 v10, v43
	s_or_b64 exec, exec, s[18:19]
	s_and_saveexec_b64 s[16:17], s[14:15]
	s_cbranch_execz .LBB866_214
.LBB866_269:
	v_sub_u32_e32 v10, v40, v7
	v_lshlrev_b32_e32 v10, 2, v10
	ds_write_b32 v10, v41
	s_or_b64 exec, exec, s[16:17]
	s_and_saveexec_b64 s[14:15], s[12:13]
	s_cbranch_execz .LBB866_215
.LBB866_270:
	v_sub_u32_e32 v10, v38, v7
	v_lshlrev_b32_e32 v10, 2, v10
	ds_write_b32 v10, v39
	s_or_b64 exec, exec, s[14:15]
	s_and_saveexec_b64 s[12:13], s[10:11]
	s_cbranch_execz .LBB866_216
.LBB866_271:
	v_sub_u32_e32 v10, v36, v7
	v_lshlrev_b32_e32 v10, 2, v10
	ds_write_b32 v10, v37
	s_or_b64 exec, exec, s[12:13]
	s_and_saveexec_b64 s[10:11], s[8:9]
	s_cbranch_execz .LBB866_217
.LBB866_272:
	v_sub_u32_e32 v10, v34, v7
	v_lshlrev_b32_e32 v10, 2, v10
	ds_write_b32 v10, v35
	s_or_b64 exec, exec, s[10:11]
	s_and_saveexec_b64 s[8:9], s[6:7]
	s_cbranch_execz .LBB866_218
.LBB866_273:
	v_sub_u32_e32 v10, v32, v7
	v_lshlrev_b32_e32 v10, 2, v10
	ds_write_b32 v10, v33
	s_or_b64 exec, exec, s[8:9]
	s_and_saveexec_b64 s[6:7], s[4:5]
	s_cbranch_execz .LBB866_219
.LBB866_274:
	v_sub_u32_e32 v10, v30, v7
	v_lshlrev_b32_e32 v10, 2, v10
	ds_write_b32 v10, v31
	s_or_b64 exec, exec, s[6:7]
	s_and_saveexec_b64 s[4:5], s[2:3]
	s_cbranch_execnz .LBB866_220
	s_branch .LBB866_221
	.section	.rodata,"a",@progbits
	.p2align	6, 0x0
	.amdhsa_kernel _ZN7rocprim17ROCPRIM_400000_NS6detail17trampoline_kernelINS0_14default_configENS1_33run_length_encode_config_selectorIN3c108BFloat16EjNS0_4plusIjEEEEZZNS1_33reduce_by_key_impl_wrapped_configILNS1_25lookback_scan_determinismE0ES3_S9_PKS6_NS0_17constant_iteratorIjlEEPS6_PlSH_S8_NS0_8equal_toIS6_EEEE10hipError_tPvRmT2_T3_mT4_T5_T6_T7_T8_P12ihipStream_tbENKUlT_T0_E_clISt17integral_constantIbLb1EES11_EEDaSW_SX_EUlSW_E_NS1_11comp_targetILNS1_3genE5ELNS1_11target_archE942ELNS1_3gpuE9ELNS1_3repE0EEENS1_30default_config_static_selectorELNS0_4arch9wavefront6targetE1EEEvT1_
		.amdhsa_group_segment_fixed_size 15360
		.amdhsa_private_segment_fixed_size 0
		.amdhsa_kernarg_size 128
		.amdhsa_user_sgpr_count 2
		.amdhsa_user_sgpr_dispatch_ptr 0
		.amdhsa_user_sgpr_queue_ptr 0
		.amdhsa_user_sgpr_kernarg_segment_ptr 1
		.amdhsa_user_sgpr_dispatch_id 0
		.amdhsa_user_sgpr_kernarg_preload_length 0
		.amdhsa_user_sgpr_kernarg_preload_offset 0
		.amdhsa_user_sgpr_private_segment_size 0
		.amdhsa_uses_dynamic_stack 0
		.amdhsa_enable_private_segment 0
		.amdhsa_system_sgpr_workgroup_id_x 1
		.amdhsa_system_sgpr_workgroup_id_y 0
		.amdhsa_system_sgpr_workgroup_id_z 0
		.amdhsa_system_sgpr_workgroup_info 0
		.amdhsa_system_vgpr_workitem_id 0
		.amdhsa_next_free_vgpr 108
		.amdhsa_next_free_sgpr 66
		.amdhsa_accum_offset 108
		.amdhsa_reserve_vcc 1
		.amdhsa_float_round_mode_32 0
		.amdhsa_float_round_mode_16_64 0
		.amdhsa_float_denorm_mode_32 3
		.amdhsa_float_denorm_mode_16_64 3
		.amdhsa_dx10_clamp 1
		.amdhsa_ieee_mode 1
		.amdhsa_fp16_overflow 0
		.amdhsa_tg_split 0
		.amdhsa_exception_fp_ieee_invalid_op 0
		.amdhsa_exception_fp_denorm_src 0
		.amdhsa_exception_fp_ieee_div_zero 0
		.amdhsa_exception_fp_ieee_overflow 0
		.amdhsa_exception_fp_ieee_underflow 0
		.amdhsa_exception_fp_ieee_inexact 0
		.amdhsa_exception_int_div_zero 0
	.end_amdhsa_kernel
	.section	.text._ZN7rocprim17ROCPRIM_400000_NS6detail17trampoline_kernelINS0_14default_configENS1_33run_length_encode_config_selectorIN3c108BFloat16EjNS0_4plusIjEEEEZZNS1_33reduce_by_key_impl_wrapped_configILNS1_25lookback_scan_determinismE0ES3_S9_PKS6_NS0_17constant_iteratorIjlEEPS6_PlSH_S8_NS0_8equal_toIS6_EEEE10hipError_tPvRmT2_T3_mT4_T5_T6_T7_T8_P12ihipStream_tbENKUlT_T0_E_clISt17integral_constantIbLb1EES11_EEDaSW_SX_EUlSW_E_NS1_11comp_targetILNS1_3genE5ELNS1_11target_archE942ELNS1_3gpuE9ELNS1_3repE0EEENS1_30default_config_static_selectorELNS0_4arch9wavefront6targetE1EEEvT1_,"axG",@progbits,_ZN7rocprim17ROCPRIM_400000_NS6detail17trampoline_kernelINS0_14default_configENS1_33run_length_encode_config_selectorIN3c108BFloat16EjNS0_4plusIjEEEEZZNS1_33reduce_by_key_impl_wrapped_configILNS1_25lookback_scan_determinismE0ES3_S9_PKS6_NS0_17constant_iteratorIjlEEPS6_PlSH_S8_NS0_8equal_toIS6_EEEE10hipError_tPvRmT2_T3_mT4_T5_T6_T7_T8_P12ihipStream_tbENKUlT_T0_E_clISt17integral_constantIbLb1EES11_EEDaSW_SX_EUlSW_E_NS1_11comp_targetILNS1_3genE5ELNS1_11target_archE942ELNS1_3gpuE9ELNS1_3repE0EEENS1_30default_config_static_selectorELNS0_4arch9wavefront6targetE1EEEvT1_,comdat
.Lfunc_end866:
	.size	_ZN7rocprim17ROCPRIM_400000_NS6detail17trampoline_kernelINS0_14default_configENS1_33run_length_encode_config_selectorIN3c108BFloat16EjNS0_4plusIjEEEEZZNS1_33reduce_by_key_impl_wrapped_configILNS1_25lookback_scan_determinismE0ES3_S9_PKS6_NS0_17constant_iteratorIjlEEPS6_PlSH_S8_NS0_8equal_toIS6_EEEE10hipError_tPvRmT2_T3_mT4_T5_T6_T7_T8_P12ihipStream_tbENKUlT_T0_E_clISt17integral_constantIbLb1EES11_EEDaSW_SX_EUlSW_E_NS1_11comp_targetILNS1_3genE5ELNS1_11target_archE942ELNS1_3gpuE9ELNS1_3repE0EEENS1_30default_config_static_selectorELNS0_4arch9wavefront6targetE1EEEvT1_, .Lfunc_end866-_ZN7rocprim17ROCPRIM_400000_NS6detail17trampoline_kernelINS0_14default_configENS1_33run_length_encode_config_selectorIN3c108BFloat16EjNS0_4plusIjEEEEZZNS1_33reduce_by_key_impl_wrapped_configILNS1_25lookback_scan_determinismE0ES3_S9_PKS6_NS0_17constant_iteratorIjlEEPS6_PlSH_S8_NS0_8equal_toIS6_EEEE10hipError_tPvRmT2_T3_mT4_T5_T6_T7_T8_P12ihipStream_tbENKUlT_T0_E_clISt17integral_constantIbLb1EES11_EEDaSW_SX_EUlSW_E_NS1_11comp_targetILNS1_3genE5ELNS1_11target_archE942ELNS1_3gpuE9ELNS1_3repE0EEENS1_30default_config_static_selectorELNS0_4arch9wavefront6targetE1EEEvT1_
                                        ; -- End function
	.section	.AMDGPU.csdata,"",@progbits
; Kernel info:
; codeLenInByte = 15744
; NumSgprs: 72
; NumVgprs: 108
; NumAgprs: 0
; TotalNumVgprs: 108
; ScratchSize: 0
; MemoryBound: 0
; FloatMode: 240
; IeeeMode: 1
; LDSByteSize: 15360 bytes/workgroup (compile time only)
; SGPRBlocks: 8
; VGPRBlocks: 13
; NumSGPRsForWavesPerEU: 72
; NumVGPRsForWavesPerEU: 108
; AccumOffset: 108
; Occupancy: 4
; WaveLimiterHint : 1
; COMPUTE_PGM_RSRC2:SCRATCH_EN: 0
; COMPUTE_PGM_RSRC2:USER_SGPR: 2
; COMPUTE_PGM_RSRC2:TRAP_HANDLER: 0
; COMPUTE_PGM_RSRC2:TGID_X_EN: 1
; COMPUTE_PGM_RSRC2:TGID_Y_EN: 0
; COMPUTE_PGM_RSRC2:TGID_Z_EN: 0
; COMPUTE_PGM_RSRC2:TIDIG_COMP_CNT: 0
; COMPUTE_PGM_RSRC3_GFX90A:ACCUM_OFFSET: 26
; COMPUTE_PGM_RSRC3_GFX90A:TG_SPLIT: 0
	.section	.text._ZN7rocprim17ROCPRIM_400000_NS6detail17trampoline_kernelINS0_14default_configENS1_33run_length_encode_config_selectorIN3c108BFloat16EjNS0_4plusIjEEEEZZNS1_33reduce_by_key_impl_wrapped_configILNS1_25lookback_scan_determinismE0ES3_S9_PKS6_NS0_17constant_iteratorIjlEEPS6_PlSH_S8_NS0_8equal_toIS6_EEEE10hipError_tPvRmT2_T3_mT4_T5_T6_T7_T8_P12ihipStream_tbENKUlT_T0_E_clISt17integral_constantIbLb1EES11_EEDaSW_SX_EUlSW_E_NS1_11comp_targetILNS1_3genE4ELNS1_11target_archE910ELNS1_3gpuE8ELNS1_3repE0EEENS1_30default_config_static_selectorELNS0_4arch9wavefront6targetE1EEEvT1_,"axG",@progbits,_ZN7rocprim17ROCPRIM_400000_NS6detail17trampoline_kernelINS0_14default_configENS1_33run_length_encode_config_selectorIN3c108BFloat16EjNS0_4plusIjEEEEZZNS1_33reduce_by_key_impl_wrapped_configILNS1_25lookback_scan_determinismE0ES3_S9_PKS6_NS0_17constant_iteratorIjlEEPS6_PlSH_S8_NS0_8equal_toIS6_EEEE10hipError_tPvRmT2_T3_mT4_T5_T6_T7_T8_P12ihipStream_tbENKUlT_T0_E_clISt17integral_constantIbLb1EES11_EEDaSW_SX_EUlSW_E_NS1_11comp_targetILNS1_3genE4ELNS1_11target_archE910ELNS1_3gpuE8ELNS1_3repE0EEENS1_30default_config_static_selectorELNS0_4arch9wavefront6targetE1EEEvT1_,comdat
	.protected	_ZN7rocprim17ROCPRIM_400000_NS6detail17trampoline_kernelINS0_14default_configENS1_33run_length_encode_config_selectorIN3c108BFloat16EjNS0_4plusIjEEEEZZNS1_33reduce_by_key_impl_wrapped_configILNS1_25lookback_scan_determinismE0ES3_S9_PKS6_NS0_17constant_iteratorIjlEEPS6_PlSH_S8_NS0_8equal_toIS6_EEEE10hipError_tPvRmT2_T3_mT4_T5_T6_T7_T8_P12ihipStream_tbENKUlT_T0_E_clISt17integral_constantIbLb1EES11_EEDaSW_SX_EUlSW_E_NS1_11comp_targetILNS1_3genE4ELNS1_11target_archE910ELNS1_3gpuE8ELNS1_3repE0EEENS1_30default_config_static_selectorELNS0_4arch9wavefront6targetE1EEEvT1_ ; -- Begin function _ZN7rocprim17ROCPRIM_400000_NS6detail17trampoline_kernelINS0_14default_configENS1_33run_length_encode_config_selectorIN3c108BFloat16EjNS0_4plusIjEEEEZZNS1_33reduce_by_key_impl_wrapped_configILNS1_25lookback_scan_determinismE0ES3_S9_PKS6_NS0_17constant_iteratorIjlEEPS6_PlSH_S8_NS0_8equal_toIS6_EEEE10hipError_tPvRmT2_T3_mT4_T5_T6_T7_T8_P12ihipStream_tbENKUlT_T0_E_clISt17integral_constantIbLb1EES11_EEDaSW_SX_EUlSW_E_NS1_11comp_targetILNS1_3genE4ELNS1_11target_archE910ELNS1_3gpuE8ELNS1_3repE0EEENS1_30default_config_static_selectorELNS0_4arch9wavefront6targetE1EEEvT1_
	.globl	_ZN7rocprim17ROCPRIM_400000_NS6detail17trampoline_kernelINS0_14default_configENS1_33run_length_encode_config_selectorIN3c108BFloat16EjNS0_4plusIjEEEEZZNS1_33reduce_by_key_impl_wrapped_configILNS1_25lookback_scan_determinismE0ES3_S9_PKS6_NS0_17constant_iteratorIjlEEPS6_PlSH_S8_NS0_8equal_toIS6_EEEE10hipError_tPvRmT2_T3_mT4_T5_T6_T7_T8_P12ihipStream_tbENKUlT_T0_E_clISt17integral_constantIbLb1EES11_EEDaSW_SX_EUlSW_E_NS1_11comp_targetILNS1_3genE4ELNS1_11target_archE910ELNS1_3gpuE8ELNS1_3repE0EEENS1_30default_config_static_selectorELNS0_4arch9wavefront6targetE1EEEvT1_
	.p2align	8
	.type	_ZN7rocprim17ROCPRIM_400000_NS6detail17trampoline_kernelINS0_14default_configENS1_33run_length_encode_config_selectorIN3c108BFloat16EjNS0_4plusIjEEEEZZNS1_33reduce_by_key_impl_wrapped_configILNS1_25lookback_scan_determinismE0ES3_S9_PKS6_NS0_17constant_iteratorIjlEEPS6_PlSH_S8_NS0_8equal_toIS6_EEEE10hipError_tPvRmT2_T3_mT4_T5_T6_T7_T8_P12ihipStream_tbENKUlT_T0_E_clISt17integral_constantIbLb1EES11_EEDaSW_SX_EUlSW_E_NS1_11comp_targetILNS1_3genE4ELNS1_11target_archE910ELNS1_3gpuE8ELNS1_3repE0EEENS1_30default_config_static_selectorELNS0_4arch9wavefront6targetE1EEEvT1_,@function
_ZN7rocprim17ROCPRIM_400000_NS6detail17trampoline_kernelINS0_14default_configENS1_33run_length_encode_config_selectorIN3c108BFloat16EjNS0_4plusIjEEEEZZNS1_33reduce_by_key_impl_wrapped_configILNS1_25lookback_scan_determinismE0ES3_S9_PKS6_NS0_17constant_iteratorIjlEEPS6_PlSH_S8_NS0_8equal_toIS6_EEEE10hipError_tPvRmT2_T3_mT4_T5_T6_T7_T8_P12ihipStream_tbENKUlT_T0_E_clISt17integral_constantIbLb1EES11_EEDaSW_SX_EUlSW_E_NS1_11comp_targetILNS1_3genE4ELNS1_11target_archE910ELNS1_3gpuE8ELNS1_3repE0EEENS1_30default_config_static_selectorELNS0_4arch9wavefront6targetE1EEEvT1_: ; @_ZN7rocprim17ROCPRIM_400000_NS6detail17trampoline_kernelINS0_14default_configENS1_33run_length_encode_config_selectorIN3c108BFloat16EjNS0_4plusIjEEEEZZNS1_33reduce_by_key_impl_wrapped_configILNS1_25lookback_scan_determinismE0ES3_S9_PKS6_NS0_17constant_iteratorIjlEEPS6_PlSH_S8_NS0_8equal_toIS6_EEEE10hipError_tPvRmT2_T3_mT4_T5_T6_T7_T8_P12ihipStream_tbENKUlT_T0_E_clISt17integral_constantIbLb1EES11_EEDaSW_SX_EUlSW_E_NS1_11comp_targetILNS1_3genE4ELNS1_11target_archE910ELNS1_3gpuE8ELNS1_3repE0EEENS1_30default_config_static_selectorELNS0_4arch9wavefront6targetE1EEEvT1_
; %bb.0:
	.section	.rodata,"a",@progbits
	.p2align	6, 0x0
	.amdhsa_kernel _ZN7rocprim17ROCPRIM_400000_NS6detail17trampoline_kernelINS0_14default_configENS1_33run_length_encode_config_selectorIN3c108BFloat16EjNS0_4plusIjEEEEZZNS1_33reduce_by_key_impl_wrapped_configILNS1_25lookback_scan_determinismE0ES3_S9_PKS6_NS0_17constant_iteratorIjlEEPS6_PlSH_S8_NS0_8equal_toIS6_EEEE10hipError_tPvRmT2_T3_mT4_T5_T6_T7_T8_P12ihipStream_tbENKUlT_T0_E_clISt17integral_constantIbLb1EES11_EEDaSW_SX_EUlSW_E_NS1_11comp_targetILNS1_3genE4ELNS1_11target_archE910ELNS1_3gpuE8ELNS1_3repE0EEENS1_30default_config_static_selectorELNS0_4arch9wavefront6targetE1EEEvT1_
		.amdhsa_group_segment_fixed_size 0
		.amdhsa_private_segment_fixed_size 0
		.amdhsa_kernarg_size 128
		.amdhsa_user_sgpr_count 2
		.amdhsa_user_sgpr_dispatch_ptr 0
		.amdhsa_user_sgpr_queue_ptr 0
		.amdhsa_user_sgpr_kernarg_segment_ptr 1
		.amdhsa_user_sgpr_dispatch_id 0
		.amdhsa_user_sgpr_kernarg_preload_length 0
		.amdhsa_user_sgpr_kernarg_preload_offset 0
		.amdhsa_user_sgpr_private_segment_size 0
		.amdhsa_uses_dynamic_stack 0
		.amdhsa_enable_private_segment 0
		.amdhsa_system_sgpr_workgroup_id_x 1
		.amdhsa_system_sgpr_workgroup_id_y 0
		.amdhsa_system_sgpr_workgroup_id_z 0
		.amdhsa_system_sgpr_workgroup_info 0
		.amdhsa_system_vgpr_workitem_id 0
		.amdhsa_next_free_vgpr 1
		.amdhsa_next_free_sgpr 0
		.amdhsa_accum_offset 4
		.amdhsa_reserve_vcc 0
		.amdhsa_float_round_mode_32 0
		.amdhsa_float_round_mode_16_64 0
		.amdhsa_float_denorm_mode_32 3
		.amdhsa_float_denorm_mode_16_64 3
		.amdhsa_dx10_clamp 1
		.amdhsa_ieee_mode 1
		.amdhsa_fp16_overflow 0
		.amdhsa_tg_split 0
		.amdhsa_exception_fp_ieee_invalid_op 0
		.amdhsa_exception_fp_denorm_src 0
		.amdhsa_exception_fp_ieee_div_zero 0
		.amdhsa_exception_fp_ieee_overflow 0
		.amdhsa_exception_fp_ieee_underflow 0
		.amdhsa_exception_fp_ieee_inexact 0
		.amdhsa_exception_int_div_zero 0
	.end_amdhsa_kernel
	.section	.text._ZN7rocprim17ROCPRIM_400000_NS6detail17trampoline_kernelINS0_14default_configENS1_33run_length_encode_config_selectorIN3c108BFloat16EjNS0_4plusIjEEEEZZNS1_33reduce_by_key_impl_wrapped_configILNS1_25lookback_scan_determinismE0ES3_S9_PKS6_NS0_17constant_iteratorIjlEEPS6_PlSH_S8_NS0_8equal_toIS6_EEEE10hipError_tPvRmT2_T3_mT4_T5_T6_T7_T8_P12ihipStream_tbENKUlT_T0_E_clISt17integral_constantIbLb1EES11_EEDaSW_SX_EUlSW_E_NS1_11comp_targetILNS1_3genE4ELNS1_11target_archE910ELNS1_3gpuE8ELNS1_3repE0EEENS1_30default_config_static_selectorELNS0_4arch9wavefront6targetE1EEEvT1_,"axG",@progbits,_ZN7rocprim17ROCPRIM_400000_NS6detail17trampoline_kernelINS0_14default_configENS1_33run_length_encode_config_selectorIN3c108BFloat16EjNS0_4plusIjEEEEZZNS1_33reduce_by_key_impl_wrapped_configILNS1_25lookback_scan_determinismE0ES3_S9_PKS6_NS0_17constant_iteratorIjlEEPS6_PlSH_S8_NS0_8equal_toIS6_EEEE10hipError_tPvRmT2_T3_mT4_T5_T6_T7_T8_P12ihipStream_tbENKUlT_T0_E_clISt17integral_constantIbLb1EES11_EEDaSW_SX_EUlSW_E_NS1_11comp_targetILNS1_3genE4ELNS1_11target_archE910ELNS1_3gpuE8ELNS1_3repE0EEENS1_30default_config_static_selectorELNS0_4arch9wavefront6targetE1EEEvT1_,comdat
.Lfunc_end867:
	.size	_ZN7rocprim17ROCPRIM_400000_NS6detail17trampoline_kernelINS0_14default_configENS1_33run_length_encode_config_selectorIN3c108BFloat16EjNS0_4plusIjEEEEZZNS1_33reduce_by_key_impl_wrapped_configILNS1_25lookback_scan_determinismE0ES3_S9_PKS6_NS0_17constant_iteratorIjlEEPS6_PlSH_S8_NS0_8equal_toIS6_EEEE10hipError_tPvRmT2_T3_mT4_T5_T6_T7_T8_P12ihipStream_tbENKUlT_T0_E_clISt17integral_constantIbLb1EES11_EEDaSW_SX_EUlSW_E_NS1_11comp_targetILNS1_3genE4ELNS1_11target_archE910ELNS1_3gpuE8ELNS1_3repE0EEENS1_30default_config_static_selectorELNS0_4arch9wavefront6targetE1EEEvT1_, .Lfunc_end867-_ZN7rocprim17ROCPRIM_400000_NS6detail17trampoline_kernelINS0_14default_configENS1_33run_length_encode_config_selectorIN3c108BFloat16EjNS0_4plusIjEEEEZZNS1_33reduce_by_key_impl_wrapped_configILNS1_25lookback_scan_determinismE0ES3_S9_PKS6_NS0_17constant_iteratorIjlEEPS6_PlSH_S8_NS0_8equal_toIS6_EEEE10hipError_tPvRmT2_T3_mT4_T5_T6_T7_T8_P12ihipStream_tbENKUlT_T0_E_clISt17integral_constantIbLb1EES11_EEDaSW_SX_EUlSW_E_NS1_11comp_targetILNS1_3genE4ELNS1_11target_archE910ELNS1_3gpuE8ELNS1_3repE0EEENS1_30default_config_static_selectorELNS0_4arch9wavefront6targetE1EEEvT1_
                                        ; -- End function
	.section	.AMDGPU.csdata,"",@progbits
; Kernel info:
; codeLenInByte = 0
; NumSgprs: 6
; NumVgprs: 0
; NumAgprs: 0
; TotalNumVgprs: 0
; ScratchSize: 0
; MemoryBound: 0
; FloatMode: 240
; IeeeMode: 1
; LDSByteSize: 0 bytes/workgroup (compile time only)
; SGPRBlocks: 0
; VGPRBlocks: 0
; NumSGPRsForWavesPerEU: 6
; NumVGPRsForWavesPerEU: 1
; AccumOffset: 4
; Occupancy: 8
; WaveLimiterHint : 0
; COMPUTE_PGM_RSRC2:SCRATCH_EN: 0
; COMPUTE_PGM_RSRC2:USER_SGPR: 2
; COMPUTE_PGM_RSRC2:TRAP_HANDLER: 0
; COMPUTE_PGM_RSRC2:TGID_X_EN: 1
; COMPUTE_PGM_RSRC2:TGID_Y_EN: 0
; COMPUTE_PGM_RSRC2:TGID_Z_EN: 0
; COMPUTE_PGM_RSRC2:TIDIG_COMP_CNT: 0
; COMPUTE_PGM_RSRC3_GFX90A:ACCUM_OFFSET: 0
; COMPUTE_PGM_RSRC3_GFX90A:TG_SPLIT: 0
	.section	.text._ZN7rocprim17ROCPRIM_400000_NS6detail17trampoline_kernelINS0_14default_configENS1_33run_length_encode_config_selectorIN3c108BFloat16EjNS0_4plusIjEEEEZZNS1_33reduce_by_key_impl_wrapped_configILNS1_25lookback_scan_determinismE0ES3_S9_PKS6_NS0_17constant_iteratorIjlEEPS6_PlSH_S8_NS0_8equal_toIS6_EEEE10hipError_tPvRmT2_T3_mT4_T5_T6_T7_T8_P12ihipStream_tbENKUlT_T0_E_clISt17integral_constantIbLb1EES11_EEDaSW_SX_EUlSW_E_NS1_11comp_targetILNS1_3genE3ELNS1_11target_archE908ELNS1_3gpuE7ELNS1_3repE0EEENS1_30default_config_static_selectorELNS0_4arch9wavefront6targetE1EEEvT1_,"axG",@progbits,_ZN7rocprim17ROCPRIM_400000_NS6detail17trampoline_kernelINS0_14default_configENS1_33run_length_encode_config_selectorIN3c108BFloat16EjNS0_4plusIjEEEEZZNS1_33reduce_by_key_impl_wrapped_configILNS1_25lookback_scan_determinismE0ES3_S9_PKS6_NS0_17constant_iteratorIjlEEPS6_PlSH_S8_NS0_8equal_toIS6_EEEE10hipError_tPvRmT2_T3_mT4_T5_T6_T7_T8_P12ihipStream_tbENKUlT_T0_E_clISt17integral_constantIbLb1EES11_EEDaSW_SX_EUlSW_E_NS1_11comp_targetILNS1_3genE3ELNS1_11target_archE908ELNS1_3gpuE7ELNS1_3repE0EEENS1_30default_config_static_selectorELNS0_4arch9wavefront6targetE1EEEvT1_,comdat
	.protected	_ZN7rocprim17ROCPRIM_400000_NS6detail17trampoline_kernelINS0_14default_configENS1_33run_length_encode_config_selectorIN3c108BFloat16EjNS0_4plusIjEEEEZZNS1_33reduce_by_key_impl_wrapped_configILNS1_25lookback_scan_determinismE0ES3_S9_PKS6_NS0_17constant_iteratorIjlEEPS6_PlSH_S8_NS0_8equal_toIS6_EEEE10hipError_tPvRmT2_T3_mT4_T5_T6_T7_T8_P12ihipStream_tbENKUlT_T0_E_clISt17integral_constantIbLb1EES11_EEDaSW_SX_EUlSW_E_NS1_11comp_targetILNS1_3genE3ELNS1_11target_archE908ELNS1_3gpuE7ELNS1_3repE0EEENS1_30default_config_static_selectorELNS0_4arch9wavefront6targetE1EEEvT1_ ; -- Begin function _ZN7rocprim17ROCPRIM_400000_NS6detail17trampoline_kernelINS0_14default_configENS1_33run_length_encode_config_selectorIN3c108BFloat16EjNS0_4plusIjEEEEZZNS1_33reduce_by_key_impl_wrapped_configILNS1_25lookback_scan_determinismE0ES3_S9_PKS6_NS0_17constant_iteratorIjlEEPS6_PlSH_S8_NS0_8equal_toIS6_EEEE10hipError_tPvRmT2_T3_mT4_T5_T6_T7_T8_P12ihipStream_tbENKUlT_T0_E_clISt17integral_constantIbLb1EES11_EEDaSW_SX_EUlSW_E_NS1_11comp_targetILNS1_3genE3ELNS1_11target_archE908ELNS1_3gpuE7ELNS1_3repE0EEENS1_30default_config_static_selectorELNS0_4arch9wavefront6targetE1EEEvT1_
	.globl	_ZN7rocprim17ROCPRIM_400000_NS6detail17trampoline_kernelINS0_14default_configENS1_33run_length_encode_config_selectorIN3c108BFloat16EjNS0_4plusIjEEEEZZNS1_33reduce_by_key_impl_wrapped_configILNS1_25lookback_scan_determinismE0ES3_S9_PKS6_NS0_17constant_iteratorIjlEEPS6_PlSH_S8_NS0_8equal_toIS6_EEEE10hipError_tPvRmT2_T3_mT4_T5_T6_T7_T8_P12ihipStream_tbENKUlT_T0_E_clISt17integral_constantIbLb1EES11_EEDaSW_SX_EUlSW_E_NS1_11comp_targetILNS1_3genE3ELNS1_11target_archE908ELNS1_3gpuE7ELNS1_3repE0EEENS1_30default_config_static_selectorELNS0_4arch9wavefront6targetE1EEEvT1_
	.p2align	8
	.type	_ZN7rocprim17ROCPRIM_400000_NS6detail17trampoline_kernelINS0_14default_configENS1_33run_length_encode_config_selectorIN3c108BFloat16EjNS0_4plusIjEEEEZZNS1_33reduce_by_key_impl_wrapped_configILNS1_25lookback_scan_determinismE0ES3_S9_PKS6_NS0_17constant_iteratorIjlEEPS6_PlSH_S8_NS0_8equal_toIS6_EEEE10hipError_tPvRmT2_T3_mT4_T5_T6_T7_T8_P12ihipStream_tbENKUlT_T0_E_clISt17integral_constantIbLb1EES11_EEDaSW_SX_EUlSW_E_NS1_11comp_targetILNS1_3genE3ELNS1_11target_archE908ELNS1_3gpuE7ELNS1_3repE0EEENS1_30default_config_static_selectorELNS0_4arch9wavefront6targetE1EEEvT1_,@function
_ZN7rocprim17ROCPRIM_400000_NS6detail17trampoline_kernelINS0_14default_configENS1_33run_length_encode_config_selectorIN3c108BFloat16EjNS0_4plusIjEEEEZZNS1_33reduce_by_key_impl_wrapped_configILNS1_25lookback_scan_determinismE0ES3_S9_PKS6_NS0_17constant_iteratorIjlEEPS6_PlSH_S8_NS0_8equal_toIS6_EEEE10hipError_tPvRmT2_T3_mT4_T5_T6_T7_T8_P12ihipStream_tbENKUlT_T0_E_clISt17integral_constantIbLb1EES11_EEDaSW_SX_EUlSW_E_NS1_11comp_targetILNS1_3genE3ELNS1_11target_archE908ELNS1_3gpuE7ELNS1_3repE0EEENS1_30default_config_static_selectorELNS0_4arch9wavefront6targetE1EEEvT1_: ; @_ZN7rocprim17ROCPRIM_400000_NS6detail17trampoline_kernelINS0_14default_configENS1_33run_length_encode_config_selectorIN3c108BFloat16EjNS0_4plusIjEEEEZZNS1_33reduce_by_key_impl_wrapped_configILNS1_25lookback_scan_determinismE0ES3_S9_PKS6_NS0_17constant_iteratorIjlEEPS6_PlSH_S8_NS0_8equal_toIS6_EEEE10hipError_tPvRmT2_T3_mT4_T5_T6_T7_T8_P12ihipStream_tbENKUlT_T0_E_clISt17integral_constantIbLb1EES11_EEDaSW_SX_EUlSW_E_NS1_11comp_targetILNS1_3genE3ELNS1_11target_archE908ELNS1_3gpuE7ELNS1_3repE0EEENS1_30default_config_static_selectorELNS0_4arch9wavefront6targetE1EEEvT1_
; %bb.0:
	.section	.rodata,"a",@progbits
	.p2align	6, 0x0
	.amdhsa_kernel _ZN7rocprim17ROCPRIM_400000_NS6detail17trampoline_kernelINS0_14default_configENS1_33run_length_encode_config_selectorIN3c108BFloat16EjNS0_4plusIjEEEEZZNS1_33reduce_by_key_impl_wrapped_configILNS1_25lookback_scan_determinismE0ES3_S9_PKS6_NS0_17constant_iteratorIjlEEPS6_PlSH_S8_NS0_8equal_toIS6_EEEE10hipError_tPvRmT2_T3_mT4_T5_T6_T7_T8_P12ihipStream_tbENKUlT_T0_E_clISt17integral_constantIbLb1EES11_EEDaSW_SX_EUlSW_E_NS1_11comp_targetILNS1_3genE3ELNS1_11target_archE908ELNS1_3gpuE7ELNS1_3repE0EEENS1_30default_config_static_selectorELNS0_4arch9wavefront6targetE1EEEvT1_
		.amdhsa_group_segment_fixed_size 0
		.amdhsa_private_segment_fixed_size 0
		.amdhsa_kernarg_size 128
		.amdhsa_user_sgpr_count 2
		.amdhsa_user_sgpr_dispatch_ptr 0
		.amdhsa_user_sgpr_queue_ptr 0
		.amdhsa_user_sgpr_kernarg_segment_ptr 1
		.amdhsa_user_sgpr_dispatch_id 0
		.amdhsa_user_sgpr_kernarg_preload_length 0
		.amdhsa_user_sgpr_kernarg_preload_offset 0
		.amdhsa_user_sgpr_private_segment_size 0
		.amdhsa_uses_dynamic_stack 0
		.amdhsa_enable_private_segment 0
		.amdhsa_system_sgpr_workgroup_id_x 1
		.amdhsa_system_sgpr_workgroup_id_y 0
		.amdhsa_system_sgpr_workgroup_id_z 0
		.amdhsa_system_sgpr_workgroup_info 0
		.amdhsa_system_vgpr_workitem_id 0
		.amdhsa_next_free_vgpr 1
		.amdhsa_next_free_sgpr 0
		.amdhsa_accum_offset 4
		.amdhsa_reserve_vcc 0
		.amdhsa_float_round_mode_32 0
		.amdhsa_float_round_mode_16_64 0
		.amdhsa_float_denorm_mode_32 3
		.amdhsa_float_denorm_mode_16_64 3
		.amdhsa_dx10_clamp 1
		.amdhsa_ieee_mode 1
		.amdhsa_fp16_overflow 0
		.amdhsa_tg_split 0
		.amdhsa_exception_fp_ieee_invalid_op 0
		.amdhsa_exception_fp_denorm_src 0
		.amdhsa_exception_fp_ieee_div_zero 0
		.amdhsa_exception_fp_ieee_overflow 0
		.amdhsa_exception_fp_ieee_underflow 0
		.amdhsa_exception_fp_ieee_inexact 0
		.amdhsa_exception_int_div_zero 0
	.end_amdhsa_kernel
	.section	.text._ZN7rocprim17ROCPRIM_400000_NS6detail17trampoline_kernelINS0_14default_configENS1_33run_length_encode_config_selectorIN3c108BFloat16EjNS0_4plusIjEEEEZZNS1_33reduce_by_key_impl_wrapped_configILNS1_25lookback_scan_determinismE0ES3_S9_PKS6_NS0_17constant_iteratorIjlEEPS6_PlSH_S8_NS0_8equal_toIS6_EEEE10hipError_tPvRmT2_T3_mT4_T5_T6_T7_T8_P12ihipStream_tbENKUlT_T0_E_clISt17integral_constantIbLb1EES11_EEDaSW_SX_EUlSW_E_NS1_11comp_targetILNS1_3genE3ELNS1_11target_archE908ELNS1_3gpuE7ELNS1_3repE0EEENS1_30default_config_static_selectorELNS0_4arch9wavefront6targetE1EEEvT1_,"axG",@progbits,_ZN7rocprim17ROCPRIM_400000_NS6detail17trampoline_kernelINS0_14default_configENS1_33run_length_encode_config_selectorIN3c108BFloat16EjNS0_4plusIjEEEEZZNS1_33reduce_by_key_impl_wrapped_configILNS1_25lookback_scan_determinismE0ES3_S9_PKS6_NS0_17constant_iteratorIjlEEPS6_PlSH_S8_NS0_8equal_toIS6_EEEE10hipError_tPvRmT2_T3_mT4_T5_T6_T7_T8_P12ihipStream_tbENKUlT_T0_E_clISt17integral_constantIbLb1EES11_EEDaSW_SX_EUlSW_E_NS1_11comp_targetILNS1_3genE3ELNS1_11target_archE908ELNS1_3gpuE7ELNS1_3repE0EEENS1_30default_config_static_selectorELNS0_4arch9wavefront6targetE1EEEvT1_,comdat
.Lfunc_end868:
	.size	_ZN7rocprim17ROCPRIM_400000_NS6detail17trampoline_kernelINS0_14default_configENS1_33run_length_encode_config_selectorIN3c108BFloat16EjNS0_4plusIjEEEEZZNS1_33reduce_by_key_impl_wrapped_configILNS1_25lookback_scan_determinismE0ES3_S9_PKS6_NS0_17constant_iteratorIjlEEPS6_PlSH_S8_NS0_8equal_toIS6_EEEE10hipError_tPvRmT2_T3_mT4_T5_T6_T7_T8_P12ihipStream_tbENKUlT_T0_E_clISt17integral_constantIbLb1EES11_EEDaSW_SX_EUlSW_E_NS1_11comp_targetILNS1_3genE3ELNS1_11target_archE908ELNS1_3gpuE7ELNS1_3repE0EEENS1_30default_config_static_selectorELNS0_4arch9wavefront6targetE1EEEvT1_, .Lfunc_end868-_ZN7rocprim17ROCPRIM_400000_NS6detail17trampoline_kernelINS0_14default_configENS1_33run_length_encode_config_selectorIN3c108BFloat16EjNS0_4plusIjEEEEZZNS1_33reduce_by_key_impl_wrapped_configILNS1_25lookback_scan_determinismE0ES3_S9_PKS6_NS0_17constant_iteratorIjlEEPS6_PlSH_S8_NS0_8equal_toIS6_EEEE10hipError_tPvRmT2_T3_mT4_T5_T6_T7_T8_P12ihipStream_tbENKUlT_T0_E_clISt17integral_constantIbLb1EES11_EEDaSW_SX_EUlSW_E_NS1_11comp_targetILNS1_3genE3ELNS1_11target_archE908ELNS1_3gpuE7ELNS1_3repE0EEENS1_30default_config_static_selectorELNS0_4arch9wavefront6targetE1EEEvT1_
                                        ; -- End function
	.section	.AMDGPU.csdata,"",@progbits
; Kernel info:
; codeLenInByte = 0
; NumSgprs: 6
; NumVgprs: 0
; NumAgprs: 0
; TotalNumVgprs: 0
; ScratchSize: 0
; MemoryBound: 0
; FloatMode: 240
; IeeeMode: 1
; LDSByteSize: 0 bytes/workgroup (compile time only)
; SGPRBlocks: 0
; VGPRBlocks: 0
; NumSGPRsForWavesPerEU: 6
; NumVGPRsForWavesPerEU: 1
; AccumOffset: 4
; Occupancy: 8
; WaveLimiterHint : 0
; COMPUTE_PGM_RSRC2:SCRATCH_EN: 0
; COMPUTE_PGM_RSRC2:USER_SGPR: 2
; COMPUTE_PGM_RSRC2:TRAP_HANDLER: 0
; COMPUTE_PGM_RSRC2:TGID_X_EN: 1
; COMPUTE_PGM_RSRC2:TGID_Y_EN: 0
; COMPUTE_PGM_RSRC2:TGID_Z_EN: 0
; COMPUTE_PGM_RSRC2:TIDIG_COMP_CNT: 0
; COMPUTE_PGM_RSRC3_GFX90A:ACCUM_OFFSET: 0
; COMPUTE_PGM_RSRC3_GFX90A:TG_SPLIT: 0
	.section	.text._ZN7rocprim17ROCPRIM_400000_NS6detail17trampoline_kernelINS0_14default_configENS1_33run_length_encode_config_selectorIN3c108BFloat16EjNS0_4plusIjEEEEZZNS1_33reduce_by_key_impl_wrapped_configILNS1_25lookback_scan_determinismE0ES3_S9_PKS6_NS0_17constant_iteratorIjlEEPS6_PlSH_S8_NS0_8equal_toIS6_EEEE10hipError_tPvRmT2_T3_mT4_T5_T6_T7_T8_P12ihipStream_tbENKUlT_T0_E_clISt17integral_constantIbLb1EES11_EEDaSW_SX_EUlSW_E_NS1_11comp_targetILNS1_3genE2ELNS1_11target_archE906ELNS1_3gpuE6ELNS1_3repE0EEENS1_30default_config_static_selectorELNS0_4arch9wavefront6targetE1EEEvT1_,"axG",@progbits,_ZN7rocprim17ROCPRIM_400000_NS6detail17trampoline_kernelINS0_14default_configENS1_33run_length_encode_config_selectorIN3c108BFloat16EjNS0_4plusIjEEEEZZNS1_33reduce_by_key_impl_wrapped_configILNS1_25lookback_scan_determinismE0ES3_S9_PKS6_NS0_17constant_iteratorIjlEEPS6_PlSH_S8_NS0_8equal_toIS6_EEEE10hipError_tPvRmT2_T3_mT4_T5_T6_T7_T8_P12ihipStream_tbENKUlT_T0_E_clISt17integral_constantIbLb1EES11_EEDaSW_SX_EUlSW_E_NS1_11comp_targetILNS1_3genE2ELNS1_11target_archE906ELNS1_3gpuE6ELNS1_3repE0EEENS1_30default_config_static_selectorELNS0_4arch9wavefront6targetE1EEEvT1_,comdat
	.protected	_ZN7rocprim17ROCPRIM_400000_NS6detail17trampoline_kernelINS0_14default_configENS1_33run_length_encode_config_selectorIN3c108BFloat16EjNS0_4plusIjEEEEZZNS1_33reduce_by_key_impl_wrapped_configILNS1_25lookback_scan_determinismE0ES3_S9_PKS6_NS0_17constant_iteratorIjlEEPS6_PlSH_S8_NS0_8equal_toIS6_EEEE10hipError_tPvRmT2_T3_mT4_T5_T6_T7_T8_P12ihipStream_tbENKUlT_T0_E_clISt17integral_constantIbLb1EES11_EEDaSW_SX_EUlSW_E_NS1_11comp_targetILNS1_3genE2ELNS1_11target_archE906ELNS1_3gpuE6ELNS1_3repE0EEENS1_30default_config_static_selectorELNS0_4arch9wavefront6targetE1EEEvT1_ ; -- Begin function _ZN7rocprim17ROCPRIM_400000_NS6detail17trampoline_kernelINS0_14default_configENS1_33run_length_encode_config_selectorIN3c108BFloat16EjNS0_4plusIjEEEEZZNS1_33reduce_by_key_impl_wrapped_configILNS1_25lookback_scan_determinismE0ES3_S9_PKS6_NS0_17constant_iteratorIjlEEPS6_PlSH_S8_NS0_8equal_toIS6_EEEE10hipError_tPvRmT2_T3_mT4_T5_T6_T7_T8_P12ihipStream_tbENKUlT_T0_E_clISt17integral_constantIbLb1EES11_EEDaSW_SX_EUlSW_E_NS1_11comp_targetILNS1_3genE2ELNS1_11target_archE906ELNS1_3gpuE6ELNS1_3repE0EEENS1_30default_config_static_selectorELNS0_4arch9wavefront6targetE1EEEvT1_
	.globl	_ZN7rocprim17ROCPRIM_400000_NS6detail17trampoline_kernelINS0_14default_configENS1_33run_length_encode_config_selectorIN3c108BFloat16EjNS0_4plusIjEEEEZZNS1_33reduce_by_key_impl_wrapped_configILNS1_25lookback_scan_determinismE0ES3_S9_PKS6_NS0_17constant_iteratorIjlEEPS6_PlSH_S8_NS0_8equal_toIS6_EEEE10hipError_tPvRmT2_T3_mT4_T5_T6_T7_T8_P12ihipStream_tbENKUlT_T0_E_clISt17integral_constantIbLb1EES11_EEDaSW_SX_EUlSW_E_NS1_11comp_targetILNS1_3genE2ELNS1_11target_archE906ELNS1_3gpuE6ELNS1_3repE0EEENS1_30default_config_static_selectorELNS0_4arch9wavefront6targetE1EEEvT1_
	.p2align	8
	.type	_ZN7rocprim17ROCPRIM_400000_NS6detail17trampoline_kernelINS0_14default_configENS1_33run_length_encode_config_selectorIN3c108BFloat16EjNS0_4plusIjEEEEZZNS1_33reduce_by_key_impl_wrapped_configILNS1_25lookback_scan_determinismE0ES3_S9_PKS6_NS0_17constant_iteratorIjlEEPS6_PlSH_S8_NS0_8equal_toIS6_EEEE10hipError_tPvRmT2_T3_mT4_T5_T6_T7_T8_P12ihipStream_tbENKUlT_T0_E_clISt17integral_constantIbLb1EES11_EEDaSW_SX_EUlSW_E_NS1_11comp_targetILNS1_3genE2ELNS1_11target_archE906ELNS1_3gpuE6ELNS1_3repE0EEENS1_30default_config_static_selectorELNS0_4arch9wavefront6targetE1EEEvT1_,@function
_ZN7rocprim17ROCPRIM_400000_NS6detail17trampoline_kernelINS0_14default_configENS1_33run_length_encode_config_selectorIN3c108BFloat16EjNS0_4plusIjEEEEZZNS1_33reduce_by_key_impl_wrapped_configILNS1_25lookback_scan_determinismE0ES3_S9_PKS6_NS0_17constant_iteratorIjlEEPS6_PlSH_S8_NS0_8equal_toIS6_EEEE10hipError_tPvRmT2_T3_mT4_T5_T6_T7_T8_P12ihipStream_tbENKUlT_T0_E_clISt17integral_constantIbLb1EES11_EEDaSW_SX_EUlSW_E_NS1_11comp_targetILNS1_3genE2ELNS1_11target_archE906ELNS1_3gpuE6ELNS1_3repE0EEENS1_30default_config_static_selectorELNS0_4arch9wavefront6targetE1EEEvT1_: ; @_ZN7rocprim17ROCPRIM_400000_NS6detail17trampoline_kernelINS0_14default_configENS1_33run_length_encode_config_selectorIN3c108BFloat16EjNS0_4plusIjEEEEZZNS1_33reduce_by_key_impl_wrapped_configILNS1_25lookback_scan_determinismE0ES3_S9_PKS6_NS0_17constant_iteratorIjlEEPS6_PlSH_S8_NS0_8equal_toIS6_EEEE10hipError_tPvRmT2_T3_mT4_T5_T6_T7_T8_P12ihipStream_tbENKUlT_T0_E_clISt17integral_constantIbLb1EES11_EEDaSW_SX_EUlSW_E_NS1_11comp_targetILNS1_3genE2ELNS1_11target_archE906ELNS1_3gpuE6ELNS1_3repE0EEENS1_30default_config_static_selectorELNS0_4arch9wavefront6targetE1EEEvT1_
; %bb.0:
	.section	.rodata,"a",@progbits
	.p2align	6, 0x0
	.amdhsa_kernel _ZN7rocprim17ROCPRIM_400000_NS6detail17trampoline_kernelINS0_14default_configENS1_33run_length_encode_config_selectorIN3c108BFloat16EjNS0_4plusIjEEEEZZNS1_33reduce_by_key_impl_wrapped_configILNS1_25lookback_scan_determinismE0ES3_S9_PKS6_NS0_17constant_iteratorIjlEEPS6_PlSH_S8_NS0_8equal_toIS6_EEEE10hipError_tPvRmT2_T3_mT4_T5_T6_T7_T8_P12ihipStream_tbENKUlT_T0_E_clISt17integral_constantIbLb1EES11_EEDaSW_SX_EUlSW_E_NS1_11comp_targetILNS1_3genE2ELNS1_11target_archE906ELNS1_3gpuE6ELNS1_3repE0EEENS1_30default_config_static_selectorELNS0_4arch9wavefront6targetE1EEEvT1_
		.amdhsa_group_segment_fixed_size 0
		.amdhsa_private_segment_fixed_size 0
		.amdhsa_kernarg_size 128
		.amdhsa_user_sgpr_count 2
		.amdhsa_user_sgpr_dispatch_ptr 0
		.amdhsa_user_sgpr_queue_ptr 0
		.amdhsa_user_sgpr_kernarg_segment_ptr 1
		.amdhsa_user_sgpr_dispatch_id 0
		.amdhsa_user_sgpr_kernarg_preload_length 0
		.amdhsa_user_sgpr_kernarg_preload_offset 0
		.amdhsa_user_sgpr_private_segment_size 0
		.amdhsa_uses_dynamic_stack 0
		.amdhsa_enable_private_segment 0
		.amdhsa_system_sgpr_workgroup_id_x 1
		.amdhsa_system_sgpr_workgroup_id_y 0
		.amdhsa_system_sgpr_workgroup_id_z 0
		.amdhsa_system_sgpr_workgroup_info 0
		.amdhsa_system_vgpr_workitem_id 0
		.amdhsa_next_free_vgpr 1
		.amdhsa_next_free_sgpr 0
		.amdhsa_accum_offset 4
		.amdhsa_reserve_vcc 0
		.amdhsa_float_round_mode_32 0
		.amdhsa_float_round_mode_16_64 0
		.amdhsa_float_denorm_mode_32 3
		.amdhsa_float_denorm_mode_16_64 3
		.amdhsa_dx10_clamp 1
		.amdhsa_ieee_mode 1
		.amdhsa_fp16_overflow 0
		.amdhsa_tg_split 0
		.amdhsa_exception_fp_ieee_invalid_op 0
		.amdhsa_exception_fp_denorm_src 0
		.amdhsa_exception_fp_ieee_div_zero 0
		.amdhsa_exception_fp_ieee_overflow 0
		.amdhsa_exception_fp_ieee_underflow 0
		.amdhsa_exception_fp_ieee_inexact 0
		.amdhsa_exception_int_div_zero 0
	.end_amdhsa_kernel
	.section	.text._ZN7rocprim17ROCPRIM_400000_NS6detail17trampoline_kernelINS0_14default_configENS1_33run_length_encode_config_selectorIN3c108BFloat16EjNS0_4plusIjEEEEZZNS1_33reduce_by_key_impl_wrapped_configILNS1_25lookback_scan_determinismE0ES3_S9_PKS6_NS0_17constant_iteratorIjlEEPS6_PlSH_S8_NS0_8equal_toIS6_EEEE10hipError_tPvRmT2_T3_mT4_T5_T6_T7_T8_P12ihipStream_tbENKUlT_T0_E_clISt17integral_constantIbLb1EES11_EEDaSW_SX_EUlSW_E_NS1_11comp_targetILNS1_3genE2ELNS1_11target_archE906ELNS1_3gpuE6ELNS1_3repE0EEENS1_30default_config_static_selectorELNS0_4arch9wavefront6targetE1EEEvT1_,"axG",@progbits,_ZN7rocprim17ROCPRIM_400000_NS6detail17trampoline_kernelINS0_14default_configENS1_33run_length_encode_config_selectorIN3c108BFloat16EjNS0_4plusIjEEEEZZNS1_33reduce_by_key_impl_wrapped_configILNS1_25lookback_scan_determinismE0ES3_S9_PKS6_NS0_17constant_iteratorIjlEEPS6_PlSH_S8_NS0_8equal_toIS6_EEEE10hipError_tPvRmT2_T3_mT4_T5_T6_T7_T8_P12ihipStream_tbENKUlT_T0_E_clISt17integral_constantIbLb1EES11_EEDaSW_SX_EUlSW_E_NS1_11comp_targetILNS1_3genE2ELNS1_11target_archE906ELNS1_3gpuE6ELNS1_3repE0EEENS1_30default_config_static_selectorELNS0_4arch9wavefront6targetE1EEEvT1_,comdat
.Lfunc_end869:
	.size	_ZN7rocprim17ROCPRIM_400000_NS6detail17trampoline_kernelINS0_14default_configENS1_33run_length_encode_config_selectorIN3c108BFloat16EjNS0_4plusIjEEEEZZNS1_33reduce_by_key_impl_wrapped_configILNS1_25lookback_scan_determinismE0ES3_S9_PKS6_NS0_17constant_iteratorIjlEEPS6_PlSH_S8_NS0_8equal_toIS6_EEEE10hipError_tPvRmT2_T3_mT4_T5_T6_T7_T8_P12ihipStream_tbENKUlT_T0_E_clISt17integral_constantIbLb1EES11_EEDaSW_SX_EUlSW_E_NS1_11comp_targetILNS1_3genE2ELNS1_11target_archE906ELNS1_3gpuE6ELNS1_3repE0EEENS1_30default_config_static_selectorELNS0_4arch9wavefront6targetE1EEEvT1_, .Lfunc_end869-_ZN7rocprim17ROCPRIM_400000_NS6detail17trampoline_kernelINS0_14default_configENS1_33run_length_encode_config_selectorIN3c108BFloat16EjNS0_4plusIjEEEEZZNS1_33reduce_by_key_impl_wrapped_configILNS1_25lookback_scan_determinismE0ES3_S9_PKS6_NS0_17constant_iteratorIjlEEPS6_PlSH_S8_NS0_8equal_toIS6_EEEE10hipError_tPvRmT2_T3_mT4_T5_T6_T7_T8_P12ihipStream_tbENKUlT_T0_E_clISt17integral_constantIbLb1EES11_EEDaSW_SX_EUlSW_E_NS1_11comp_targetILNS1_3genE2ELNS1_11target_archE906ELNS1_3gpuE6ELNS1_3repE0EEENS1_30default_config_static_selectorELNS0_4arch9wavefront6targetE1EEEvT1_
                                        ; -- End function
	.section	.AMDGPU.csdata,"",@progbits
; Kernel info:
; codeLenInByte = 0
; NumSgprs: 6
; NumVgprs: 0
; NumAgprs: 0
; TotalNumVgprs: 0
; ScratchSize: 0
; MemoryBound: 0
; FloatMode: 240
; IeeeMode: 1
; LDSByteSize: 0 bytes/workgroup (compile time only)
; SGPRBlocks: 0
; VGPRBlocks: 0
; NumSGPRsForWavesPerEU: 6
; NumVGPRsForWavesPerEU: 1
; AccumOffset: 4
; Occupancy: 8
; WaveLimiterHint : 0
; COMPUTE_PGM_RSRC2:SCRATCH_EN: 0
; COMPUTE_PGM_RSRC2:USER_SGPR: 2
; COMPUTE_PGM_RSRC2:TRAP_HANDLER: 0
; COMPUTE_PGM_RSRC2:TGID_X_EN: 1
; COMPUTE_PGM_RSRC2:TGID_Y_EN: 0
; COMPUTE_PGM_RSRC2:TGID_Z_EN: 0
; COMPUTE_PGM_RSRC2:TIDIG_COMP_CNT: 0
; COMPUTE_PGM_RSRC3_GFX90A:ACCUM_OFFSET: 0
; COMPUTE_PGM_RSRC3_GFX90A:TG_SPLIT: 0
	.section	.text._ZN7rocprim17ROCPRIM_400000_NS6detail17trampoline_kernelINS0_14default_configENS1_33run_length_encode_config_selectorIN3c108BFloat16EjNS0_4plusIjEEEEZZNS1_33reduce_by_key_impl_wrapped_configILNS1_25lookback_scan_determinismE0ES3_S9_PKS6_NS0_17constant_iteratorIjlEEPS6_PlSH_S8_NS0_8equal_toIS6_EEEE10hipError_tPvRmT2_T3_mT4_T5_T6_T7_T8_P12ihipStream_tbENKUlT_T0_E_clISt17integral_constantIbLb1EES11_EEDaSW_SX_EUlSW_E_NS1_11comp_targetILNS1_3genE10ELNS1_11target_archE1201ELNS1_3gpuE5ELNS1_3repE0EEENS1_30default_config_static_selectorELNS0_4arch9wavefront6targetE1EEEvT1_,"axG",@progbits,_ZN7rocprim17ROCPRIM_400000_NS6detail17trampoline_kernelINS0_14default_configENS1_33run_length_encode_config_selectorIN3c108BFloat16EjNS0_4plusIjEEEEZZNS1_33reduce_by_key_impl_wrapped_configILNS1_25lookback_scan_determinismE0ES3_S9_PKS6_NS0_17constant_iteratorIjlEEPS6_PlSH_S8_NS0_8equal_toIS6_EEEE10hipError_tPvRmT2_T3_mT4_T5_T6_T7_T8_P12ihipStream_tbENKUlT_T0_E_clISt17integral_constantIbLb1EES11_EEDaSW_SX_EUlSW_E_NS1_11comp_targetILNS1_3genE10ELNS1_11target_archE1201ELNS1_3gpuE5ELNS1_3repE0EEENS1_30default_config_static_selectorELNS0_4arch9wavefront6targetE1EEEvT1_,comdat
	.protected	_ZN7rocprim17ROCPRIM_400000_NS6detail17trampoline_kernelINS0_14default_configENS1_33run_length_encode_config_selectorIN3c108BFloat16EjNS0_4plusIjEEEEZZNS1_33reduce_by_key_impl_wrapped_configILNS1_25lookback_scan_determinismE0ES3_S9_PKS6_NS0_17constant_iteratorIjlEEPS6_PlSH_S8_NS0_8equal_toIS6_EEEE10hipError_tPvRmT2_T3_mT4_T5_T6_T7_T8_P12ihipStream_tbENKUlT_T0_E_clISt17integral_constantIbLb1EES11_EEDaSW_SX_EUlSW_E_NS1_11comp_targetILNS1_3genE10ELNS1_11target_archE1201ELNS1_3gpuE5ELNS1_3repE0EEENS1_30default_config_static_selectorELNS0_4arch9wavefront6targetE1EEEvT1_ ; -- Begin function _ZN7rocprim17ROCPRIM_400000_NS6detail17trampoline_kernelINS0_14default_configENS1_33run_length_encode_config_selectorIN3c108BFloat16EjNS0_4plusIjEEEEZZNS1_33reduce_by_key_impl_wrapped_configILNS1_25lookback_scan_determinismE0ES3_S9_PKS6_NS0_17constant_iteratorIjlEEPS6_PlSH_S8_NS0_8equal_toIS6_EEEE10hipError_tPvRmT2_T3_mT4_T5_T6_T7_T8_P12ihipStream_tbENKUlT_T0_E_clISt17integral_constantIbLb1EES11_EEDaSW_SX_EUlSW_E_NS1_11comp_targetILNS1_3genE10ELNS1_11target_archE1201ELNS1_3gpuE5ELNS1_3repE0EEENS1_30default_config_static_selectorELNS0_4arch9wavefront6targetE1EEEvT1_
	.globl	_ZN7rocprim17ROCPRIM_400000_NS6detail17trampoline_kernelINS0_14default_configENS1_33run_length_encode_config_selectorIN3c108BFloat16EjNS0_4plusIjEEEEZZNS1_33reduce_by_key_impl_wrapped_configILNS1_25lookback_scan_determinismE0ES3_S9_PKS6_NS0_17constant_iteratorIjlEEPS6_PlSH_S8_NS0_8equal_toIS6_EEEE10hipError_tPvRmT2_T3_mT4_T5_T6_T7_T8_P12ihipStream_tbENKUlT_T0_E_clISt17integral_constantIbLb1EES11_EEDaSW_SX_EUlSW_E_NS1_11comp_targetILNS1_3genE10ELNS1_11target_archE1201ELNS1_3gpuE5ELNS1_3repE0EEENS1_30default_config_static_selectorELNS0_4arch9wavefront6targetE1EEEvT1_
	.p2align	8
	.type	_ZN7rocprim17ROCPRIM_400000_NS6detail17trampoline_kernelINS0_14default_configENS1_33run_length_encode_config_selectorIN3c108BFloat16EjNS0_4plusIjEEEEZZNS1_33reduce_by_key_impl_wrapped_configILNS1_25lookback_scan_determinismE0ES3_S9_PKS6_NS0_17constant_iteratorIjlEEPS6_PlSH_S8_NS0_8equal_toIS6_EEEE10hipError_tPvRmT2_T3_mT4_T5_T6_T7_T8_P12ihipStream_tbENKUlT_T0_E_clISt17integral_constantIbLb1EES11_EEDaSW_SX_EUlSW_E_NS1_11comp_targetILNS1_3genE10ELNS1_11target_archE1201ELNS1_3gpuE5ELNS1_3repE0EEENS1_30default_config_static_selectorELNS0_4arch9wavefront6targetE1EEEvT1_,@function
_ZN7rocprim17ROCPRIM_400000_NS6detail17trampoline_kernelINS0_14default_configENS1_33run_length_encode_config_selectorIN3c108BFloat16EjNS0_4plusIjEEEEZZNS1_33reduce_by_key_impl_wrapped_configILNS1_25lookback_scan_determinismE0ES3_S9_PKS6_NS0_17constant_iteratorIjlEEPS6_PlSH_S8_NS0_8equal_toIS6_EEEE10hipError_tPvRmT2_T3_mT4_T5_T6_T7_T8_P12ihipStream_tbENKUlT_T0_E_clISt17integral_constantIbLb1EES11_EEDaSW_SX_EUlSW_E_NS1_11comp_targetILNS1_3genE10ELNS1_11target_archE1201ELNS1_3gpuE5ELNS1_3repE0EEENS1_30default_config_static_selectorELNS0_4arch9wavefront6targetE1EEEvT1_: ; @_ZN7rocprim17ROCPRIM_400000_NS6detail17trampoline_kernelINS0_14default_configENS1_33run_length_encode_config_selectorIN3c108BFloat16EjNS0_4plusIjEEEEZZNS1_33reduce_by_key_impl_wrapped_configILNS1_25lookback_scan_determinismE0ES3_S9_PKS6_NS0_17constant_iteratorIjlEEPS6_PlSH_S8_NS0_8equal_toIS6_EEEE10hipError_tPvRmT2_T3_mT4_T5_T6_T7_T8_P12ihipStream_tbENKUlT_T0_E_clISt17integral_constantIbLb1EES11_EEDaSW_SX_EUlSW_E_NS1_11comp_targetILNS1_3genE10ELNS1_11target_archE1201ELNS1_3gpuE5ELNS1_3repE0EEENS1_30default_config_static_selectorELNS0_4arch9wavefront6targetE1EEEvT1_
; %bb.0:
	.section	.rodata,"a",@progbits
	.p2align	6, 0x0
	.amdhsa_kernel _ZN7rocprim17ROCPRIM_400000_NS6detail17trampoline_kernelINS0_14default_configENS1_33run_length_encode_config_selectorIN3c108BFloat16EjNS0_4plusIjEEEEZZNS1_33reduce_by_key_impl_wrapped_configILNS1_25lookback_scan_determinismE0ES3_S9_PKS6_NS0_17constant_iteratorIjlEEPS6_PlSH_S8_NS0_8equal_toIS6_EEEE10hipError_tPvRmT2_T3_mT4_T5_T6_T7_T8_P12ihipStream_tbENKUlT_T0_E_clISt17integral_constantIbLb1EES11_EEDaSW_SX_EUlSW_E_NS1_11comp_targetILNS1_3genE10ELNS1_11target_archE1201ELNS1_3gpuE5ELNS1_3repE0EEENS1_30default_config_static_selectorELNS0_4arch9wavefront6targetE1EEEvT1_
		.amdhsa_group_segment_fixed_size 0
		.amdhsa_private_segment_fixed_size 0
		.amdhsa_kernarg_size 128
		.amdhsa_user_sgpr_count 2
		.amdhsa_user_sgpr_dispatch_ptr 0
		.amdhsa_user_sgpr_queue_ptr 0
		.amdhsa_user_sgpr_kernarg_segment_ptr 1
		.amdhsa_user_sgpr_dispatch_id 0
		.amdhsa_user_sgpr_kernarg_preload_length 0
		.amdhsa_user_sgpr_kernarg_preload_offset 0
		.amdhsa_user_sgpr_private_segment_size 0
		.amdhsa_uses_dynamic_stack 0
		.amdhsa_enable_private_segment 0
		.amdhsa_system_sgpr_workgroup_id_x 1
		.amdhsa_system_sgpr_workgroup_id_y 0
		.amdhsa_system_sgpr_workgroup_id_z 0
		.amdhsa_system_sgpr_workgroup_info 0
		.amdhsa_system_vgpr_workitem_id 0
		.amdhsa_next_free_vgpr 1
		.amdhsa_next_free_sgpr 0
		.amdhsa_accum_offset 4
		.amdhsa_reserve_vcc 0
		.amdhsa_float_round_mode_32 0
		.amdhsa_float_round_mode_16_64 0
		.amdhsa_float_denorm_mode_32 3
		.amdhsa_float_denorm_mode_16_64 3
		.amdhsa_dx10_clamp 1
		.amdhsa_ieee_mode 1
		.amdhsa_fp16_overflow 0
		.amdhsa_tg_split 0
		.amdhsa_exception_fp_ieee_invalid_op 0
		.amdhsa_exception_fp_denorm_src 0
		.amdhsa_exception_fp_ieee_div_zero 0
		.amdhsa_exception_fp_ieee_overflow 0
		.amdhsa_exception_fp_ieee_underflow 0
		.amdhsa_exception_fp_ieee_inexact 0
		.amdhsa_exception_int_div_zero 0
	.end_amdhsa_kernel
	.section	.text._ZN7rocprim17ROCPRIM_400000_NS6detail17trampoline_kernelINS0_14default_configENS1_33run_length_encode_config_selectorIN3c108BFloat16EjNS0_4plusIjEEEEZZNS1_33reduce_by_key_impl_wrapped_configILNS1_25lookback_scan_determinismE0ES3_S9_PKS6_NS0_17constant_iteratorIjlEEPS6_PlSH_S8_NS0_8equal_toIS6_EEEE10hipError_tPvRmT2_T3_mT4_T5_T6_T7_T8_P12ihipStream_tbENKUlT_T0_E_clISt17integral_constantIbLb1EES11_EEDaSW_SX_EUlSW_E_NS1_11comp_targetILNS1_3genE10ELNS1_11target_archE1201ELNS1_3gpuE5ELNS1_3repE0EEENS1_30default_config_static_selectorELNS0_4arch9wavefront6targetE1EEEvT1_,"axG",@progbits,_ZN7rocprim17ROCPRIM_400000_NS6detail17trampoline_kernelINS0_14default_configENS1_33run_length_encode_config_selectorIN3c108BFloat16EjNS0_4plusIjEEEEZZNS1_33reduce_by_key_impl_wrapped_configILNS1_25lookback_scan_determinismE0ES3_S9_PKS6_NS0_17constant_iteratorIjlEEPS6_PlSH_S8_NS0_8equal_toIS6_EEEE10hipError_tPvRmT2_T3_mT4_T5_T6_T7_T8_P12ihipStream_tbENKUlT_T0_E_clISt17integral_constantIbLb1EES11_EEDaSW_SX_EUlSW_E_NS1_11comp_targetILNS1_3genE10ELNS1_11target_archE1201ELNS1_3gpuE5ELNS1_3repE0EEENS1_30default_config_static_selectorELNS0_4arch9wavefront6targetE1EEEvT1_,comdat
.Lfunc_end870:
	.size	_ZN7rocprim17ROCPRIM_400000_NS6detail17trampoline_kernelINS0_14default_configENS1_33run_length_encode_config_selectorIN3c108BFloat16EjNS0_4plusIjEEEEZZNS1_33reduce_by_key_impl_wrapped_configILNS1_25lookback_scan_determinismE0ES3_S9_PKS6_NS0_17constant_iteratorIjlEEPS6_PlSH_S8_NS0_8equal_toIS6_EEEE10hipError_tPvRmT2_T3_mT4_T5_T6_T7_T8_P12ihipStream_tbENKUlT_T0_E_clISt17integral_constantIbLb1EES11_EEDaSW_SX_EUlSW_E_NS1_11comp_targetILNS1_3genE10ELNS1_11target_archE1201ELNS1_3gpuE5ELNS1_3repE0EEENS1_30default_config_static_selectorELNS0_4arch9wavefront6targetE1EEEvT1_, .Lfunc_end870-_ZN7rocprim17ROCPRIM_400000_NS6detail17trampoline_kernelINS0_14default_configENS1_33run_length_encode_config_selectorIN3c108BFloat16EjNS0_4plusIjEEEEZZNS1_33reduce_by_key_impl_wrapped_configILNS1_25lookback_scan_determinismE0ES3_S9_PKS6_NS0_17constant_iteratorIjlEEPS6_PlSH_S8_NS0_8equal_toIS6_EEEE10hipError_tPvRmT2_T3_mT4_T5_T6_T7_T8_P12ihipStream_tbENKUlT_T0_E_clISt17integral_constantIbLb1EES11_EEDaSW_SX_EUlSW_E_NS1_11comp_targetILNS1_3genE10ELNS1_11target_archE1201ELNS1_3gpuE5ELNS1_3repE0EEENS1_30default_config_static_selectorELNS0_4arch9wavefront6targetE1EEEvT1_
                                        ; -- End function
	.section	.AMDGPU.csdata,"",@progbits
; Kernel info:
; codeLenInByte = 0
; NumSgprs: 6
; NumVgprs: 0
; NumAgprs: 0
; TotalNumVgprs: 0
; ScratchSize: 0
; MemoryBound: 0
; FloatMode: 240
; IeeeMode: 1
; LDSByteSize: 0 bytes/workgroup (compile time only)
; SGPRBlocks: 0
; VGPRBlocks: 0
; NumSGPRsForWavesPerEU: 6
; NumVGPRsForWavesPerEU: 1
; AccumOffset: 4
; Occupancy: 8
; WaveLimiterHint : 0
; COMPUTE_PGM_RSRC2:SCRATCH_EN: 0
; COMPUTE_PGM_RSRC2:USER_SGPR: 2
; COMPUTE_PGM_RSRC2:TRAP_HANDLER: 0
; COMPUTE_PGM_RSRC2:TGID_X_EN: 1
; COMPUTE_PGM_RSRC2:TGID_Y_EN: 0
; COMPUTE_PGM_RSRC2:TGID_Z_EN: 0
; COMPUTE_PGM_RSRC2:TIDIG_COMP_CNT: 0
; COMPUTE_PGM_RSRC3_GFX90A:ACCUM_OFFSET: 0
; COMPUTE_PGM_RSRC3_GFX90A:TG_SPLIT: 0
	.section	.text._ZN7rocprim17ROCPRIM_400000_NS6detail17trampoline_kernelINS0_14default_configENS1_33run_length_encode_config_selectorIN3c108BFloat16EjNS0_4plusIjEEEEZZNS1_33reduce_by_key_impl_wrapped_configILNS1_25lookback_scan_determinismE0ES3_S9_PKS6_NS0_17constant_iteratorIjlEEPS6_PlSH_S8_NS0_8equal_toIS6_EEEE10hipError_tPvRmT2_T3_mT4_T5_T6_T7_T8_P12ihipStream_tbENKUlT_T0_E_clISt17integral_constantIbLb1EES11_EEDaSW_SX_EUlSW_E_NS1_11comp_targetILNS1_3genE10ELNS1_11target_archE1200ELNS1_3gpuE4ELNS1_3repE0EEENS1_30default_config_static_selectorELNS0_4arch9wavefront6targetE1EEEvT1_,"axG",@progbits,_ZN7rocprim17ROCPRIM_400000_NS6detail17trampoline_kernelINS0_14default_configENS1_33run_length_encode_config_selectorIN3c108BFloat16EjNS0_4plusIjEEEEZZNS1_33reduce_by_key_impl_wrapped_configILNS1_25lookback_scan_determinismE0ES3_S9_PKS6_NS0_17constant_iteratorIjlEEPS6_PlSH_S8_NS0_8equal_toIS6_EEEE10hipError_tPvRmT2_T3_mT4_T5_T6_T7_T8_P12ihipStream_tbENKUlT_T0_E_clISt17integral_constantIbLb1EES11_EEDaSW_SX_EUlSW_E_NS1_11comp_targetILNS1_3genE10ELNS1_11target_archE1200ELNS1_3gpuE4ELNS1_3repE0EEENS1_30default_config_static_selectorELNS0_4arch9wavefront6targetE1EEEvT1_,comdat
	.protected	_ZN7rocprim17ROCPRIM_400000_NS6detail17trampoline_kernelINS0_14default_configENS1_33run_length_encode_config_selectorIN3c108BFloat16EjNS0_4plusIjEEEEZZNS1_33reduce_by_key_impl_wrapped_configILNS1_25lookback_scan_determinismE0ES3_S9_PKS6_NS0_17constant_iteratorIjlEEPS6_PlSH_S8_NS0_8equal_toIS6_EEEE10hipError_tPvRmT2_T3_mT4_T5_T6_T7_T8_P12ihipStream_tbENKUlT_T0_E_clISt17integral_constantIbLb1EES11_EEDaSW_SX_EUlSW_E_NS1_11comp_targetILNS1_3genE10ELNS1_11target_archE1200ELNS1_3gpuE4ELNS1_3repE0EEENS1_30default_config_static_selectorELNS0_4arch9wavefront6targetE1EEEvT1_ ; -- Begin function _ZN7rocprim17ROCPRIM_400000_NS6detail17trampoline_kernelINS0_14default_configENS1_33run_length_encode_config_selectorIN3c108BFloat16EjNS0_4plusIjEEEEZZNS1_33reduce_by_key_impl_wrapped_configILNS1_25lookback_scan_determinismE0ES3_S9_PKS6_NS0_17constant_iteratorIjlEEPS6_PlSH_S8_NS0_8equal_toIS6_EEEE10hipError_tPvRmT2_T3_mT4_T5_T6_T7_T8_P12ihipStream_tbENKUlT_T0_E_clISt17integral_constantIbLb1EES11_EEDaSW_SX_EUlSW_E_NS1_11comp_targetILNS1_3genE10ELNS1_11target_archE1200ELNS1_3gpuE4ELNS1_3repE0EEENS1_30default_config_static_selectorELNS0_4arch9wavefront6targetE1EEEvT1_
	.globl	_ZN7rocprim17ROCPRIM_400000_NS6detail17trampoline_kernelINS0_14default_configENS1_33run_length_encode_config_selectorIN3c108BFloat16EjNS0_4plusIjEEEEZZNS1_33reduce_by_key_impl_wrapped_configILNS1_25lookback_scan_determinismE0ES3_S9_PKS6_NS0_17constant_iteratorIjlEEPS6_PlSH_S8_NS0_8equal_toIS6_EEEE10hipError_tPvRmT2_T3_mT4_T5_T6_T7_T8_P12ihipStream_tbENKUlT_T0_E_clISt17integral_constantIbLb1EES11_EEDaSW_SX_EUlSW_E_NS1_11comp_targetILNS1_3genE10ELNS1_11target_archE1200ELNS1_3gpuE4ELNS1_3repE0EEENS1_30default_config_static_selectorELNS0_4arch9wavefront6targetE1EEEvT1_
	.p2align	8
	.type	_ZN7rocprim17ROCPRIM_400000_NS6detail17trampoline_kernelINS0_14default_configENS1_33run_length_encode_config_selectorIN3c108BFloat16EjNS0_4plusIjEEEEZZNS1_33reduce_by_key_impl_wrapped_configILNS1_25lookback_scan_determinismE0ES3_S9_PKS6_NS0_17constant_iteratorIjlEEPS6_PlSH_S8_NS0_8equal_toIS6_EEEE10hipError_tPvRmT2_T3_mT4_T5_T6_T7_T8_P12ihipStream_tbENKUlT_T0_E_clISt17integral_constantIbLb1EES11_EEDaSW_SX_EUlSW_E_NS1_11comp_targetILNS1_3genE10ELNS1_11target_archE1200ELNS1_3gpuE4ELNS1_3repE0EEENS1_30default_config_static_selectorELNS0_4arch9wavefront6targetE1EEEvT1_,@function
_ZN7rocprim17ROCPRIM_400000_NS6detail17trampoline_kernelINS0_14default_configENS1_33run_length_encode_config_selectorIN3c108BFloat16EjNS0_4plusIjEEEEZZNS1_33reduce_by_key_impl_wrapped_configILNS1_25lookback_scan_determinismE0ES3_S9_PKS6_NS0_17constant_iteratorIjlEEPS6_PlSH_S8_NS0_8equal_toIS6_EEEE10hipError_tPvRmT2_T3_mT4_T5_T6_T7_T8_P12ihipStream_tbENKUlT_T0_E_clISt17integral_constantIbLb1EES11_EEDaSW_SX_EUlSW_E_NS1_11comp_targetILNS1_3genE10ELNS1_11target_archE1200ELNS1_3gpuE4ELNS1_3repE0EEENS1_30default_config_static_selectorELNS0_4arch9wavefront6targetE1EEEvT1_: ; @_ZN7rocprim17ROCPRIM_400000_NS6detail17trampoline_kernelINS0_14default_configENS1_33run_length_encode_config_selectorIN3c108BFloat16EjNS0_4plusIjEEEEZZNS1_33reduce_by_key_impl_wrapped_configILNS1_25lookback_scan_determinismE0ES3_S9_PKS6_NS0_17constant_iteratorIjlEEPS6_PlSH_S8_NS0_8equal_toIS6_EEEE10hipError_tPvRmT2_T3_mT4_T5_T6_T7_T8_P12ihipStream_tbENKUlT_T0_E_clISt17integral_constantIbLb1EES11_EEDaSW_SX_EUlSW_E_NS1_11comp_targetILNS1_3genE10ELNS1_11target_archE1200ELNS1_3gpuE4ELNS1_3repE0EEENS1_30default_config_static_selectorELNS0_4arch9wavefront6targetE1EEEvT1_
; %bb.0:
	.section	.rodata,"a",@progbits
	.p2align	6, 0x0
	.amdhsa_kernel _ZN7rocprim17ROCPRIM_400000_NS6detail17trampoline_kernelINS0_14default_configENS1_33run_length_encode_config_selectorIN3c108BFloat16EjNS0_4plusIjEEEEZZNS1_33reduce_by_key_impl_wrapped_configILNS1_25lookback_scan_determinismE0ES3_S9_PKS6_NS0_17constant_iteratorIjlEEPS6_PlSH_S8_NS0_8equal_toIS6_EEEE10hipError_tPvRmT2_T3_mT4_T5_T6_T7_T8_P12ihipStream_tbENKUlT_T0_E_clISt17integral_constantIbLb1EES11_EEDaSW_SX_EUlSW_E_NS1_11comp_targetILNS1_3genE10ELNS1_11target_archE1200ELNS1_3gpuE4ELNS1_3repE0EEENS1_30default_config_static_selectorELNS0_4arch9wavefront6targetE1EEEvT1_
		.amdhsa_group_segment_fixed_size 0
		.amdhsa_private_segment_fixed_size 0
		.amdhsa_kernarg_size 128
		.amdhsa_user_sgpr_count 2
		.amdhsa_user_sgpr_dispatch_ptr 0
		.amdhsa_user_sgpr_queue_ptr 0
		.amdhsa_user_sgpr_kernarg_segment_ptr 1
		.amdhsa_user_sgpr_dispatch_id 0
		.amdhsa_user_sgpr_kernarg_preload_length 0
		.amdhsa_user_sgpr_kernarg_preload_offset 0
		.amdhsa_user_sgpr_private_segment_size 0
		.amdhsa_uses_dynamic_stack 0
		.amdhsa_enable_private_segment 0
		.amdhsa_system_sgpr_workgroup_id_x 1
		.amdhsa_system_sgpr_workgroup_id_y 0
		.amdhsa_system_sgpr_workgroup_id_z 0
		.amdhsa_system_sgpr_workgroup_info 0
		.amdhsa_system_vgpr_workitem_id 0
		.amdhsa_next_free_vgpr 1
		.amdhsa_next_free_sgpr 0
		.amdhsa_accum_offset 4
		.amdhsa_reserve_vcc 0
		.amdhsa_float_round_mode_32 0
		.amdhsa_float_round_mode_16_64 0
		.amdhsa_float_denorm_mode_32 3
		.amdhsa_float_denorm_mode_16_64 3
		.amdhsa_dx10_clamp 1
		.amdhsa_ieee_mode 1
		.amdhsa_fp16_overflow 0
		.amdhsa_tg_split 0
		.amdhsa_exception_fp_ieee_invalid_op 0
		.amdhsa_exception_fp_denorm_src 0
		.amdhsa_exception_fp_ieee_div_zero 0
		.amdhsa_exception_fp_ieee_overflow 0
		.amdhsa_exception_fp_ieee_underflow 0
		.amdhsa_exception_fp_ieee_inexact 0
		.amdhsa_exception_int_div_zero 0
	.end_amdhsa_kernel
	.section	.text._ZN7rocprim17ROCPRIM_400000_NS6detail17trampoline_kernelINS0_14default_configENS1_33run_length_encode_config_selectorIN3c108BFloat16EjNS0_4plusIjEEEEZZNS1_33reduce_by_key_impl_wrapped_configILNS1_25lookback_scan_determinismE0ES3_S9_PKS6_NS0_17constant_iteratorIjlEEPS6_PlSH_S8_NS0_8equal_toIS6_EEEE10hipError_tPvRmT2_T3_mT4_T5_T6_T7_T8_P12ihipStream_tbENKUlT_T0_E_clISt17integral_constantIbLb1EES11_EEDaSW_SX_EUlSW_E_NS1_11comp_targetILNS1_3genE10ELNS1_11target_archE1200ELNS1_3gpuE4ELNS1_3repE0EEENS1_30default_config_static_selectorELNS0_4arch9wavefront6targetE1EEEvT1_,"axG",@progbits,_ZN7rocprim17ROCPRIM_400000_NS6detail17trampoline_kernelINS0_14default_configENS1_33run_length_encode_config_selectorIN3c108BFloat16EjNS0_4plusIjEEEEZZNS1_33reduce_by_key_impl_wrapped_configILNS1_25lookback_scan_determinismE0ES3_S9_PKS6_NS0_17constant_iteratorIjlEEPS6_PlSH_S8_NS0_8equal_toIS6_EEEE10hipError_tPvRmT2_T3_mT4_T5_T6_T7_T8_P12ihipStream_tbENKUlT_T0_E_clISt17integral_constantIbLb1EES11_EEDaSW_SX_EUlSW_E_NS1_11comp_targetILNS1_3genE10ELNS1_11target_archE1200ELNS1_3gpuE4ELNS1_3repE0EEENS1_30default_config_static_selectorELNS0_4arch9wavefront6targetE1EEEvT1_,comdat
.Lfunc_end871:
	.size	_ZN7rocprim17ROCPRIM_400000_NS6detail17trampoline_kernelINS0_14default_configENS1_33run_length_encode_config_selectorIN3c108BFloat16EjNS0_4plusIjEEEEZZNS1_33reduce_by_key_impl_wrapped_configILNS1_25lookback_scan_determinismE0ES3_S9_PKS6_NS0_17constant_iteratorIjlEEPS6_PlSH_S8_NS0_8equal_toIS6_EEEE10hipError_tPvRmT2_T3_mT4_T5_T6_T7_T8_P12ihipStream_tbENKUlT_T0_E_clISt17integral_constantIbLb1EES11_EEDaSW_SX_EUlSW_E_NS1_11comp_targetILNS1_3genE10ELNS1_11target_archE1200ELNS1_3gpuE4ELNS1_3repE0EEENS1_30default_config_static_selectorELNS0_4arch9wavefront6targetE1EEEvT1_, .Lfunc_end871-_ZN7rocprim17ROCPRIM_400000_NS6detail17trampoline_kernelINS0_14default_configENS1_33run_length_encode_config_selectorIN3c108BFloat16EjNS0_4plusIjEEEEZZNS1_33reduce_by_key_impl_wrapped_configILNS1_25lookback_scan_determinismE0ES3_S9_PKS6_NS0_17constant_iteratorIjlEEPS6_PlSH_S8_NS0_8equal_toIS6_EEEE10hipError_tPvRmT2_T3_mT4_T5_T6_T7_T8_P12ihipStream_tbENKUlT_T0_E_clISt17integral_constantIbLb1EES11_EEDaSW_SX_EUlSW_E_NS1_11comp_targetILNS1_3genE10ELNS1_11target_archE1200ELNS1_3gpuE4ELNS1_3repE0EEENS1_30default_config_static_selectorELNS0_4arch9wavefront6targetE1EEEvT1_
                                        ; -- End function
	.section	.AMDGPU.csdata,"",@progbits
; Kernel info:
; codeLenInByte = 0
; NumSgprs: 6
; NumVgprs: 0
; NumAgprs: 0
; TotalNumVgprs: 0
; ScratchSize: 0
; MemoryBound: 0
; FloatMode: 240
; IeeeMode: 1
; LDSByteSize: 0 bytes/workgroup (compile time only)
; SGPRBlocks: 0
; VGPRBlocks: 0
; NumSGPRsForWavesPerEU: 6
; NumVGPRsForWavesPerEU: 1
; AccumOffset: 4
; Occupancy: 8
; WaveLimiterHint : 0
; COMPUTE_PGM_RSRC2:SCRATCH_EN: 0
; COMPUTE_PGM_RSRC2:USER_SGPR: 2
; COMPUTE_PGM_RSRC2:TRAP_HANDLER: 0
; COMPUTE_PGM_RSRC2:TGID_X_EN: 1
; COMPUTE_PGM_RSRC2:TGID_Y_EN: 0
; COMPUTE_PGM_RSRC2:TGID_Z_EN: 0
; COMPUTE_PGM_RSRC2:TIDIG_COMP_CNT: 0
; COMPUTE_PGM_RSRC3_GFX90A:ACCUM_OFFSET: 0
; COMPUTE_PGM_RSRC3_GFX90A:TG_SPLIT: 0
	.section	.text._ZN7rocprim17ROCPRIM_400000_NS6detail17trampoline_kernelINS0_14default_configENS1_33run_length_encode_config_selectorIN3c108BFloat16EjNS0_4plusIjEEEEZZNS1_33reduce_by_key_impl_wrapped_configILNS1_25lookback_scan_determinismE0ES3_S9_PKS6_NS0_17constant_iteratorIjlEEPS6_PlSH_S8_NS0_8equal_toIS6_EEEE10hipError_tPvRmT2_T3_mT4_T5_T6_T7_T8_P12ihipStream_tbENKUlT_T0_E_clISt17integral_constantIbLb1EES11_EEDaSW_SX_EUlSW_E_NS1_11comp_targetILNS1_3genE9ELNS1_11target_archE1100ELNS1_3gpuE3ELNS1_3repE0EEENS1_30default_config_static_selectorELNS0_4arch9wavefront6targetE1EEEvT1_,"axG",@progbits,_ZN7rocprim17ROCPRIM_400000_NS6detail17trampoline_kernelINS0_14default_configENS1_33run_length_encode_config_selectorIN3c108BFloat16EjNS0_4plusIjEEEEZZNS1_33reduce_by_key_impl_wrapped_configILNS1_25lookback_scan_determinismE0ES3_S9_PKS6_NS0_17constant_iteratorIjlEEPS6_PlSH_S8_NS0_8equal_toIS6_EEEE10hipError_tPvRmT2_T3_mT4_T5_T6_T7_T8_P12ihipStream_tbENKUlT_T0_E_clISt17integral_constantIbLb1EES11_EEDaSW_SX_EUlSW_E_NS1_11comp_targetILNS1_3genE9ELNS1_11target_archE1100ELNS1_3gpuE3ELNS1_3repE0EEENS1_30default_config_static_selectorELNS0_4arch9wavefront6targetE1EEEvT1_,comdat
	.protected	_ZN7rocprim17ROCPRIM_400000_NS6detail17trampoline_kernelINS0_14default_configENS1_33run_length_encode_config_selectorIN3c108BFloat16EjNS0_4plusIjEEEEZZNS1_33reduce_by_key_impl_wrapped_configILNS1_25lookback_scan_determinismE0ES3_S9_PKS6_NS0_17constant_iteratorIjlEEPS6_PlSH_S8_NS0_8equal_toIS6_EEEE10hipError_tPvRmT2_T3_mT4_T5_T6_T7_T8_P12ihipStream_tbENKUlT_T0_E_clISt17integral_constantIbLb1EES11_EEDaSW_SX_EUlSW_E_NS1_11comp_targetILNS1_3genE9ELNS1_11target_archE1100ELNS1_3gpuE3ELNS1_3repE0EEENS1_30default_config_static_selectorELNS0_4arch9wavefront6targetE1EEEvT1_ ; -- Begin function _ZN7rocprim17ROCPRIM_400000_NS6detail17trampoline_kernelINS0_14default_configENS1_33run_length_encode_config_selectorIN3c108BFloat16EjNS0_4plusIjEEEEZZNS1_33reduce_by_key_impl_wrapped_configILNS1_25lookback_scan_determinismE0ES3_S9_PKS6_NS0_17constant_iteratorIjlEEPS6_PlSH_S8_NS0_8equal_toIS6_EEEE10hipError_tPvRmT2_T3_mT4_T5_T6_T7_T8_P12ihipStream_tbENKUlT_T0_E_clISt17integral_constantIbLb1EES11_EEDaSW_SX_EUlSW_E_NS1_11comp_targetILNS1_3genE9ELNS1_11target_archE1100ELNS1_3gpuE3ELNS1_3repE0EEENS1_30default_config_static_selectorELNS0_4arch9wavefront6targetE1EEEvT1_
	.globl	_ZN7rocprim17ROCPRIM_400000_NS6detail17trampoline_kernelINS0_14default_configENS1_33run_length_encode_config_selectorIN3c108BFloat16EjNS0_4plusIjEEEEZZNS1_33reduce_by_key_impl_wrapped_configILNS1_25lookback_scan_determinismE0ES3_S9_PKS6_NS0_17constant_iteratorIjlEEPS6_PlSH_S8_NS0_8equal_toIS6_EEEE10hipError_tPvRmT2_T3_mT4_T5_T6_T7_T8_P12ihipStream_tbENKUlT_T0_E_clISt17integral_constantIbLb1EES11_EEDaSW_SX_EUlSW_E_NS1_11comp_targetILNS1_3genE9ELNS1_11target_archE1100ELNS1_3gpuE3ELNS1_3repE0EEENS1_30default_config_static_selectorELNS0_4arch9wavefront6targetE1EEEvT1_
	.p2align	8
	.type	_ZN7rocprim17ROCPRIM_400000_NS6detail17trampoline_kernelINS0_14default_configENS1_33run_length_encode_config_selectorIN3c108BFloat16EjNS0_4plusIjEEEEZZNS1_33reduce_by_key_impl_wrapped_configILNS1_25lookback_scan_determinismE0ES3_S9_PKS6_NS0_17constant_iteratorIjlEEPS6_PlSH_S8_NS0_8equal_toIS6_EEEE10hipError_tPvRmT2_T3_mT4_T5_T6_T7_T8_P12ihipStream_tbENKUlT_T0_E_clISt17integral_constantIbLb1EES11_EEDaSW_SX_EUlSW_E_NS1_11comp_targetILNS1_3genE9ELNS1_11target_archE1100ELNS1_3gpuE3ELNS1_3repE0EEENS1_30default_config_static_selectorELNS0_4arch9wavefront6targetE1EEEvT1_,@function
_ZN7rocprim17ROCPRIM_400000_NS6detail17trampoline_kernelINS0_14default_configENS1_33run_length_encode_config_selectorIN3c108BFloat16EjNS0_4plusIjEEEEZZNS1_33reduce_by_key_impl_wrapped_configILNS1_25lookback_scan_determinismE0ES3_S9_PKS6_NS0_17constant_iteratorIjlEEPS6_PlSH_S8_NS0_8equal_toIS6_EEEE10hipError_tPvRmT2_T3_mT4_T5_T6_T7_T8_P12ihipStream_tbENKUlT_T0_E_clISt17integral_constantIbLb1EES11_EEDaSW_SX_EUlSW_E_NS1_11comp_targetILNS1_3genE9ELNS1_11target_archE1100ELNS1_3gpuE3ELNS1_3repE0EEENS1_30default_config_static_selectorELNS0_4arch9wavefront6targetE1EEEvT1_: ; @_ZN7rocprim17ROCPRIM_400000_NS6detail17trampoline_kernelINS0_14default_configENS1_33run_length_encode_config_selectorIN3c108BFloat16EjNS0_4plusIjEEEEZZNS1_33reduce_by_key_impl_wrapped_configILNS1_25lookback_scan_determinismE0ES3_S9_PKS6_NS0_17constant_iteratorIjlEEPS6_PlSH_S8_NS0_8equal_toIS6_EEEE10hipError_tPvRmT2_T3_mT4_T5_T6_T7_T8_P12ihipStream_tbENKUlT_T0_E_clISt17integral_constantIbLb1EES11_EEDaSW_SX_EUlSW_E_NS1_11comp_targetILNS1_3genE9ELNS1_11target_archE1100ELNS1_3gpuE3ELNS1_3repE0EEENS1_30default_config_static_selectorELNS0_4arch9wavefront6targetE1EEEvT1_
; %bb.0:
	.section	.rodata,"a",@progbits
	.p2align	6, 0x0
	.amdhsa_kernel _ZN7rocprim17ROCPRIM_400000_NS6detail17trampoline_kernelINS0_14default_configENS1_33run_length_encode_config_selectorIN3c108BFloat16EjNS0_4plusIjEEEEZZNS1_33reduce_by_key_impl_wrapped_configILNS1_25lookback_scan_determinismE0ES3_S9_PKS6_NS0_17constant_iteratorIjlEEPS6_PlSH_S8_NS0_8equal_toIS6_EEEE10hipError_tPvRmT2_T3_mT4_T5_T6_T7_T8_P12ihipStream_tbENKUlT_T0_E_clISt17integral_constantIbLb1EES11_EEDaSW_SX_EUlSW_E_NS1_11comp_targetILNS1_3genE9ELNS1_11target_archE1100ELNS1_3gpuE3ELNS1_3repE0EEENS1_30default_config_static_selectorELNS0_4arch9wavefront6targetE1EEEvT1_
		.amdhsa_group_segment_fixed_size 0
		.amdhsa_private_segment_fixed_size 0
		.amdhsa_kernarg_size 128
		.amdhsa_user_sgpr_count 2
		.amdhsa_user_sgpr_dispatch_ptr 0
		.amdhsa_user_sgpr_queue_ptr 0
		.amdhsa_user_sgpr_kernarg_segment_ptr 1
		.amdhsa_user_sgpr_dispatch_id 0
		.amdhsa_user_sgpr_kernarg_preload_length 0
		.amdhsa_user_sgpr_kernarg_preload_offset 0
		.amdhsa_user_sgpr_private_segment_size 0
		.amdhsa_uses_dynamic_stack 0
		.amdhsa_enable_private_segment 0
		.amdhsa_system_sgpr_workgroup_id_x 1
		.amdhsa_system_sgpr_workgroup_id_y 0
		.amdhsa_system_sgpr_workgroup_id_z 0
		.amdhsa_system_sgpr_workgroup_info 0
		.amdhsa_system_vgpr_workitem_id 0
		.amdhsa_next_free_vgpr 1
		.amdhsa_next_free_sgpr 0
		.amdhsa_accum_offset 4
		.amdhsa_reserve_vcc 0
		.amdhsa_float_round_mode_32 0
		.amdhsa_float_round_mode_16_64 0
		.amdhsa_float_denorm_mode_32 3
		.amdhsa_float_denorm_mode_16_64 3
		.amdhsa_dx10_clamp 1
		.amdhsa_ieee_mode 1
		.amdhsa_fp16_overflow 0
		.amdhsa_tg_split 0
		.amdhsa_exception_fp_ieee_invalid_op 0
		.amdhsa_exception_fp_denorm_src 0
		.amdhsa_exception_fp_ieee_div_zero 0
		.amdhsa_exception_fp_ieee_overflow 0
		.amdhsa_exception_fp_ieee_underflow 0
		.amdhsa_exception_fp_ieee_inexact 0
		.amdhsa_exception_int_div_zero 0
	.end_amdhsa_kernel
	.section	.text._ZN7rocprim17ROCPRIM_400000_NS6detail17trampoline_kernelINS0_14default_configENS1_33run_length_encode_config_selectorIN3c108BFloat16EjNS0_4plusIjEEEEZZNS1_33reduce_by_key_impl_wrapped_configILNS1_25lookback_scan_determinismE0ES3_S9_PKS6_NS0_17constant_iteratorIjlEEPS6_PlSH_S8_NS0_8equal_toIS6_EEEE10hipError_tPvRmT2_T3_mT4_T5_T6_T7_T8_P12ihipStream_tbENKUlT_T0_E_clISt17integral_constantIbLb1EES11_EEDaSW_SX_EUlSW_E_NS1_11comp_targetILNS1_3genE9ELNS1_11target_archE1100ELNS1_3gpuE3ELNS1_3repE0EEENS1_30default_config_static_selectorELNS0_4arch9wavefront6targetE1EEEvT1_,"axG",@progbits,_ZN7rocprim17ROCPRIM_400000_NS6detail17trampoline_kernelINS0_14default_configENS1_33run_length_encode_config_selectorIN3c108BFloat16EjNS0_4plusIjEEEEZZNS1_33reduce_by_key_impl_wrapped_configILNS1_25lookback_scan_determinismE0ES3_S9_PKS6_NS0_17constant_iteratorIjlEEPS6_PlSH_S8_NS0_8equal_toIS6_EEEE10hipError_tPvRmT2_T3_mT4_T5_T6_T7_T8_P12ihipStream_tbENKUlT_T0_E_clISt17integral_constantIbLb1EES11_EEDaSW_SX_EUlSW_E_NS1_11comp_targetILNS1_3genE9ELNS1_11target_archE1100ELNS1_3gpuE3ELNS1_3repE0EEENS1_30default_config_static_selectorELNS0_4arch9wavefront6targetE1EEEvT1_,comdat
.Lfunc_end872:
	.size	_ZN7rocprim17ROCPRIM_400000_NS6detail17trampoline_kernelINS0_14default_configENS1_33run_length_encode_config_selectorIN3c108BFloat16EjNS0_4plusIjEEEEZZNS1_33reduce_by_key_impl_wrapped_configILNS1_25lookback_scan_determinismE0ES3_S9_PKS6_NS0_17constant_iteratorIjlEEPS6_PlSH_S8_NS0_8equal_toIS6_EEEE10hipError_tPvRmT2_T3_mT4_T5_T6_T7_T8_P12ihipStream_tbENKUlT_T0_E_clISt17integral_constantIbLb1EES11_EEDaSW_SX_EUlSW_E_NS1_11comp_targetILNS1_3genE9ELNS1_11target_archE1100ELNS1_3gpuE3ELNS1_3repE0EEENS1_30default_config_static_selectorELNS0_4arch9wavefront6targetE1EEEvT1_, .Lfunc_end872-_ZN7rocprim17ROCPRIM_400000_NS6detail17trampoline_kernelINS0_14default_configENS1_33run_length_encode_config_selectorIN3c108BFloat16EjNS0_4plusIjEEEEZZNS1_33reduce_by_key_impl_wrapped_configILNS1_25lookback_scan_determinismE0ES3_S9_PKS6_NS0_17constant_iteratorIjlEEPS6_PlSH_S8_NS0_8equal_toIS6_EEEE10hipError_tPvRmT2_T3_mT4_T5_T6_T7_T8_P12ihipStream_tbENKUlT_T0_E_clISt17integral_constantIbLb1EES11_EEDaSW_SX_EUlSW_E_NS1_11comp_targetILNS1_3genE9ELNS1_11target_archE1100ELNS1_3gpuE3ELNS1_3repE0EEENS1_30default_config_static_selectorELNS0_4arch9wavefront6targetE1EEEvT1_
                                        ; -- End function
	.section	.AMDGPU.csdata,"",@progbits
; Kernel info:
; codeLenInByte = 0
; NumSgprs: 6
; NumVgprs: 0
; NumAgprs: 0
; TotalNumVgprs: 0
; ScratchSize: 0
; MemoryBound: 0
; FloatMode: 240
; IeeeMode: 1
; LDSByteSize: 0 bytes/workgroup (compile time only)
; SGPRBlocks: 0
; VGPRBlocks: 0
; NumSGPRsForWavesPerEU: 6
; NumVGPRsForWavesPerEU: 1
; AccumOffset: 4
; Occupancy: 8
; WaveLimiterHint : 0
; COMPUTE_PGM_RSRC2:SCRATCH_EN: 0
; COMPUTE_PGM_RSRC2:USER_SGPR: 2
; COMPUTE_PGM_RSRC2:TRAP_HANDLER: 0
; COMPUTE_PGM_RSRC2:TGID_X_EN: 1
; COMPUTE_PGM_RSRC2:TGID_Y_EN: 0
; COMPUTE_PGM_RSRC2:TGID_Z_EN: 0
; COMPUTE_PGM_RSRC2:TIDIG_COMP_CNT: 0
; COMPUTE_PGM_RSRC3_GFX90A:ACCUM_OFFSET: 0
; COMPUTE_PGM_RSRC3_GFX90A:TG_SPLIT: 0
	.section	.text._ZN7rocprim17ROCPRIM_400000_NS6detail17trampoline_kernelINS0_14default_configENS1_33run_length_encode_config_selectorIN3c108BFloat16EjNS0_4plusIjEEEEZZNS1_33reduce_by_key_impl_wrapped_configILNS1_25lookback_scan_determinismE0ES3_S9_PKS6_NS0_17constant_iteratorIjlEEPS6_PlSH_S8_NS0_8equal_toIS6_EEEE10hipError_tPvRmT2_T3_mT4_T5_T6_T7_T8_P12ihipStream_tbENKUlT_T0_E_clISt17integral_constantIbLb1EES11_EEDaSW_SX_EUlSW_E_NS1_11comp_targetILNS1_3genE8ELNS1_11target_archE1030ELNS1_3gpuE2ELNS1_3repE0EEENS1_30default_config_static_selectorELNS0_4arch9wavefront6targetE1EEEvT1_,"axG",@progbits,_ZN7rocprim17ROCPRIM_400000_NS6detail17trampoline_kernelINS0_14default_configENS1_33run_length_encode_config_selectorIN3c108BFloat16EjNS0_4plusIjEEEEZZNS1_33reduce_by_key_impl_wrapped_configILNS1_25lookback_scan_determinismE0ES3_S9_PKS6_NS0_17constant_iteratorIjlEEPS6_PlSH_S8_NS0_8equal_toIS6_EEEE10hipError_tPvRmT2_T3_mT4_T5_T6_T7_T8_P12ihipStream_tbENKUlT_T0_E_clISt17integral_constantIbLb1EES11_EEDaSW_SX_EUlSW_E_NS1_11comp_targetILNS1_3genE8ELNS1_11target_archE1030ELNS1_3gpuE2ELNS1_3repE0EEENS1_30default_config_static_selectorELNS0_4arch9wavefront6targetE1EEEvT1_,comdat
	.protected	_ZN7rocprim17ROCPRIM_400000_NS6detail17trampoline_kernelINS0_14default_configENS1_33run_length_encode_config_selectorIN3c108BFloat16EjNS0_4plusIjEEEEZZNS1_33reduce_by_key_impl_wrapped_configILNS1_25lookback_scan_determinismE0ES3_S9_PKS6_NS0_17constant_iteratorIjlEEPS6_PlSH_S8_NS0_8equal_toIS6_EEEE10hipError_tPvRmT2_T3_mT4_T5_T6_T7_T8_P12ihipStream_tbENKUlT_T0_E_clISt17integral_constantIbLb1EES11_EEDaSW_SX_EUlSW_E_NS1_11comp_targetILNS1_3genE8ELNS1_11target_archE1030ELNS1_3gpuE2ELNS1_3repE0EEENS1_30default_config_static_selectorELNS0_4arch9wavefront6targetE1EEEvT1_ ; -- Begin function _ZN7rocprim17ROCPRIM_400000_NS6detail17trampoline_kernelINS0_14default_configENS1_33run_length_encode_config_selectorIN3c108BFloat16EjNS0_4plusIjEEEEZZNS1_33reduce_by_key_impl_wrapped_configILNS1_25lookback_scan_determinismE0ES3_S9_PKS6_NS0_17constant_iteratorIjlEEPS6_PlSH_S8_NS0_8equal_toIS6_EEEE10hipError_tPvRmT2_T3_mT4_T5_T6_T7_T8_P12ihipStream_tbENKUlT_T0_E_clISt17integral_constantIbLb1EES11_EEDaSW_SX_EUlSW_E_NS1_11comp_targetILNS1_3genE8ELNS1_11target_archE1030ELNS1_3gpuE2ELNS1_3repE0EEENS1_30default_config_static_selectorELNS0_4arch9wavefront6targetE1EEEvT1_
	.globl	_ZN7rocprim17ROCPRIM_400000_NS6detail17trampoline_kernelINS0_14default_configENS1_33run_length_encode_config_selectorIN3c108BFloat16EjNS0_4plusIjEEEEZZNS1_33reduce_by_key_impl_wrapped_configILNS1_25lookback_scan_determinismE0ES3_S9_PKS6_NS0_17constant_iteratorIjlEEPS6_PlSH_S8_NS0_8equal_toIS6_EEEE10hipError_tPvRmT2_T3_mT4_T5_T6_T7_T8_P12ihipStream_tbENKUlT_T0_E_clISt17integral_constantIbLb1EES11_EEDaSW_SX_EUlSW_E_NS1_11comp_targetILNS1_3genE8ELNS1_11target_archE1030ELNS1_3gpuE2ELNS1_3repE0EEENS1_30default_config_static_selectorELNS0_4arch9wavefront6targetE1EEEvT1_
	.p2align	8
	.type	_ZN7rocprim17ROCPRIM_400000_NS6detail17trampoline_kernelINS0_14default_configENS1_33run_length_encode_config_selectorIN3c108BFloat16EjNS0_4plusIjEEEEZZNS1_33reduce_by_key_impl_wrapped_configILNS1_25lookback_scan_determinismE0ES3_S9_PKS6_NS0_17constant_iteratorIjlEEPS6_PlSH_S8_NS0_8equal_toIS6_EEEE10hipError_tPvRmT2_T3_mT4_T5_T6_T7_T8_P12ihipStream_tbENKUlT_T0_E_clISt17integral_constantIbLb1EES11_EEDaSW_SX_EUlSW_E_NS1_11comp_targetILNS1_3genE8ELNS1_11target_archE1030ELNS1_3gpuE2ELNS1_3repE0EEENS1_30default_config_static_selectorELNS0_4arch9wavefront6targetE1EEEvT1_,@function
_ZN7rocprim17ROCPRIM_400000_NS6detail17trampoline_kernelINS0_14default_configENS1_33run_length_encode_config_selectorIN3c108BFloat16EjNS0_4plusIjEEEEZZNS1_33reduce_by_key_impl_wrapped_configILNS1_25lookback_scan_determinismE0ES3_S9_PKS6_NS0_17constant_iteratorIjlEEPS6_PlSH_S8_NS0_8equal_toIS6_EEEE10hipError_tPvRmT2_T3_mT4_T5_T6_T7_T8_P12ihipStream_tbENKUlT_T0_E_clISt17integral_constantIbLb1EES11_EEDaSW_SX_EUlSW_E_NS1_11comp_targetILNS1_3genE8ELNS1_11target_archE1030ELNS1_3gpuE2ELNS1_3repE0EEENS1_30default_config_static_selectorELNS0_4arch9wavefront6targetE1EEEvT1_: ; @_ZN7rocprim17ROCPRIM_400000_NS6detail17trampoline_kernelINS0_14default_configENS1_33run_length_encode_config_selectorIN3c108BFloat16EjNS0_4plusIjEEEEZZNS1_33reduce_by_key_impl_wrapped_configILNS1_25lookback_scan_determinismE0ES3_S9_PKS6_NS0_17constant_iteratorIjlEEPS6_PlSH_S8_NS0_8equal_toIS6_EEEE10hipError_tPvRmT2_T3_mT4_T5_T6_T7_T8_P12ihipStream_tbENKUlT_T0_E_clISt17integral_constantIbLb1EES11_EEDaSW_SX_EUlSW_E_NS1_11comp_targetILNS1_3genE8ELNS1_11target_archE1030ELNS1_3gpuE2ELNS1_3repE0EEENS1_30default_config_static_selectorELNS0_4arch9wavefront6targetE1EEEvT1_
; %bb.0:
	.section	.rodata,"a",@progbits
	.p2align	6, 0x0
	.amdhsa_kernel _ZN7rocprim17ROCPRIM_400000_NS6detail17trampoline_kernelINS0_14default_configENS1_33run_length_encode_config_selectorIN3c108BFloat16EjNS0_4plusIjEEEEZZNS1_33reduce_by_key_impl_wrapped_configILNS1_25lookback_scan_determinismE0ES3_S9_PKS6_NS0_17constant_iteratorIjlEEPS6_PlSH_S8_NS0_8equal_toIS6_EEEE10hipError_tPvRmT2_T3_mT4_T5_T6_T7_T8_P12ihipStream_tbENKUlT_T0_E_clISt17integral_constantIbLb1EES11_EEDaSW_SX_EUlSW_E_NS1_11comp_targetILNS1_3genE8ELNS1_11target_archE1030ELNS1_3gpuE2ELNS1_3repE0EEENS1_30default_config_static_selectorELNS0_4arch9wavefront6targetE1EEEvT1_
		.amdhsa_group_segment_fixed_size 0
		.amdhsa_private_segment_fixed_size 0
		.amdhsa_kernarg_size 128
		.amdhsa_user_sgpr_count 2
		.amdhsa_user_sgpr_dispatch_ptr 0
		.amdhsa_user_sgpr_queue_ptr 0
		.amdhsa_user_sgpr_kernarg_segment_ptr 1
		.amdhsa_user_sgpr_dispatch_id 0
		.amdhsa_user_sgpr_kernarg_preload_length 0
		.amdhsa_user_sgpr_kernarg_preload_offset 0
		.amdhsa_user_sgpr_private_segment_size 0
		.amdhsa_uses_dynamic_stack 0
		.amdhsa_enable_private_segment 0
		.amdhsa_system_sgpr_workgroup_id_x 1
		.amdhsa_system_sgpr_workgroup_id_y 0
		.amdhsa_system_sgpr_workgroup_id_z 0
		.amdhsa_system_sgpr_workgroup_info 0
		.amdhsa_system_vgpr_workitem_id 0
		.amdhsa_next_free_vgpr 1
		.amdhsa_next_free_sgpr 0
		.amdhsa_accum_offset 4
		.amdhsa_reserve_vcc 0
		.amdhsa_float_round_mode_32 0
		.amdhsa_float_round_mode_16_64 0
		.amdhsa_float_denorm_mode_32 3
		.amdhsa_float_denorm_mode_16_64 3
		.amdhsa_dx10_clamp 1
		.amdhsa_ieee_mode 1
		.amdhsa_fp16_overflow 0
		.amdhsa_tg_split 0
		.amdhsa_exception_fp_ieee_invalid_op 0
		.amdhsa_exception_fp_denorm_src 0
		.amdhsa_exception_fp_ieee_div_zero 0
		.amdhsa_exception_fp_ieee_overflow 0
		.amdhsa_exception_fp_ieee_underflow 0
		.amdhsa_exception_fp_ieee_inexact 0
		.amdhsa_exception_int_div_zero 0
	.end_amdhsa_kernel
	.section	.text._ZN7rocprim17ROCPRIM_400000_NS6detail17trampoline_kernelINS0_14default_configENS1_33run_length_encode_config_selectorIN3c108BFloat16EjNS0_4plusIjEEEEZZNS1_33reduce_by_key_impl_wrapped_configILNS1_25lookback_scan_determinismE0ES3_S9_PKS6_NS0_17constant_iteratorIjlEEPS6_PlSH_S8_NS0_8equal_toIS6_EEEE10hipError_tPvRmT2_T3_mT4_T5_T6_T7_T8_P12ihipStream_tbENKUlT_T0_E_clISt17integral_constantIbLb1EES11_EEDaSW_SX_EUlSW_E_NS1_11comp_targetILNS1_3genE8ELNS1_11target_archE1030ELNS1_3gpuE2ELNS1_3repE0EEENS1_30default_config_static_selectorELNS0_4arch9wavefront6targetE1EEEvT1_,"axG",@progbits,_ZN7rocprim17ROCPRIM_400000_NS6detail17trampoline_kernelINS0_14default_configENS1_33run_length_encode_config_selectorIN3c108BFloat16EjNS0_4plusIjEEEEZZNS1_33reduce_by_key_impl_wrapped_configILNS1_25lookback_scan_determinismE0ES3_S9_PKS6_NS0_17constant_iteratorIjlEEPS6_PlSH_S8_NS0_8equal_toIS6_EEEE10hipError_tPvRmT2_T3_mT4_T5_T6_T7_T8_P12ihipStream_tbENKUlT_T0_E_clISt17integral_constantIbLb1EES11_EEDaSW_SX_EUlSW_E_NS1_11comp_targetILNS1_3genE8ELNS1_11target_archE1030ELNS1_3gpuE2ELNS1_3repE0EEENS1_30default_config_static_selectorELNS0_4arch9wavefront6targetE1EEEvT1_,comdat
.Lfunc_end873:
	.size	_ZN7rocprim17ROCPRIM_400000_NS6detail17trampoline_kernelINS0_14default_configENS1_33run_length_encode_config_selectorIN3c108BFloat16EjNS0_4plusIjEEEEZZNS1_33reduce_by_key_impl_wrapped_configILNS1_25lookback_scan_determinismE0ES3_S9_PKS6_NS0_17constant_iteratorIjlEEPS6_PlSH_S8_NS0_8equal_toIS6_EEEE10hipError_tPvRmT2_T3_mT4_T5_T6_T7_T8_P12ihipStream_tbENKUlT_T0_E_clISt17integral_constantIbLb1EES11_EEDaSW_SX_EUlSW_E_NS1_11comp_targetILNS1_3genE8ELNS1_11target_archE1030ELNS1_3gpuE2ELNS1_3repE0EEENS1_30default_config_static_selectorELNS0_4arch9wavefront6targetE1EEEvT1_, .Lfunc_end873-_ZN7rocprim17ROCPRIM_400000_NS6detail17trampoline_kernelINS0_14default_configENS1_33run_length_encode_config_selectorIN3c108BFloat16EjNS0_4plusIjEEEEZZNS1_33reduce_by_key_impl_wrapped_configILNS1_25lookback_scan_determinismE0ES3_S9_PKS6_NS0_17constant_iteratorIjlEEPS6_PlSH_S8_NS0_8equal_toIS6_EEEE10hipError_tPvRmT2_T3_mT4_T5_T6_T7_T8_P12ihipStream_tbENKUlT_T0_E_clISt17integral_constantIbLb1EES11_EEDaSW_SX_EUlSW_E_NS1_11comp_targetILNS1_3genE8ELNS1_11target_archE1030ELNS1_3gpuE2ELNS1_3repE0EEENS1_30default_config_static_selectorELNS0_4arch9wavefront6targetE1EEEvT1_
                                        ; -- End function
	.section	.AMDGPU.csdata,"",@progbits
; Kernel info:
; codeLenInByte = 0
; NumSgprs: 6
; NumVgprs: 0
; NumAgprs: 0
; TotalNumVgprs: 0
; ScratchSize: 0
; MemoryBound: 0
; FloatMode: 240
; IeeeMode: 1
; LDSByteSize: 0 bytes/workgroup (compile time only)
; SGPRBlocks: 0
; VGPRBlocks: 0
; NumSGPRsForWavesPerEU: 6
; NumVGPRsForWavesPerEU: 1
; AccumOffset: 4
; Occupancy: 8
; WaveLimiterHint : 0
; COMPUTE_PGM_RSRC2:SCRATCH_EN: 0
; COMPUTE_PGM_RSRC2:USER_SGPR: 2
; COMPUTE_PGM_RSRC2:TRAP_HANDLER: 0
; COMPUTE_PGM_RSRC2:TGID_X_EN: 1
; COMPUTE_PGM_RSRC2:TGID_Y_EN: 0
; COMPUTE_PGM_RSRC2:TGID_Z_EN: 0
; COMPUTE_PGM_RSRC2:TIDIG_COMP_CNT: 0
; COMPUTE_PGM_RSRC3_GFX90A:ACCUM_OFFSET: 0
; COMPUTE_PGM_RSRC3_GFX90A:TG_SPLIT: 0
	.section	.text._ZN7rocprim17ROCPRIM_400000_NS6detail17trampoline_kernelINS0_14default_configENS1_33run_length_encode_config_selectorIN3c108BFloat16EjNS0_4plusIjEEEEZZNS1_33reduce_by_key_impl_wrapped_configILNS1_25lookback_scan_determinismE0ES3_S9_PKS6_NS0_17constant_iteratorIjlEEPS6_PlSH_S8_NS0_8equal_toIS6_EEEE10hipError_tPvRmT2_T3_mT4_T5_T6_T7_T8_P12ihipStream_tbENKUlT_T0_E_clISt17integral_constantIbLb1EES10_IbLb0EEEEDaSW_SX_EUlSW_E_NS1_11comp_targetILNS1_3genE0ELNS1_11target_archE4294967295ELNS1_3gpuE0ELNS1_3repE0EEENS1_30default_config_static_selectorELNS0_4arch9wavefront6targetE1EEEvT1_,"axG",@progbits,_ZN7rocprim17ROCPRIM_400000_NS6detail17trampoline_kernelINS0_14default_configENS1_33run_length_encode_config_selectorIN3c108BFloat16EjNS0_4plusIjEEEEZZNS1_33reduce_by_key_impl_wrapped_configILNS1_25lookback_scan_determinismE0ES3_S9_PKS6_NS0_17constant_iteratorIjlEEPS6_PlSH_S8_NS0_8equal_toIS6_EEEE10hipError_tPvRmT2_T3_mT4_T5_T6_T7_T8_P12ihipStream_tbENKUlT_T0_E_clISt17integral_constantIbLb1EES10_IbLb0EEEEDaSW_SX_EUlSW_E_NS1_11comp_targetILNS1_3genE0ELNS1_11target_archE4294967295ELNS1_3gpuE0ELNS1_3repE0EEENS1_30default_config_static_selectorELNS0_4arch9wavefront6targetE1EEEvT1_,comdat
	.protected	_ZN7rocprim17ROCPRIM_400000_NS6detail17trampoline_kernelINS0_14default_configENS1_33run_length_encode_config_selectorIN3c108BFloat16EjNS0_4plusIjEEEEZZNS1_33reduce_by_key_impl_wrapped_configILNS1_25lookback_scan_determinismE0ES3_S9_PKS6_NS0_17constant_iteratorIjlEEPS6_PlSH_S8_NS0_8equal_toIS6_EEEE10hipError_tPvRmT2_T3_mT4_T5_T6_T7_T8_P12ihipStream_tbENKUlT_T0_E_clISt17integral_constantIbLb1EES10_IbLb0EEEEDaSW_SX_EUlSW_E_NS1_11comp_targetILNS1_3genE0ELNS1_11target_archE4294967295ELNS1_3gpuE0ELNS1_3repE0EEENS1_30default_config_static_selectorELNS0_4arch9wavefront6targetE1EEEvT1_ ; -- Begin function _ZN7rocprim17ROCPRIM_400000_NS6detail17trampoline_kernelINS0_14default_configENS1_33run_length_encode_config_selectorIN3c108BFloat16EjNS0_4plusIjEEEEZZNS1_33reduce_by_key_impl_wrapped_configILNS1_25lookback_scan_determinismE0ES3_S9_PKS6_NS0_17constant_iteratorIjlEEPS6_PlSH_S8_NS0_8equal_toIS6_EEEE10hipError_tPvRmT2_T3_mT4_T5_T6_T7_T8_P12ihipStream_tbENKUlT_T0_E_clISt17integral_constantIbLb1EES10_IbLb0EEEEDaSW_SX_EUlSW_E_NS1_11comp_targetILNS1_3genE0ELNS1_11target_archE4294967295ELNS1_3gpuE0ELNS1_3repE0EEENS1_30default_config_static_selectorELNS0_4arch9wavefront6targetE1EEEvT1_
	.globl	_ZN7rocprim17ROCPRIM_400000_NS6detail17trampoline_kernelINS0_14default_configENS1_33run_length_encode_config_selectorIN3c108BFloat16EjNS0_4plusIjEEEEZZNS1_33reduce_by_key_impl_wrapped_configILNS1_25lookback_scan_determinismE0ES3_S9_PKS6_NS0_17constant_iteratorIjlEEPS6_PlSH_S8_NS0_8equal_toIS6_EEEE10hipError_tPvRmT2_T3_mT4_T5_T6_T7_T8_P12ihipStream_tbENKUlT_T0_E_clISt17integral_constantIbLb1EES10_IbLb0EEEEDaSW_SX_EUlSW_E_NS1_11comp_targetILNS1_3genE0ELNS1_11target_archE4294967295ELNS1_3gpuE0ELNS1_3repE0EEENS1_30default_config_static_selectorELNS0_4arch9wavefront6targetE1EEEvT1_
	.p2align	8
	.type	_ZN7rocprim17ROCPRIM_400000_NS6detail17trampoline_kernelINS0_14default_configENS1_33run_length_encode_config_selectorIN3c108BFloat16EjNS0_4plusIjEEEEZZNS1_33reduce_by_key_impl_wrapped_configILNS1_25lookback_scan_determinismE0ES3_S9_PKS6_NS0_17constant_iteratorIjlEEPS6_PlSH_S8_NS0_8equal_toIS6_EEEE10hipError_tPvRmT2_T3_mT4_T5_T6_T7_T8_P12ihipStream_tbENKUlT_T0_E_clISt17integral_constantIbLb1EES10_IbLb0EEEEDaSW_SX_EUlSW_E_NS1_11comp_targetILNS1_3genE0ELNS1_11target_archE4294967295ELNS1_3gpuE0ELNS1_3repE0EEENS1_30default_config_static_selectorELNS0_4arch9wavefront6targetE1EEEvT1_,@function
_ZN7rocprim17ROCPRIM_400000_NS6detail17trampoline_kernelINS0_14default_configENS1_33run_length_encode_config_selectorIN3c108BFloat16EjNS0_4plusIjEEEEZZNS1_33reduce_by_key_impl_wrapped_configILNS1_25lookback_scan_determinismE0ES3_S9_PKS6_NS0_17constant_iteratorIjlEEPS6_PlSH_S8_NS0_8equal_toIS6_EEEE10hipError_tPvRmT2_T3_mT4_T5_T6_T7_T8_P12ihipStream_tbENKUlT_T0_E_clISt17integral_constantIbLb1EES10_IbLb0EEEEDaSW_SX_EUlSW_E_NS1_11comp_targetILNS1_3genE0ELNS1_11target_archE4294967295ELNS1_3gpuE0ELNS1_3repE0EEENS1_30default_config_static_selectorELNS0_4arch9wavefront6targetE1EEEvT1_: ; @_ZN7rocprim17ROCPRIM_400000_NS6detail17trampoline_kernelINS0_14default_configENS1_33run_length_encode_config_selectorIN3c108BFloat16EjNS0_4plusIjEEEEZZNS1_33reduce_by_key_impl_wrapped_configILNS1_25lookback_scan_determinismE0ES3_S9_PKS6_NS0_17constant_iteratorIjlEEPS6_PlSH_S8_NS0_8equal_toIS6_EEEE10hipError_tPvRmT2_T3_mT4_T5_T6_T7_T8_P12ihipStream_tbENKUlT_T0_E_clISt17integral_constantIbLb1EES10_IbLb0EEEEDaSW_SX_EUlSW_E_NS1_11comp_targetILNS1_3genE0ELNS1_11target_archE4294967295ELNS1_3gpuE0ELNS1_3repE0EEENS1_30default_config_static_selectorELNS0_4arch9wavefront6targetE1EEEvT1_
; %bb.0:
	.section	.rodata,"a",@progbits
	.p2align	6, 0x0
	.amdhsa_kernel _ZN7rocprim17ROCPRIM_400000_NS6detail17trampoline_kernelINS0_14default_configENS1_33run_length_encode_config_selectorIN3c108BFloat16EjNS0_4plusIjEEEEZZNS1_33reduce_by_key_impl_wrapped_configILNS1_25lookback_scan_determinismE0ES3_S9_PKS6_NS0_17constant_iteratorIjlEEPS6_PlSH_S8_NS0_8equal_toIS6_EEEE10hipError_tPvRmT2_T3_mT4_T5_T6_T7_T8_P12ihipStream_tbENKUlT_T0_E_clISt17integral_constantIbLb1EES10_IbLb0EEEEDaSW_SX_EUlSW_E_NS1_11comp_targetILNS1_3genE0ELNS1_11target_archE4294967295ELNS1_3gpuE0ELNS1_3repE0EEENS1_30default_config_static_selectorELNS0_4arch9wavefront6targetE1EEEvT1_
		.amdhsa_group_segment_fixed_size 0
		.amdhsa_private_segment_fixed_size 0
		.amdhsa_kernarg_size 128
		.amdhsa_user_sgpr_count 2
		.amdhsa_user_sgpr_dispatch_ptr 0
		.amdhsa_user_sgpr_queue_ptr 0
		.amdhsa_user_sgpr_kernarg_segment_ptr 1
		.amdhsa_user_sgpr_dispatch_id 0
		.amdhsa_user_sgpr_kernarg_preload_length 0
		.amdhsa_user_sgpr_kernarg_preload_offset 0
		.amdhsa_user_sgpr_private_segment_size 0
		.amdhsa_uses_dynamic_stack 0
		.amdhsa_enable_private_segment 0
		.amdhsa_system_sgpr_workgroup_id_x 1
		.amdhsa_system_sgpr_workgroup_id_y 0
		.amdhsa_system_sgpr_workgroup_id_z 0
		.amdhsa_system_sgpr_workgroup_info 0
		.amdhsa_system_vgpr_workitem_id 0
		.amdhsa_next_free_vgpr 1
		.amdhsa_next_free_sgpr 0
		.amdhsa_accum_offset 4
		.amdhsa_reserve_vcc 0
		.amdhsa_float_round_mode_32 0
		.amdhsa_float_round_mode_16_64 0
		.amdhsa_float_denorm_mode_32 3
		.amdhsa_float_denorm_mode_16_64 3
		.amdhsa_dx10_clamp 1
		.amdhsa_ieee_mode 1
		.amdhsa_fp16_overflow 0
		.amdhsa_tg_split 0
		.amdhsa_exception_fp_ieee_invalid_op 0
		.amdhsa_exception_fp_denorm_src 0
		.amdhsa_exception_fp_ieee_div_zero 0
		.amdhsa_exception_fp_ieee_overflow 0
		.amdhsa_exception_fp_ieee_underflow 0
		.amdhsa_exception_fp_ieee_inexact 0
		.amdhsa_exception_int_div_zero 0
	.end_amdhsa_kernel
	.section	.text._ZN7rocprim17ROCPRIM_400000_NS6detail17trampoline_kernelINS0_14default_configENS1_33run_length_encode_config_selectorIN3c108BFloat16EjNS0_4plusIjEEEEZZNS1_33reduce_by_key_impl_wrapped_configILNS1_25lookback_scan_determinismE0ES3_S9_PKS6_NS0_17constant_iteratorIjlEEPS6_PlSH_S8_NS0_8equal_toIS6_EEEE10hipError_tPvRmT2_T3_mT4_T5_T6_T7_T8_P12ihipStream_tbENKUlT_T0_E_clISt17integral_constantIbLb1EES10_IbLb0EEEEDaSW_SX_EUlSW_E_NS1_11comp_targetILNS1_3genE0ELNS1_11target_archE4294967295ELNS1_3gpuE0ELNS1_3repE0EEENS1_30default_config_static_selectorELNS0_4arch9wavefront6targetE1EEEvT1_,"axG",@progbits,_ZN7rocprim17ROCPRIM_400000_NS6detail17trampoline_kernelINS0_14default_configENS1_33run_length_encode_config_selectorIN3c108BFloat16EjNS0_4plusIjEEEEZZNS1_33reduce_by_key_impl_wrapped_configILNS1_25lookback_scan_determinismE0ES3_S9_PKS6_NS0_17constant_iteratorIjlEEPS6_PlSH_S8_NS0_8equal_toIS6_EEEE10hipError_tPvRmT2_T3_mT4_T5_T6_T7_T8_P12ihipStream_tbENKUlT_T0_E_clISt17integral_constantIbLb1EES10_IbLb0EEEEDaSW_SX_EUlSW_E_NS1_11comp_targetILNS1_3genE0ELNS1_11target_archE4294967295ELNS1_3gpuE0ELNS1_3repE0EEENS1_30default_config_static_selectorELNS0_4arch9wavefront6targetE1EEEvT1_,comdat
.Lfunc_end874:
	.size	_ZN7rocprim17ROCPRIM_400000_NS6detail17trampoline_kernelINS0_14default_configENS1_33run_length_encode_config_selectorIN3c108BFloat16EjNS0_4plusIjEEEEZZNS1_33reduce_by_key_impl_wrapped_configILNS1_25lookback_scan_determinismE0ES3_S9_PKS6_NS0_17constant_iteratorIjlEEPS6_PlSH_S8_NS0_8equal_toIS6_EEEE10hipError_tPvRmT2_T3_mT4_T5_T6_T7_T8_P12ihipStream_tbENKUlT_T0_E_clISt17integral_constantIbLb1EES10_IbLb0EEEEDaSW_SX_EUlSW_E_NS1_11comp_targetILNS1_3genE0ELNS1_11target_archE4294967295ELNS1_3gpuE0ELNS1_3repE0EEENS1_30default_config_static_selectorELNS0_4arch9wavefront6targetE1EEEvT1_, .Lfunc_end874-_ZN7rocprim17ROCPRIM_400000_NS6detail17trampoline_kernelINS0_14default_configENS1_33run_length_encode_config_selectorIN3c108BFloat16EjNS0_4plusIjEEEEZZNS1_33reduce_by_key_impl_wrapped_configILNS1_25lookback_scan_determinismE0ES3_S9_PKS6_NS0_17constant_iteratorIjlEEPS6_PlSH_S8_NS0_8equal_toIS6_EEEE10hipError_tPvRmT2_T3_mT4_T5_T6_T7_T8_P12ihipStream_tbENKUlT_T0_E_clISt17integral_constantIbLb1EES10_IbLb0EEEEDaSW_SX_EUlSW_E_NS1_11comp_targetILNS1_3genE0ELNS1_11target_archE4294967295ELNS1_3gpuE0ELNS1_3repE0EEENS1_30default_config_static_selectorELNS0_4arch9wavefront6targetE1EEEvT1_
                                        ; -- End function
	.section	.AMDGPU.csdata,"",@progbits
; Kernel info:
; codeLenInByte = 0
; NumSgprs: 6
; NumVgprs: 0
; NumAgprs: 0
; TotalNumVgprs: 0
; ScratchSize: 0
; MemoryBound: 0
; FloatMode: 240
; IeeeMode: 1
; LDSByteSize: 0 bytes/workgroup (compile time only)
; SGPRBlocks: 0
; VGPRBlocks: 0
; NumSGPRsForWavesPerEU: 6
; NumVGPRsForWavesPerEU: 1
; AccumOffset: 4
; Occupancy: 8
; WaveLimiterHint : 0
; COMPUTE_PGM_RSRC2:SCRATCH_EN: 0
; COMPUTE_PGM_RSRC2:USER_SGPR: 2
; COMPUTE_PGM_RSRC2:TRAP_HANDLER: 0
; COMPUTE_PGM_RSRC2:TGID_X_EN: 1
; COMPUTE_PGM_RSRC2:TGID_Y_EN: 0
; COMPUTE_PGM_RSRC2:TGID_Z_EN: 0
; COMPUTE_PGM_RSRC2:TIDIG_COMP_CNT: 0
; COMPUTE_PGM_RSRC3_GFX90A:ACCUM_OFFSET: 0
; COMPUTE_PGM_RSRC3_GFX90A:TG_SPLIT: 0
	.section	.text._ZN7rocprim17ROCPRIM_400000_NS6detail17trampoline_kernelINS0_14default_configENS1_33run_length_encode_config_selectorIN3c108BFloat16EjNS0_4plusIjEEEEZZNS1_33reduce_by_key_impl_wrapped_configILNS1_25lookback_scan_determinismE0ES3_S9_PKS6_NS0_17constant_iteratorIjlEEPS6_PlSH_S8_NS0_8equal_toIS6_EEEE10hipError_tPvRmT2_T3_mT4_T5_T6_T7_T8_P12ihipStream_tbENKUlT_T0_E_clISt17integral_constantIbLb1EES10_IbLb0EEEEDaSW_SX_EUlSW_E_NS1_11comp_targetILNS1_3genE5ELNS1_11target_archE942ELNS1_3gpuE9ELNS1_3repE0EEENS1_30default_config_static_selectorELNS0_4arch9wavefront6targetE1EEEvT1_,"axG",@progbits,_ZN7rocprim17ROCPRIM_400000_NS6detail17trampoline_kernelINS0_14default_configENS1_33run_length_encode_config_selectorIN3c108BFloat16EjNS0_4plusIjEEEEZZNS1_33reduce_by_key_impl_wrapped_configILNS1_25lookback_scan_determinismE0ES3_S9_PKS6_NS0_17constant_iteratorIjlEEPS6_PlSH_S8_NS0_8equal_toIS6_EEEE10hipError_tPvRmT2_T3_mT4_T5_T6_T7_T8_P12ihipStream_tbENKUlT_T0_E_clISt17integral_constantIbLb1EES10_IbLb0EEEEDaSW_SX_EUlSW_E_NS1_11comp_targetILNS1_3genE5ELNS1_11target_archE942ELNS1_3gpuE9ELNS1_3repE0EEENS1_30default_config_static_selectorELNS0_4arch9wavefront6targetE1EEEvT1_,comdat
	.protected	_ZN7rocprim17ROCPRIM_400000_NS6detail17trampoline_kernelINS0_14default_configENS1_33run_length_encode_config_selectorIN3c108BFloat16EjNS0_4plusIjEEEEZZNS1_33reduce_by_key_impl_wrapped_configILNS1_25lookback_scan_determinismE0ES3_S9_PKS6_NS0_17constant_iteratorIjlEEPS6_PlSH_S8_NS0_8equal_toIS6_EEEE10hipError_tPvRmT2_T3_mT4_T5_T6_T7_T8_P12ihipStream_tbENKUlT_T0_E_clISt17integral_constantIbLb1EES10_IbLb0EEEEDaSW_SX_EUlSW_E_NS1_11comp_targetILNS1_3genE5ELNS1_11target_archE942ELNS1_3gpuE9ELNS1_3repE0EEENS1_30default_config_static_selectorELNS0_4arch9wavefront6targetE1EEEvT1_ ; -- Begin function _ZN7rocprim17ROCPRIM_400000_NS6detail17trampoline_kernelINS0_14default_configENS1_33run_length_encode_config_selectorIN3c108BFloat16EjNS0_4plusIjEEEEZZNS1_33reduce_by_key_impl_wrapped_configILNS1_25lookback_scan_determinismE0ES3_S9_PKS6_NS0_17constant_iteratorIjlEEPS6_PlSH_S8_NS0_8equal_toIS6_EEEE10hipError_tPvRmT2_T3_mT4_T5_T6_T7_T8_P12ihipStream_tbENKUlT_T0_E_clISt17integral_constantIbLb1EES10_IbLb0EEEEDaSW_SX_EUlSW_E_NS1_11comp_targetILNS1_3genE5ELNS1_11target_archE942ELNS1_3gpuE9ELNS1_3repE0EEENS1_30default_config_static_selectorELNS0_4arch9wavefront6targetE1EEEvT1_
	.globl	_ZN7rocprim17ROCPRIM_400000_NS6detail17trampoline_kernelINS0_14default_configENS1_33run_length_encode_config_selectorIN3c108BFloat16EjNS0_4plusIjEEEEZZNS1_33reduce_by_key_impl_wrapped_configILNS1_25lookback_scan_determinismE0ES3_S9_PKS6_NS0_17constant_iteratorIjlEEPS6_PlSH_S8_NS0_8equal_toIS6_EEEE10hipError_tPvRmT2_T3_mT4_T5_T6_T7_T8_P12ihipStream_tbENKUlT_T0_E_clISt17integral_constantIbLb1EES10_IbLb0EEEEDaSW_SX_EUlSW_E_NS1_11comp_targetILNS1_3genE5ELNS1_11target_archE942ELNS1_3gpuE9ELNS1_3repE0EEENS1_30default_config_static_selectorELNS0_4arch9wavefront6targetE1EEEvT1_
	.p2align	8
	.type	_ZN7rocprim17ROCPRIM_400000_NS6detail17trampoline_kernelINS0_14default_configENS1_33run_length_encode_config_selectorIN3c108BFloat16EjNS0_4plusIjEEEEZZNS1_33reduce_by_key_impl_wrapped_configILNS1_25lookback_scan_determinismE0ES3_S9_PKS6_NS0_17constant_iteratorIjlEEPS6_PlSH_S8_NS0_8equal_toIS6_EEEE10hipError_tPvRmT2_T3_mT4_T5_T6_T7_T8_P12ihipStream_tbENKUlT_T0_E_clISt17integral_constantIbLb1EES10_IbLb0EEEEDaSW_SX_EUlSW_E_NS1_11comp_targetILNS1_3genE5ELNS1_11target_archE942ELNS1_3gpuE9ELNS1_3repE0EEENS1_30default_config_static_selectorELNS0_4arch9wavefront6targetE1EEEvT1_,@function
_ZN7rocprim17ROCPRIM_400000_NS6detail17trampoline_kernelINS0_14default_configENS1_33run_length_encode_config_selectorIN3c108BFloat16EjNS0_4plusIjEEEEZZNS1_33reduce_by_key_impl_wrapped_configILNS1_25lookback_scan_determinismE0ES3_S9_PKS6_NS0_17constant_iteratorIjlEEPS6_PlSH_S8_NS0_8equal_toIS6_EEEE10hipError_tPvRmT2_T3_mT4_T5_T6_T7_T8_P12ihipStream_tbENKUlT_T0_E_clISt17integral_constantIbLb1EES10_IbLb0EEEEDaSW_SX_EUlSW_E_NS1_11comp_targetILNS1_3genE5ELNS1_11target_archE942ELNS1_3gpuE9ELNS1_3repE0EEENS1_30default_config_static_selectorELNS0_4arch9wavefront6targetE1EEEvT1_: ; @_ZN7rocprim17ROCPRIM_400000_NS6detail17trampoline_kernelINS0_14default_configENS1_33run_length_encode_config_selectorIN3c108BFloat16EjNS0_4plusIjEEEEZZNS1_33reduce_by_key_impl_wrapped_configILNS1_25lookback_scan_determinismE0ES3_S9_PKS6_NS0_17constant_iteratorIjlEEPS6_PlSH_S8_NS0_8equal_toIS6_EEEE10hipError_tPvRmT2_T3_mT4_T5_T6_T7_T8_P12ihipStream_tbENKUlT_T0_E_clISt17integral_constantIbLb1EES10_IbLb0EEEEDaSW_SX_EUlSW_E_NS1_11comp_targetILNS1_3genE5ELNS1_11target_archE942ELNS1_3gpuE9ELNS1_3repE0EEENS1_30default_config_static_selectorELNS0_4arch9wavefront6targetE1EEEvT1_
; %bb.0:
	s_load_dwordx4 s[4:7], s[0:1], 0x0
	s_load_dword s3, s[0:1], 0x10
	s_load_dwordx8 s[40:47], s[0:1], 0x40
	s_load_dwordx4 s[48:51], s[0:1], 0x20
	s_load_dwordx2 s[52:53], s[0:1], 0x30
	s_load_dwordx2 s[54:55], s[0:1], 0x70
	s_load_dwordx4 s[36:39], s[0:1], 0x60
	s_waitcnt lgkmcnt(0)
	s_mul_i32 s0, s44, s43
	s_mul_hi_u32 s1, s44, s42
	s_add_i32 s0, s1, s0
	s_mul_i32 s1, s45, s42
	s_add_i32 s8, s0, s1
	s_lshl_b64 s[0:1], s[6:7], 1
	s_add_u32 s4, s4, s0
	s_addc_u32 s5, s5, s1
	s_mul_i32 s0, s2, 0xf00
	s_mov_b32 s1, 0
	s_lshl_b64 s[0:1], s[0:1], 1
	s_add_u32 s0, s4, s0
	s_mul_i32 s9, s44, s42
	s_addc_u32 s1, s5, s1
	s_add_u32 s4, s9, s2
	s_addc_u32 s5, s8, 0
	s_add_u32 s10, s46, -1
	s_addc_u32 s11, s47, -1
	s_cmp_eq_u64 s[4:5], s[10:11]
	s_cselect_b64 s[44:45], -1, 0
	s_cmp_lg_u64 s[4:5], s[10:11]
	s_mov_b64 s[6:7], -1
	s_cselect_b64 s[8:9], -1, 0
	s_mul_i32 s33, s10, 0xfffff100
	s_and_b64 vcc, exec, s[44:45]
	s_cbranch_vccnz .LBB875_2
; %bb.1:
	v_lshlrev_b32_e32 v2, 1, v0
	v_mov_b32_e32 v3, 0
	v_lshl_add_u64 v[4:5], s[0:1], 0, v[2:3]
	v_add_co_u32_e32 v4, vcc, 0x1000, v4
	global_load_ushort v1, v2, s[0:1]
	global_load_ushort v3, v2, s[0:1] offset:512
	global_load_ushort v12, v2, s[0:1] offset:1024
	;; [unrolled: 1-line block ×7, first 2 shown]
	v_addc_co_u32_e32 v5, vcc, 0, v5, vcc
	global_load_ushort v20, v[4:5], off
	global_load_ushort v21, v[4:5], off offset:512
	global_load_ushort v22, v[4:5], off offset:1024
	;; [unrolled: 1-line block ×6, first 2 shown]
	v_mad_u32_u24 v28, v0, 28, v2
	s_movk_i32 s6, 0xffe6
	v_mul_u32_u24_e32 v6, 15, v0
	v_mad_u32_u24 v16, v0, 15, 2
	v_mad_u32_u24 v9, v0, 15, 4
	;; [unrolled: 1-line block ×7, first 2 shown]
	v_mov_b32_e32 v27, s3
	v_mad_i32_i24 v29, v0, s6, v28
	s_waitcnt vmcnt(14)
	ds_write_b16 v2, v1
	s_waitcnt vmcnt(13)
	ds_write_b16 v2, v3 offset:512
	s_waitcnt vmcnt(12)
	ds_write_b16 v2, v12 offset:1024
	;; [unrolled: 2-line block ×14, first 2 shown]
	s_waitcnt lgkmcnt(0)
	s_barrier
	ds_read_b128 v[2:5], v28
	ds_read_b96 v[12:14], v28 offset:16
	ds_read_u16 v1, v28 offset:28
	s_waitcnt lgkmcnt(0)
	s_barrier
	ds_write2st64_b32 v29, v27, v27 offset1:4
	ds_write2st64_b32 v29, v27, v27 offset0:8 offset1:12
	ds_write2st64_b32 v29, v27, v27 offset0:16 offset1:20
	;; [unrolled: 1-line block ×6, first 2 shown]
	ds_write_b32 v29, v27 offset:14336
	s_waitcnt lgkmcnt(0)
	s_barrier
	s_add_i32 s33, s33, s36
	s_cbranch_execz .LBB875_3
	s_branch .LBB875_34
.LBB875_2:
                                        ; implicit-def: $vgpr14
                                        ; implicit-def: $vgpr5
                                        ; implicit-def: $vgpr10
                                        ; implicit-def: $vgpr11
                                        ; implicit-def: $vgpr15
                                        ; implicit-def: $vgpr7
                                        ; implicit-def: $vgpr8
                                        ; implicit-def: $vgpr9
                                        ; implicit-def: $vgpr16
                                        ; implicit-def: $vgpr6
                                        ; implicit-def: $vgpr1
	s_andn2_b64 vcc, exec, s[6:7]
	s_add_i32 s33, s33, s36
	s_cbranch_vccnz .LBB875_34
.LBB875_3:
	v_cmp_gt_u32_e32 vcc, s33, v0
                                        ; implicit-def: $vgpr1
	s_and_saveexec_b64 s[6:7], vcc
	s_cbranch_execz .LBB875_5
; %bb.4:
	v_lshlrev_b32_e32 v1, 1, v0
	global_load_ushort v1, v1, s[0:1]
.LBB875_5:
	s_or_b64 exec, exec, s[6:7]
	v_or_b32_e32 v2, 0x100, v0
	v_cmp_gt_u32_e32 vcc, s33, v2
                                        ; implicit-def: $vgpr2
	s_and_saveexec_b64 s[6:7], vcc
	s_cbranch_execz .LBB875_7
; %bb.6:
	v_lshlrev_b32_e32 v2, 1, v0
	global_load_ushort v2, v2, s[0:1] offset:512
.LBB875_7:
	s_or_b64 exec, exec, s[6:7]
	v_or_b32_e32 v3, 0x200, v0
	v_cmp_gt_u32_e32 vcc, s33, v3
                                        ; implicit-def: $vgpr3
	s_and_saveexec_b64 s[6:7], vcc
	s_cbranch_execz .LBB875_9
; %bb.8:
	v_lshlrev_b32_e32 v3, 1, v0
	global_load_ushort v3, v3, s[0:1] offset:1024
.LBB875_9:
	s_or_b64 exec, exec, s[6:7]
	v_or_b32_e32 v4, 0x300, v0
	v_cmp_gt_u32_e32 vcc, s33, v4
                                        ; implicit-def: $vgpr4
	s_and_saveexec_b64 s[6:7], vcc
	s_cbranch_execz .LBB875_11
; %bb.10:
	v_lshlrev_b32_e32 v4, 1, v0
	global_load_ushort v4, v4, s[0:1] offset:1536
.LBB875_11:
	s_or_b64 exec, exec, s[6:7]
	v_or_b32_e32 v5, 0x400, v0
	v_cmp_gt_u32_e32 vcc, s33, v5
                                        ; implicit-def: $vgpr5
	s_and_saveexec_b64 s[6:7], vcc
	s_cbranch_execz .LBB875_13
; %bb.12:
	v_lshlrev_b32_e32 v5, 1, v0
	global_load_ushort v5, v5, s[0:1] offset:2048
.LBB875_13:
	s_or_b64 exec, exec, s[6:7]
	v_or_b32_e32 v6, 0x500, v0
	v_cmp_gt_u32_e32 vcc, s33, v6
                                        ; implicit-def: $vgpr6
	s_and_saveexec_b64 s[6:7], vcc
	s_cbranch_execz .LBB875_15
; %bb.14:
	v_lshlrev_b32_e32 v6, 1, v0
	global_load_ushort v6, v6, s[0:1] offset:2560
.LBB875_15:
	s_or_b64 exec, exec, s[6:7]
	v_or_b32_e32 v7, 0x600, v0
	v_cmp_gt_u32_e32 vcc, s33, v7
                                        ; implicit-def: $vgpr7
	s_and_saveexec_b64 s[6:7], vcc
	s_cbranch_execz .LBB875_17
; %bb.16:
	v_lshlrev_b32_e32 v7, 1, v0
	global_load_ushort v7, v7, s[0:1] offset:3072
.LBB875_17:
	s_or_b64 exec, exec, s[6:7]
	v_or_b32_e32 v8, 0x700, v0
	v_cmp_gt_u32_e32 vcc, s33, v8
                                        ; implicit-def: $vgpr8
	s_and_saveexec_b64 s[6:7], vcc
	s_cbranch_execz .LBB875_19
; %bb.18:
	v_lshlrev_b32_e32 v8, 1, v0
	global_load_ushort v8, v8, s[0:1] offset:3584
.LBB875_19:
	s_or_b64 exec, exec, s[6:7]
	v_or_b32_e32 v10, 0x800, v0
	v_cmp_gt_u32_e32 vcc, s33, v10
                                        ; implicit-def: $vgpr9
	s_and_saveexec_b64 s[6:7], vcc
	s_cbranch_execz .LBB875_21
; %bb.20:
	v_lshlrev_b32_e32 v9, 1, v10
	global_load_ushort v9, v9, s[0:1]
.LBB875_21:
	s_or_b64 exec, exec, s[6:7]
	v_or_b32_e32 v11, 0x900, v0
	v_cmp_gt_u32_e32 vcc, s33, v11
                                        ; implicit-def: $vgpr10
	s_and_saveexec_b64 s[6:7], vcc
	s_cbranch_execz .LBB875_23
; %bb.22:
	v_lshlrev_b32_e32 v10, 1, v11
	global_load_ushort v10, v10, s[0:1]
.LBB875_23:
	s_or_b64 exec, exec, s[6:7]
	v_or_b32_e32 v12, 0xa00, v0
	v_cmp_gt_u32_e32 vcc, s33, v12
                                        ; implicit-def: $vgpr11
	s_and_saveexec_b64 s[6:7], vcc
	s_cbranch_execz .LBB875_25
; %bb.24:
	v_lshlrev_b32_e32 v11, 1, v12
	global_load_ushort v11, v11, s[0:1]
.LBB875_25:
	s_or_b64 exec, exec, s[6:7]
	v_or_b32_e32 v13, 0xb00, v0
	v_cmp_gt_u32_e32 vcc, s33, v13
                                        ; implicit-def: $vgpr12
	s_and_saveexec_b64 s[6:7], vcc
	s_cbranch_execz .LBB875_27
; %bb.26:
	v_lshlrev_b32_e32 v12, 1, v13
	global_load_ushort v12, v12, s[0:1]
.LBB875_27:
	s_or_b64 exec, exec, s[6:7]
	v_or_b32_e32 v14, 0xc00, v0
	v_cmp_gt_u32_e32 vcc, s33, v14
                                        ; implicit-def: $vgpr13
	s_and_saveexec_b64 s[6:7], vcc
	s_cbranch_execz .LBB875_29
; %bb.28:
	v_lshlrev_b32_e32 v13, 1, v14
	global_load_ushort v13, v13, s[0:1]
.LBB875_29:
	s_or_b64 exec, exec, s[6:7]
	v_or_b32_e32 v15, 0xd00, v0
	v_cmp_gt_u32_e32 vcc, s33, v15
                                        ; implicit-def: $vgpr14
	s_and_saveexec_b64 s[6:7], vcc
	s_cbranch_execz .LBB875_31
; %bb.30:
	v_lshlrev_b32_e32 v14, 1, v15
	global_load_ushort v14, v14, s[0:1]
.LBB875_31:
	s_or_b64 exec, exec, s[6:7]
	v_or_b32_e32 v16, 0xe00, v0
	v_cmp_gt_u32_e32 vcc, s33, v16
                                        ; implicit-def: $vgpr15
	s_and_saveexec_b64 s[6:7], vcc
	s_cbranch_execz .LBB875_33
; %bb.32:
	v_lshlrev_b32_e32 v15, 1, v16
	global_load_ushort v15, v15, s[0:1]
.LBB875_33:
	s_or_b64 exec, exec, s[6:7]
	v_lshlrev_b32_e32 v16, 1, v0
	v_mad_u32_u24 v17, v0, 28, v16
	s_waitcnt vmcnt(0)
	ds_write_b16 v16, v1
	ds_write_b16 v16, v2 offset:512
	ds_write_b16 v16, v3 offset:1024
	;; [unrolled: 1-line block ×14, first 2 shown]
	s_waitcnt lgkmcnt(0)
	s_barrier
	ds_read_b128 v[2:5], v17
	ds_read_b96 v[12:14], v17 offset:16
	ds_read_u16 v1, v17 offset:28
	s_movk_i32 s6, 0xffe6
	v_mul_u32_u24_e32 v6, 15, v0
	v_mad_u32_u24 v16, v0, 15, 2
	v_mad_u32_u24 v9, v0, 15, 4
	;; [unrolled: 1-line block ×7, first 2 shown]
	v_mad_i32_i24 v17, v0, s6, v17
	v_mov_b32_e32 v18, s3
	s_waitcnt lgkmcnt(0)
	s_barrier
	ds_write2st64_b32 v17, v18, v18 offset1:4
	ds_write2st64_b32 v17, v18, v18 offset0:8 offset1:12
	ds_write2st64_b32 v17, v18, v18 offset0:16 offset1:20
	;; [unrolled: 1-line block ×6, first 2 shown]
	ds_write_b32 v17, v18 offset:14336
	s_waitcnt lgkmcnt(0)
	s_barrier
.LBB875_34:
	v_lshlrev_b32_e32 v6, 2, v6
	v_lshlrev_b32_e32 v24, 2, v16
	ds_read2_b32 v[20:21], v6 offset0:3 offset1:5
	ds_read2_b32 v[18:19], v6 offset0:7 offset1:9
	ds_read2_b32 v[16:17], v6 offset0:11 offset1:13
	v_lshlrev_b32_e32 v9, 2, v9
	v_lshlrev_b32_e32 v8, 2, v8
	;; [unrolled: 1-line block ×6, first 2 shown]
	ds_read2_b32 v[22:23], v6 offset1:1
	ds_read_b32 v75, v24
	ds_read_b32 v74, v9
	;; [unrolled: 1-line block ×7, first 2 shown]
	s_cmp_eq_u64 s[4:5], 0
	s_cselect_b64 s[46:47], -1, 0
	s_cmp_lg_u64 s[4:5], 0
	s_mov_b64 s[6:7], 0
	s_cselect_b64 s[10:11], -1, 0
	s_and_b64 vcc, exec, s[8:9]
	s_waitcnt lgkmcnt(0)
	s_barrier
	s_cbranch_vccz .LBB875_40
; %bb.35:
	s_and_b64 vcc, exec, s[10:11]
	s_cbranch_vccz .LBB875_41
; %bb.36:
	v_mov_b32_e32 v6, 0
	global_load_ushort v6, v6, s[0:1] offset:-2
	v_lshlrev_b32_e32 v7, 1, v0
	v_cmp_ne_u32_e32 vcc, 0, v0
	ds_write_b16 v7, v1
	s_waitcnt lgkmcnt(0)
	s_barrier
	s_and_saveexec_b64 s[6:7], vcc
	s_cbranch_execz .LBB875_38
; %bb.37:
	s_waitcnt vmcnt(0)
	v_add_u32_e32 v6, -2, v7
	ds_read_u16 v6, v6
.LBB875_38:
	s_or_b64 exec, exec, s[6:7]
	v_and_b32_e32 v30, 0xffff0000, v2
	v_lshlrev_b32_e32 v31, 16, v2
	v_lshlrev_b32_e32 v32, 16, v3
	v_cmp_neq_f32_e32 vcc, v30, v31
	v_and_b32_e32 v29, 0xffff0000, v3
	v_lshlrev_b32_e32 v27, 16, v4
	v_cndmask_b32_e64 v67, 0, 1, vcc
	v_cmp_neq_f32_e32 vcc, v30, v32
	v_and_b32_e32 v26, 0xffff0000, v4
	v_lshlrev_b32_e32 v28, 16, v5
	v_cndmask_b32_e64 v68, 0, 1, vcc
	;; [unrolled: 4-line block ×6, first 2 shown]
	v_cmp_neq_f32_e32 vcc, v28, v25
	s_waitcnt vmcnt(0) lgkmcnt(0)
	v_lshlrev_b32_e32 v6, 16, v6
	v_cmp_neq_f32_e64 s[8:9], v31, v6
	v_cndmask_b32_e64 v64, 0, 1, vcc
	v_cmp_neq_f32_e32 vcc, v15, v25
	s_mov_b64 s[6:7], -1
	s_nop 0
	v_cndmask_b32_e64 v57, 0, 1, vcc
	v_cmp_neq_f32_e32 vcc, v11, v15
	s_nop 1
	v_cndmask_b32_e64 v56, 0, 1, vcc
	v_cmp_neq_f32_e32 vcc, v11, v24
	;; [unrolled: 3-line block ×6, first 2 shown]
	s_nop 1
	v_cndmask_b32_e64 v59, 0, 1, vcc
.LBB875_39:
                                        ; implicit-def: $sgpr3
	s_branch .LBB875_53
.LBB875_40:
                                        ; implicit-def: $sgpr8_sgpr9
                                        ; implicit-def: $vgpr59
                                        ; implicit-def: $vgpr58
                                        ; implicit-def: $vgpr15
                                        ; implicit-def: $vgpr61
                                        ; implicit-def: $vgpr62
                                        ; implicit-def: $vgpr56
                                        ; implicit-def: $vgpr57
                                        ; implicit-def: $vgpr64
                                        ; implicit-def: $vgpr65
                                        ; implicit-def: $vgpr60
                                        ; implicit-def: $vgpr63
                                        ; implicit-def: $vgpr66
                                        ; implicit-def: $vgpr68
                                        ; implicit-def: $vgpr67
                                        ; implicit-def: $sgpr3
	s_cbranch_execnz .LBB875_45
	s_branch .LBB875_53
.LBB875_41:
                                        ; implicit-def: $sgpr8_sgpr9
                                        ; implicit-def: $vgpr59
                                        ; implicit-def: $vgpr58
                                        ; implicit-def: $vgpr15
                                        ; implicit-def: $vgpr61
                                        ; implicit-def: $vgpr62
                                        ; implicit-def: $vgpr56
                                        ; implicit-def: $vgpr57
                                        ; implicit-def: $vgpr64
                                        ; implicit-def: $vgpr65
                                        ; implicit-def: $vgpr60
                                        ; implicit-def: $vgpr63
                                        ; implicit-def: $vgpr66
                                        ; implicit-def: $vgpr68
                                        ; implicit-def: $vgpr67
	s_cbranch_execz .LBB875_39
; %bb.42:
	v_and_b32_e32 v31, 0xffff0000, v2
	v_lshlrev_b32_e32 v7, 16, v2
	v_lshlrev_b32_e32 v32, 16, v3
	v_cmp_neq_f32_e32 vcc, v31, v7
	v_and_b32_e32 v30, 0xffff0000, v3
	v_lshlrev_b32_e32 v28, 16, v4
	v_cndmask_b32_e64 v67, 0, 1, vcc
	v_cmp_neq_f32_e32 vcc, v31, v32
	v_and_b32_e32 v27, 0xffff0000, v4
	v_lshlrev_b32_e32 v29, 16, v5
	v_cndmask_b32_e64 v68, 0, 1, vcc
	;; [unrolled: 4-line block ×6, first 2 shown]
	v_cmp_neq_f32_e32 vcc, v29, v26
	s_mov_b32 s3, 1
	v_lshlrev_b32_e32 v6, 1, v0
	v_cndmask_b32_e64 v64, 0, 1, vcc
	v_cmp_neq_f32_e32 vcc, v24, v26
	ds_write_b16 v6, v1
	s_waitcnt lgkmcnt(0)
	v_cndmask_b32_e64 v57, 0, 1, vcc
	v_cmp_neq_f32_e32 vcc, v15, v24
	s_barrier
	s_nop 0
	v_cndmask_b32_e64 v56, 0, 1, vcc
	v_cmp_neq_f32_e32 vcc, v15, v25
                                        ; implicit-def: $sgpr8_sgpr9
	s_nop 1
	v_cndmask_b32_e64 v62, 0, 1, vcc
	v_cmp_neq_f32_e32 vcc, v25, v11
	s_nop 1
	v_cndmask_b32_e64 v61, 0, 1, vcc
	v_cmp_neq_f32_e32 vcc, v9, v11
	;; [unrolled: 3-line block ×4, first 2 shown]
	s_nop 1
	v_cndmask_b32_e64 v59, 0, 1, vcc
	v_cmp_ne_u32_e32 vcc, 0, v0
	s_and_saveexec_b64 s[12:13], vcc
	s_xor_b64 s[12:13], exec, s[12:13]
	s_cbranch_execz .LBB875_44
; %bb.43:
	v_add_u32_e32 v6, -2, v6
	ds_read_u16 v6, v6
	s_or_b64 s[6:7], s[6:7], exec
	s_waitcnt lgkmcnt(0)
	v_lshlrev_b32_e32 v6, 16, v6
	v_cmp_neq_f32_e32 vcc, v7, v6
	s_and_b64 s[8:9], vcc, exec
.LBB875_44:
	s_or_b64 exec, exec, s[12:13]
	s_branch .LBB875_53
.LBB875_45:
	s_mul_i32 s3, s5, 0xfffff100
	s_mul_hi_u32 s5, s4, 0xfffff100
	s_sub_i32 s5, s5, s4
	s_add_i32 s5, s5, s3
	s_mul_i32 s3, s4, 0xfffff100
	s_add_u32 s56, s3, s36
	s_addc_u32 s57, s5, s37
	s_and_b64 vcc, exec, s[10:11]
	s_cbranch_vccz .LBB875_50
; %bb.46:
	v_mov_b32_e32 v7, 0
	global_load_ushort v10, v7, s[0:1] offset:-2
	v_lshlrev_b32_e32 v6, 1, v0
	v_mul_u32_u24_e32 v8, 15, v0
	v_cmp_ne_u32_e32 vcc, 0, v0
	ds_write_b16 v6, v1
	s_waitcnt lgkmcnt(0)
	s_barrier
	s_and_saveexec_b64 s[0:1], vcc
	s_cbranch_execz .LBB875_48
; %bb.47:
	v_add_u32_e32 v6, -2, v6
	s_waitcnt vmcnt(0)
	ds_read_u16 v10, v6
.LBB875_48:
	s_or_b64 exec, exec, s[0:1]
	s_mov_b32 s0, 0xe000d
	v_pk_add_u16 v6, v8, s0 op_sel_hi:[0,1]
	v_alignbit_b32 v24, 0, v6, 16
	v_and_b32_e32 v6, 0xffff, v6
	v_and_b32_e32 v9, 0xffff0000, v14
	v_cmp_gt_u64_e32 vcc, s[56:57], v[6:7]
	v_lshlrev_b32_e32 v6, 16, v1
	v_lshlrev_b32_e32 v11, 16, v14
	v_cmp_neq_f32_e64 s[6:7], v9, v6
	v_add_u32_e32 v6, 12, v8
	v_and_b32_e32 v27, 0xffff0000, v13
	s_mov_b32 s3, 0xb000a
	v_mov_b32_e32 v25, v7
	v_cmp_gt_u64_e64 s[8:9], s[56:57], v[6:7]
	v_cmp_neq_f32_e64 s[10:11], v27, v11
	v_pk_add_u16 v6, v8, s3 op_sel_hi:[0,1]
	v_cmp_gt_u64_e64 s[0:1], s[56:57], v[24:25]
	v_cmp_neq_f32_e64 s[4:5], v9, v11
	v_lshlrev_b32_e32 v9, 16, v13
	v_and_b32_e32 v26, 0xffff0000, v12
	s_and_b64 s[8:9], s[8:9], s[10:11]
	v_alignbit_b32 v24, 0, v6, 16
	v_and_b32_e32 v6, 0xffff, v6
	v_cndmask_b32_e64 v15, 0, 1, s[8:9]
	v_cmp_gt_u64_e64 s[8:9], s[56:57], v[6:7]
	v_cmp_neq_f32_e64 s[12:13], v9, v26
	v_cmp_neq_f32_e64 s[14:15], v9, v27
	v_add_u32_e32 v6, 9, v8
	v_lshlrev_b32_e32 v9, 16, v12
	v_cmp_gt_u64_e64 s[16:17], s[56:57], v[6:7]
	v_cmp_neq_f32_e64 s[18:19], v26, v9
	s_and_b64 s[16:17], s[16:17], s[18:19]
	v_add_u32_e32 v6, 8, v8
	v_and_b32_e32 v27, 0xffff0000, v5
	s_mov_b32 s3, 0x70006
	v_cndmask_b32_e64 v56, 0, 1, s[16:17]
	v_cmp_gt_u64_e64 s[16:17], s[56:57], v[6:7]
	v_cmp_neq_f32_e64 s[18:19], v27, v9
	v_pk_add_u16 v6, v8, s3 op_sel_hi:[0,1]
	v_cmp_gt_u64_e64 s[10:11], s[56:57], v[24:25]
	s_and_b64 s[16:17], s[16:17], s[18:19]
	v_alignbit_b32 v24, 0, v6, 16
	v_and_b32_e32 v6, 0xffff, v6
	v_and_b32_e32 v26, 0xffff0000, v4
	v_cndmask_b32_e64 v57, 0, 1, s[16:17]
	v_cmp_gt_u64_e64 s[16:17], s[56:57], v[6:7]
	v_add_u32_e32 v6, 5, v8
	v_lshlrev_b32_e32 v9, 16, v4
	v_lshlrev_b32_e32 v11, 16, v5
	v_cmp_gt_u64_e64 s[24:25], s[56:57], v[6:7]
	v_cmp_neq_f32_e64 s[26:27], v26, v9
	v_cmp_neq_f32_e64 s[22:23], v11, v27
	s_and_b64 s[24:25], s[24:25], s[26:27]
	v_add_u32_e32 v6, 4, v8
	v_and_b32_e32 v27, 0xffff0000, v3
	s_mov_b32 s3, 0x30002
	v_cndmask_b32_e64 v60, 0, 1, s[24:25]
	v_cmp_gt_u64_e64 s[24:25], s[56:57], v[6:7]
	v_cmp_neq_f32_e64 s[26:27], v27, v9
	v_pk_add_u16 v6, v8, s3 op_sel_hi:[0,1]
	v_cmp_gt_u64_e64 s[18:19], s[56:57], v[24:25]
	s_and_b64 s[24:25], s[24:25], s[26:27]
	v_alignbit_b32 v24, 0, v6, 16
	v_and_b32_e32 v6, 0xffff, v6
	v_cmp_neq_f32_e64 s[20:21], v11, v26
	v_lshlrev_b32_e32 v11, 16, v3
	v_and_b32_e32 v26, 0xffff0000, v2
	v_cndmask_b32_e64 v63, 0, 1, s[24:25]
	v_cmp_gt_u64_e64 s[24:25], s[56:57], v[6:7]
	v_add_u32_e32 v6, 1, v8
	v_cmp_neq_f32_e64 s[28:29], v11, v26
	v_cmp_gt_u64_e64 s[34:35], s[56:57], v[6:7]
	v_lshlrev_b32_e32 v6, 16, v2
	v_cmp_gt_u64_e64 s[26:27], s[56:57], v[24:25]
	v_cmp_neq_f32_e64 s[30:31], v11, v27
	v_cmp_neq_f32_e64 s[36:37], v26, v6
	s_and_b64 s[24:25], s[24:25], s[28:29]
	s_and_b64 s[16:17], s[16:17], s[20:21]
	;; [unrolled: 1-line block ×4, first 2 shown]
	v_mov_b32_e32 v9, v7
	s_waitcnt vmcnt(0) lgkmcnt(0)
	v_lshlrev_b32_e32 v7, 16, v10
	s_and_b64 s[34:35], s[34:35], s[36:37]
	v_cndmask_b32_e64 v68, 0, 1, s[24:25]
	s_and_b64 s[24:25], s[26:27], s[30:31]
	v_cndmask_b32_e64 v65, 0, 1, s[16:17]
	;; [unrolled: 2-line block ×3, first 2 shown]
	s_and_b64 s[8:9], s[10:11], s[14:15]
	s_and_b64 s[4:5], vcc, s[4:5]
	v_cndmask_b32_e64 v59, 0, 1, s[0:1]
	v_cmp_gt_u64_e32 vcc, s[56:57], v[8:9]
	v_cmp_neq_f32_e64 s[0:1], v7, v6
	v_cndmask_b32_e64 v67, 0, 1, s[34:35]
	v_cndmask_b32_e64 v66, 0, 1, s[24:25]
	;; [unrolled: 1-line block ×5, first 2 shown]
	s_and_b64 s[8:9], vcc, s[0:1]
	s_mov_b64 s[6:7], -1
.LBB875_49:
                                        ; implicit-def: $sgpr3
	v_mov_b32_e32 v69, s3
	s_and_saveexec_b64 s[0:1], s[6:7]
	s_cbranch_execnz .LBB875_54
	s_branch .LBB875_55
.LBB875_50:
                                        ; implicit-def: $sgpr8_sgpr9
                                        ; implicit-def: $vgpr59
                                        ; implicit-def: $vgpr58
                                        ; implicit-def: $vgpr15
                                        ; implicit-def: $vgpr61
                                        ; implicit-def: $vgpr62
                                        ; implicit-def: $vgpr56
                                        ; implicit-def: $vgpr57
                                        ; implicit-def: $vgpr64
                                        ; implicit-def: $vgpr65
                                        ; implicit-def: $vgpr60
                                        ; implicit-def: $vgpr63
                                        ; implicit-def: $vgpr66
                                        ; implicit-def: $vgpr68
                                        ; implicit-def: $vgpr67
	s_cbranch_execz .LBB875_49
; %bb.51:
	v_mad_u32_u24 v6, v0, 15, 14
	v_mov_b32_e32 v7, 0
	v_cmp_gt_u64_e32 vcc, s[56:57], v[6:7]
	v_mad_u32_u24 v6, v0, 15, 13
	v_lshlrev_b32_e32 v9, 16, v1
	v_cmp_gt_u64_e64 s[0:1], s[56:57], v[6:7]
	v_and_b32_e32 v6, 0xffff0000, v14
	v_lshlrev_b32_e32 v10, 16, v14
	v_cmp_neq_f32_e64 s[4:5], v6, v9
	s_and_b64 s[4:5], vcc, s[4:5]
	v_cmp_neq_f32_e32 vcc, v10, v6
	v_mad_u32_u24 v6, v0, 15, 12
	s_and_b64 s[0:1], s[0:1], vcc
	v_cmp_gt_u64_e32 vcc, s[56:57], v[6:7]
	v_mad_u32_u24 v6, v0, 15, 11
	v_cndmask_b32_e64 v58, 0, 1, s[0:1]
	v_cmp_gt_u64_e64 s[0:1], s[56:57], v[6:7]
	v_and_b32_e32 v6, 0xffff0000, v13
	v_cndmask_b32_e64 v59, 0, 1, s[4:5]
	v_lshlrev_b32_e32 v9, 16, v13
	v_cmp_neq_f32_e64 s[4:5], v6, v10
	s_and_b64 s[4:5], vcc, s[4:5]
	v_cmp_neq_f32_e32 vcc, v9, v6
	v_mad_u32_u24 v6, v0, 15, 10
	s_and_b64 s[0:1], s[0:1], vcc
	v_cmp_gt_u64_e32 vcc, s[56:57], v[6:7]
	v_mad_u32_u24 v6, v0, 15, 9
	v_cndmask_b32_e64 v61, 0, 1, s[0:1]
	v_cmp_gt_u64_e64 s[0:1], s[56:57], v[6:7]
	v_and_b32_e32 v6, 0xffff0000, v12
	v_cndmask_b32_e64 v15, 0, 1, s[4:5]
	;; [unrolled: 12-line block ×6, first 2 shown]
	v_lshlrev_b32_e32 v9, 16, v2
	v_cmp_neq_f32_e64 s[4:5], v6, v11
	s_and_b64 s[4:5], vcc, s[4:5]
	v_cmp_neq_f32_e32 vcc, v9, v6
	s_and_b64 s[0:1], s[0:1], vcc
	s_mov_b32 s3, 1
	v_lshlrev_b32_e32 v8, 1, v0
	v_cndmask_b32_e64 v68, 0, 1, s[4:5]
	v_cndmask_b32_e64 v67, 0, 1, s[0:1]
	v_cmp_ne_u32_e32 vcc, 0, v0
	ds_write_b16 v8, v1
	s_waitcnt lgkmcnt(0)
	s_barrier
	s_waitcnt lgkmcnt(0)
                                        ; implicit-def: $sgpr8_sgpr9
	s_and_saveexec_b64 s[4:5], vcc
	s_cbranch_execz .LBB875_150
; %bb.52:
	v_add_u32_e32 v6, -2, v8
	ds_read_u16 v8, v6
	v_mul_u32_u24_e32 v6, 15, v0
	v_cmp_gt_u64_e32 vcc, s[56:57], v[6:7]
	s_or_b64 s[6:7], s[6:7], exec
	s_waitcnt lgkmcnt(0)
	v_lshlrev_b32_e32 v6, 16, v8
	v_cmp_neq_f32_e64 s[0:1], v9, v6
	s_and_b64 s[0:1], vcc, s[0:1]
	s_and_b64 s[8:9], s[0:1], exec
	s_or_b64 exec, exec, s[4:5]
.LBB875_53:
	v_mov_b32_e32 v69, s3
	s_and_saveexec_b64 s[0:1], s[6:7]
.LBB875_54:
	v_cndmask_b32_e64 v69, 0, 1, s[8:9]
.LBB875_55:
	s_or_b64 exec, exec, s[0:1]
	s_cmp_eq_u64 s[42:43], 0
	v_add3_u32 v6, v67, v69, v68
	s_cselect_b64 s[34:35], -1, 0
	s_cmp_lg_u32 s2, 0
	v_cmp_eq_u32_e64 s[24:25], 0, v67
	v_cmp_eq_u32_e64 s[22:23], 0, v68
	;; [unrolled: 1-line block ×3, first 2 shown]
	v_add3_u32 v80, v6, v66, v63
	v_cmp_eq_u32_e64 s[18:19], 0, v63
	v_cmp_eq_u32_e64 s[16:17], 0, v60
	;; [unrolled: 1-line block ×10, first 2 shown]
	v_cmp_eq_u32_e32 vcc, 0, v59
	v_mbcnt_lo_u32_b32 v79, -1, 0
	v_lshrrev_b32_e32 v77, 6, v0
	v_or_b32_e32 v78, 63, v0
	s_cbranch_scc0 .LBB875_86
; %bb.56:
	v_cndmask_b32_e64 v6, 0, v22, s[24:25]
	v_add_u32_e32 v6, v6, v23
	v_cndmask_b32_e64 v6, 0, v6, s[22:23]
	v_add_u32_e32 v6, v6, v75
	;; [unrolled: 2-line block ×11, first 2 shown]
	v_cndmask_b32_e64 v6, 0, v6, s[28:29]
	v_add3_u32 v7, v80, v60, v65
	v_add_u32_e32 v6, v6, v70
	v_add3_u32 v7, v7, v64, v57
	v_cndmask_b32_e64 v6, 0, v6, s[0:1]
	v_add3_u32 v7, v7, v56, v62
	v_add_u32_e32 v6, v6, v17
	v_add3_u32 v7, v7, v61, v15
	v_cndmask_b32_e32 v6, 0, v6, vcc
	v_add3_u32 v7, v7, v58, v59
	v_add_u32_e32 v6, v6, v76
	v_mbcnt_hi_u32_b32 v27, -1, v79
	v_and_b32_e32 v8, 15, v27
	v_mov_b32_dpp v10, v6 row_shr:1 row_mask:0xf bank_mask:0xf
	v_cmp_eq_u32_e32 vcc, 0, v7
	v_mov_b32_dpp v9, v7 row_shr:1 row_mask:0xf bank_mask:0xf
	v_cmp_lt_u32_e64 s[26:27], 1, v8
	v_cndmask_b32_e32 v10, 0, v10, vcc
	v_cmp_eq_u32_e32 vcc, 0, v8
	s_nop 1
	v_cndmask_b32_e64 v9, v9, 0, vcc
	v_add_u32_e32 v7, v9, v7
	v_cndmask_b32_e64 v9, v10, 0, vcc
	v_add_u32_e32 v6, v9, v6
	v_cmp_eq_u32_e32 vcc, 0, v7
	v_mov_b32_dpp v9, v7 row_shr:2 row_mask:0xf bank_mask:0xf
	v_mov_b32_dpp v10, v6 row_shr:2 row_mask:0xf bank_mask:0xf
	v_cndmask_b32_e64 v9, 0, v9, s[26:27]
	s_and_b64 vcc, s[26:27], vcc
	v_cndmask_b32_e32 v10, 0, v10, vcc
	v_add_u32_e32 v7, v7, v9
	v_add_u32_e32 v6, v10, v6
	v_cmp_eq_u32_e32 vcc, 0, v7
	v_mov_b32_dpp v9, v7 row_shr:4 row_mask:0xf bank_mask:0xf
	v_cmp_lt_u32_e64 s[26:27], 3, v8
	v_mov_b32_dpp v10, v6 row_shr:4 row_mask:0xf bank_mask:0xf
	s_and_b64 vcc, s[26:27], vcc
	v_cndmask_b32_e64 v9, 0, v9, s[26:27]
	v_cndmask_b32_e32 v10, 0, v10, vcc
	v_add_u32_e32 v7, v9, v7
	v_add_u32_e32 v6, v6, v10
	v_cmp_eq_u32_e32 vcc, 0, v7
	v_cmp_lt_u32_e64 s[26:27], 7, v8
	v_mov_b32_dpp v9, v7 row_shr:8 row_mask:0xf bank_mask:0xf
	v_mov_b32_dpp v10, v6 row_shr:8 row_mask:0xf bank_mask:0xf
	s_and_b64 vcc, s[26:27], vcc
	v_cndmask_b32_e64 v8, 0, v9, s[26:27]
	v_cndmask_b32_e32 v9, 0, v10, vcc
	v_add_u32_e32 v6, v9, v6
	v_add_u32_e32 v7, v8, v7
	v_bfe_i32 v10, v27, 4, 1
	v_mov_b32_dpp v9, v6 row_bcast:15 row_mask:0xf bank_mask:0xf
	v_mov_b32_dpp v8, v7 row_bcast:15 row_mask:0xf bank_mask:0xf
	v_cmp_eq_u32_e32 vcc, 0, v7
	v_and_b32_e32 v8, v10, v8
	v_add_u32_e32 v7, v8, v7
	v_cndmask_b32_e32 v9, 0, v9, vcc
	v_and_b32_e32 v8, v10, v9
	v_add_u32_e32 v8, v8, v6
	v_mov_b32_dpp v6, v7 row_bcast:31 row_mask:0xf bank_mask:0xf
	v_cmp_eq_u32_e32 vcc, 0, v7
	v_cmp_lt_u32_e64 s[26:27], 31, v27
	v_mov_b32_dpp v9, v8 row_bcast:31 row_mask:0xf bank_mask:0xf
	s_and_b64 vcc, s[26:27], vcc
	v_cndmask_b32_e64 v6, 0, v6, s[26:27]
	v_add_u32_e32 v6, v6, v7
	v_cndmask_b32_e32 v7, 0, v9, vcc
	v_add_u32_e32 v7, v7, v8
	v_cmp_eq_u32_e32 vcc, v78, v0
	v_lshlrev_b32_e32 v8, 3, v77
	s_and_saveexec_b64 s[26:27], vcc
	s_cbranch_execz .LBB875_58
; %bb.57:
	ds_write_b64 v8, v[6:7] offset:1040
.LBB875_58:
	s_or_b64 exec, exec, s[26:27]
	v_cmp_gt_u32_e32 vcc, 4, v0
	s_waitcnt lgkmcnt(0)
	s_barrier
	s_and_saveexec_b64 s[30:31], vcc
	s_cbranch_execz .LBB875_60
; %bb.59:
	v_lshlrev_b32_e32 v9, 3, v0
	ds_read_b64 v[10:11], v9 offset:1040
	v_and_b32_e32 v24, 3, v27
	v_cmp_lt_u32_e64 s[26:27], 1, v24
	s_waitcnt lgkmcnt(0)
	v_mov_b32_dpp v26, v11 row_shr:1 row_mask:0xf bank_mask:0xf
	v_cmp_eq_u32_e32 vcc, 0, v10
	v_mov_b32_dpp v25, v10 row_shr:1 row_mask:0xf bank_mask:0xf
	s_nop 0
	v_cndmask_b32_e32 v26, 0, v26, vcc
	v_cmp_eq_u32_e32 vcc, 0, v24
	s_nop 1
	v_cndmask_b32_e64 v25, v25, 0, vcc
	v_add_u32_e32 v10, v25, v10
	v_cndmask_b32_e64 v25, v26, 0, vcc
	v_add_u32_e32 v11, v25, v11
	v_cmp_eq_u32_e32 vcc, 0, v10
	v_mov_b32_dpp v25, v10 row_shr:2 row_mask:0xf bank_mask:0xf
	v_mov_b32_dpp v26, v11 row_shr:2 row_mask:0xf bank_mask:0xf
	v_cndmask_b32_e64 v24, 0, v25, s[26:27]
	s_and_b64 vcc, s[26:27], vcc
	v_add_u32_e32 v10, v24, v10
	v_cndmask_b32_e32 v24, 0, v26, vcc
	v_add_u32_e32 v11, v24, v11
	ds_write_b64 v9, v[10:11] offset:1040
.LBB875_60:
	s_or_b64 exec, exec, s[30:31]
	v_cmp_gt_u32_e32 vcc, 64, v0
	v_cmp_lt_u32_e64 s[26:27], 63, v0
	v_mov_b32_e32 v24, 0
	v_mov_b32_e32 v25, 0
	s_waitcnt lgkmcnt(0)
	s_barrier
	s_and_saveexec_b64 s[30:31], s[26:27]
	s_cbranch_execz .LBB875_62
; %bb.61:
	ds_read_b64 v[24:25], v8 offset:1032
	v_cmp_eq_u32_e64 s[26:27], 0, v6
	s_waitcnt lgkmcnt(0)
	v_add_u32_e32 v8, v24, v6
	v_cndmask_b32_e64 v6, 0, v25, s[26:27]
	v_add_u32_e32 v7, v6, v7
	v_mov_b32_e32 v6, v8
.LBB875_62:
	s_or_b64 exec, exec, s[30:31]
	v_add_u32_e32 v8, -1, v27
	v_and_b32_e32 v9, 64, v27
	v_cmp_lt_i32_e64 s[26:27], v8, v9
	s_nop 1
	v_cndmask_b32_e64 v8, v8, v27, s[26:27]
	v_lshlrev_b32_e32 v8, 2, v8
	ds_bpermute_b32 v32, v8, v6
	ds_bpermute_b32 v33, v8, v7
	v_cmp_eq_u32_e64 s[26:27], 0, v27
	s_and_saveexec_b64 s[36:37], vcc
	s_cbranch_execz .LBB875_85
; %bb.63:
	v_mov_b32_e32 v11, 0
	ds_read_b64 v[6:7], v11 offset:1064
	s_waitcnt lgkmcnt(0)
	v_readfirstlane_b32 s3, v6
	v_readfirstlane_b32 s56, v7
	s_and_saveexec_b64 s[30:31], s[26:27]
	s_cbranch_execz .LBB875_65
; %bb.64:
	s_add_i32 s42, s2, 64
	s_mov_b32 s43, 0
	s_lshl_b64 s[58:59], s[42:43], 4
	s_add_u32 s58, s40, s58
	s_addc_u32 s59, s41, s59
	s_and_b32 s61, s56, 0xff000000
	s_mov_b32 s60, s43
	s_and_b32 s63, s56, 0xff0000
	s_mov_b32 s62, s43
	s_or_b64 s[60:61], s[62:63], s[60:61]
	s_and_b32 s63, s56, 0xff00
	s_or_b64 s[60:61], s[60:61], s[62:63]
	s_and_b32 s63, s56, 0xff
	s_or_b64 s[42:43], s[60:61], s[62:63]
	v_mov_b32_e32 v8, s3
	v_mov_b32_e32 v9, s43
	;; [unrolled: 1-line block ×3, first 2 shown]
	v_mov_b64_e32 v[6:7], s[58:59]
	;;#ASMSTART
	global_store_dwordx4 v[6:7], v[8:11] off sc1	
s_waitcnt vmcnt(0)
	;;#ASMEND
.LBB875_65:
	s_or_b64 exec, exec, s[30:31]
	v_xad_u32 v26, v27, -1, s2
	v_add_u32_e32 v10, 64, v26
	v_lshl_add_u64 v[28:29], v[10:11], 4, s[40:41]
	;;#ASMSTART
	global_load_dwordx4 v[6:9], v[28:29] off sc1	
s_waitcnt vmcnt(0)
	;;#ASMEND
	s_nop 0
	v_and_b32_e32 v9, 0xff, v7
	v_and_b32_e32 v10, 0xff00, v7
	v_or3_b32 v6, v6, 0, 0
	v_and_b32_e32 v30, 0xff000000, v7
	v_or3_b32 v9, 0, v9, v10
	;; [unrolled: 2-line block ×3, first 2 shown]
	v_or3_b32 v6, v6, 0, 0
	v_cmp_eq_u16_sdwa s[42:43], v8, v11 src0_sel:BYTE_0 src1_sel:DWORD
	s_and_saveexec_b64 s[30:31], s[42:43]
	s_cbranch_execz .LBB875_71
; %bb.66:
	s_mov_b32 s57, 1
	s_mov_b64 s[42:43], 0
	v_mov_b32_e32 v10, 0
.LBB875_67:                             ; =>This Loop Header: Depth=1
                                        ;     Child Loop BB875_68 Depth 2
	s_max_u32 s58, s57, 1
.LBB875_68:                             ;   Parent Loop BB875_67 Depth=1
                                        ; =>  This Inner Loop Header: Depth=2
	s_add_i32 s58, s58, -1
	s_cmp_eq_u32 s58, 0
	s_sleep 1
	s_cbranch_scc0 .LBB875_68
; %bb.69:                               ;   in Loop: Header=BB875_67 Depth=1
	s_cmp_lt_u32 s57, 32
	s_cselect_b64 s[58:59], -1, 0
	s_cmp_lg_u64 s[58:59], 0
	s_addc_u32 s57, s57, 0
	;;#ASMSTART
	global_load_dwordx4 v[6:9], v[28:29] off sc1	
s_waitcnt vmcnt(0)
	;;#ASMEND
	s_nop 0
	v_cmp_ne_u16_sdwa s[58:59], v8, v10 src0_sel:BYTE_0 src1_sel:DWORD
	s_or_b64 s[42:43], s[58:59], s[42:43]
	s_andn2_b64 exec, exec, s[42:43]
	s_cbranch_execnz .LBB875_67
; %bb.70:
	s_or_b64 exec, exec, s[42:43]
.LBB875_71:
	s_or_b64 exec, exec, s[30:31]
	v_mov_b32_e32 v34, 2
	v_cmp_eq_u16_sdwa s[30:31], v8, v34 src0_sel:BYTE_0 src1_sel:DWORD
	v_lshlrev_b64 v[28:29], v27, -1
	v_and_b32_e32 v35, 63, v27
	v_and_b32_e32 v9, s31, v29
	v_or_b32_e32 v9, 0x80000000, v9
	v_cmp_ne_u32_e32 vcc, 63, v35
	v_and_b32_e32 v10, s30, v28
	v_ffbl_b32_e32 v9, v9
	v_addc_co_u32_e32 v11, vcc, 0, v27, vcc
	v_add_u32_e32 v9, 32, v9
	v_ffbl_b32_e32 v10, v10
	v_lshlrev_b32_e32 v36, 2, v11
	v_min_u32_e32 v9, v10, v9
	ds_bpermute_b32 v10, v36, v7
	v_cmp_eq_u32_e32 vcc, 0, v6
	v_cmp_lt_u32_e64 s[30:31], v35, v9
	ds_bpermute_b32 v11, v36, v6
	s_and_b64 vcc, s[30:31], vcc
	s_waitcnt lgkmcnt(1)
	v_cndmask_b32_e32 v10, 0, v10, vcc
	v_cmp_gt_u32_e32 vcc, 62, v35
	v_add_u32_e32 v7, v10, v7
	s_waitcnt lgkmcnt(0)
	v_cndmask_b32_e64 v11, 0, v11, s[30:31]
	v_cndmask_b32_e64 v10, 0, 1, vcc
	v_lshlrev_b32_e32 v10, 1, v10
	v_add_lshl_u32 v37, v10, v27, 2
	ds_bpermute_b32 v10, v37, v7
	v_add_u32_e32 v6, v11, v6
	ds_bpermute_b32 v11, v37, v6
	v_add_u32_e32 v38, 2, v35
	v_cmp_eq_u32_e32 vcc, 0, v6
	v_add_u32_e32 v40, 4, v35
	v_add_u32_e32 v42, 8, v35
	s_waitcnt lgkmcnt(1)
	v_cndmask_b32_e32 v10, 0, v10, vcc
	v_cmp_gt_u32_e32 vcc, v38, v9
	v_add_u32_e32 v44, 16, v35
	v_add_u32_e32 v46, 32, v35
	v_cndmask_b32_e64 v10, v10, 0, vcc
	v_add_u32_e32 v7, v10, v7
	s_waitcnt lgkmcnt(0)
	v_cndmask_b32_e64 v10, v11, 0, vcc
	v_cmp_gt_u32_e32 vcc, 60, v35
	v_add_u32_e32 v6, v6, v10
	s_nop 0
	v_cndmask_b32_e64 v11, 0, 1, vcc
	v_lshlrev_b32_e32 v11, 2, v11
	v_add_lshl_u32 v39, v11, v27, 2
	ds_bpermute_b32 v11, v39, v7
	ds_bpermute_b32 v10, v39, v6
	v_cmp_eq_u32_e32 vcc, 0, v6
	s_waitcnt lgkmcnt(1)
	s_nop 0
	v_cndmask_b32_e32 v11, 0, v11, vcc
	v_cmp_gt_u32_e32 vcc, v40, v9
	s_nop 1
	v_cndmask_b32_e64 v11, v11, 0, vcc
	s_waitcnt lgkmcnt(0)
	v_cndmask_b32_e64 v10, v10, 0, vcc
	v_cmp_gt_u32_e32 vcc, 56, v35
	v_add_u32_e32 v7, v7, v11
	v_add_u32_e32 v6, v6, v10
	v_cndmask_b32_e64 v11, 0, 1, vcc
	v_lshlrev_b32_e32 v11, 3, v11
	v_add_lshl_u32 v41, v11, v27, 2
	ds_bpermute_b32 v11, v41, v7
	ds_bpermute_b32 v10, v41, v6
	v_cmp_eq_u32_e32 vcc, 0, v6
	s_waitcnt lgkmcnt(1)
	s_nop 0
	v_cndmask_b32_e32 v11, 0, v11, vcc
	v_cmp_gt_u32_e32 vcc, v42, v9
	s_nop 1
	v_cndmask_b32_e64 v11, v11, 0, vcc
	s_waitcnt lgkmcnt(0)
	v_cndmask_b32_e64 v10, v10, 0, vcc
	v_cmp_gt_u32_e32 vcc, 48, v35
	v_add_u32_e32 v7, v7, v11
	v_add_u32_e32 v6, v6, v10
	;; [unrolled: 17-line block ×3, first 2 shown]
	v_cndmask_b32_e64 v11, 0, 1, vcc
	v_lshlrev_b32_e32 v11, 5, v11
	v_add_lshl_u32 v45, v11, v27, 2
	ds_bpermute_b32 v11, v45, v7
	ds_bpermute_b32 v10, v45, v6
	v_cmp_eq_u32_e32 vcc, 0, v6
	v_mov_b32_e32 v27, 0
	s_waitcnt lgkmcnt(1)
	v_cndmask_b32_e32 v11, 0, v11, vcc
	v_cmp_gt_u32_e32 vcc, v46, v9
	s_nop 1
	v_cndmask_b32_e64 v9, v11, 0, vcc
	v_add_u32_e32 v7, v9, v7
	s_waitcnt lgkmcnt(0)
	v_cndmask_b32_e64 v9, v10, 0, vcc
	v_add_u32_e32 v6, v9, v6
	s_branch .LBB875_73
.LBB875_72:                             ;   in Loop: Header=BB875_73 Depth=1
	s_or_b64 exec, exec, s[30:31]
	v_cmp_eq_u16_sdwa s[30:31], v8, v34 src0_sel:BYTE_0 src1_sel:DWORD
	v_cmp_eq_u32_e32 vcc, 0, v6
	ds_bpermute_b32 v31, v36, v6
	v_and_b32_e32 v9, s31, v29
	v_or_b32_e32 v9, 0x80000000, v9
	v_and_b32_e32 v30, s30, v28
	v_ffbl_b32_e32 v9, v9
	v_add_u32_e32 v9, 32, v9
	v_ffbl_b32_e32 v30, v30
	v_min_u32_e32 v9, v30, v9
	ds_bpermute_b32 v30, v36, v7
	v_cmp_lt_u32_e64 s[30:31], v35, v9
	s_and_b64 vcc, s[30:31], vcc
	v_subrev_u32_e32 v26, 64, v26
	s_waitcnt lgkmcnt(1)
	v_cndmask_b32_e64 v31, 0, v31, s[30:31]
	s_waitcnt lgkmcnt(0)
	v_cndmask_b32_e32 v30, 0, v30, vcc
	v_add_u32_e32 v7, v30, v7
	ds_bpermute_b32 v30, v37, v7
	v_add_u32_e32 v6, v31, v6
	v_cmp_eq_u32_e32 vcc, 0, v6
	ds_bpermute_b32 v31, v37, v6
	s_waitcnt lgkmcnt(1)
	v_cndmask_b32_e32 v30, 0, v30, vcc
	v_cmp_gt_u32_e32 vcc, v38, v9
	s_nop 1
	v_cndmask_b32_e64 v30, v30, 0, vcc
	v_add_u32_e32 v7, v30, v7
	ds_bpermute_b32 v30, v39, v7
	s_waitcnt lgkmcnt(1)
	v_cndmask_b32_e64 v31, v31, 0, vcc
	v_add_u32_e32 v6, v6, v31
	v_cmp_eq_u32_e32 vcc, 0, v6
	ds_bpermute_b32 v31, v39, v6
	s_waitcnt lgkmcnt(1)
	v_cndmask_b32_e32 v30, 0, v30, vcc
	v_cmp_gt_u32_e32 vcc, v40, v9
	s_nop 1
	v_cndmask_b32_e64 v30, v30, 0, vcc
	v_add_u32_e32 v7, v7, v30
	ds_bpermute_b32 v30, v41, v7
	s_waitcnt lgkmcnt(1)
	v_cndmask_b32_e64 v31, v31, 0, vcc
	v_add_u32_e32 v6, v6, v31
	ds_bpermute_b32 v31, v41, v6
	v_cmp_eq_u32_e32 vcc, 0, v6
	s_waitcnt lgkmcnt(1)
	s_nop 0
	v_cndmask_b32_e32 v30, 0, v30, vcc
	v_cmp_gt_u32_e32 vcc, v42, v9
	s_nop 1
	v_cndmask_b32_e64 v30, v30, 0, vcc
	v_add_u32_e32 v7, v7, v30
	ds_bpermute_b32 v30, v43, v7
	s_waitcnt lgkmcnt(1)
	v_cndmask_b32_e64 v31, v31, 0, vcc
	v_add_u32_e32 v6, v6, v31
	ds_bpermute_b32 v31, v43, v6
	v_cmp_eq_u32_e32 vcc, 0, v6
	s_waitcnt lgkmcnt(1)
	s_nop 0
	;; [unrolled: 13-line block ×3, first 2 shown]
	v_cndmask_b32_e32 v30, 0, v30, vcc
	v_cmp_gt_u32_e32 vcc, v46, v9
	s_nop 1
	v_cndmask_b32_e64 v9, v30, 0, vcc
	v_add_u32_e32 v7, v9, v7
	s_waitcnt lgkmcnt(0)
	v_cndmask_b32_e64 v9, v31, 0, vcc
	v_cmp_eq_u32_e32 vcc, 0, v10
	v_add3_u32 v6, v6, v10, v9
	s_nop 0
	v_cndmask_b32_e32 v7, 0, v7, vcc
	v_add_u32_e32 v7, v7, v11
.LBB875_73:                             ; =>This Loop Header: Depth=1
                                        ;     Child Loop BB875_76 Depth 2
                                        ;       Child Loop BB875_77 Depth 3
	v_cmp_ne_u16_sdwa s[30:31], v8, v34 src0_sel:BYTE_0 src1_sel:DWORD
	v_mov_b32_e32 v11, v7
	v_mov_b32_e32 v10, v6
	v_cndmask_b32_e64 v7, 0, 1, s[30:31]
	;;#ASMSTART
	;;#ASMEND
	s_nop 0
	v_cmp_ne_u32_e32 vcc, 0, v7
	s_cmp_lg_u64 vcc, exec
	s_cbranch_scc1 .LBB875_80
; %bb.74:                               ;   in Loop: Header=BB875_73 Depth=1
	v_lshl_add_u64 v[30:31], v[26:27], 4, s[40:41]
	;;#ASMSTART
	global_load_dwordx4 v[6:9], v[30:31] off sc1	
s_waitcnt vmcnt(0)
	;;#ASMEND
	s_nop 0
	v_and_b32_e32 v9, 0xff, v7
	v_and_b32_e32 v47, 0xff00, v7
	v_or3_b32 v6, v6, 0, 0
	v_and_b32_e32 v48, 0xff000000, v7
	v_or3_b32 v9, 0, v9, v47
	;; [unrolled: 2-line block ×3, first 2 shown]
	v_or3_b32 v6, v6, 0, 0
	v_cmp_eq_u16_sdwa s[42:43], v8, v27 src0_sel:BYTE_0 src1_sel:DWORD
	s_and_saveexec_b64 s[30:31], s[42:43]
	s_cbranch_execz .LBB875_72
; %bb.75:                               ;   in Loop: Header=BB875_73 Depth=1
	s_mov_b32 s57, 1
	s_mov_b64 s[42:43], 0
.LBB875_76:                             ;   Parent Loop BB875_73 Depth=1
                                        ; =>  This Loop Header: Depth=2
                                        ;       Child Loop BB875_77 Depth 3
	s_max_u32 s58, s57, 1
.LBB875_77:                             ;   Parent Loop BB875_73 Depth=1
                                        ;     Parent Loop BB875_76 Depth=2
                                        ; =>    This Inner Loop Header: Depth=3
	s_add_i32 s58, s58, -1
	s_cmp_eq_u32 s58, 0
	s_sleep 1
	s_cbranch_scc0 .LBB875_77
; %bb.78:                               ;   in Loop: Header=BB875_76 Depth=2
	s_cmp_lt_u32 s57, 32
	s_cselect_b64 s[58:59], -1, 0
	s_cmp_lg_u64 s[58:59], 0
	s_addc_u32 s57, s57, 0
	;;#ASMSTART
	global_load_dwordx4 v[6:9], v[30:31] off sc1	
s_waitcnt vmcnt(0)
	;;#ASMEND
	s_nop 0
	v_cmp_ne_u16_sdwa s[58:59], v8, v27 src0_sel:BYTE_0 src1_sel:DWORD
	s_or_b64 s[42:43], s[58:59], s[42:43]
	s_andn2_b64 exec, exec, s[42:43]
	s_cbranch_execnz .LBB875_76
; %bb.79:                               ;   in Loop: Header=BB875_73 Depth=1
	s_or_b64 exec, exec, s[42:43]
	s_branch .LBB875_72
.LBB875_80:                             ;   in Loop: Header=BB875_73 Depth=1
                                        ; implicit-def: $vgpr7
                                        ; implicit-def: $vgpr6
                                        ; implicit-def: $vgpr8
	s_cbranch_execz .LBB875_73
; %bb.81:
	s_and_saveexec_b64 s[30:31], s[26:27]
	s_cbranch_execz .LBB875_83
; %bb.82:
	s_cmp_eq_u32 s3, 0
	s_cselect_b64 vcc, -1, 0
	s_mov_b32 s43, 0
	v_cndmask_b32_e32 v6, 0, v11, vcc
	s_add_i32 s42, s2, 64
	v_add_u32_e32 v6, s56, v6
	s_lshl_b64 s[42:43], s[42:43], 4
	s_add_u32 s42, s40, s42
	v_and_b32_e32 v7, 0xff000000, v6
	v_and_b32_e32 v8, 0xff0000, v6
	s_addc_u32 s43, s41, s43
	v_or_b32_e32 v7, v8, v7
	v_and_b32_e32 v8, 0xff00, v6
	v_and_b32_e32 v6, 0xff, v6
	v_add_u32_e32 v26, s3, v10
	v_mov_b32_e32 v29, 0
	v_or3_b32 v27, v7, v8, v6
	v_mov_b32_e32 v28, 2
	v_mov_b64_e32 v[6:7], s[42:43]
	;;#ASMSTART
	global_store_dwordx4 v[6:7], v[26:29] off sc1	
s_waitcnt vmcnt(0)
	;;#ASMEND
	v_mov_b32_e32 v8, s3
	v_mov_b32_e32 v9, s56
	ds_write_b128 v29, v[8:11] offset:1024
.LBB875_83:
	s_or_b64 exec, exec, s[30:31]
	v_cmp_eq_u32_e32 vcc, 0, v0
	s_and_b64 exec, exec, vcc
	s_cbranch_execz .LBB875_85
; %bb.84:
	v_mov_b32_e32 v6, 0
	ds_write_b64 v6, v[10:11] offset:1064
.LBB875_85:
	s_or_b64 exec, exec, s[36:37]
	v_mov_b32_e32 v8, 0
	s_waitcnt lgkmcnt(0)
	s_barrier
	ds_read_b64 v[6:7], v8 offset:1064
	v_cndmask_b32_e64 v10, v32, v24, s[26:27]
	v_cmp_eq_u32_e32 vcc, 0, v10
	v_cndmask_b32_e64 v9, v33, v25, s[26:27]
	s_waitcnt lgkmcnt(0)
	v_cndmask_b32_e32 v11, 0, v7, vcc
	v_add_u32_e32 v9, v11, v9
	v_cmp_eq_u32_e32 vcc, 0, v0
	s_barrier
	s_nop 0
	v_cndmask_b32_e32 v55, v9, v7, vcc
	v_cndmask_b32_e64 v7, v10, 0, vcc
	v_cmp_eq_u32_e32 vcc, 0, v69
	v_add_u32_e32 v54, v6, v7
	v_add_u32_e32 v52, v54, v69
	v_cndmask_b32_e32 v6, 0, v55, vcc
	v_add_u32_e32 v53, v6, v22
	v_cndmask_b32_e64 v6, 0, v53, s[24:25]
	v_add_u32_e32 v51, v6, v23
	v_cndmask_b32_e64 v6, 0, v51, s[22:23]
	;; [unrolled: 2-line block ×8, first 2 shown]
	v_add_u32_e32 v37, v6, v72
	v_add_u32_e32 v50, v52, v67
	v_cndmask_b32_e64 v6, 0, v37, s[8:9]
	v_add_u32_e32 v48, v50, v68
	v_add_u32_e32 v35, v6, v19
	v_add_u32_e32 v46, v48, v66
	v_cndmask_b32_e64 v6, 0, v35, s[6:7]
	v_add_u32_e32 v44, v46, v63
	;; [unrolled: 4-line block ×3, first 2 shown]
	v_add_u32_e32 v31, v6, v16
	ds_read_b128 v[6:9], v8 offset:1024
	v_add_u32_e32 v38, v40, v64
	v_add_u32_e32 v36, v38, v57
	;; [unrolled: 1-line block ×4, first 2 shown]
	v_cndmask_b32_e64 v10, 0, v31, s[28:29]
	v_add_u32_e32 v30, v32, v61
	v_add_u32_e32 v29, v10, v70
	s_waitcnt lgkmcnt(0)
	v_cmp_eq_u32_e32 vcc, 0, v6
	v_add_u32_e32 v28, v30, v15
	v_cndmask_b32_e64 v10, 0, v29, s[0:1]
	v_cndmask_b32_e32 v9, 0, v9, vcc
	v_add_u32_e32 v26, v28, v58
	v_add_u32_e32 v27, v10, v17
	;; [unrolled: 1-line block ×3, first 2 shown]
	s_branch .LBB875_98
.LBB875_86:
                                        ; implicit-def: $vgpr6
                                        ; implicit-def: $vgpr24
                                        ; implicit-def: $vgpr54_vgpr55
                                        ; implicit-def: $vgpr52_vgpr53
                                        ; implicit-def: $vgpr50_vgpr51
                                        ; implicit-def: $vgpr48_vgpr49
                                        ; implicit-def: $vgpr46_vgpr47
                                        ; implicit-def: $vgpr44_vgpr45
                                        ; implicit-def: $vgpr42_vgpr43
                                        ; implicit-def: $vgpr40_vgpr41
                                        ; implicit-def: $vgpr38_vgpr39
                                        ; implicit-def: $vgpr36_vgpr37
                                        ; implicit-def: $vgpr34_vgpr35
                                        ; implicit-def: $vgpr32_vgpr33
                                        ; implicit-def: $vgpr30_vgpr31
                                        ; implicit-def: $vgpr28_vgpr29
                                        ; implicit-def: $vgpr26_vgpr27
	s_cbranch_execz .LBB875_98
; %bb.87:
	s_and_b64 s[0:1], s[34:35], exec
	s_cselect_b32 s1, 0, s55
	s_cselect_b32 s0, 0, s54
	s_cmp_eq_u64 s[0:1], 0
	v_mov_b32_e32 v10, v22
	s_cbranch_scc1 .LBB875_89
; %bb.88:
	v_mov_b32_e32 v6, 0
	global_load_dword v10, v6, s[0:1]
.LBB875_89:
	v_cmp_eq_u32_e64 s[0:1], 0, v67
	v_cmp_eq_u32_e64 s[2:3], 0, v68
	v_cmp_eq_u32_e64 s[4:5], 0, v66
	v_cndmask_b32_e64 v6, 0, v22, s[0:1]
	v_add_u32_e32 v6, v6, v23
	v_cndmask_b32_e64 v6, 0, v6, s[2:3]
	v_add_u32_e32 v6, v6, v75
	v_cndmask_b32_e64 v6, 0, v6, s[4:5]
	v_add_u32_e32 v6, v6, v20
	v_cmp_eq_u32_e64 s[6:7], 0, v63
	v_cmp_eq_u32_e64 s[8:9], 0, v60
	v_cmp_eq_u32_e64 s[10:11], 0, v65
	v_cndmask_b32_e64 v6, 0, v6, s[6:7]
	v_add_u32_e32 v6, v6, v74
	v_cndmask_b32_e64 v6, 0, v6, s[8:9]
	v_add_u32_e32 v6, v6, v21
	v_cndmask_b32_e64 v6, 0, v6, s[10:11]
	v_add_u32_e32 v6, v6, v73
	;; [unrolled: 9-line block ×3, first 2 shown]
	v_cmp_eq_u32_e64 s[18:19], 0, v62
	v_cmp_eq_u32_e64 s[20:21], 0, v61
	;; [unrolled: 1-line block ×3, first 2 shown]
	v_cndmask_b32_e64 v6, 0, v6, s[18:19]
	v_add_u32_e32 v6, v6, v71
	v_cndmask_b32_e64 v6, 0, v6, s[20:21]
	v_add_u32_e32 v6, v6, v16
	v_cndmask_b32_e64 v6, 0, v6, s[22:23]
	v_add3_u32 v7, v80, v60, v65
	v_add_u32_e32 v6, v6, v70
	v_cmp_eq_u32_e32 vcc, 0, v58
	v_add3_u32 v7, v7, v64, v57
	v_add3_u32 v7, v7, v56, v62
	v_cndmask_b32_e32 v6, 0, v6, vcc
	v_add_u32_e32 v6, v6, v17
	v_cmp_eq_u32_e64 s[24:25], 0, v59
	v_add3_u32 v7, v7, v61, v15
	v_add3_u32 v7, v7, v58, v59
	v_cndmask_b32_e64 v6, 0, v6, s[24:25]
	v_add_u32_e32 v6, v6, v76
	v_mbcnt_hi_u32_b32 v11, -1, v79
	v_and_b32_e32 v8, 15, v11
	v_mov_b32_dpp v24, v6 row_shr:1 row_mask:0xf bank_mask:0xf
	v_cmp_eq_u32_e64 s[24:25], 0, v7
	v_mov_b32_dpp v9, v7 row_shr:1 row_mask:0xf bank_mask:0xf
	v_cmp_lt_u32_e64 s[26:27], 1, v8
	v_cndmask_b32_e64 v24, 0, v24, s[24:25]
	v_cmp_eq_u32_e64 s[24:25], 0, v8
	s_nop 1
	v_cndmask_b32_e64 v9, v9, 0, s[24:25]
	v_add_u32_e32 v7, v9, v7
	v_cndmask_b32_e64 v9, v24, 0, s[24:25]
	v_add_u32_e32 v6, v9, v6
	v_cmp_eq_u32_e64 s[24:25], 0, v7
	v_mov_b32_dpp v9, v7 row_shr:2 row_mask:0xf bank_mask:0xf
	v_mov_b32_dpp v24, v6 row_shr:2 row_mask:0xf bank_mask:0xf
	v_cndmask_b32_e64 v9, 0, v9, s[26:27]
	s_and_b64 s[24:25], s[26:27], s[24:25]
	v_cndmask_b32_e64 v24, 0, v24, s[24:25]
	v_add_u32_e32 v7, v7, v9
	v_add_u32_e32 v6, v24, v6
	v_cmp_eq_u32_e64 s[24:25], 0, v7
	v_mov_b32_dpp v9, v7 row_shr:4 row_mask:0xf bank_mask:0xf
	v_cmp_lt_u32_e64 s[26:27], 3, v8
	v_mov_b32_dpp v24, v6 row_shr:4 row_mask:0xf bank_mask:0xf
	s_and_b64 s[24:25], s[26:27], s[24:25]
	v_cndmask_b32_e64 v9, 0, v9, s[26:27]
	v_cndmask_b32_e64 v24, 0, v24, s[24:25]
	v_add_u32_e32 v7, v9, v7
	v_add_u32_e32 v6, v6, v24
	v_cmp_eq_u32_e64 s[24:25], 0, v7
	v_cmp_lt_u32_e64 s[26:27], 7, v8
	v_mov_b32_dpp v9, v7 row_shr:8 row_mask:0xf bank_mask:0xf
	v_mov_b32_dpp v24, v6 row_shr:8 row_mask:0xf bank_mask:0xf
	s_and_b64 s[24:25], s[26:27], s[24:25]
	v_cndmask_b32_e64 v8, 0, v9, s[26:27]
	v_cndmask_b32_e64 v9, 0, v24, s[24:25]
	v_add_u32_e32 v6, v9, v6
	v_add_u32_e32 v7, v8, v7
	v_bfe_i32 v24, v11, 4, 1
	v_mov_b32_dpp v9, v6 row_bcast:15 row_mask:0xf bank_mask:0xf
	v_mov_b32_dpp v8, v7 row_bcast:15 row_mask:0xf bank_mask:0xf
	v_cmp_eq_u32_e64 s[24:25], 0, v7
	v_and_b32_e32 v8, v24, v8
	v_add_u32_e32 v7, v8, v7
	v_cndmask_b32_e64 v9, 0, v9, s[24:25]
	v_and_b32_e32 v8, v24, v9
	v_add_u32_e32 v8, v8, v6
	v_mov_b32_dpp v6, v7 row_bcast:31 row_mask:0xf bank_mask:0xf
	v_cmp_eq_u32_e64 s[24:25], 0, v7
	v_cmp_lt_u32_e64 s[26:27], 31, v11
	v_mov_b32_dpp v9, v8 row_bcast:31 row_mask:0xf bank_mask:0xf
	s_and_b64 s[24:25], s[26:27], s[24:25]
	v_cndmask_b32_e64 v6, 0, v6, s[26:27]
	v_add_u32_e32 v6, v6, v7
	v_cndmask_b32_e64 v7, 0, v9, s[24:25]
	v_add_u32_e32 v7, v7, v8
	v_cmp_eq_u32_e64 s[24:25], v78, v0
	s_and_saveexec_b64 s[26:27], s[24:25]
	s_cbranch_execz .LBB875_91
; %bb.90:
	v_lshlrev_b32_e32 v8, 3, v77
	ds_write_b64 v8, v[6:7] offset:1040
.LBB875_91:
	s_or_b64 exec, exec, s[26:27]
	v_cmp_gt_u32_e64 s[24:25], 4, v0
	s_waitcnt lgkmcnt(0)
	s_barrier
	s_and_saveexec_b64 s[28:29], s[24:25]
	s_cbranch_execz .LBB875_93
; %bb.92:
	v_lshlrev_b32_e32 v24, 3, v0
	ds_read_b64 v[8:9], v24 offset:1040
	v_and_b32_e32 v25, 3, v11
	v_cmp_lt_u32_e64 s[26:27], 1, v25
	s_waitcnt lgkmcnt(0)
	v_mov_b32_dpp v27, v9 row_shr:1 row_mask:0xf bank_mask:0xf
	v_cmp_eq_u32_e64 s[24:25], 0, v8
	v_mov_b32_dpp v26, v8 row_shr:1 row_mask:0xf bank_mask:0xf
	s_nop 0
	v_cndmask_b32_e64 v27, 0, v27, s[24:25]
	v_cmp_eq_u32_e64 s[24:25], 0, v25
	s_nop 1
	v_cndmask_b32_e64 v26, v26, 0, s[24:25]
	v_add_u32_e32 v8, v26, v8
	v_cndmask_b32_e64 v26, v27, 0, s[24:25]
	v_add_u32_e32 v9, v26, v9
	v_cmp_eq_u32_e64 s[24:25], 0, v8
	v_mov_b32_dpp v26, v8 row_shr:2 row_mask:0xf bank_mask:0xf
	v_mov_b32_dpp v27, v9 row_shr:2 row_mask:0xf bank_mask:0xf
	v_cndmask_b32_e64 v25, 0, v26, s[26:27]
	s_and_b64 s[24:25], s[26:27], s[24:25]
	v_add_u32_e32 v8, v25, v8
	v_cndmask_b32_e64 v25, 0, v27, s[24:25]
	v_add_u32_e32 v9, v25, v9
	ds_write_b64 v24, v[8:9] offset:1040
.LBB875_93:
	s_or_b64 exec, exec, s[28:29]
	v_cmp_lt_u32_e64 s[24:25], 63, v0
	v_mov_b32_e32 v24, 0
	v_mov_b32_e32 v8, 0
	s_waitcnt vmcnt(0)
	v_mov_b32_e32 v9, v10
	s_waitcnt lgkmcnt(0)
	s_barrier
	s_and_saveexec_b64 s[26:27], s[24:25]
	s_cbranch_execz .LBB875_95
; %bb.94:
	v_lshlrev_b32_e32 v8, 3, v77
	ds_read_b64 v[8:9], v8 offset:1032
	s_waitcnt lgkmcnt(0)
	v_cmp_eq_u32_e64 s[24:25], 0, v8
	s_nop 1
	v_cndmask_b32_e64 v25, 0, v10, s[24:25]
	v_add_u32_e32 v9, v25, v9
.LBB875_95:
	s_or_b64 exec, exec, s[26:27]
	v_cmp_eq_u32_e64 s[24:25], 0, v6
	v_add_u32_e32 v25, v8, v6
	v_and_b32_e32 v26, 64, v11
	v_cndmask_b32_e64 v6, 0, v9, s[24:25]
	v_add_u32_e32 v6, v6, v7
	v_add_u32_e32 v7, -1, v11
	v_cmp_lt_i32_e64 s[24:25], v7, v26
	v_cmp_eq_u32_e64 s[26:27], 0, v69
	s_nop 0
	v_cndmask_b32_e64 v7, v7, v11, s[24:25]
	v_lshlrev_b32_e32 v7, 2, v7
	ds_bpermute_b32 v25, v7, v25
	ds_bpermute_b32 v6, v7, v6
	v_cmp_eq_u32_e64 s[24:25], 0, v11
	s_waitcnt lgkmcnt(1)
	s_nop 0
	v_cndmask_b32_e64 v7, v25, v8, s[24:25]
	s_waitcnt lgkmcnt(0)
	v_cndmask_b32_e64 v6, v6, v9, s[24:25]
	v_cmp_eq_u32_e64 s[24:25], 0, v0
	s_nop 1
	v_cndmask_b32_e64 v55, v6, v10, s[24:25]
	v_cndmask_b32_e64 v6, 0, v55, s[26:27]
	v_add_u32_e32 v53, v6, v22
	v_cndmask_b32_e64 v6, 0, v53, s[0:1]
	v_add_u32_e32 v51, v6, v23
	;; [unrolled: 2-line block ×8, first 2 shown]
	v_cndmask_b32_e64 v54, v7, 0, s[24:25]
	v_cndmask_b32_e64 v6, 0, v39, s[14:15]
	v_add_u32_e32 v52, v54, v69
	v_add_u32_e32 v37, v6, v72
	v_add_u32_e32 v50, v52, v67
	v_cndmask_b32_e64 v6, 0, v37, s[16:17]
	v_add_u32_e32 v48, v50, v68
	v_add_u32_e32 v35, v6, v19
	v_add_u32_e32 v46, v48, v66
	;; [unrolled: 4-line block ×3, first 2 shown]
	v_cndmask_b32_e64 v6, 0, v33, s[20:21]
	v_add_u32_e32 v40, v42, v65
	v_add_u32_e32 v31, v6, v16
	ds_read_b64 v[6:7], v24 offset:1064
	v_add_u32_e32 v38, v40, v64
	v_add_u32_e32 v36, v38, v57
	;; [unrolled: 1-line block ×3, first 2 shown]
	v_cndmask_b32_e64 v8, 0, v31, s[22:23]
	v_add_u32_e32 v32, v34, v62
	v_add_u32_e32 v29, v8, v70
	;; [unrolled: 1-line block ×3, first 2 shown]
	v_cndmask_b32_e32 v8, 0, v29, vcc
	s_waitcnt lgkmcnt(0)
	v_cmp_eq_u32_e32 vcc, 0, v6
	v_add_u32_e32 v28, v30, v15
	v_add_u32_e32 v27, v8, v17
	v_cndmask_b32_e32 v8, 0, v10, vcc
	v_add_u32_e32 v26, v28, v58
	v_add_u32_e32 v24, v8, v7
	s_and_saveexec_b64 s[0:1], s[24:25]
	s_cbranch_execz .LBB875_97
; %bb.96:
	s_add_u32 s2, s40, 0x400
	v_and_b32_e32 v7, 0xff000000, v24
	v_and_b32_e32 v8, 0xff0000, v24
	s_addc_u32 s3, s41, 0
	v_or_b32_e32 v7, v8, v7
	v_and_b32_e32 v8, 0xff00, v24
	v_and_b32_e32 v10, 0xff, v24
	v_mov_b32_e32 v9, 0
	v_or3_b32 v7, v7, v8, v10
	v_mov_b32_e32 v8, 2
	v_mov_b64_e32 v[10:11], s[2:3]
	;;#ASMSTART
	global_store_dwordx4 v[10:11], v[6:9] off sc1	
s_waitcnt vmcnt(0)
	;;#ASMEND
.LBB875_97:
	s_or_b64 exec, exec, s[0:1]
	v_mov_b32_e32 v8, 0
.LBB875_98:
	s_and_b64 s[0:1], s[34:35], exec
	s_cselect_b32 s1, 0, s39
	s_cselect_b32 s0, 0, s38
	s_cmp_eq_u64 s[0:1], 0
	v_mov_b64_e32 v[16:17], 0
	s_barrier
	s_cbranch_scc1 .LBB875_100
; %bb.99:
	v_mov_b32_e32 v7, 0
	global_load_dwordx2 v[16:17], v7, s[0:1]
.LBB875_100:
	s_waitcnt vmcnt(0)
	v_lshlrev_b64 v[10:11], 1, v[16:17]
	v_mov_b32_e32 v9, 0
	v_cmp_eq_u32_e32 vcc, 0, v69
	v_lshl_add_u64 v[10:11], s[48:49], 0, v[10:11]
	v_lshlrev_b64 v[18:19], 1, v[8:9]
	v_cndmask_b32_e64 v7, 1, 2, vcc
	v_cmp_eq_u32_e32 vcc, 0, v67
	v_lshl_add_u64 v[18:19], v[10:11], 0, v[18:19]
	s_movk_i32 s30, 0x100
	v_cndmask_b32_e64 v10, 1, 2, vcc
	v_cmp_eq_u32_e32 vcc, 0, v68
	v_and_b32_e32 v7, v10, v7
	v_cmp_ne_u32_e64 s[28:29], 0, v69
	v_cndmask_b32_e64 v10, 1, 2, vcc
	v_cmp_eq_u32_e32 vcc, 0, v66
	v_and_b32_e32 v7, v7, v10
	v_cmp_ne_u32_e64 s[26:27], 0, v67
	;; [unrolled: 4-line block ×13, first 2 shown]
	v_cndmask_b32_e64 v10, 1, 2, vcc
	v_and_b32_e32 v7, v7, v10
	v_cmp_gt_u32_e32 vcc, s30, v6
	v_cmp_ne_u32_e64 s[2:3], 0, v58
	v_cmp_ne_u32_e64 s[0:1], 0, v59
	s_mov_b64 s[34:35], -1
	v_cmp_gt_i16_e64 s[30:31], 2, v7
	s_cbranch_vccz .LBB875_107
; %bb.101:
	s_and_saveexec_b64 s[34:35], s[30:31]
	s_cbranch_execz .LBB875_106
; %bb.102:
	v_cmp_ne_u16_e32 vcc, 1, v7
	s_mov_b64 s[36:37], 0
	s_and_saveexec_b64 s[30:31], vcc
	s_xor_b64 s[30:31], exec, s[30:31]
	s_cbranch_execnz .LBB875_151
; %bb.103:
	s_andn2_saveexec_b64 s[30:31], s[30:31]
	s_cbranch_execnz .LBB875_167
.LBB875_104:
	s_or_b64 exec, exec, s[30:31]
	s_and_b64 exec, exec, s[36:37]
	s_cbranch_execz .LBB875_106
.LBB875_105:
	v_sub_u32_e32 v10, v26, v8
	v_mov_b32_e32 v11, 0
	v_lshl_add_u64 v[10:11], v[10:11], 1, v[18:19]
	global_store_short v[10:11], v1, off
.LBB875_106:
	s_or_b64 exec, exec, s[34:35]
	s_mov_b64 s[34:35], 0
.LBB875_107:
	s_and_b64 vcc, exec, s[34:35]
	s_cbranch_vccz .LBB875_129
; %bb.108:
	v_cmp_gt_i16_e32 vcc, 2, v7
	s_and_saveexec_b64 s[30:31], vcc
	s_cbranch_execz .LBB875_113
; %bb.109:
	v_cmp_ne_u16_e32 vcc, 1, v7
	s_mov_b64 s[36:37], 0
	s_and_saveexec_b64 s[34:35], vcc
	s_xor_b64 s[34:35], exec, s[34:35]
	s_cbranch_execnz .LBB875_168
; %bb.110:
	s_andn2_saveexec_b64 s[0:1], s[34:35]
	s_cbranch_execnz .LBB875_184
.LBB875_111:
	s_or_b64 exec, exec, s[0:1]
	s_and_b64 exec, exec, s[36:37]
	s_cbranch_execz .LBB875_113
.LBB875_112:
	v_sub_u32_e32 v2, v26, v8
	v_lshlrev_b32_e32 v2, 1, v2
	ds_write_b16 v2, v1
.LBB875_113:
	s_or_b64 exec, exec, s[30:31]
	v_cmp_lt_u32_e32 vcc, v0, v6
	s_waitcnt lgkmcnt(0)
	s_barrier
	s_and_saveexec_b64 s[0:1], vcc
	s_cbranch_execz .LBB875_128
; %bb.114:
	v_xad_u32 v1, v0, -1, v6
	s_movk_i32 s2, 0x1700
	s_movk_i32 s4, 0x16ff
	v_cmp_gt_u32_e64 s[2:3], s2, v1
	v_cmp_lt_u32_e32 vcc, s4, v1
	v_mov_b32_e32 v2, v0
	s_and_saveexec_b64 s[4:5], vcc
	s_cbranch_execz .LBB875_125
; %bb.115:
	v_sub_u32_e32 v2, v0, v6
	v_or_b32_e32 v2, 0xff, v2
	v_cmp_ge_u32_e32 vcc, v2, v0
	s_mov_b64 s[8:9], -1
	v_mov_b32_e32 v2, v0
	s_and_saveexec_b64 s[6:7], vcc
	s_cbranch_execz .LBB875_124
; %bb.116:
	v_lshrrev_b32_e32 v7, 8, v1
	v_or_b32_e32 v3, 0x300, v0
	v_or_b32_e32 v2, 0x200, v0
	v_add_u32_e32 v4, -3, v7
	v_or_b32_e32 v1, 0x100, v0
	v_lshrrev_b32_e32 v5, 2, v4
	v_mov_b64_e32 v[12:13], v[2:3]
	v_add_u32_e32 v20, 1, v5
	v_cmp_lt_u32_e32 vcc, 11, v4
	v_mov_b32_e32 v23, 0
	v_lshlrev_b32_e32 v14, 1, v0
	v_mov_b64_e32 v[10:11], v[0:1]
	s_and_saveexec_b64 s[8:9], vcc
	s_cbranch_execz .LBB875_120
; %bb.117:
	v_mov_b64_e32 v[12:13], v[2:3]
	v_and_b32_e32 v21, 0x7ffffffc, v20
	s_mov_b32 s12, 0
	s_mov_b64 s[10:11], 0
	v_mov_b32_e32 v5, 0
	v_mov_b32_e32 v22, v14
	v_mov_b64_e32 v[10:11], v[0:1]
.LBB875_118:                            ; =>This Inner Loop Header: Depth=1
	v_mov_b32_e32 v4, v10
	ds_read_u16 v1, v22
	ds_read_u16 v25, v22 offset:512
	ds_read_u16 v94, v22 offset:1024
	ds_read_u16 v95, v22 offset:1536
	ds_read_u16 v96, v22 offset:2048
	ds_read_u16 v97, v22 offset:2560
	ds_read_u16 v98, v22 offset:3072
	ds_read_u16 v99, v22 offset:3584
	v_lshl_add_u64 v[86:87], v[4:5], 1, v[18:19]
	v_mov_b32_e32 v4, v11
	v_lshl_add_u64 v[88:89], v[4:5], 1, v[18:19]
	v_mov_b32_e32 v4, v12
	ds_read_u16 v100, v22 offset:4096
	ds_read_u16 v101, v22 offset:4608
	;; [unrolled: 1-line block ×8, first 2 shown]
	v_lshl_add_u64 v[90:91], v[4:5], 1, v[18:19]
	v_mov_b32_e32 v4, v13
	v_add_u32_e32 v2, 0x400, v13
	v_mov_b32_e32 v3, v5
	v_lshl_add_u64 v[92:93], v[4:5], 1, v[18:19]
	v_add_u32_e32 v4, 0x400, v10
	v_add_u32_e32 v70, 0x400, v12
	;; [unrolled: 1-line block ×3, first 2 shown]
	v_mov_b32_e32 v73, v5
	v_mov_b32_e32 v71, v5
	v_add_u32_e32 v21, -4, v21
	v_lshl_add_u64 v[2:3], v[2:3], 1, v[18:19]
	s_waitcnt lgkmcnt(14)
	global_store_short v[86:87], v1, off
	global_store_short v[88:89], v25, off
	s_waitcnt lgkmcnt(13)
	global_store_short v[90:91], v94, off
	s_waitcnt lgkmcnt(12)
	global_store_short v[92:93], v95, off
	v_lshl_add_u64 v[86:87], v[4:5], 1, v[18:19]
	v_add_u32_e32 v4, 0x800, v10
	v_add_u32_e32 v74, 0x800, v13
	;; [unrolled: 1-line block ×4, first 2 shown]
	v_mov_b32_e32 v79, v5
	v_mov_b32_e32 v77, v5
	;; [unrolled: 1-line block ×3, first 2 shown]
	s_add_i32 s12, s12, 16
	v_lshl_add_u64 v[72:73], v[72:73], 1, v[18:19]
	v_lshl_add_u64 v[70:71], v[70:71], 1, v[18:19]
	v_cmp_eq_u32_e32 vcc, 0, v21
	s_waitcnt lgkmcnt(11)
	global_store_short v[86:87], v96, off
	s_waitcnt lgkmcnt(10)
	global_store_short v[72:73], v97, off
	s_waitcnt lgkmcnt(9)
	global_store_short v[70:71], v98, off
	s_waitcnt lgkmcnt(8)
	global_store_short v[2:3], v99, off
	v_lshl_add_u64 v[2:3], v[4:5], 1, v[18:19]
	v_add_u32_e32 v4, 0xc00, v10
	v_add_u32_e32 v80, 0xc00, v13
	;; [unrolled: 1-line block ×4, first 2 shown]
	v_mov_b32_e32 v85, v5
	v_mov_b32_e32 v83, v5
	;; [unrolled: 1-line block ×3, first 2 shown]
	v_add_u32_e32 v22, 0x2000, v22
	v_lshl_add_u64 v[78:79], v[78:79], 1, v[18:19]
	v_lshl_add_u64 v[76:77], v[76:77], 1, v[18:19]
	;; [unrolled: 1-line block ×3, first 2 shown]
	v_add_u32_e32 v11, 0x1000, v11
	v_mov_b32_e32 v23, s12
	v_add_u32_e32 v12, 0x1000, v12
	s_or_b64 s[10:11], vcc, s[10:11]
	v_add_u32_e32 v13, 0x1000, v13
	v_add_u32_e32 v10, 0x1000, v10
	s_waitcnt lgkmcnt(7)
	global_store_short v[2:3], v100, off
	s_waitcnt lgkmcnt(6)
	global_store_short v[78:79], v101, off
	;; [unrolled: 2-line block ×4, first 2 shown]
	v_lshl_add_u64 v[2:3], v[4:5], 1, v[18:19]
	v_lshl_add_u64 v[84:85], v[84:85], 1, v[18:19]
	;; [unrolled: 1-line block ×4, first 2 shown]
	s_waitcnt lgkmcnt(3)
	global_store_short v[2:3], v104, off
	s_waitcnt lgkmcnt(2)
	global_store_short v[84:85], v105, off
	;; [unrolled: 2-line block ×4, first 2 shown]
	s_andn2_b64 exec, exec, s[10:11]
	s_cbranch_execnz .LBB875_118
; %bb.119:
	s_or_b64 exec, exec, s[10:11]
.LBB875_120:
	s_or_b64 exec, exec, s[8:9]
	v_and_b32_e32 v1, 3, v20
	v_cmp_ne_u32_e32 vcc, 0, v1
	s_and_saveexec_b64 s[8:9], vcc
	s_cbranch_execz .LBB875_123
; %bb.121:
	v_lshl_or_b32 v4, v23, 9, v14
	s_mov_b64 s[10:11], 0
	v_mov_b32_e32 v3, 0
.LBB875_122:                            ; =>This Inner Loop Header: Depth=1
	ds_read_u16 v5, v4
	ds_read_u16 v14, v4 offset:512
	ds_read_u16 v25, v4 offset:1024
	;; [unrolled: 1-line block ×3, first 2 shown]
	v_mov_b32_e32 v2, v10
	v_add_u32_e32 v1, -1, v1
	v_lshl_add_u64 v[20:21], v[2:3], 1, v[18:19]
	v_mov_b32_e32 v2, v11
	v_cmp_eq_u32_e32 vcc, 0, v1
	v_lshl_add_u64 v[22:23], v[2:3], 1, v[18:19]
	v_mov_b32_e32 v2, v12
	v_add_u32_e32 v10, 0x400, v10
	v_add_u32_e32 v4, 0x800, v4
	;; [unrolled: 1-line block ×4, first 2 shown]
	s_or_b64 s[10:11], vcc, s[10:11]
	v_lshl_add_u64 v[70:71], v[2:3], 1, v[18:19]
	v_mov_b32_e32 v2, v13
	v_add_u32_e32 v13, 0x400, v13
	v_lshl_add_u64 v[72:73], v[2:3], 1, v[18:19]
	s_waitcnt lgkmcnt(3)
	global_store_short v[20:21], v5, off
	s_waitcnt lgkmcnt(2)
	global_store_short v[22:23], v14, off
	;; [unrolled: 2-line block ×4, first 2 shown]
	s_andn2_b64 exec, exec, s[10:11]
	s_cbranch_execnz .LBB875_122
.LBB875_123:
	s_or_b64 exec, exec, s[8:9]
	v_add_u32_e32 v1, 1, v7
	v_and_b32_e32 v3, 0x1fffffc, v1
	v_cmp_ne_u32_e32 vcc, v1, v3
	v_lshl_or_b32 v2, v3, 8, v0
	s_orn2_b64 s[8:9], vcc, exec
.LBB875_124:
	s_or_b64 exec, exec, s[6:7]
	s_andn2_b64 s[2:3], s[2:3], exec
	s_and_b64 s[6:7], s[8:9], exec
	s_or_b64 s[2:3], s[2:3], s[6:7]
.LBB875_125:
	s_or_b64 exec, exec, s[4:5]
	s_and_b64 exec, exec, s[2:3]
	s_cbranch_execz .LBB875_128
; %bb.126:
	v_lshlrev_b32_e32 v1, 1, v2
	s_mov_b64 s[2:3], 0
	v_mov_b32_e32 v3, 0
.LBB875_127:                            ; =>This Inner Loop Header: Depth=1
	ds_read_u16 v7, v1
	v_lshl_add_u64 v[4:5], v[2:3], 1, v[18:19]
	v_add_u32_e32 v2, 0x100, v2
	v_cmp_ge_u32_e32 vcc, v2, v6
	v_add_u32_e32 v1, 0x200, v1
	s_or_b64 s[2:3], vcc, s[2:3]
	s_waitcnt lgkmcnt(0)
	global_store_short v[4:5], v7, off
	s_andn2_b64 exec, exec, s[2:3]
	s_cbranch_execnz .LBB875_127
.LBB875_128:
	s_or_b64 exec, exec, s[0:1]
.LBB875_129:
	s_cmpk_lg_i32 s33, 0xf00
	s_cselect_b64 s[0:1], -1, 0
	v_cndmask_b32_e64 v7, 0, 1, s[46:47]
	s_and_b64 s[0:1], s[44:45], s[0:1]
	v_cmp_eq_u32_e32 vcc, 0, v0
	v_sub_u32_e32 v1, v6, v7
	v_cndmask_b32_e64 v2, 0, 1, s[0:1]
	s_and_b64 s[0:1], vcc, s[46:47]
	v_add_u32_e32 v1, v1, v2
	v_cndmask_b32_e64 v2, v69, 0, s[0:1]
	s_mul_hi_u32 s0, s33, 0x88888889
	s_lshr_b32 s0, s0, 3
	v_mad_i32_i24 v3, v0, -15, s33
	v_cmp_eq_u32_e32 vcc, s0, v0
	v_cmp_ne_u32_e64 s[0:1], 0, v3
	s_and_b64 vcc, s[44:45], vcc
	s_movk_i32 s30, 0x100
	v_cndmask_b32_e64 v4, 1, v2, s[0:1]
	v_cmp_ne_u32_e64 s[0:1], 1, v3
	s_mov_b64 s[34:35], -1
	s_nop 0
	v_cndmask_b32_e64 v5, 1, v67, s[0:1]
	v_cmp_ne_u32_e64 s[0:1], 2, v3
	s_barrier
	s_nop 0
	v_cndmask_b32_e64 v10, 1, v68, s[0:1]
	v_cmp_ne_u32_e64 s[0:1], 3, v3
	v_cndmask_b32_e32 v10, v68, v10, vcc
	v_cmp_ne_u32_e64 s[24:25], 0, v10
	v_cndmask_b32_e64 v11, 1, v66, s[0:1]
	v_cmp_ne_u32_e64 s[0:1], 4, v3
	v_cndmask_b32_e32 v11, v66, v11, vcc
	v_cmp_ne_u32_e64 s[22:23], 0, v11
	;; [unrolled: 4-line block ×7, first 2 shown]
	v_cndmask_b32_e64 v20, 1, v56, s[0:1]
	v_cmp_ne_u32_e64 s[0:1], 10, v3
	v_cndmask_b32_e32 v20, v56, v20, vcc
	v_cndmask_b32_e32 v56, v2, v4, vcc
	v_cndmask_b32_e64 v21, 1, v62, s[0:1]
	v_cmp_ne_u32_e64 s[0:1], 11, v3
	v_cndmask_b32_e32 v21, v62, v21, vcc
	v_cmp_ne_u32_e64 s[28:29], 0, v56
	v_cndmask_b32_e64 v22, 1, v61, s[0:1]
	v_cmp_ne_u32_e64 s[0:1], 12, v3
	v_cndmask_b32_e32 v22, v61, v22, vcc
	v_cmp_ne_u32_e64 s[10:11], 0, v20
	v_cndmask_b32_e64 v23, 1, v15, s[0:1]
	v_cmp_ne_u32_e64 s[0:1], 13, v3
	v_cndmask_b32_e32 v15, v15, v23, vcc
	v_cndmask_b32_e32 v23, v67, v5, vcc
	v_cndmask_b32_e64 v25, 1, v58, s[0:1]
	v_cmp_ne_u32_e64 s[0:1], 14, v3
	v_cndmask_b32_e32 v25, v58, v25, vcc
	v_cmp_ne_u32_e64 s[26:27], 0, v23
	v_cndmask_b32_e64 v3, 1, v59, s[0:1]
	v_cndmask_b32_e32 v59, v59, v3, vcc
	v_cmp_eq_u32_e32 vcc, 0, v56
	v_lshlrev_b64 v[2:3], 3, v[16:17]
	v_lshl_add_u64 v[2:3], s[50:51], 0, v[2:3]
	v_cndmask_b32_e64 v56, 1, 2, vcc
	v_cmp_eq_u32_e32 vcc, 0, v23
	v_lshlrev_b64 v[4:5], 3, v[8:9]
	v_lshl_add_u64 v[2:3], v[2:3], 0, v[4:5]
	v_cndmask_b32_e64 v23, 1, 2, vcc
	v_cmp_eq_u32_e32 vcc, 0, v10
	v_and_b32_e32 v23, v23, v56
	v_lshlrev_b32_e32 v4, 3, v7
	v_cndmask_b32_e64 v10, 1, 2, vcc
	v_cmp_eq_u32_e32 vcc, 0, v11
	v_and_b32_e32 v10, v23, v10
	v_mov_b32_e32 v5, 0
	v_cndmask_b32_e64 v11, 1, 2, vcc
	v_cmp_eq_u32_e32 vcc, 0, v12
	v_and_b32_e32 v10, v10, v11
	v_lshl_add_u64 v[4:5], v[4:5], 0, v[2:3]
	v_cndmask_b32_e64 v11, 1, 2, vcc
	v_cmp_eq_u32_e32 vcc, 0, v13
	v_and_b32_e32 v10, v10, v11
	v_lshl_add_u64 v[4:5], v[4:5], 0, -8
	v_cndmask_b32_e64 v11, 1, 2, vcc
	v_cmp_eq_u32_e32 vcc, 0, v14
	v_and_b32_e32 v10, v10, v11
	v_add_u32_e32 v7, v8, v7
	v_cndmask_b32_e64 v11, 1, 2, vcc
	v_cmp_eq_u32_e32 vcc, 0, v18
	v_and_b32_e32 v10, v10, v11
	v_cmp_ne_u32_e64 s[8:9], 0, v21
	v_cndmask_b32_e64 v11, 1, 2, vcc
	v_cmp_eq_u32_e32 vcc, 0, v19
	v_and_b32_e32 v10, v10, v11
	v_cmp_ne_u32_e64 s[6:7], 0, v22
	;; [unrolled: 4-line block ×5, first 2 shown]
	v_cndmask_b32_e64 v11, 1, 2, vcc
	v_cmp_eq_u32_e32 vcc, 0, v15
	v_and_b32_e32 v10, v10, v11
	s_nop 0
	v_cndmask_b32_e64 v11, 1, 2, vcc
	v_cmp_eq_u32_e32 vcc, 0, v25
	v_and_b32_e32 v10, v10, v11
	s_nop 0
	;; [unrolled: 4-line block ×3, first 2 shown]
	v_cndmask_b32_e64 v11, 1, 2, vcc
	v_and_b32_e32 v10, v10, v11
	v_cmp_gt_u32_e32 vcc, s30, v1
	v_cmp_gt_i16_e64 s[30:31], 2, v10
	s_cbranch_vccz .LBB875_136
; %bb.130:
	s_and_saveexec_b64 s[34:35], s[30:31]
	s_cbranch_execz .LBB875_135
; %bb.131:
	v_cmp_ne_u16_e32 vcc, 1, v10
	s_mov_b64 s[36:37], 0
	s_and_saveexec_b64 s[30:31], vcc
	s_xor_b64 s[30:31], exec, s[30:31]
	s_cbranch_execnz .LBB875_185
; %bb.132:
	s_andn2_saveexec_b64 s[30:31], s[30:31]
	s_cbranch_execnz .LBB875_201
.LBB875_133:
	s_or_b64 exec, exec, s[30:31]
	s_and_b64 exec, exec, s[36:37]
	s_cbranch_execz .LBB875_135
.LBB875_134:
	v_mov_b32_e32 v13, 0
	v_sub_u32_e32 v14, v26, v7
	v_mov_b32_e32 v15, v13
	v_mov_b32_e32 v12, v27
	v_lshl_add_u64 v[14:15], v[14:15], 3, v[4:5]
	global_store_dwordx2 v[14:15], v[12:13], off
.LBB875_135:
	s_or_b64 exec, exec, s[34:35]
	s_mov_b64 s[34:35], 0
.LBB875_136:
	s_and_b64 vcc, exec, s[34:35]
	s_cbranch_vccz .LBB875_146
; %bb.137:
	v_cmp_gt_i16_e32 vcc, 2, v10
	s_and_saveexec_b64 s[30:31], vcc
	s_cbranch_execz .LBB875_142
; %bb.138:
	v_cmp_ne_u16_e32 vcc, 1, v10
	s_mov_b64 s[36:37], 0
	s_and_saveexec_b64 s[34:35], vcc
	s_xor_b64 s[34:35], exec, s[34:35]
	s_cbranch_execnz .LBB875_202
; %bb.139:
	s_andn2_saveexec_b64 s[0:1], s[34:35]
	s_cbranch_execnz .LBB875_218
.LBB875_140:
	s_or_b64 exec, exec, s[0:1]
	s_and_b64 exec, exec, s[36:37]
	s_cbranch_execz .LBB875_142
.LBB875_141:
	v_sub_u32_e32 v7, v26, v7
	v_lshlrev_b32_e32 v7, 2, v7
	ds_write_b32 v7, v27
.LBB875_142:
	s_or_b64 exec, exec, s[30:31]
	v_cmp_lt_u32_e32 vcc, v0, v1
	s_waitcnt lgkmcnt(0)
	s_barrier
	s_and_saveexec_b64 s[0:1], vcc
	s_cbranch_execz .LBB875_145
; %bb.143:
	v_lshlrev_b32_e32 v7, 2, v0
	s_mov_b64 s[2:3], 0
	v_mov_b32_e32 v11, 0
	v_mov_b32_e32 v10, v0
.LBB875_144:                            ; =>This Inner Loop Header: Depth=1
	ds_read_b32 v12, v7
	v_lshl_add_u64 v[14:15], v[10:11], 3, v[4:5]
	v_add_u32_e32 v10, 0x100, v10
	v_cmp_ge_u32_e32 vcc, v10, v1
	v_mov_b32_e32 v13, v11
	v_add_u32_e32 v7, 0x400, v7
	s_or_b64 s[2:3], vcc, s[2:3]
	s_waitcnt lgkmcnt(0)
	global_store_dwordx2 v[14:15], v[12:13], off
	s_andn2_b64 exec, exec, s[2:3]
	s_cbranch_execnz .LBB875_144
.LBB875_145:
	s_or_b64 exec, exec, s[0:1]
.LBB875_146:
	s_movk_i32 s0, 0xff
	v_cmp_eq_u32_e32 vcc, s0, v0
	s_and_b64 s[0:1], vcc, s[44:45]
	s_and_saveexec_b64 s[2:3], s[0:1]
	s_cbranch_execz .LBB875_149
; %bb.147:
	v_mov_b32_e32 v7, 0
	v_lshl_add_u64 v[0:1], v[6:7], 0, v[8:9]
	v_lshl_add_u64 v[0:1], v[0:1], 0, v[16:17]
	s_cmpk_lg_i32 s33, 0xf00
	global_store_dwordx2 v7, v[0:1], s[52:53]
	s_cbranch_scc1 .LBB875_149
; %bb.148:
	v_lshlrev_b64 v[0:1], 3, v[6:7]
	v_mov_b32_e32 v25, v7
	v_lshl_add_u64 v[0:1], v[2:3], 0, v[0:1]
	global_store_dwordx2 v[0:1], v[24:25], off offset:-8
.LBB875_149:
	s_endpgm
.LBB875_150:
	s_or_b64 exec, exec, s[4:5]
	v_mov_b32_e32 v69, s3
	s_and_saveexec_b64 s[0:1], s[6:7]
	s_cbranch_execnz .LBB875_54
	s_branch .LBB875_55
.LBB875_151:
	s_and_saveexec_b64 s[36:37], s[28:29]
	s_cbranch_execnz .LBB875_219
; %bb.152:
	s_or_b64 exec, exec, s[36:37]
	s_and_saveexec_b64 s[36:37], s[26:27]
	s_cbranch_execnz .LBB875_220
.LBB875_153:
	s_or_b64 exec, exec, s[36:37]
	s_and_saveexec_b64 s[36:37], s[24:25]
	s_cbranch_execnz .LBB875_221
.LBB875_154:
	s_or_b64 exec, exec, s[36:37]
	s_and_saveexec_b64 s[36:37], s[22:23]
	s_cbranch_execnz .LBB875_222
.LBB875_155:
	s_or_b64 exec, exec, s[36:37]
	s_and_saveexec_b64 s[36:37], s[20:21]
	s_cbranch_execnz .LBB875_223
.LBB875_156:
	s_or_b64 exec, exec, s[36:37]
	s_and_saveexec_b64 s[36:37], s[18:19]
	s_cbranch_execnz .LBB875_224
.LBB875_157:
	s_or_b64 exec, exec, s[36:37]
	s_and_saveexec_b64 s[36:37], s[16:17]
	s_cbranch_execnz .LBB875_225
.LBB875_158:
	s_or_b64 exec, exec, s[36:37]
	s_and_saveexec_b64 s[36:37], s[14:15]
	s_cbranch_execnz .LBB875_226
.LBB875_159:
	s_or_b64 exec, exec, s[36:37]
	s_and_saveexec_b64 s[36:37], s[12:13]
	s_cbranch_execnz .LBB875_227
.LBB875_160:
	s_or_b64 exec, exec, s[36:37]
	s_and_saveexec_b64 s[36:37], s[10:11]
	s_cbranch_execnz .LBB875_228
.LBB875_161:
	s_or_b64 exec, exec, s[36:37]
	s_and_saveexec_b64 s[36:37], s[8:9]
	s_cbranch_execnz .LBB875_229
.LBB875_162:
	s_or_b64 exec, exec, s[36:37]
	s_and_saveexec_b64 s[36:37], s[6:7]
	s_cbranch_execnz .LBB875_230
.LBB875_163:
	s_or_b64 exec, exec, s[36:37]
	s_and_saveexec_b64 s[36:37], s[4:5]
	s_cbranch_execnz .LBB875_231
.LBB875_164:
	s_or_b64 exec, exec, s[36:37]
	s_and_saveexec_b64 s[36:37], s[2:3]
	s_cbranch_execz .LBB875_166
.LBB875_165:
	v_sub_u32_e32 v10, v28, v8
	v_mov_b32_e32 v11, 0
	v_lshl_add_u64 v[10:11], v[10:11], 1, v[18:19]
	global_store_short_d16_hi v[10:11], v14, off
.LBB875_166:
	s_or_b64 exec, exec, s[36:37]
	s_and_b64 s[36:37], s[0:1], exec
	s_andn2_saveexec_b64 s[30:31], s[30:31]
	s_cbranch_execz .LBB875_104
.LBB875_167:
	v_sub_u32_e32 v10, v54, v8
	v_mov_b32_e32 v11, 0
	v_lshl_add_u64 v[20:21], v[10:11], 1, v[18:19]
	v_sub_u32_e32 v10, v52, v8
	global_store_short v[20:21], v2, off
	v_lshl_add_u64 v[20:21], v[10:11], 1, v[18:19]
	v_sub_u32_e32 v10, v50, v8
	global_store_short_d16_hi v[20:21], v2, off
	v_lshl_add_u64 v[20:21], v[10:11], 1, v[18:19]
	v_sub_u32_e32 v10, v48, v8
	global_store_short v[20:21], v3, off
	v_lshl_add_u64 v[20:21], v[10:11], 1, v[18:19]
	v_sub_u32_e32 v10, v46, v8
	global_store_short_d16_hi v[20:21], v3, off
	;; [unrolled: 6-line block ×6, first 2 shown]
	v_lshl_add_u64 v[20:21], v[10:11], 1, v[18:19]
	v_sub_u32_e32 v10, v28, v8
	v_lshl_add_u64 v[10:11], v[10:11], 1, v[18:19]
	s_or_b64 s[36:37], s[36:37], exec
	global_store_short v[20:21], v14, off
	global_store_short_d16_hi v[10:11], v14, off
	s_or_b64 exec, exec, s[30:31]
	s_and_b64 exec, exec, s[36:37]
	s_cbranch_execnz .LBB875_105
	s_branch .LBB875_106
.LBB875_168:
	s_and_saveexec_b64 s[36:37], s[28:29]
	s_cbranch_execnz .LBB875_232
; %bb.169:
	s_or_b64 exec, exec, s[36:37]
	s_and_saveexec_b64 s[28:29], s[26:27]
	s_cbranch_execnz .LBB875_233
.LBB875_170:
	s_or_b64 exec, exec, s[28:29]
	s_and_saveexec_b64 s[26:27], s[24:25]
	s_cbranch_execnz .LBB875_234
.LBB875_171:
	s_or_b64 exec, exec, s[26:27]
	s_and_saveexec_b64 s[24:25], s[22:23]
	s_cbranch_execnz .LBB875_235
.LBB875_172:
	s_or_b64 exec, exec, s[24:25]
	s_and_saveexec_b64 s[22:23], s[20:21]
	s_cbranch_execnz .LBB875_236
.LBB875_173:
	s_or_b64 exec, exec, s[22:23]
	s_and_saveexec_b64 s[20:21], s[18:19]
	s_cbranch_execnz .LBB875_237
.LBB875_174:
	s_or_b64 exec, exec, s[20:21]
	s_and_saveexec_b64 s[18:19], s[16:17]
	s_cbranch_execnz .LBB875_238
.LBB875_175:
	s_or_b64 exec, exec, s[18:19]
	s_and_saveexec_b64 s[16:17], s[14:15]
	s_cbranch_execnz .LBB875_239
.LBB875_176:
	s_or_b64 exec, exec, s[16:17]
	s_and_saveexec_b64 s[14:15], s[12:13]
	s_cbranch_execnz .LBB875_240
.LBB875_177:
	s_or_b64 exec, exec, s[14:15]
	s_and_saveexec_b64 s[12:13], s[10:11]
	s_cbranch_execnz .LBB875_241
.LBB875_178:
	s_or_b64 exec, exec, s[12:13]
	s_and_saveexec_b64 s[10:11], s[8:9]
	s_cbranch_execnz .LBB875_242
.LBB875_179:
	s_or_b64 exec, exec, s[10:11]
	s_and_saveexec_b64 s[8:9], s[6:7]
	s_cbranch_execnz .LBB875_243
.LBB875_180:
	s_or_b64 exec, exec, s[8:9]
	s_and_saveexec_b64 s[6:7], s[4:5]
	s_cbranch_execnz .LBB875_244
.LBB875_181:
	s_or_b64 exec, exec, s[6:7]
	s_and_saveexec_b64 s[4:5], s[2:3]
	s_cbranch_execz .LBB875_183
.LBB875_182:
	v_sub_u32_e32 v2, v28, v8
	v_lshlrev_b32_e32 v2, 1, v2
	ds_write_b16_d16_hi v2, v14
.LBB875_183:
	s_or_b64 exec, exec, s[4:5]
	s_and_b64 s[36:37], s[0:1], exec
                                        ; implicit-def: $vgpr2
                                        ; implicit-def: $vgpr12
	s_andn2_saveexec_b64 s[0:1], s[34:35]
	s_cbranch_execz .LBB875_111
.LBB875_184:
	v_sub_u32_e32 v7, v54, v8
	v_lshlrev_b32_e32 v7, 1, v7
	ds_write_b16 v7, v2
	v_sub_u32_e32 v7, v52, v8
	v_lshlrev_b32_e32 v7, 1, v7
	ds_write_b16_d16_hi v7, v2
	v_sub_u32_e32 v2, v50, v8
	v_lshlrev_b32_e32 v2, 1, v2
	ds_write_b16 v2, v3
	v_sub_u32_e32 v2, v48, v8
	v_lshlrev_b32_e32 v2, 1, v2
	ds_write_b16_d16_hi v2, v3
	;; [unrolled: 6-line block ×6, first 2 shown]
	v_sub_u32_e32 v2, v30, v8
	v_lshlrev_b32_e32 v2, 1, v2
	ds_write_b16 v2, v14
	v_sub_u32_e32 v2, v28, v8
	v_lshlrev_b32_e32 v2, 1, v2
	s_or_b64 s[36:37], s[36:37], exec
	ds_write_b16_d16_hi v2, v14
	s_or_b64 exec, exec, s[0:1]
	s_and_b64 exec, exec, s[36:37]
	s_cbranch_execnz .LBB875_112
	s_branch .LBB875_113
.LBB875_185:
	s_and_saveexec_b64 s[36:37], s[28:29]
	s_cbranch_execnz .LBB875_245
; %bb.186:
	s_or_b64 exec, exec, s[36:37]
	s_and_saveexec_b64 s[36:37], s[26:27]
	s_cbranch_execnz .LBB875_246
.LBB875_187:
	s_or_b64 exec, exec, s[36:37]
	s_and_saveexec_b64 s[36:37], s[24:25]
	s_cbranch_execnz .LBB875_247
.LBB875_188:
	s_or_b64 exec, exec, s[36:37]
	s_and_saveexec_b64 s[36:37], s[22:23]
	s_cbranch_execnz .LBB875_248
.LBB875_189:
	s_or_b64 exec, exec, s[36:37]
	s_and_saveexec_b64 s[36:37], s[20:21]
	s_cbranch_execnz .LBB875_249
.LBB875_190:
	s_or_b64 exec, exec, s[36:37]
	s_and_saveexec_b64 s[36:37], s[18:19]
	s_cbranch_execnz .LBB875_250
.LBB875_191:
	s_or_b64 exec, exec, s[36:37]
	s_and_saveexec_b64 s[36:37], s[16:17]
	s_cbranch_execnz .LBB875_251
.LBB875_192:
	s_or_b64 exec, exec, s[36:37]
	s_and_saveexec_b64 s[36:37], s[14:15]
	s_cbranch_execnz .LBB875_252
.LBB875_193:
	s_or_b64 exec, exec, s[36:37]
	s_and_saveexec_b64 s[36:37], s[12:13]
	s_cbranch_execnz .LBB875_253
.LBB875_194:
	s_or_b64 exec, exec, s[36:37]
	s_and_saveexec_b64 s[36:37], s[10:11]
	s_cbranch_execnz .LBB875_254
.LBB875_195:
	s_or_b64 exec, exec, s[36:37]
	s_and_saveexec_b64 s[36:37], s[8:9]
	s_cbranch_execnz .LBB875_255
.LBB875_196:
	s_or_b64 exec, exec, s[36:37]
	s_and_saveexec_b64 s[36:37], s[6:7]
	s_cbranch_execnz .LBB875_256
.LBB875_197:
	s_or_b64 exec, exec, s[36:37]
	s_and_saveexec_b64 s[36:37], s[4:5]
	s_cbranch_execnz .LBB875_257
.LBB875_198:
	s_or_b64 exec, exec, s[36:37]
	s_and_saveexec_b64 s[36:37], s[2:3]
	s_cbranch_execz .LBB875_200
.LBB875_199:
	v_sub_u32_e32 v12, v28, v7
	v_mov_b32_e32 v13, 0
	v_lshl_add_u64 v[14:15], v[12:13], 3, v[4:5]
	v_mov_b32_e32 v12, v29
	global_store_dwordx2 v[14:15], v[12:13], off
.LBB875_200:
	s_or_b64 exec, exec, s[36:37]
	s_and_b64 s[36:37], s[0:1], exec
	s_andn2_saveexec_b64 s[30:31], s[30:31]
	s_cbranch_execz .LBB875_133
.LBB875_201:
	v_mov_b32_e32 v13, 0
	v_sub_u32_e32 v14, v54, v7
	v_mov_b32_e32 v15, v13
	v_mov_b32_e32 v12, v55
	v_lshl_add_u64 v[14:15], v[14:15], 3, v[4:5]
	global_store_dwordx2 v[14:15], v[12:13], off
	v_sub_u32_e32 v14, v52, v7
	v_mov_b32_e32 v15, v13
	v_mov_b32_e32 v12, v53
	v_lshl_add_u64 v[14:15], v[14:15], 3, v[4:5]
	global_store_dwordx2 v[14:15], v[12:13], off
	;; [unrolled: 5-line block ×13, first 2 shown]
	v_sub_u32_e32 v14, v28, v7
	v_mov_b32_e32 v15, v13
	v_mov_b32_e32 v12, v29
	v_lshl_add_u64 v[14:15], v[14:15], 3, v[4:5]
	s_or_b64 s[36:37], s[36:37], exec
	global_store_dwordx2 v[14:15], v[12:13], off
	s_or_b64 exec, exec, s[30:31]
	s_and_b64 exec, exec, s[36:37]
	s_cbranch_execnz .LBB875_134
	s_branch .LBB875_135
.LBB875_202:
	s_and_saveexec_b64 s[36:37], s[28:29]
	s_cbranch_execnz .LBB875_258
; %bb.203:
	s_or_b64 exec, exec, s[36:37]
	s_and_saveexec_b64 s[28:29], s[26:27]
	s_cbranch_execnz .LBB875_259
.LBB875_204:
	s_or_b64 exec, exec, s[28:29]
	s_and_saveexec_b64 s[26:27], s[24:25]
	s_cbranch_execnz .LBB875_260
.LBB875_205:
	s_or_b64 exec, exec, s[26:27]
	s_and_saveexec_b64 s[24:25], s[22:23]
	s_cbranch_execnz .LBB875_261
.LBB875_206:
	s_or_b64 exec, exec, s[24:25]
	s_and_saveexec_b64 s[22:23], s[20:21]
	s_cbranch_execnz .LBB875_262
.LBB875_207:
	s_or_b64 exec, exec, s[22:23]
	s_and_saveexec_b64 s[20:21], s[18:19]
	s_cbranch_execnz .LBB875_263
.LBB875_208:
	s_or_b64 exec, exec, s[20:21]
	s_and_saveexec_b64 s[18:19], s[16:17]
	s_cbranch_execnz .LBB875_264
.LBB875_209:
	s_or_b64 exec, exec, s[18:19]
	s_and_saveexec_b64 s[16:17], s[14:15]
	s_cbranch_execnz .LBB875_265
.LBB875_210:
	s_or_b64 exec, exec, s[16:17]
	s_and_saveexec_b64 s[14:15], s[12:13]
	s_cbranch_execnz .LBB875_266
.LBB875_211:
	s_or_b64 exec, exec, s[14:15]
	s_and_saveexec_b64 s[12:13], s[10:11]
	s_cbranch_execnz .LBB875_267
.LBB875_212:
	s_or_b64 exec, exec, s[12:13]
	s_and_saveexec_b64 s[10:11], s[8:9]
	s_cbranch_execnz .LBB875_268
.LBB875_213:
	s_or_b64 exec, exec, s[10:11]
	s_and_saveexec_b64 s[8:9], s[6:7]
	s_cbranch_execnz .LBB875_269
.LBB875_214:
	s_or_b64 exec, exec, s[8:9]
	s_and_saveexec_b64 s[6:7], s[4:5]
	s_cbranch_execnz .LBB875_270
.LBB875_215:
	s_or_b64 exec, exec, s[6:7]
	s_and_saveexec_b64 s[4:5], s[2:3]
	s_cbranch_execz .LBB875_217
.LBB875_216:
	v_sub_u32_e32 v10, v28, v7
	v_lshlrev_b32_e32 v10, 2, v10
	ds_write_b32 v10, v29
.LBB875_217:
	s_or_b64 exec, exec, s[4:5]
	s_and_b64 s[36:37], s[0:1], exec
                                        ; implicit-def: $vgpr54_vgpr55
                                        ; implicit-def: $vgpr52_vgpr53
                                        ; implicit-def: $vgpr50_vgpr51
                                        ; implicit-def: $vgpr48_vgpr49
                                        ; implicit-def: $vgpr46_vgpr47
                                        ; implicit-def: $vgpr44_vgpr45
                                        ; implicit-def: $vgpr42_vgpr43
                                        ; implicit-def: $vgpr40_vgpr41
                                        ; implicit-def: $vgpr38_vgpr39
                                        ; implicit-def: $vgpr36_vgpr37
                                        ; implicit-def: $vgpr34_vgpr35
                                        ; implicit-def: $vgpr32_vgpr33
                                        ; implicit-def: $vgpr30_vgpr31
                                        ; implicit-def: $vgpr28_vgpr29
	s_andn2_saveexec_b64 s[0:1], s[34:35]
	s_cbranch_execz .LBB875_140
.LBB875_218:
	v_sub_u32_e32 v10, v54, v7
	v_lshlrev_b32_e32 v10, 2, v10
	ds_write_b32 v10, v55
	v_sub_u32_e32 v10, v52, v7
	v_lshlrev_b32_e32 v10, 2, v10
	ds_write_b32 v10, v53
	;; [unrolled: 3-line block ×13, first 2 shown]
	v_sub_u32_e32 v10, v28, v7
	v_lshlrev_b32_e32 v10, 2, v10
	s_or_b64 s[36:37], s[36:37], exec
	ds_write_b32 v10, v29
	s_or_b64 exec, exec, s[0:1]
	s_and_b64 exec, exec, s[36:37]
	s_cbranch_execnz .LBB875_141
	s_branch .LBB875_142
.LBB875_219:
	v_sub_u32_e32 v10, v54, v8
	v_mov_b32_e32 v11, 0
	v_lshl_add_u64 v[10:11], v[10:11], 1, v[18:19]
	global_store_short v[10:11], v2, off
	s_or_b64 exec, exec, s[36:37]
	s_and_saveexec_b64 s[36:37], s[26:27]
	s_cbranch_execz .LBB875_153
.LBB875_220:
	v_sub_u32_e32 v10, v52, v8
	v_mov_b32_e32 v11, 0
	v_lshl_add_u64 v[10:11], v[10:11], 1, v[18:19]
	global_store_short_d16_hi v[10:11], v2, off
	s_or_b64 exec, exec, s[36:37]
	s_and_saveexec_b64 s[36:37], s[24:25]
	s_cbranch_execz .LBB875_154
.LBB875_221:
	v_sub_u32_e32 v10, v50, v8
	v_mov_b32_e32 v11, 0
	v_lshl_add_u64 v[10:11], v[10:11], 1, v[18:19]
	global_store_short v[10:11], v3, off
	s_or_b64 exec, exec, s[36:37]
	s_and_saveexec_b64 s[36:37], s[22:23]
	s_cbranch_execz .LBB875_155
.LBB875_222:
	v_sub_u32_e32 v10, v48, v8
	v_mov_b32_e32 v11, 0
	v_lshl_add_u64 v[10:11], v[10:11], 1, v[18:19]
	global_store_short_d16_hi v[10:11], v3, off
	s_or_b64 exec, exec, s[36:37]
	s_and_saveexec_b64 s[36:37], s[20:21]
	s_cbranch_execz .LBB875_156
.LBB875_223:
	v_sub_u32_e32 v10, v46, v8
	v_mov_b32_e32 v11, 0
	v_lshl_add_u64 v[10:11], v[10:11], 1, v[18:19]
	global_store_short v[10:11], v4, off
	s_or_b64 exec, exec, s[36:37]
	s_and_saveexec_b64 s[36:37], s[18:19]
	s_cbranch_execz .LBB875_157
.LBB875_224:
	v_sub_u32_e32 v10, v44, v8
	v_mov_b32_e32 v11, 0
	v_lshl_add_u64 v[10:11], v[10:11], 1, v[18:19]
	global_store_short_d16_hi v[10:11], v4, off
	s_or_b64 exec, exec, s[36:37]
	s_and_saveexec_b64 s[36:37], s[16:17]
	s_cbranch_execz .LBB875_158
.LBB875_225:
	v_sub_u32_e32 v10, v42, v8
	v_mov_b32_e32 v11, 0
	v_lshl_add_u64 v[10:11], v[10:11], 1, v[18:19]
	global_store_short v[10:11], v5, off
	s_or_b64 exec, exec, s[36:37]
	s_and_saveexec_b64 s[36:37], s[14:15]
	s_cbranch_execz .LBB875_159
.LBB875_226:
	v_sub_u32_e32 v10, v40, v8
	v_mov_b32_e32 v11, 0
	v_lshl_add_u64 v[10:11], v[10:11], 1, v[18:19]
	global_store_short_d16_hi v[10:11], v5, off
	s_or_b64 exec, exec, s[36:37]
	s_and_saveexec_b64 s[36:37], s[12:13]
	s_cbranch_execz .LBB875_160
.LBB875_227:
	v_sub_u32_e32 v10, v38, v8
	v_mov_b32_e32 v11, 0
	v_lshl_add_u64 v[10:11], v[10:11], 1, v[18:19]
	global_store_short v[10:11], v12, off
	s_or_b64 exec, exec, s[36:37]
	s_and_saveexec_b64 s[36:37], s[10:11]
	s_cbranch_execz .LBB875_161
.LBB875_228:
	v_sub_u32_e32 v10, v36, v8
	v_mov_b32_e32 v11, 0
	v_lshl_add_u64 v[10:11], v[10:11], 1, v[18:19]
	global_store_short_d16_hi v[10:11], v12, off
	s_or_b64 exec, exec, s[36:37]
	s_and_saveexec_b64 s[36:37], s[8:9]
	s_cbranch_execz .LBB875_162
.LBB875_229:
	v_sub_u32_e32 v10, v34, v8
	v_mov_b32_e32 v11, 0
	v_lshl_add_u64 v[10:11], v[10:11], 1, v[18:19]
	global_store_short v[10:11], v13, off
	s_or_b64 exec, exec, s[36:37]
	s_and_saveexec_b64 s[36:37], s[6:7]
	s_cbranch_execz .LBB875_163
.LBB875_230:
	v_sub_u32_e32 v10, v32, v8
	v_mov_b32_e32 v11, 0
	v_lshl_add_u64 v[10:11], v[10:11], 1, v[18:19]
	global_store_short_d16_hi v[10:11], v13, off
	s_or_b64 exec, exec, s[36:37]
	s_and_saveexec_b64 s[36:37], s[4:5]
	s_cbranch_execz .LBB875_164
.LBB875_231:
	v_sub_u32_e32 v10, v30, v8
	v_mov_b32_e32 v11, 0
	v_lshl_add_u64 v[10:11], v[10:11], 1, v[18:19]
	global_store_short v[10:11], v14, off
	s_or_b64 exec, exec, s[36:37]
	s_and_saveexec_b64 s[36:37], s[2:3]
	s_cbranch_execnz .LBB875_165
	s_branch .LBB875_166
.LBB875_232:
	v_sub_u32_e32 v7, v54, v8
	v_lshlrev_b32_e32 v7, 1, v7
	ds_write_b16 v7, v2
	s_or_b64 exec, exec, s[36:37]
	s_and_saveexec_b64 s[28:29], s[26:27]
	s_cbranch_execz .LBB875_170
.LBB875_233:
	v_sub_u32_e32 v7, v52, v8
	v_lshlrev_b32_e32 v7, 1, v7
	ds_write_b16_d16_hi v7, v2
	s_or_b64 exec, exec, s[28:29]
	s_and_saveexec_b64 s[26:27], s[24:25]
	s_cbranch_execz .LBB875_171
.LBB875_234:
	v_sub_u32_e32 v2, v50, v8
	v_lshlrev_b32_e32 v2, 1, v2
	ds_write_b16 v2, v3
	s_or_b64 exec, exec, s[26:27]
	s_and_saveexec_b64 s[24:25], s[22:23]
	s_cbranch_execz .LBB875_172
.LBB875_235:
	v_sub_u32_e32 v2, v48, v8
	v_lshlrev_b32_e32 v2, 1, v2
	ds_write_b16_d16_hi v2, v3
	s_or_b64 exec, exec, s[24:25]
	s_and_saveexec_b64 s[22:23], s[20:21]
	s_cbranch_execz .LBB875_173
.LBB875_236:
	v_sub_u32_e32 v2, v46, v8
	v_lshlrev_b32_e32 v2, 1, v2
	ds_write_b16 v2, v4
	s_or_b64 exec, exec, s[22:23]
	s_and_saveexec_b64 s[20:21], s[18:19]
	s_cbranch_execz .LBB875_174
.LBB875_237:
	v_sub_u32_e32 v2, v44, v8
	v_lshlrev_b32_e32 v2, 1, v2
	ds_write_b16_d16_hi v2, v4
	s_or_b64 exec, exec, s[20:21]
	s_and_saveexec_b64 s[18:19], s[16:17]
	s_cbranch_execz .LBB875_175
.LBB875_238:
	v_sub_u32_e32 v2, v42, v8
	v_lshlrev_b32_e32 v2, 1, v2
	ds_write_b16 v2, v5
	s_or_b64 exec, exec, s[18:19]
	s_and_saveexec_b64 s[16:17], s[14:15]
	s_cbranch_execz .LBB875_176
.LBB875_239:
	v_sub_u32_e32 v2, v40, v8
	v_lshlrev_b32_e32 v2, 1, v2
	ds_write_b16_d16_hi v2, v5
	s_or_b64 exec, exec, s[16:17]
	s_and_saveexec_b64 s[14:15], s[12:13]
	s_cbranch_execz .LBB875_177
.LBB875_240:
	v_sub_u32_e32 v2, v38, v8
	v_lshlrev_b32_e32 v2, 1, v2
	ds_write_b16 v2, v12
	s_or_b64 exec, exec, s[14:15]
	s_and_saveexec_b64 s[12:13], s[10:11]
	s_cbranch_execz .LBB875_178
.LBB875_241:
	v_sub_u32_e32 v2, v36, v8
	v_lshlrev_b32_e32 v2, 1, v2
	ds_write_b16_d16_hi v2, v12
	s_or_b64 exec, exec, s[12:13]
	s_and_saveexec_b64 s[10:11], s[8:9]
	s_cbranch_execz .LBB875_179
.LBB875_242:
	v_sub_u32_e32 v2, v34, v8
	v_lshlrev_b32_e32 v2, 1, v2
	ds_write_b16 v2, v13
	s_or_b64 exec, exec, s[10:11]
	s_and_saveexec_b64 s[8:9], s[6:7]
	s_cbranch_execz .LBB875_180
.LBB875_243:
	v_sub_u32_e32 v2, v32, v8
	v_lshlrev_b32_e32 v2, 1, v2
	ds_write_b16_d16_hi v2, v13
	s_or_b64 exec, exec, s[8:9]
	s_and_saveexec_b64 s[6:7], s[4:5]
	s_cbranch_execz .LBB875_181
.LBB875_244:
	v_sub_u32_e32 v2, v30, v8
	v_lshlrev_b32_e32 v2, 1, v2
	ds_write_b16 v2, v14
	s_or_b64 exec, exec, s[6:7]
	s_and_saveexec_b64 s[4:5], s[2:3]
	s_cbranch_execnz .LBB875_182
	s_branch .LBB875_183
.LBB875_245:
	v_sub_u32_e32 v12, v54, v7
	v_mov_b32_e32 v13, 0
	v_lshl_add_u64 v[14:15], v[12:13], 3, v[4:5]
	v_mov_b32_e32 v12, v55
	global_store_dwordx2 v[14:15], v[12:13], off
	s_or_b64 exec, exec, s[36:37]
	s_and_saveexec_b64 s[36:37], s[26:27]
	s_cbranch_execz .LBB875_187
.LBB875_246:
	v_sub_u32_e32 v12, v52, v7
	v_mov_b32_e32 v13, 0
	v_lshl_add_u64 v[14:15], v[12:13], 3, v[4:5]
	v_mov_b32_e32 v12, v53
	global_store_dwordx2 v[14:15], v[12:13], off
	s_or_b64 exec, exec, s[36:37]
	s_and_saveexec_b64 s[36:37], s[24:25]
	s_cbranch_execz .LBB875_188
.LBB875_247:
	v_sub_u32_e32 v12, v50, v7
	v_mov_b32_e32 v13, 0
	v_lshl_add_u64 v[14:15], v[12:13], 3, v[4:5]
	v_mov_b32_e32 v12, v51
	global_store_dwordx2 v[14:15], v[12:13], off
	s_or_b64 exec, exec, s[36:37]
	s_and_saveexec_b64 s[36:37], s[22:23]
	s_cbranch_execz .LBB875_189
.LBB875_248:
	v_sub_u32_e32 v12, v48, v7
	v_mov_b32_e32 v13, 0
	v_lshl_add_u64 v[14:15], v[12:13], 3, v[4:5]
	v_mov_b32_e32 v12, v49
	global_store_dwordx2 v[14:15], v[12:13], off
	s_or_b64 exec, exec, s[36:37]
	s_and_saveexec_b64 s[36:37], s[20:21]
	s_cbranch_execz .LBB875_190
.LBB875_249:
	v_sub_u32_e32 v12, v46, v7
	v_mov_b32_e32 v13, 0
	v_lshl_add_u64 v[14:15], v[12:13], 3, v[4:5]
	v_mov_b32_e32 v12, v47
	global_store_dwordx2 v[14:15], v[12:13], off
	s_or_b64 exec, exec, s[36:37]
	s_and_saveexec_b64 s[36:37], s[18:19]
	s_cbranch_execz .LBB875_191
.LBB875_250:
	v_sub_u32_e32 v12, v44, v7
	v_mov_b32_e32 v13, 0
	v_lshl_add_u64 v[14:15], v[12:13], 3, v[4:5]
	v_mov_b32_e32 v12, v45
	global_store_dwordx2 v[14:15], v[12:13], off
	s_or_b64 exec, exec, s[36:37]
	s_and_saveexec_b64 s[36:37], s[16:17]
	s_cbranch_execz .LBB875_192
.LBB875_251:
	v_sub_u32_e32 v12, v42, v7
	v_mov_b32_e32 v13, 0
	v_lshl_add_u64 v[14:15], v[12:13], 3, v[4:5]
	v_mov_b32_e32 v12, v43
	global_store_dwordx2 v[14:15], v[12:13], off
	s_or_b64 exec, exec, s[36:37]
	s_and_saveexec_b64 s[36:37], s[14:15]
	s_cbranch_execz .LBB875_193
.LBB875_252:
	v_sub_u32_e32 v12, v40, v7
	v_mov_b32_e32 v13, 0
	v_lshl_add_u64 v[14:15], v[12:13], 3, v[4:5]
	v_mov_b32_e32 v12, v41
	global_store_dwordx2 v[14:15], v[12:13], off
	s_or_b64 exec, exec, s[36:37]
	s_and_saveexec_b64 s[36:37], s[12:13]
	s_cbranch_execz .LBB875_194
.LBB875_253:
	v_sub_u32_e32 v12, v38, v7
	v_mov_b32_e32 v13, 0
	v_lshl_add_u64 v[14:15], v[12:13], 3, v[4:5]
	v_mov_b32_e32 v12, v39
	global_store_dwordx2 v[14:15], v[12:13], off
	s_or_b64 exec, exec, s[36:37]
	s_and_saveexec_b64 s[36:37], s[10:11]
	s_cbranch_execz .LBB875_195
.LBB875_254:
	v_sub_u32_e32 v12, v36, v7
	v_mov_b32_e32 v13, 0
	v_lshl_add_u64 v[14:15], v[12:13], 3, v[4:5]
	v_mov_b32_e32 v12, v37
	global_store_dwordx2 v[14:15], v[12:13], off
	s_or_b64 exec, exec, s[36:37]
	s_and_saveexec_b64 s[36:37], s[8:9]
	s_cbranch_execz .LBB875_196
.LBB875_255:
	v_sub_u32_e32 v12, v34, v7
	v_mov_b32_e32 v13, 0
	v_lshl_add_u64 v[14:15], v[12:13], 3, v[4:5]
	v_mov_b32_e32 v12, v35
	global_store_dwordx2 v[14:15], v[12:13], off
	s_or_b64 exec, exec, s[36:37]
	s_and_saveexec_b64 s[36:37], s[6:7]
	s_cbranch_execz .LBB875_197
.LBB875_256:
	v_sub_u32_e32 v12, v32, v7
	v_mov_b32_e32 v13, 0
	v_lshl_add_u64 v[14:15], v[12:13], 3, v[4:5]
	v_mov_b32_e32 v12, v33
	global_store_dwordx2 v[14:15], v[12:13], off
	s_or_b64 exec, exec, s[36:37]
	s_and_saveexec_b64 s[36:37], s[4:5]
	s_cbranch_execz .LBB875_198
.LBB875_257:
	v_sub_u32_e32 v12, v30, v7
	v_mov_b32_e32 v13, 0
	v_lshl_add_u64 v[14:15], v[12:13], 3, v[4:5]
	v_mov_b32_e32 v12, v31
	global_store_dwordx2 v[14:15], v[12:13], off
	s_or_b64 exec, exec, s[36:37]
	s_and_saveexec_b64 s[36:37], s[2:3]
	s_cbranch_execnz .LBB875_199
	s_branch .LBB875_200
.LBB875_258:
	v_sub_u32_e32 v10, v54, v7
	v_lshlrev_b32_e32 v10, 2, v10
	ds_write_b32 v10, v55
	s_or_b64 exec, exec, s[36:37]
	s_and_saveexec_b64 s[28:29], s[26:27]
	s_cbranch_execz .LBB875_204
.LBB875_259:
	v_sub_u32_e32 v10, v52, v7
	v_lshlrev_b32_e32 v10, 2, v10
	ds_write_b32 v10, v53
	s_or_b64 exec, exec, s[28:29]
	s_and_saveexec_b64 s[26:27], s[24:25]
	s_cbranch_execz .LBB875_205
.LBB875_260:
	v_sub_u32_e32 v10, v50, v7
	v_lshlrev_b32_e32 v10, 2, v10
	ds_write_b32 v10, v51
	s_or_b64 exec, exec, s[26:27]
	s_and_saveexec_b64 s[24:25], s[22:23]
	s_cbranch_execz .LBB875_206
.LBB875_261:
	v_sub_u32_e32 v10, v48, v7
	v_lshlrev_b32_e32 v10, 2, v10
	ds_write_b32 v10, v49
	s_or_b64 exec, exec, s[24:25]
	s_and_saveexec_b64 s[22:23], s[20:21]
	s_cbranch_execz .LBB875_207
.LBB875_262:
	v_sub_u32_e32 v10, v46, v7
	v_lshlrev_b32_e32 v10, 2, v10
	ds_write_b32 v10, v47
	s_or_b64 exec, exec, s[22:23]
	s_and_saveexec_b64 s[20:21], s[18:19]
	s_cbranch_execz .LBB875_208
.LBB875_263:
	v_sub_u32_e32 v10, v44, v7
	v_lshlrev_b32_e32 v10, 2, v10
	ds_write_b32 v10, v45
	s_or_b64 exec, exec, s[20:21]
	s_and_saveexec_b64 s[18:19], s[16:17]
	s_cbranch_execz .LBB875_209
.LBB875_264:
	v_sub_u32_e32 v10, v42, v7
	v_lshlrev_b32_e32 v10, 2, v10
	ds_write_b32 v10, v43
	s_or_b64 exec, exec, s[18:19]
	s_and_saveexec_b64 s[16:17], s[14:15]
	s_cbranch_execz .LBB875_210
.LBB875_265:
	v_sub_u32_e32 v10, v40, v7
	v_lshlrev_b32_e32 v10, 2, v10
	ds_write_b32 v10, v41
	s_or_b64 exec, exec, s[16:17]
	s_and_saveexec_b64 s[14:15], s[12:13]
	s_cbranch_execz .LBB875_211
.LBB875_266:
	v_sub_u32_e32 v10, v38, v7
	v_lshlrev_b32_e32 v10, 2, v10
	ds_write_b32 v10, v39
	s_or_b64 exec, exec, s[14:15]
	s_and_saveexec_b64 s[12:13], s[10:11]
	s_cbranch_execz .LBB875_212
.LBB875_267:
	v_sub_u32_e32 v10, v36, v7
	v_lshlrev_b32_e32 v10, 2, v10
	ds_write_b32 v10, v37
	s_or_b64 exec, exec, s[12:13]
	s_and_saveexec_b64 s[10:11], s[8:9]
	s_cbranch_execz .LBB875_213
.LBB875_268:
	v_sub_u32_e32 v10, v34, v7
	v_lshlrev_b32_e32 v10, 2, v10
	ds_write_b32 v10, v35
	s_or_b64 exec, exec, s[10:11]
	s_and_saveexec_b64 s[8:9], s[6:7]
	s_cbranch_execz .LBB875_214
.LBB875_269:
	v_sub_u32_e32 v10, v32, v7
	v_lshlrev_b32_e32 v10, 2, v10
	ds_write_b32 v10, v33
	s_or_b64 exec, exec, s[8:9]
	s_and_saveexec_b64 s[6:7], s[4:5]
	s_cbranch_execz .LBB875_215
.LBB875_270:
	v_sub_u32_e32 v10, v30, v7
	v_lshlrev_b32_e32 v10, 2, v10
	ds_write_b32 v10, v31
	s_or_b64 exec, exec, s[6:7]
	s_and_saveexec_b64 s[4:5], s[2:3]
	s_cbranch_execnz .LBB875_216
	s_branch .LBB875_217
	.section	.rodata,"a",@progbits
	.p2align	6, 0x0
	.amdhsa_kernel _ZN7rocprim17ROCPRIM_400000_NS6detail17trampoline_kernelINS0_14default_configENS1_33run_length_encode_config_selectorIN3c108BFloat16EjNS0_4plusIjEEEEZZNS1_33reduce_by_key_impl_wrapped_configILNS1_25lookback_scan_determinismE0ES3_S9_PKS6_NS0_17constant_iteratorIjlEEPS6_PlSH_S8_NS0_8equal_toIS6_EEEE10hipError_tPvRmT2_T3_mT4_T5_T6_T7_T8_P12ihipStream_tbENKUlT_T0_E_clISt17integral_constantIbLb1EES10_IbLb0EEEEDaSW_SX_EUlSW_E_NS1_11comp_targetILNS1_3genE5ELNS1_11target_archE942ELNS1_3gpuE9ELNS1_3repE0EEENS1_30default_config_static_selectorELNS0_4arch9wavefront6targetE1EEEvT1_
		.amdhsa_group_segment_fixed_size 15360
		.amdhsa_private_segment_fixed_size 0
		.amdhsa_kernarg_size 128
		.amdhsa_user_sgpr_count 2
		.amdhsa_user_sgpr_dispatch_ptr 0
		.amdhsa_user_sgpr_queue_ptr 0
		.amdhsa_user_sgpr_kernarg_segment_ptr 1
		.amdhsa_user_sgpr_dispatch_id 0
		.amdhsa_user_sgpr_kernarg_preload_length 0
		.amdhsa_user_sgpr_kernarg_preload_offset 0
		.amdhsa_user_sgpr_private_segment_size 0
		.amdhsa_uses_dynamic_stack 0
		.amdhsa_enable_private_segment 0
		.amdhsa_system_sgpr_workgroup_id_x 1
		.amdhsa_system_sgpr_workgroup_id_y 0
		.amdhsa_system_sgpr_workgroup_id_z 0
		.amdhsa_system_sgpr_workgroup_info 0
		.amdhsa_system_vgpr_workitem_id 0
		.amdhsa_next_free_vgpr 108
		.amdhsa_next_free_sgpr 64
		.amdhsa_accum_offset 108
		.amdhsa_reserve_vcc 1
		.amdhsa_float_round_mode_32 0
		.amdhsa_float_round_mode_16_64 0
		.amdhsa_float_denorm_mode_32 3
		.amdhsa_float_denorm_mode_16_64 3
		.amdhsa_dx10_clamp 1
		.amdhsa_ieee_mode 1
		.amdhsa_fp16_overflow 0
		.amdhsa_tg_split 0
		.amdhsa_exception_fp_ieee_invalid_op 0
		.amdhsa_exception_fp_denorm_src 0
		.amdhsa_exception_fp_ieee_div_zero 0
		.amdhsa_exception_fp_ieee_overflow 0
		.amdhsa_exception_fp_ieee_underflow 0
		.amdhsa_exception_fp_ieee_inexact 0
		.amdhsa_exception_int_div_zero 0
	.end_amdhsa_kernel
	.section	.text._ZN7rocprim17ROCPRIM_400000_NS6detail17trampoline_kernelINS0_14default_configENS1_33run_length_encode_config_selectorIN3c108BFloat16EjNS0_4plusIjEEEEZZNS1_33reduce_by_key_impl_wrapped_configILNS1_25lookback_scan_determinismE0ES3_S9_PKS6_NS0_17constant_iteratorIjlEEPS6_PlSH_S8_NS0_8equal_toIS6_EEEE10hipError_tPvRmT2_T3_mT4_T5_T6_T7_T8_P12ihipStream_tbENKUlT_T0_E_clISt17integral_constantIbLb1EES10_IbLb0EEEEDaSW_SX_EUlSW_E_NS1_11comp_targetILNS1_3genE5ELNS1_11target_archE942ELNS1_3gpuE9ELNS1_3repE0EEENS1_30default_config_static_selectorELNS0_4arch9wavefront6targetE1EEEvT1_,"axG",@progbits,_ZN7rocprim17ROCPRIM_400000_NS6detail17trampoline_kernelINS0_14default_configENS1_33run_length_encode_config_selectorIN3c108BFloat16EjNS0_4plusIjEEEEZZNS1_33reduce_by_key_impl_wrapped_configILNS1_25lookback_scan_determinismE0ES3_S9_PKS6_NS0_17constant_iteratorIjlEEPS6_PlSH_S8_NS0_8equal_toIS6_EEEE10hipError_tPvRmT2_T3_mT4_T5_T6_T7_T8_P12ihipStream_tbENKUlT_T0_E_clISt17integral_constantIbLb1EES10_IbLb0EEEEDaSW_SX_EUlSW_E_NS1_11comp_targetILNS1_3genE5ELNS1_11target_archE942ELNS1_3gpuE9ELNS1_3repE0EEENS1_30default_config_static_selectorELNS0_4arch9wavefront6targetE1EEEvT1_,comdat
.Lfunc_end875:
	.size	_ZN7rocprim17ROCPRIM_400000_NS6detail17trampoline_kernelINS0_14default_configENS1_33run_length_encode_config_selectorIN3c108BFloat16EjNS0_4plusIjEEEEZZNS1_33reduce_by_key_impl_wrapped_configILNS1_25lookback_scan_determinismE0ES3_S9_PKS6_NS0_17constant_iteratorIjlEEPS6_PlSH_S8_NS0_8equal_toIS6_EEEE10hipError_tPvRmT2_T3_mT4_T5_T6_T7_T8_P12ihipStream_tbENKUlT_T0_E_clISt17integral_constantIbLb1EES10_IbLb0EEEEDaSW_SX_EUlSW_E_NS1_11comp_targetILNS1_3genE5ELNS1_11target_archE942ELNS1_3gpuE9ELNS1_3repE0EEENS1_30default_config_static_selectorELNS0_4arch9wavefront6targetE1EEEvT1_, .Lfunc_end875-_ZN7rocprim17ROCPRIM_400000_NS6detail17trampoline_kernelINS0_14default_configENS1_33run_length_encode_config_selectorIN3c108BFloat16EjNS0_4plusIjEEEEZZNS1_33reduce_by_key_impl_wrapped_configILNS1_25lookback_scan_determinismE0ES3_S9_PKS6_NS0_17constant_iteratorIjlEEPS6_PlSH_S8_NS0_8equal_toIS6_EEEE10hipError_tPvRmT2_T3_mT4_T5_T6_T7_T8_P12ihipStream_tbENKUlT_T0_E_clISt17integral_constantIbLb1EES10_IbLb0EEEEDaSW_SX_EUlSW_E_NS1_11comp_targetILNS1_3genE5ELNS1_11target_archE942ELNS1_3gpuE9ELNS1_3repE0EEENS1_30default_config_static_selectorELNS0_4arch9wavefront6targetE1EEEvT1_
                                        ; -- End function
	.section	.AMDGPU.csdata,"",@progbits
; Kernel info:
; codeLenInByte = 15448
; NumSgprs: 70
; NumVgprs: 108
; NumAgprs: 0
; TotalNumVgprs: 108
; ScratchSize: 0
; MemoryBound: 0
; FloatMode: 240
; IeeeMode: 1
; LDSByteSize: 15360 bytes/workgroup (compile time only)
; SGPRBlocks: 8
; VGPRBlocks: 13
; NumSGPRsForWavesPerEU: 70
; NumVGPRsForWavesPerEU: 108
; AccumOffset: 108
; Occupancy: 4
; WaveLimiterHint : 1
; COMPUTE_PGM_RSRC2:SCRATCH_EN: 0
; COMPUTE_PGM_RSRC2:USER_SGPR: 2
; COMPUTE_PGM_RSRC2:TRAP_HANDLER: 0
; COMPUTE_PGM_RSRC2:TGID_X_EN: 1
; COMPUTE_PGM_RSRC2:TGID_Y_EN: 0
; COMPUTE_PGM_RSRC2:TGID_Z_EN: 0
; COMPUTE_PGM_RSRC2:TIDIG_COMP_CNT: 0
; COMPUTE_PGM_RSRC3_GFX90A:ACCUM_OFFSET: 26
; COMPUTE_PGM_RSRC3_GFX90A:TG_SPLIT: 0
	.section	.text._ZN7rocprim17ROCPRIM_400000_NS6detail17trampoline_kernelINS0_14default_configENS1_33run_length_encode_config_selectorIN3c108BFloat16EjNS0_4plusIjEEEEZZNS1_33reduce_by_key_impl_wrapped_configILNS1_25lookback_scan_determinismE0ES3_S9_PKS6_NS0_17constant_iteratorIjlEEPS6_PlSH_S8_NS0_8equal_toIS6_EEEE10hipError_tPvRmT2_T3_mT4_T5_T6_T7_T8_P12ihipStream_tbENKUlT_T0_E_clISt17integral_constantIbLb1EES10_IbLb0EEEEDaSW_SX_EUlSW_E_NS1_11comp_targetILNS1_3genE4ELNS1_11target_archE910ELNS1_3gpuE8ELNS1_3repE0EEENS1_30default_config_static_selectorELNS0_4arch9wavefront6targetE1EEEvT1_,"axG",@progbits,_ZN7rocprim17ROCPRIM_400000_NS6detail17trampoline_kernelINS0_14default_configENS1_33run_length_encode_config_selectorIN3c108BFloat16EjNS0_4plusIjEEEEZZNS1_33reduce_by_key_impl_wrapped_configILNS1_25lookback_scan_determinismE0ES3_S9_PKS6_NS0_17constant_iteratorIjlEEPS6_PlSH_S8_NS0_8equal_toIS6_EEEE10hipError_tPvRmT2_T3_mT4_T5_T6_T7_T8_P12ihipStream_tbENKUlT_T0_E_clISt17integral_constantIbLb1EES10_IbLb0EEEEDaSW_SX_EUlSW_E_NS1_11comp_targetILNS1_3genE4ELNS1_11target_archE910ELNS1_3gpuE8ELNS1_3repE0EEENS1_30default_config_static_selectorELNS0_4arch9wavefront6targetE1EEEvT1_,comdat
	.protected	_ZN7rocprim17ROCPRIM_400000_NS6detail17trampoline_kernelINS0_14default_configENS1_33run_length_encode_config_selectorIN3c108BFloat16EjNS0_4plusIjEEEEZZNS1_33reduce_by_key_impl_wrapped_configILNS1_25lookback_scan_determinismE0ES3_S9_PKS6_NS0_17constant_iteratorIjlEEPS6_PlSH_S8_NS0_8equal_toIS6_EEEE10hipError_tPvRmT2_T3_mT4_T5_T6_T7_T8_P12ihipStream_tbENKUlT_T0_E_clISt17integral_constantIbLb1EES10_IbLb0EEEEDaSW_SX_EUlSW_E_NS1_11comp_targetILNS1_3genE4ELNS1_11target_archE910ELNS1_3gpuE8ELNS1_3repE0EEENS1_30default_config_static_selectorELNS0_4arch9wavefront6targetE1EEEvT1_ ; -- Begin function _ZN7rocprim17ROCPRIM_400000_NS6detail17trampoline_kernelINS0_14default_configENS1_33run_length_encode_config_selectorIN3c108BFloat16EjNS0_4plusIjEEEEZZNS1_33reduce_by_key_impl_wrapped_configILNS1_25lookback_scan_determinismE0ES3_S9_PKS6_NS0_17constant_iteratorIjlEEPS6_PlSH_S8_NS0_8equal_toIS6_EEEE10hipError_tPvRmT2_T3_mT4_T5_T6_T7_T8_P12ihipStream_tbENKUlT_T0_E_clISt17integral_constantIbLb1EES10_IbLb0EEEEDaSW_SX_EUlSW_E_NS1_11comp_targetILNS1_3genE4ELNS1_11target_archE910ELNS1_3gpuE8ELNS1_3repE0EEENS1_30default_config_static_selectorELNS0_4arch9wavefront6targetE1EEEvT1_
	.globl	_ZN7rocprim17ROCPRIM_400000_NS6detail17trampoline_kernelINS0_14default_configENS1_33run_length_encode_config_selectorIN3c108BFloat16EjNS0_4plusIjEEEEZZNS1_33reduce_by_key_impl_wrapped_configILNS1_25lookback_scan_determinismE0ES3_S9_PKS6_NS0_17constant_iteratorIjlEEPS6_PlSH_S8_NS0_8equal_toIS6_EEEE10hipError_tPvRmT2_T3_mT4_T5_T6_T7_T8_P12ihipStream_tbENKUlT_T0_E_clISt17integral_constantIbLb1EES10_IbLb0EEEEDaSW_SX_EUlSW_E_NS1_11comp_targetILNS1_3genE4ELNS1_11target_archE910ELNS1_3gpuE8ELNS1_3repE0EEENS1_30default_config_static_selectorELNS0_4arch9wavefront6targetE1EEEvT1_
	.p2align	8
	.type	_ZN7rocprim17ROCPRIM_400000_NS6detail17trampoline_kernelINS0_14default_configENS1_33run_length_encode_config_selectorIN3c108BFloat16EjNS0_4plusIjEEEEZZNS1_33reduce_by_key_impl_wrapped_configILNS1_25lookback_scan_determinismE0ES3_S9_PKS6_NS0_17constant_iteratorIjlEEPS6_PlSH_S8_NS0_8equal_toIS6_EEEE10hipError_tPvRmT2_T3_mT4_T5_T6_T7_T8_P12ihipStream_tbENKUlT_T0_E_clISt17integral_constantIbLb1EES10_IbLb0EEEEDaSW_SX_EUlSW_E_NS1_11comp_targetILNS1_3genE4ELNS1_11target_archE910ELNS1_3gpuE8ELNS1_3repE0EEENS1_30default_config_static_selectorELNS0_4arch9wavefront6targetE1EEEvT1_,@function
_ZN7rocprim17ROCPRIM_400000_NS6detail17trampoline_kernelINS0_14default_configENS1_33run_length_encode_config_selectorIN3c108BFloat16EjNS0_4plusIjEEEEZZNS1_33reduce_by_key_impl_wrapped_configILNS1_25lookback_scan_determinismE0ES3_S9_PKS6_NS0_17constant_iteratorIjlEEPS6_PlSH_S8_NS0_8equal_toIS6_EEEE10hipError_tPvRmT2_T3_mT4_T5_T6_T7_T8_P12ihipStream_tbENKUlT_T0_E_clISt17integral_constantIbLb1EES10_IbLb0EEEEDaSW_SX_EUlSW_E_NS1_11comp_targetILNS1_3genE4ELNS1_11target_archE910ELNS1_3gpuE8ELNS1_3repE0EEENS1_30default_config_static_selectorELNS0_4arch9wavefront6targetE1EEEvT1_: ; @_ZN7rocprim17ROCPRIM_400000_NS6detail17trampoline_kernelINS0_14default_configENS1_33run_length_encode_config_selectorIN3c108BFloat16EjNS0_4plusIjEEEEZZNS1_33reduce_by_key_impl_wrapped_configILNS1_25lookback_scan_determinismE0ES3_S9_PKS6_NS0_17constant_iteratorIjlEEPS6_PlSH_S8_NS0_8equal_toIS6_EEEE10hipError_tPvRmT2_T3_mT4_T5_T6_T7_T8_P12ihipStream_tbENKUlT_T0_E_clISt17integral_constantIbLb1EES10_IbLb0EEEEDaSW_SX_EUlSW_E_NS1_11comp_targetILNS1_3genE4ELNS1_11target_archE910ELNS1_3gpuE8ELNS1_3repE0EEENS1_30default_config_static_selectorELNS0_4arch9wavefront6targetE1EEEvT1_
; %bb.0:
	.section	.rodata,"a",@progbits
	.p2align	6, 0x0
	.amdhsa_kernel _ZN7rocprim17ROCPRIM_400000_NS6detail17trampoline_kernelINS0_14default_configENS1_33run_length_encode_config_selectorIN3c108BFloat16EjNS0_4plusIjEEEEZZNS1_33reduce_by_key_impl_wrapped_configILNS1_25lookback_scan_determinismE0ES3_S9_PKS6_NS0_17constant_iteratorIjlEEPS6_PlSH_S8_NS0_8equal_toIS6_EEEE10hipError_tPvRmT2_T3_mT4_T5_T6_T7_T8_P12ihipStream_tbENKUlT_T0_E_clISt17integral_constantIbLb1EES10_IbLb0EEEEDaSW_SX_EUlSW_E_NS1_11comp_targetILNS1_3genE4ELNS1_11target_archE910ELNS1_3gpuE8ELNS1_3repE0EEENS1_30default_config_static_selectorELNS0_4arch9wavefront6targetE1EEEvT1_
		.amdhsa_group_segment_fixed_size 0
		.amdhsa_private_segment_fixed_size 0
		.amdhsa_kernarg_size 128
		.amdhsa_user_sgpr_count 2
		.amdhsa_user_sgpr_dispatch_ptr 0
		.amdhsa_user_sgpr_queue_ptr 0
		.amdhsa_user_sgpr_kernarg_segment_ptr 1
		.amdhsa_user_sgpr_dispatch_id 0
		.amdhsa_user_sgpr_kernarg_preload_length 0
		.amdhsa_user_sgpr_kernarg_preload_offset 0
		.amdhsa_user_sgpr_private_segment_size 0
		.amdhsa_uses_dynamic_stack 0
		.amdhsa_enable_private_segment 0
		.amdhsa_system_sgpr_workgroup_id_x 1
		.amdhsa_system_sgpr_workgroup_id_y 0
		.amdhsa_system_sgpr_workgroup_id_z 0
		.amdhsa_system_sgpr_workgroup_info 0
		.amdhsa_system_vgpr_workitem_id 0
		.amdhsa_next_free_vgpr 1
		.amdhsa_next_free_sgpr 0
		.amdhsa_accum_offset 4
		.amdhsa_reserve_vcc 0
		.amdhsa_float_round_mode_32 0
		.amdhsa_float_round_mode_16_64 0
		.amdhsa_float_denorm_mode_32 3
		.amdhsa_float_denorm_mode_16_64 3
		.amdhsa_dx10_clamp 1
		.amdhsa_ieee_mode 1
		.amdhsa_fp16_overflow 0
		.amdhsa_tg_split 0
		.amdhsa_exception_fp_ieee_invalid_op 0
		.amdhsa_exception_fp_denorm_src 0
		.amdhsa_exception_fp_ieee_div_zero 0
		.amdhsa_exception_fp_ieee_overflow 0
		.amdhsa_exception_fp_ieee_underflow 0
		.amdhsa_exception_fp_ieee_inexact 0
		.amdhsa_exception_int_div_zero 0
	.end_amdhsa_kernel
	.section	.text._ZN7rocprim17ROCPRIM_400000_NS6detail17trampoline_kernelINS0_14default_configENS1_33run_length_encode_config_selectorIN3c108BFloat16EjNS0_4plusIjEEEEZZNS1_33reduce_by_key_impl_wrapped_configILNS1_25lookback_scan_determinismE0ES3_S9_PKS6_NS0_17constant_iteratorIjlEEPS6_PlSH_S8_NS0_8equal_toIS6_EEEE10hipError_tPvRmT2_T3_mT4_T5_T6_T7_T8_P12ihipStream_tbENKUlT_T0_E_clISt17integral_constantIbLb1EES10_IbLb0EEEEDaSW_SX_EUlSW_E_NS1_11comp_targetILNS1_3genE4ELNS1_11target_archE910ELNS1_3gpuE8ELNS1_3repE0EEENS1_30default_config_static_selectorELNS0_4arch9wavefront6targetE1EEEvT1_,"axG",@progbits,_ZN7rocprim17ROCPRIM_400000_NS6detail17trampoline_kernelINS0_14default_configENS1_33run_length_encode_config_selectorIN3c108BFloat16EjNS0_4plusIjEEEEZZNS1_33reduce_by_key_impl_wrapped_configILNS1_25lookback_scan_determinismE0ES3_S9_PKS6_NS0_17constant_iteratorIjlEEPS6_PlSH_S8_NS0_8equal_toIS6_EEEE10hipError_tPvRmT2_T3_mT4_T5_T6_T7_T8_P12ihipStream_tbENKUlT_T0_E_clISt17integral_constantIbLb1EES10_IbLb0EEEEDaSW_SX_EUlSW_E_NS1_11comp_targetILNS1_3genE4ELNS1_11target_archE910ELNS1_3gpuE8ELNS1_3repE0EEENS1_30default_config_static_selectorELNS0_4arch9wavefront6targetE1EEEvT1_,comdat
.Lfunc_end876:
	.size	_ZN7rocprim17ROCPRIM_400000_NS6detail17trampoline_kernelINS0_14default_configENS1_33run_length_encode_config_selectorIN3c108BFloat16EjNS0_4plusIjEEEEZZNS1_33reduce_by_key_impl_wrapped_configILNS1_25lookback_scan_determinismE0ES3_S9_PKS6_NS0_17constant_iteratorIjlEEPS6_PlSH_S8_NS0_8equal_toIS6_EEEE10hipError_tPvRmT2_T3_mT4_T5_T6_T7_T8_P12ihipStream_tbENKUlT_T0_E_clISt17integral_constantIbLb1EES10_IbLb0EEEEDaSW_SX_EUlSW_E_NS1_11comp_targetILNS1_3genE4ELNS1_11target_archE910ELNS1_3gpuE8ELNS1_3repE0EEENS1_30default_config_static_selectorELNS0_4arch9wavefront6targetE1EEEvT1_, .Lfunc_end876-_ZN7rocprim17ROCPRIM_400000_NS6detail17trampoline_kernelINS0_14default_configENS1_33run_length_encode_config_selectorIN3c108BFloat16EjNS0_4plusIjEEEEZZNS1_33reduce_by_key_impl_wrapped_configILNS1_25lookback_scan_determinismE0ES3_S9_PKS6_NS0_17constant_iteratorIjlEEPS6_PlSH_S8_NS0_8equal_toIS6_EEEE10hipError_tPvRmT2_T3_mT4_T5_T6_T7_T8_P12ihipStream_tbENKUlT_T0_E_clISt17integral_constantIbLb1EES10_IbLb0EEEEDaSW_SX_EUlSW_E_NS1_11comp_targetILNS1_3genE4ELNS1_11target_archE910ELNS1_3gpuE8ELNS1_3repE0EEENS1_30default_config_static_selectorELNS0_4arch9wavefront6targetE1EEEvT1_
                                        ; -- End function
	.section	.AMDGPU.csdata,"",@progbits
; Kernel info:
; codeLenInByte = 0
; NumSgprs: 6
; NumVgprs: 0
; NumAgprs: 0
; TotalNumVgprs: 0
; ScratchSize: 0
; MemoryBound: 0
; FloatMode: 240
; IeeeMode: 1
; LDSByteSize: 0 bytes/workgroup (compile time only)
; SGPRBlocks: 0
; VGPRBlocks: 0
; NumSGPRsForWavesPerEU: 6
; NumVGPRsForWavesPerEU: 1
; AccumOffset: 4
; Occupancy: 8
; WaveLimiterHint : 0
; COMPUTE_PGM_RSRC2:SCRATCH_EN: 0
; COMPUTE_PGM_RSRC2:USER_SGPR: 2
; COMPUTE_PGM_RSRC2:TRAP_HANDLER: 0
; COMPUTE_PGM_RSRC2:TGID_X_EN: 1
; COMPUTE_PGM_RSRC2:TGID_Y_EN: 0
; COMPUTE_PGM_RSRC2:TGID_Z_EN: 0
; COMPUTE_PGM_RSRC2:TIDIG_COMP_CNT: 0
; COMPUTE_PGM_RSRC3_GFX90A:ACCUM_OFFSET: 0
; COMPUTE_PGM_RSRC3_GFX90A:TG_SPLIT: 0
	.section	.text._ZN7rocprim17ROCPRIM_400000_NS6detail17trampoline_kernelINS0_14default_configENS1_33run_length_encode_config_selectorIN3c108BFloat16EjNS0_4plusIjEEEEZZNS1_33reduce_by_key_impl_wrapped_configILNS1_25lookback_scan_determinismE0ES3_S9_PKS6_NS0_17constant_iteratorIjlEEPS6_PlSH_S8_NS0_8equal_toIS6_EEEE10hipError_tPvRmT2_T3_mT4_T5_T6_T7_T8_P12ihipStream_tbENKUlT_T0_E_clISt17integral_constantIbLb1EES10_IbLb0EEEEDaSW_SX_EUlSW_E_NS1_11comp_targetILNS1_3genE3ELNS1_11target_archE908ELNS1_3gpuE7ELNS1_3repE0EEENS1_30default_config_static_selectorELNS0_4arch9wavefront6targetE1EEEvT1_,"axG",@progbits,_ZN7rocprim17ROCPRIM_400000_NS6detail17trampoline_kernelINS0_14default_configENS1_33run_length_encode_config_selectorIN3c108BFloat16EjNS0_4plusIjEEEEZZNS1_33reduce_by_key_impl_wrapped_configILNS1_25lookback_scan_determinismE0ES3_S9_PKS6_NS0_17constant_iteratorIjlEEPS6_PlSH_S8_NS0_8equal_toIS6_EEEE10hipError_tPvRmT2_T3_mT4_T5_T6_T7_T8_P12ihipStream_tbENKUlT_T0_E_clISt17integral_constantIbLb1EES10_IbLb0EEEEDaSW_SX_EUlSW_E_NS1_11comp_targetILNS1_3genE3ELNS1_11target_archE908ELNS1_3gpuE7ELNS1_3repE0EEENS1_30default_config_static_selectorELNS0_4arch9wavefront6targetE1EEEvT1_,comdat
	.protected	_ZN7rocprim17ROCPRIM_400000_NS6detail17trampoline_kernelINS0_14default_configENS1_33run_length_encode_config_selectorIN3c108BFloat16EjNS0_4plusIjEEEEZZNS1_33reduce_by_key_impl_wrapped_configILNS1_25lookback_scan_determinismE0ES3_S9_PKS6_NS0_17constant_iteratorIjlEEPS6_PlSH_S8_NS0_8equal_toIS6_EEEE10hipError_tPvRmT2_T3_mT4_T5_T6_T7_T8_P12ihipStream_tbENKUlT_T0_E_clISt17integral_constantIbLb1EES10_IbLb0EEEEDaSW_SX_EUlSW_E_NS1_11comp_targetILNS1_3genE3ELNS1_11target_archE908ELNS1_3gpuE7ELNS1_3repE0EEENS1_30default_config_static_selectorELNS0_4arch9wavefront6targetE1EEEvT1_ ; -- Begin function _ZN7rocprim17ROCPRIM_400000_NS6detail17trampoline_kernelINS0_14default_configENS1_33run_length_encode_config_selectorIN3c108BFloat16EjNS0_4plusIjEEEEZZNS1_33reduce_by_key_impl_wrapped_configILNS1_25lookback_scan_determinismE0ES3_S9_PKS6_NS0_17constant_iteratorIjlEEPS6_PlSH_S8_NS0_8equal_toIS6_EEEE10hipError_tPvRmT2_T3_mT4_T5_T6_T7_T8_P12ihipStream_tbENKUlT_T0_E_clISt17integral_constantIbLb1EES10_IbLb0EEEEDaSW_SX_EUlSW_E_NS1_11comp_targetILNS1_3genE3ELNS1_11target_archE908ELNS1_3gpuE7ELNS1_3repE0EEENS1_30default_config_static_selectorELNS0_4arch9wavefront6targetE1EEEvT1_
	.globl	_ZN7rocprim17ROCPRIM_400000_NS6detail17trampoline_kernelINS0_14default_configENS1_33run_length_encode_config_selectorIN3c108BFloat16EjNS0_4plusIjEEEEZZNS1_33reduce_by_key_impl_wrapped_configILNS1_25lookback_scan_determinismE0ES3_S9_PKS6_NS0_17constant_iteratorIjlEEPS6_PlSH_S8_NS0_8equal_toIS6_EEEE10hipError_tPvRmT2_T3_mT4_T5_T6_T7_T8_P12ihipStream_tbENKUlT_T0_E_clISt17integral_constantIbLb1EES10_IbLb0EEEEDaSW_SX_EUlSW_E_NS1_11comp_targetILNS1_3genE3ELNS1_11target_archE908ELNS1_3gpuE7ELNS1_3repE0EEENS1_30default_config_static_selectorELNS0_4arch9wavefront6targetE1EEEvT1_
	.p2align	8
	.type	_ZN7rocprim17ROCPRIM_400000_NS6detail17trampoline_kernelINS0_14default_configENS1_33run_length_encode_config_selectorIN3c108BFloat16EjNS0_4plusIjEEEEZZNS1_33reduce_by_key_impl_wrapped_configILNS1_25lookback_scan_determinismE0ES3_S9_PKS6_NS0_17constant_iteratorIjlEEPS6_PlSH_S8_NS0_8equal_toIS6_EEEE10hipError_tPvRmT2_T3_mT4_T5_T6_T7_T8_P12ihipStream_tbENKUlT_T0_E_clISt17integral_constantIbLb1EES10_IbLb0EEEEDaSW_SX_EUlSW_E_NS1_11comp_targetILNS1_3genE3ELNS1_11target_archE908ELNS1_3gpuE7ELNS1_3repE0EEENS1_30default_config_static_selectorELNS0_4arch9wavefront6targetE1EEEvT1_,@function
_ZN7rocprim17ROCPRIM_400000_NS6detail17trampoline_kernelINS0_14default_configENS1_33run_length_encode_config_selectorIN3c108BFloat16EjNS0_4plusIjEEEEZZNS1_33reduce_by_key_impl_wrapped_configILNS1_25lookback_scan_determinismE0ES3_S9_PKS6_NS0_17constant_iteratorIjlEEPS6_PlSH_S8_NS0_8equal_toIS6_EEEE10hipError_tPvRmT2_T3_mT4_T5_T6_T7_T8_P12ihipStream_tbENKUlT_T0_E_clISt17integral_constantIbLb1EES10_IbLb0EEEEDaSW_SX_EUlSW_E_NS1_11comp_targetILNS1_3genE3ELNS1_11target_archE908ELNS1_3gpuE7ELNS1_3repE0EEENS1_30default_config_static_selectorELNS0_4arch9wavefront6targetE1EEEvT1_: ; @_ZN7rocprim17ROCPRIM_400000_NS6detail17trampoline_kernelINS0_14default_configENS1_33run_length_encode_config_selectorIN3c108BFloat16EjNS0_4plusIjEEEEZZNS1_33reduce_by_key_impl_wrapped_configILNS1_25lookback_scan_determinismE0ES3_S9_PKS6_NS0_17constant_iteratorIjlEEPS6_PlSH_S8_NS0_8equal_toIS6_EEEE10hipError_tPvRmT2_T3_mT4_T5_T6_T7_T8_P12ihipStream_tbENKUlT_T0_E_clISt17integral_constantIbLb1EES10_IbLb0EEEEDaSW_SX_EUlSW_E_NS1_11comp_targetILNS1_3genE3ELNS1_11target_archE908ELNS1_3gpuE7ELNS1_3repE0EEENS1_30default_config_static_selectorELNS0_4arch9wavefront6targetE1EEEvT1_
; %bb.0:
	.section	.rodata,"a",@progbits
	.p2align	6, 0x0
	.amdhsa_kernel _ZN7rocprim17ROCPRIM_400000_NS6detail17trampoline_kernelINS0_14default_configENS1_33run_length_encode_config_selectorIN3c108BFloat16EjNS0_4plusIjEEEEZZNS1_33reduce_by_key_impl_wrapped_configILNS1_25lookback_scan_determinismE0ES3_S9_PKS6_NS0_17constant_iteratorIjlEEPS6_PlSH_S8_NS0_8equal_toIS6_EEEE10hipError_tPvRmT2_T3_mT4_T5_T6_T7_T8_P12ihipStream_tbENKUlT_T0_E_clISt17integral_constantIbLb1EES10_IbLb0EEEEDaSW_SX_EUlSW_E_NS1_11comp_targetILNS1_3genE3ELNS1_11target_archE908ELNS1_3gpuE7ELNS1_3repE0EEENS1_30default_config_static_selectorELNS0_4arch9wavefront6targetE1EEEvT1_
		.amdhsa_group_segment_fixed_size 0
		.amdhsa_private_segment_fixed_size 0
		.amdhsa_kernarg_size 128
		.amdhsa_user_sgpr_count 2
		.amdhsa_user_sgpr_dispatch_ptr 0
		.amdhsa_user_sgpr_queue_ptr 0
		.amdhsa_user_sgpr_kernarg_segment_ptr 1
		.amdhsa_user_sgpr_dispatch_id 0
		.amdhsa_user_sgpr_kernarg_preload_length 0
		.amdhsa_user_sgpr_kernarg_preload_offset 0
		.amdhsa_user_sgpr_private_segment_size 0
		.amdhsa_uses_dynamic_stack 0
		.amdhsa_enable_private_segment 0
		.amdhsa_system_sgpr_workgroup_id_x 1
		.amdhsa_system_sgpr_workgroup_id_y 0
		.amdhsa_system_sgpr_workgroup_id_z 0
		.amdhsa_system_sgpr_workgroup_info 0
		.amdhsa_system_vgpr_workitem_id 0
		.amdhsa_next_free_vgpr 1
		.amdhsa_next_free_sgpr 0
		.amdhsa_accum_offset 4
		.amdhsa_reserve_vcc 0
		.amdhsa_float_round_mode_32 0
		.amdhsa_float_round_mode_16_64 0
		.amdhsa_float_denorm_mode_32 3
		.amdhsa_float_denorm_mode_16_64 3
		.amdhsa_dx10_clamp 1
		.amdhsa_ieee_mode 1
		.amdhsa_fp16_overflow 0
		.amdhsa_tg_split 0
		.amdhsa_exception_fp_ieee_invalid_op 0
		.amdhsa_exception_fp_denorm_src 0
		.amdhsa_exception_fp_ieee_div_zero 0
		.amdhsa_exception_fp_ieee_overflow 0
		.amdhsa_exception_fp_ieee_underflow 0
		.amdhsa_exception_fp_ieee_inexact 0
		.amdhsa_exception_int_div_zero 0
	.end_amdhsa_kernel
	.section	.text._ZN7rocprim17ROCPRIM_400000_NS6detail17trampoline_kernelINS0_14default_configENS1_33run_length_encode_config_selectorIN3c108BFloat16EjNS0_4plusIjEEEEZZNS1_33reduce_by_key_impl_wrapped_configILNS1_25lookback_scan_determinismE0ES3_S9_PKS6_NS0_17constant_iteratorIjlEEPS6_PlSH_S8_NS0_8equal_toIS6_EEEE10hipError_tPvRmT2_T3_mT4_T5_T6_T7_T8_P12ihipStream_tbENKUlT_T0_E_clISt17integral_constantIbLb1EES10_IbLb0EEEEDaSW_SX_EUlSW_E_NS1_11comp_targetILNS1_3genE3ELNS1_11target_archE908ELNS1_3gpuE7ELNS1_3repE0EEENS1_30default_config_static_selectorELNS0_4arch9wavefront6targetE1EEEvT1_,"axG",@progbits,_ZN7rocprim17ROCPRIM_400000_NS6detail17trampoline_kernelINS0_14default_configENS1_33run_length_encode_config_selectorIN3c108BFloat16EjNS0_4plusIjEEEEZZNS1_33reduce_by_key_impl_wrapped_configILNS1_25lookback_scan_determinismE0ES3_S9_PKS6_NS0_17constant_iteratorIjlEEPS6_PlSH_S8_NS0_8equal_toIS6_EEEE10hipError_tPvRmT2_T3_mT4_T5_T6_T7_T8_P12ihipStream_tbENKUlT_T0_E_clISt17integral_constantIbLb1EES10_IbLb0EEEEDaSW_SX_EUlSW_E_NS1_11comp_targetILNS1_3genE3ELNS1_11target_archE908ELNS1_3gpuE7ELNS1_3repE0EEENS1_30default_config_static_selectorELNS0_4arch9wavefront6targetE1EEEvT1_,comdat
.Lfunc_end877:
	.size	_ZN7rocprim17ROCPRIM_400000_NS6detail17trampoline_kernelINS0_14default_configENS1_33run_length_encode_config_selectorIN3c108BFloat16EjNS0_4plusIjEEEEZZNS1_33reduce_by_key_impl_wrapped_configILNS1_25lookback_scan_determinismE0ES3_S9_PKS6_NS0_17constant_iteratorIjlEEPS6_PlSH_S8_NS0_8equal_toIS6_EEEE10hipError_tPvRmT2_T3_mT4_T5_T6_T7_T8_P12ihipStream_tbENKUlT_T0_E_clISt17integral_constantIbLb1EES10_IbLb0EEEEDaSW_SX_EUlSW_E_NS1_11comp_targetILNS1_3genE3ELNS1_11target_archE908ELNS1_3gpuE7ELNS1_3repE0EEENS1_30default_config_static_selectorELNS0_4arch9wavefront6targetE1EEEvT1_, .Lfunc_end877-_ZN7rocprim17ROCPRIM_400000_NS6detail17trampoline_kernelINS0_14default_configENS1_33run_length_encode_config_selectorIN3c108BFloat16EjNS0_4plusIjEEEEZZNS1_33reduce_by_key_impl_wrapped_configILNS1_25lookback_scan_determinismE0ES3_S9_PKS6_NS0_17constant_iteratorIjlEEPS6_PlSH_S8_NS0_8equal_toIS6_EEEE10hipError_tPvRmT2_T3_mT4_T5_T6_T7_T8_P12ihipStream_tbENKUlT_T0_E_clISt17integral_constantIbLb1EES10_IbLb0EEEEDaSW_SX_EUlSW_E_NS1_11comp_targetILNS1_3genE3ELNS1_11target_archE908ELNS1_3gpuE7ELNS1_3repE0EEENS1_30default_config_static_selectorELNS0_4arch9wavefront6targetE1EEEvT1_
                                        ; -- End function
	.section	.AMDGPU.csdata,"",@progbits
; Kernel info:
; codeLenInByte = 0
; NumSgprs: 6
; NumVgprs: 0
; NumAgprs: 0
; TotalNumVgprs: 0
; ScratchSize: 0
; MemoryBound: 0
; FloatMode: 240
; IeeeMode: 1
; LDSByteSize: 0 bytes/workgroup (compile time only)
; SGPRBlocks: 0
; VGPRBlocks: 0
; NumSGPRsForWavesPerEU: 6
; NumVGPRsForWavesPerEU: 1
; AccumOffset: 4
; Occupancy: 8
; WaveLimiterHint : 0
; COMPUTE_PGM_RSRC2:SCRATCH_EN: 0
; COMPUTE_PGM_RSRC2:USER_SGPR: 2
; COMPUTE_PGM_RSRC2:TRAP_HANDLER: 0
; COMPUTE_PGM_RSRC2:TGID_X_EN: 1
; COMPUTE_PGM_RSRC2:TGID_Y_EN: 0
; COMPUTE_PGM_RSRC2:TGID_Z_EN: 0
; COMPUTE_PGM_RSRC2:TIDIG_COMP_CNT: 0
; COMPUTE_PGM_RSRC3_GFX90A:ACCUM_OFFSET: 0
; COMPUTE_PGM_RSRC3_GFX90A:TG_SPLIT: 0
	.section	.text._ZN7rocprim17ROCPRIM_400000_NS6detail17trampoline_kernelINS0_14default_configENS1_33run_length_encode_config_selectorIN3c108BFloat16EjNS0_4plusIjEEEEZZNS1_33reduce_by_key_impl_wrapped_configILNS1_25lookback_scan_determinismE0ES3_S9_PKS6_NS0_17constant_iteratorIjlEEPS6_PlSH_S8_NS0_8equal_toIS6_EEEE10hipError_tPvRmT2_T3_mT4_T5_T6_T7_T8_P12ihipStream_tbENKUlT_T0_E_clISt17integral_constantIbLb1EES10_IbLb0EEEEDaSW_SX_EUlSW_E_NS1_11comp_targetILNS1_3genE2ELNS1_11target_archE906ELNS1_3gpuE6ELNS1_3repE0EEENS1_30default_config_static_selectorELNS0_4arch9wavefront6targetE1EEEvT1_,"axG",@progbits,_ZN7rocprim17ROCPRIM_400000_NS6detail17trampoline_kernelINS0_14default_configENS1_33run_length_encode_config_selectorIN3c108BFloat16EjNS0_4plusIjEEEEZZNS1_33reduce_by_key_impl_wrapped_configILNS1_25lookback_scan_determinismE0ES3_S9_PKS6_NS0_17constant_iteratorIjlEEPS6_PlSH_S8_NS0_8equal_toIS6_EEEE10hipError_tPvRmT2_T3_mT4_T5_T6_T7_T8_P12ihipStream_tbENKUlT_T0_E_clISt17integral_constantIbLb1EES10_IbLb0EEEEDaSW_SX_EUlSW_E_NS1_11comp_targetILNS1_3genE2ELNS1_11target_archE906ELNS1_3gpuE6ELNS1_3repE0EEENS1_30default_config_static_selectorELNS0_4arch9wavefront6targetE1EEEvT1_,comdat
	.protected	_ZN7rocprim17ROCPRIM_400000_NS6detail17trampoline_kernelINS0_14default_configENS1_33run_length_encode_config_selectorIN3c108BFloat16EjNS0_4plusIjEEEEZZNS1_33reduce_by_key_impl_wrapped_configILNS1_25lookback_scan_determinismE0ES3_S9_PKS6_NS0_17constant_iteratorIjlEEPS6_PlSH_S8_NS0_8equal_toIS6_EEEE10hipError_tPvRmT2_T3_mT4_T5_T6_T7_T8_P12ihipStream_tbENKUlT_T0_E_clISt17integral_constantIbLb1EES10_IbLb0EEEEDaSW_SX_EUlSW_E_NS1_11comp_targetILNS1_3genE2ELNS1_11target_archE906ELNS1_3gpuE6ELNS1_3repE0EEENS1_30default_config_static_selectorELNS0_4arch9wavefront6targetE1EEEvT1_ ; -- Begin function _ZN7rocprim17ROCPRIM_400000_NS6detail17trampoline_kernelINS0_14default_configENS1_33run_length_encode_config_selectorIN3c108BFloat16EjNS0_4plusIjEEEEZZNS1_33reduce_by_key_impl_wrapped_configILNS1_25lookback_scan_determinismE0ES3_S9_PKS6_NS0_17constant_iteratorIjlEEPS6_PlSH_S8_NS0_8equal_toIS6_EEEE10hipError_tPvRmT2_T3_mT4_T5_T6_T7_T8_P12ihipStream_tbENKUlT_T0_E_clISt17integral_constantIbLb1EES10_IbLb0EEEEDaSW_SX_EUlSW_E_NS1_11comp_targetILNS1_3genE2ELNS1_11target_archE906ELNS1_3gpuE6ELNS1_3repE0EEENS1_30default_config_static_selectorELNS0_4arch9wavefront6targetE1EEEvT1_
	.globl	_ZN7rocprim17ROCPRIM_400000_NS6detail17trampoline_kernelINS0_14default_configENS1_33run_length_encode_config_selectorIN3c108BFloat16EjNS0_4plusIjEEEEZZNS1_33reduce_by_key_impl_wrapped_configILNS1_25lookback_scan_determinismE0ES3_S9_PKS6_NS0_17constant_iteratorIjlEEPS6_PlSH_S8_NS0_8equal_toIS6_EEEE10hipError_tPvRmT2_T3_mT4_T5_T6_T7_T8_P12ihipStream_tbENKUlT_T0_E_clISt17integral_constantIbLb1EES10_IbLb0EEEEDaSW_SX_EUlSW_E_NS1_11comp_targetILNS1_3genE2ELNS1_11target_archE906ELNS1_3gpuE6ELNS1_3repE0EEENS1_30default_config_static_selectorELNS0_4arch9wavefront6targetE1EEEvT1_
	.p2align	8
	.type	_ZN7rocprim17ROCPRIM_400000_NS6detail17trampoline_kernelINS0_14default_configENS1_33run_length_encode_config_selectorIN3c108BFloat16EjNS0_4plusIjEEEEZZNS1_33reduce_by_key_impl_wrapped_configILNS1_25lookback_scan_determinismE0ES3_S9_PKS6_NS0_17constant_iteratorIjlEEPS6_PlSH_S8_NS0_8equal_toIS6_EEEE10hipError_tPvRmT2_T3_mT4_T5_T6_T7_T8_P12ihipStream_tbENKUlT_T0_E_clISt17integral_constantIbLb1EES10_IbLb0EEEEDaSW_SX_EUlSW_E_NS1_11comp_targetILNS1_3genE2ELNS1_11target_archE906ELNS1_3gpuE6ELNS1_3repE0EEENS1_30default_config_static_selectorELNS0_4arch9wavefront6targetE1EEEvT1_,@function
_ZN7rocprim17ROCPRIM_400000_NS6detail17trampoline_kernelINS0_14default_configENS1_33run_length_encode_config_selectorIN3c108BFloat16EjNS0_4plusIjEEEEZZNS1_33reduce_by_key_impl_wrapped_configILNS1_25lookback_scan_determinismE0ES3_S9_PKS6_NS0_17constant_iteratorIjlEEPS6_PlSH_S8_NS0_8equal_toIS6_EEEE10hipError_tPvRmT2_T3_mT4_T5_T6_T7_T8_P12ihipStream_tbENKUlT_T0_E_clISt17integral_constantIbLb1EES10_IbLb0EEEEDaSW_SX_EUlSW_E_NS1_11comp_targetILNS1_3genE2ELNS1_11target_archE906ELNS1_3gpuE6ELNS1_3repE0EEENS1_30default_config_static_selectorELNS0_4arch9wavefront6targetE1EEEvT1_: ; @_ZN7rocprim17ROCPRIM_400000_NS6detail17trampoline_kernelINS0_14default_configENS1_33run_length_encode_config_selectorIN3c108BFloat16EjNS0_4plusIjEEEEZZNS1_33reduce_by_key_impl_wrapped_configILNS1_25lookback_scan_determinismE0ES3_S9_PKS6_NS0_17constant_iteratorIjlEEPS6_PlSH_S8_NS0_8equal_toIS6_EEEE10hipError_tPvRmT2_T3_mT4_T5_T6_T7_T8_P12ihipStream_tbENKUlT_T0_E_clISt17integral_constantIbLb1EES10_IbLb0EEEEDaSW_SX_EUlSW_E_NS1_11comp_targetILNS1_3genE2ELNS1_11target_archE906ELNS1_3gpuE6ELNS1_3repE0EEENS1_30default_config_static_selectorELNS0_4arch9wavefront6targetE1EEEvT1_
; %bb.0:
	.section	.rodata,"a",@progbits
	.p2align	6, 0x0
	.amdhsa_kernel _ZN7rocprim17ROCPRIM_400000_NS6detail17trampoline_kernelINS0_14default_configENS1_33run_length_encode_config_selectorIN3c108BFloat16EjNS0_4plusIjEEEEZZNS1_33reduce_by_key_impl_wrapped_configILNS1_25lookback_scan_determinismE0ES3_S9_PKS6_NS0_17constant_iteratorIjlEEPS6_PlSH_S8_NS0_8equal_toIS6_EEEE10hipError_tPvRmT2_T3_mT4_T5_T6_T7_T8_P12ihipStream_tbENKUlT_T0_E_clISt17integral_constantIbLb1EES10_IbLb0EEEEDaSW_SX_EUlSW_E_NS1_11comp_targetILNS1_3genE2ELNS1_11target_archE906ELNS1_3gpuE6ELNS1_3repE0EEENS1_30default_config_static_selectorELNS0_4arch9wavefront6targetE1EEEvT1_
		.amdhsa_group_segment_fixed_size 0
		.amdhsa_private_segment_fixed_size 0
		.amdhsa_kernarg_size 128
		.amdhsa_user_sgpr_count 2
		.amdhsa_user_sgpr_dispatch_ptr 0
		.amdhsa_user_sgpr_queue_ptr 0
		.amdhsa_user_sgpr_kernarg_segment_ptr 1
		.amdhsa_user_sgpr_dispatch_id 0
		.amdhsa_user_sgpr_kernarg_preload_length 0
		.amdhsa_user_sgpr_kernarg_preload_offset 0
		.amdhsa_user_sgpr_private_segment_size 0
		.amdhsa_uses_dynamic_stack 0
		.amdhsa_enable_private_segment 0
		.amdhsa_system_sgpr_workgroup_id_x 1
		.amdhsa_system_sgpr_workgroup_id_y 0
		.amdhsa_system_sgpr_workgroup_id_z 0
		.amdhsa_system_sgpr_workgroup_info 0
		.amdhsa_system_vgpr_workitem_id 0
		.amdhsa_next_free_vgpr 1
		.amdhsa_next_free_sgpr 0
		.amdhsa_accum_offset 4
		.amdhsa_reserve_vcc 0
		.amdhsa_float_round_mode_32 0
		.amdhsa_float_round_mode_16_64 0
		.amdhsa_float_denorm_mode_32 3
		.amdhsa_float_denorm_mode_16_64 3
		.amdhsa_dx10_clamp 1
		.amdhsa_ieee_mode 1
		.amdhsa_fp16_overflow 0
		.amdhsa_tg_split 0
		.amdhsa_exception_fp_ieee_invalid_op 0
		.amdhsa_exception_fp_denorm_src 0
		.amdhsa_exception_fp_ieee_div_zero 0
		.amdhsa_exception_fp_ieee_overflow 0
		.amdhsa_exception_fp_ieee_underflow 0
		.amdhsa_exception_fp_ieee_inexact 0
		.amdhsa_exception_int_div_zero 0
	.end_amdhsa_kernel
	.section	.text._ZN7rocprim17ROCPRIM_400000_NS6detail17trampoline_kernelINS0_14default_configENS1_33run_length_encode_config_selectorIN3c108BFloat16EjNS0_4plusIjEEEEZZNS1_33reduce_by_key_impl_wrapped_configILNS1_25lookback_scan_determinismE0ES3_S9_PKS6_NS0_17constant_iteratorIjlEEPS6_PlSH_S8_NS0_8equal_toIS6_EEEE10hipError_tPvRmT2_T3_mT4_T5_T6_T7_T8_P12ihipStream_tbENKUlT_T0_E_clISt17integral_constantIbLb1EES10_IbLb0EEEEDaSW_SX_EUlSW_E_NS1_11comp_targetILNS1_3genE2ELNS1_11target_archE906ELNS1_3gpuE6ELNS1_3repE0EEENS1_30default_config_static_selectorELNS0_4arch9wavefront6targetE1EEEvT1_,"axG",@progbits,_ZN7rocprim17ROCPRIM_400000_NS6detail17trampoline_kernelINS0_14default_configENS1_33run_length_encode_config_selectorIN3c108BFloat16EjNS0_4plusIjEEEEZZNS1_33reduce_by_key_impl_wrapped_configILNS1_25lookback_scan_determinismE0ES3_S9_PKS6_NS0_17constant_iteratorIjlEEPS6_PlSH_S8_NS0_8equal_toIS6_EEEE10hipError_tPvRmT2_T3_mT4_T5_T6_T7_T8_P12ihipStream_tbENKUlT_T0_E_clISt17integral_constantIbLb1EES10_IbLb0EEEEDaSW_SX_EUlSW_E_NS1_11comp_targetILNS1_3genE2ELNS1_11target_archE906ELNS1_3gpuE6ELNS1_3repE0EEENS1_30default_config_static_selectorELNS0_4arch9wavefront6targetE1EEEvT1_,comdat
.Lfunc_end878:
	.size	_ZN7rocprim17ROCPRIM_400000_NS6detail17trampoline_kernelINS0_14default_configENS1_33run_length_encode_config_selectorIN3c108BFloat16EjNS0_4plusIjEEEEZZNS1_33reduce_by_key_impl_wrapped_configILNS1_25lookback_scan_determinismE0ES3_S9_PKS6_NS0_17constant_iteratorIjlEEPS6_PlSH_S8_NS0_8equal_toIS6_EEEE10hipError_tPvRmT2_T3_mT4_T5_T6_T7_T8_P12ihipStream_tbENKUlT_T0_E_clISt17integral_constantIbLb1EES10_IbLb0EEEEDaSW_SX_EUlSW_E_NS1_11comp_targetILNS1_3genE2ELNS1_11target_archE906ELNS1_3gpuE6ELNS1_3repE0EEENS1_30default_config_static_selectorELNS0_4arch9wavefront6targetE1EEEvT1_, .Lfunc_end878-_ZN7rocprim17ROCPRIM_400000_NS6detail17trampoline_kernelINS0_14default_configENS1_33run_length_encode_config_selectorIN3c108BFloat16EjNS0_4plusIjEEEEZZNS1_33reduce_by_key_impl_wrapped_configILNS1_25lookback_scan_determinismE0ES3_S9_PKS6_NS0_17constant_iteratorIjlEEPS6_PlSH_S8_NS0_8equal_toIS6_EEEE10hipError_tPvRmT2_T3_mT4_T5_T6_T7_T8_P12ihipStream_tbENKUlT_T0_E_clISt17integral_constantIbLb1EES10_IbLb0EEEEDaSW_SX_EUlSW_E_NS1_11comp_targetILNS1_3genE2ELNS1_11target_archE906ELNS1_3gpuE6ELNS1_3repE0EEENS1_30default_config_static_selectorELNS0_4arch9wavefront6targetE1EEEvT1_
                                        ; -- End function
	.section	.AMDGPU.csdata,"",@progbits
; Kernel info:
; codeLenInByte = 0
; NumSgprs: 6
; NumVgprs: 0
; NumAgprs: 0
; TotalNumVgprs: 0
; ScratchSize: 0
; MemoryBound: 0
; FloatMode: 240
; IeeeMode: 1
; LDSByteSize: 0 bytes/workgroup (compile time only)
; SGPRBlocks: 0
; VGPRBlocks: 0
; NumSGPRsForWavesPerEU: 6
; NumVGPRsForWavesPerEU: 1
; AccumOffset: 4
; Occupancy: 8
; WaveLimiterHint : 0
; COMPUTE_PGM_RSRC2:SCRATCH_EN: 0
; COMPUTE_PGM_RSRC2:USER_SGPR: 2
; COMPUTE_PGM_RSRC2:TRAP_HANDLER: 0
; COMPUTE_PGM_RSRC2:TGID_X_EN: 1
; COMPUTE_PGM_RSRC2:TGID_Y_EN: 0
; COMPUTE_PGM_RSRC2:TGID_Z_EN: 0
; COMPUTE_PGM_RSRC2:TIDIG_COMP_CNT: 0
; COMPUTE_PGM_RSRC3_GFX90A:ACCUM_OFFSET: 0
; COMPUTE_PGM_RSRC3_GFX90A:TG_SPLIT: 0
	.section	.text._ZN7rocprim17ROCPRIM_400000_NS6detail17trampoline_kernelINS0_14default_configENS1_33run_length_encode_config_selectorIN3c108BFloat16EjNS0_4plusIjEEEEZZNS1_33reduce_by_key_impl_wrapped_configILNS1_25lookback_scan_determinismE0ES3_S9_PKS6_NS0_17constant_iteratorIjlEEPS6_PlSH_S8_NS0_8equal_toIS6_EEEE10hipError_tPvRmT2_T3_mT4_T5_T6_T7_T8_P12ihipStream_tbENKUlT_T0_E_clISt17integral_constantIbLb1EES10_IbLb0EEEEDaSW_SX_EUlSW_E_NS1_11comp_targetILNS1_3genE10ELNS1_11target_archE1201ELNS1_3gpuE5ELNS1_3repE0EEENS1_30default_config_static_selectorELNS0_4arch9wavefront6targetE1EEEvT1_,"axG",@progbits,_ZN7rocprim17ROCPRIM_400000_NS6detail17trampoline_kernelINS0_14default_configENS1_33run_length_encode_config_selectorIN3c108BFloat16EjNS0_4plusIjEEEEZZNS1_33reduce_by_key_impl_wrapped_configILNS1_25lookback_scan_determinismE0ES3_S9_PKS6_NS0_17constant_iteratorIjlEEPS6_PlSH_S8_NS0_8equal_toIS6_EEEE10hipError_tPvRmT2_T3_mT4_T5_T6_T7_T8_P12ihipStream_tbENKUlT_T0_E_clISt17integral_constantIbLb1EES10_IbLb0EEEEDaSW_SX_EUlSW_E_NS1_11comp_targetILNS1_3genE10ELNS1_11target_archE1201ELNS1_3gpuE5ELNS1_3repE0EEENS1_30default_config_static_selectorELNS0_4arch9wavefront6targetE1EEEvT1_,comdat
	.protected	_ZN7rocprim17ROCPRIM_400000_NS6detail17trampoline_kernelINS0_14default_configENS1_33run_length_encode_config_selectorIN3c108BFloat16EjNS0_4plusIjEEEEZZNS1_33reduce_by_key_impl_wrapped_configILNS1_25lookback_scan_determinismE0ES3_S9_PKS6_NS0_17constant_iteratorIjlEEPS6_PlSH_S8_NS0_8equal_toIS6_EEEE10hipError_tPvRmT2_T3_mT4_T5_T6_T7_T8_P12ihipStream_tbENKUlT_T0_E_clISt17integral_constantIbLb1EES10_IbLb0EEEEDaSW_SX_EUlSW_E_NS1_11comp_targetILNS1_3genE10ELNS1_11target_archE1201ELNS1_3gpuE5ELNS1_3repE0EEENS1_30default_config_static_selectorELNS0_4arch9wavefront6targetE1EEEvT1_ ; -- Begin function _ZN7rocprim17ROCPRIM_400000_NS6detail17trampoline_kernelINS0_14default_configENS1_33run_length_encode_config_selectorIN3c108BFloat16EjNS0_4plusIjEEEEZZNS1_33reduce_by_key_impl_wrapped_configILNS1_25lookback_scan_determinismE0ES3_S9_PKS6_NS0_17constant_iteratorIjlEEPS6_PlSH_S8_NS0_8equal_toIS6_EEEE10hipError_tPvRmT2_T3_mT4_T5_T6_T7_T8_P12ihipStream_tbENKUlT_T0_E_clISt17integral_constantIbLb1EES10_IbLb0EEEEDaSW_SX_EUlSW_E_NS1_11comp_targetILNS1_3genE10ELNS1_11target_archE1201ELNS1_3gpuE5ELNS1_3repE0EEENS1_30default_config_static_selectorELNS0_4arch9wavefront6targetE1EEEvT1_
	.globl	_ZN7rocprim17ROCPRIM_400000_NS6detail17trampoline_kernelINS0_14default_configENS1_33run_length_encode_config_selectorIN3c108BFloat16EjNS0_4plusIjEEEEZZNS1_33reduce_by_key_impl_wrapped_configILNS1_25lookback_scan_determinismE0ES3_S9_PKS6_NS0_17constant_iteratorIjlEEPS6_PlSH_S8_NS0_8equal_toIS6_EEEE10hipError_tPvRmT2_T3_mT4_T5_T6_T7_T8_P12ihipStream_tbENKUlT_T0_E_clISt17integral_constantIbLb1EES10_IbLb0EEEEDaSW_SX_EUlSW_E_NS1_11comp_targetILNS1_3genE10ELNS1_11target_archE1201ELNS1_3gpuE5ELNS1_3repE0EEENS1_30default_config_static_selectorELNS0_4arch9wavefront6targetE1EEEvT1_
	.p2align	8
	.type	_ZN7rocprim17ROCPRIM_400000_NS6detail17trampoline_kernelINS0_14default_configENS1_33run_length_encode_config_selectorIN3c108BFloat16EjNS0_4plusIjEEEEZZNS1_33reduce_by_key_impl_wrapped_configILNS1_25lookback_scan_determinismE0ES3_S9_PKS6_NS0_17constant_iteratorIjlEEPS6_PlSH_S8_NS0_8equal_toIS6_EEEE10hipError_tPvRmT2_T3_mT4_T5_T6_T7_T8_P12ihipStream_tbENKUlT_T0_E_clISt17integral_constantIbLb1EES10_IbLb0EEEEDaSW_SX_EUlSW_E_NS1_11comp_targetILNS1_3genE10ELNS1_11target_archE1201ELNS1_3gpuE5ELNS1_3repE0EEENS1_30default_config_static_selectorELNS0_4arch9wavefront6targetE1EEEvT1_,@function
_ZN7rocprim17ROCPRIM_400000_NS6detail17trampoline_kernelINS0_14default_configENS1_33run_length_encode_config_selectorIN3c108BFloat16EjNS0_4plusIjEEEEZZNS1_33reduce_by_key_impl_wrapped_configILNS1_25lookback_scan_determinismE0ES3_S9_PKS6_NS0_17constant_iteratorIjlEEPS6_PlSH_S8_NS0_8equal_toIS6_EEEE10hipError_tPvRmT2_T3_mT4_T5_T6_T7_T8_P12ihipStream_tbENKUlT_T0_E_clISt17integral_constantIbLb1EES10_IbLb0EEEEDaSW_SX_EUlSW_E_NS1_11comp_targetILNS1_3genE10ELNS1_11target_archE1201ELNS1_3gpuE5ELNS1_3repE0EEENS1_30default_config_static_selectorELNS0_4arch9wavefront6targetE1EEEvT1_: ; @_ZN7rocprim17ROCPRIM_400000_NS6detail17trampoline_kernelINS0_14default_configENS1_33run_length_encode_config_selectorIN3c108BFloat16EjNS0_4plusIjEEEEZZNS1_33reduce_by_key_impl_wrapped_configILNS1_25lookback_scan_determinismE0ES3_S9_PKS6_NS0_17constant_iteratorIjlEEPS6_PlSH_S8_NS0_8equal_toIS6_EEEE10hipError_tPvRmT2_T3_mT4_T5_T6_T7_T8_P12ihipStream_tbENKUlT_T0_E_clISt17integral_constantIbLb1EES10_IbLb0EEEEDaSW_SX_EUlSW_E_NS1_11comp_targetILNS1_3genE10ELNS1_11target_archE1201ELNS1_3gpuE5ELNS1_3repE0EEENS1_30default_config_static_selectorELNS0_4arch9wavefront6targetE1EEEvT1_
; %bb.0:
	.section	.rodata,"a",@progbits
	.p2align	6, 0x0
	.amdhsa_kernel _ZN7rocprim17ROCPRIM_400000_NS6detail17trampoline_kernelINS0_14default_configENS1_33run_length_encode_config_selectorIN3c108BFloat16EjNS0_4plusIjEEEEZZNS1_33reduce_by_key_impl_wrapped_configILNS1_25lookback_scan_determinismE0ES3_S9_PKS6_NS0_17constant_iteratorIjlEEPS6_PlSH_S8_NS0_8equal_toIS6_EEEE10hipError_tPvRmT2_T3_mT4_T5_T6_T7_T8_P12ihipStream_tbENKUlT_T0_E_clISt17integral_constantIbLb1EES10_IbLb0EEEEDaSW_SX_EUlSW_E_NS1_11comp_targetILNS1_3genE10ELNS1_11target_archE1201ELNS1_3gpuE5ELNS1_3repE0EEENS1_30default_config_static_selectorELNS0_4arch9wavefront6targetE1EEEvT1_
		.amdhsa_group_segment_fixed_size 0
		.amdhsa_private_segment_fixed_size 0
		.amdhsa_kernarg_size 128
		.amdhsa_user_sgpr_count 2
		.amdhsa_user_sgpr_dispatch_ptr 0
		.amdhsa_user_sgpr_queue_ptr 0
		.amdhsa_user_sgpr_kernarg_segment_ptr 1
		.amdhsa_user_sgpr_dispatch_id 0
		.amdhsa_user_sgpr_kernarg_preload_length 0
		.amdhsa_user_sgpr_kernarg_preload_offset 0
		.amdhsa_user_sgpr_private_segment_size 0
		.amdhsa_uses_dynamic_stack 0
		.amdhsa_enable_private_segment 0
		.amdhsa_system_sgpr_workgroup_id_x 1
		.amdhsa_system_sgpr_workgroup_id_y 0
		.amdhsa_system_sgpr_workgroup_id_z 0
		.amdhsa_system_sgpr_workgroup_info 0
		.amdhsa_system_vgpr_workitem_id 0
		.amdhsa_next_free_vgpr 1
		.amdhsa_next_free_sgpr 0
		.amdhsa_accum_offset 4
		.amdhsa_reserve_vcc 0
		.amdhsa_float_round_mode_32 0
		.amdhsa_float_round_mode_16_64 0
		.amdhsa_float_denorm_mode_32 3
		.amdhsa_float_denorm_mode_16_64 3
		.amdhsa_dx10_clamp 1
		.amdhsa_ieee_mode 1
		.amdhsa_fp16_overflow 0
		.amdhsa_tg_split 0
		.amdhsa_exception_fp_ieee_invalid_op 0
		.amdhsa_exception_fp_denorm_src 0
		.amdhsa_exception_fp_ieee_div_zero 0
		.amdhsa_exception_fp_ieee_overflow 0
		.amdhsa_exception_fp_ieee_underflow 0
		.amdhsa_exception_fp_ieee_inexact 0
		.amdhsa_exception_int_div_zero 0
	.end_amdhsa_kernel
	.section	.text._ZN7rocprim17ROCPRIM_400000_NS6detail17trampoline_kernelINS0_14default_configENS1_33run_length_encode_config_selectorIN3c108BFloat16EjNS0_4plusIjEEEEZZNS1_33reduce_by_key_impl_wrapped_configILNS1_25lookback_scan_determinismE0ES3_S9_PKS6_NS0_17constant_iteratorIjlEEPS6_PlSH_S8_NS0_8equal_toIS6_EEEE10hipError_tPvRmT2_T3_mT4_T5_T6_T7_T8_P12ihipStream_tbENKUlT_T0_E_clISt17integral_constantIbLb1EES10_IbLb0EEEEDaSW_SX_EUlSW_E_NS1_11comp_targetILNS1_3genE10ELNS1_11target_archE1201ELNS1_3gpuE5ELNS1_3repE0EEENS1_30default_config_static_selectorELNS0_4arch9wavefront6targetE1EEEvT1_,"axG",@progbits,_ZN7rocprim17ROCPRIM_400000_NS6detail17trampoline_kernelINS0_14default_configENS1_33run_length_encode_config_selectorIN3c108BFloat16EjNS0_4plusIjEEEEZZNS1_33reduce_by_key_impl_wrapped_configILNS1_25lookback_scan_determinismE0ES3_S9_PKS6_NS0_17constant_iteratorIjlEEPS6_PlSH_S8_NS0_8equal_toIS6_EEEE10hipError_tPvRmT2_T3_mT4_T5_T6_T7_T8_P12ihipStream_tbENKUlT_T0_E_clISt17integral_constantIbLb1EES10_IbLb0EEEEDaSW_SX_EUlSW_E_NS1_11comp_targetILNS1_3genE10ELNS1_11target_archE1201ELNS1_3gpuE5ELNS1_3repE0EEENS1_30default_config_static_selectorELNS0_4arch9wavefront6targetE1EEEvT1_,comdat
.Lfunc_end879:
	.size	_ZN7rocprim17ROCPRIM_400000_NS6detail17trampoline_kernelINS0_14default_configENS1_33run_length_encode_config_selectorIN3c108BFloat16EjNS0_4plusIjEEEEZZNS1_33reduce_by_key_impl_wrapped_configILNS1_25lookback_scan_determinismE0ES3_S9_PKS6_NS0_17constant_iteratorIjlEEPS6_PlSH_S8_NS0_8equal_toIS6_EEEE10hipError_tPvRmT2_T3_mT4_T5_T6_T7_T8_P12ihipStream_tbENKUlT_T0_E_clISt17integral_constantIbLb1EES10_IbLb0EEEEDaSW_SX_EUlSW_E_NS1_11comp_targetILNS1_3genE10ELNS1_11target_archE1201ELNS1_3gpuE5ELNS1_3repE0EEENS1_30default_config_static_selectorELNS0_4arch9wavefront6targetE1EEEvT1_, .Lfunc_end879-_ZN7rocprim17ROCPRIM_400000_NS6detail17trampoline_kernelINS0_14default_configENS1_33run_length_encode_config_selectorIN3c108BFloat16EjNS0_4plusIjEEEEZZNS1_33reduce_by_key_impl_wrapped_configILNS1_25lookback_scan_determinismE0ES3_S9_PKS6_NS0_17constant_iteratorIjlEEPS6_PlSH_S8_NS0_8equal_toIS6_EEEE10hipError_tPvRmT2_T3_mT4_T5_T6_T7_T8_P12ihipStream_tbENKUlT_T0_E_clISt17integral_constantIbLb1EES10_IbLb0EEEEDaSW_SX_EUlSW_E_NS1_11comp_targetILNS1_3genE10ELNS1_11target_archE1201ELNS1_3gpuE5ELNS1_3repE0EEENS1_30default_config_static_selectorELNS0_4arch9wavefront6targetE1EEEvT1_
                                        ; -- End function
	.section	.AMDGPU.csdata,"",@progbits
; Kernel info:
; codeLenInByte = 0
; NumSgprs: 6
; NumVgprs: 0
; NumAgprs: 0
; TotalNumVgprs: 0
; ScratchSize: 0
; MemoryBound: 0
; FloatMode: 240
; IeeeMode: 1
; LDSByteSize: 0 bytes/workgroup (compile time only)
; SGPRBlocks: 0
; VGPRBlocks: 0
; NumSGPRsForWavesPerEU: 6
; NumVGPRsForWavesPerEU: 1
; AccumOffset: 4
; Occupancy: 8
; WaveLimiterHint : 0
; COMPUTE_PGM_RSRC2:SCRATCH_EN: 0
; COMPUTE_PGM_RSRC2:USER_SGPR: 2
; COMPUTE_PGM_RSRC2:TRAP_HANDLER: 0
; COMPUTE_PGM_RSRC2:TGID_X_EN: 1
; COMPUTE_PGM_RSRC2:TGID_Y_EN: 0
; COMPUTE_PGM_RSRC2:TGID_Z_EN: 0
; COMPUTE_PGM_RSRC2:TIDIG_COMP_CNT: 0
; COMPUTE_PGM_RSRC3_GFX90A:ACCUM_OFFSET: 0
; COMPUTE_PGM_RSRC3_GFX90A:TG_SPLIT: 0
	.section	.text._ZN7rocprim17ROCPRIM_400000_NS6detail17trampoline_kernelINS0_14default_configENS1_33run_length_encode_config_selectorIN3c108BFloat16EjNS0_4plusIjEEEEZZNS1_33reduce_by_key_impl_wrapped_configILNS1_25lookback_scan_determinismE0ES3_S9_PKS6_NS0_17constant_iteratorIjlEEPS6_PlSH_S8_NS0_8equal_toIS6_EEEE10hipError_tPvRmT2_T3_mT4_T5_T6_T7_T8_P12ihipStream_tbENKUlT_T0_E_clISt17integral_constantIbLb1EES10_IbLb0EEEEDaSW_SX_EUlSW_E_NS1_11comp_targetILNS1_3genE10ELNS1_11target_archE1200ELNS1_3gpuE4ELNS1_3repE0EEENS1_30default_config_static_selectorELNS0_4arch9wavefront6targetE1EEEvT1_,"axG",@progbits,_ZN7rocprim17ROCPRIM_400000_NS6detail17trampoline_kernelINS0_14default_configENS1_33run_length_encode_config_selectorIN3c108BFloat16EjNS0_4plusIjEEEEZZNS1_33reduce_by_key_impl_wrapped_configILNS1_25lookback_scan_determinismE0ES3_S9_PKS6_NS0_17constant_iteratorIjlEEPS6_PlSH_S8_NS0_8equal_toIS6_EEEE10hipError_tPvRmT2_T3_mT4_T5_T6_T7_T8_P12ihipStream_tbENKUlT_T0_E_clISt17integral_constantIbLb1EES10_IbLb0EEEEDaSW_SX_EUlSW_E_NS1_11comp_targetILNS1_3genE10ELNS1_11target_archE1200ELNS1_3gpuE4ELNS1_3repE0EEENS1_30default_config_static_selectorELNS0_4arch9wavefront6targetE1EEEvT1_,comdat
	.protected	_ZN7rocprim17ROCPRIM_400000_NS6detail17trampoline_kernelINS0_14default_configENS1_33run_length_encode_config_selectorIN3c108BFloat16EjNS0_4plusIjEEEEZZNS1_33reduce_by_key_impl_wrapped_configILNS1_25lookback_scan_determinismE0ES3_S9_PKS6_NS0_17constant_iteratorIjlEEPS6_PlSH_S8_NS0_8equal_toIS6_EEEE10hipError_tPvRmT2_T3_mT4_T5_T6_T7_T8_P12ihipStream_tbENKUlT_T0_E_clISt17integral_constantIbLb1EES10_IbLb0EEEEDaSW_SX_EUlSW_E_NS1_11comp_targetILNS1_3genE10ELNS1_11target_archE1200ELNS1_3gpuE4ELNS1_3repE0EEENS1_30default_config_static_selectorELNS0_4arch9wavefront6targetE1EEEvT1_ ; -- Begin function _ZN7rocprim17ROCPRIM_400000_NS6detail17trampoline_kernelINS0_14default_configENS1_33run_length_encode_config_selectorIN3c108BFloat16EjNS0_4plusIjEEEEZZNS1_33reduce_by_key_impl_wrapped_configILNS1_25lookback_scan_determinismE0ES3_S9_PKS6_NS0_17constant_iteratorIjlEEPS6_PlSH_S8_NS0_8equal_toIS6_EEEE10hipError_tPvRmT2_T3_mT4_T5_T6_T7_T8_P12ihipStream_tbENKUlT_T0_E_clISt17integral_constantIbLb1EES10_IbLb0EEEEDaSW_SX_EUlSW_E_NS1_11comp_targetILNS1_3genE10ELNS1_11target_archE1200ELNS1_3gpuE4ELNS1_3repE0EEENS1_30default_config_static_selectorELNS0_4arch9wavefront6targetE1EEEvT1_
	.globl	_ZN7rocprim17ROCPRIM_400000_NS6detail17trampoline_kernelINS0_14default_configENS1_33run_length_encode_config_selectorIN3c108BFloat16EjNS0_4plusIjEEEEZZNS1_33reduce_by_key_impl_wrapped_configILNS1_25lookback_scan_determinismE0ES3_S9_PKS6_NS0_17constant_iteratorIjlEEPS6_PlSH_S8_NS0_8equal_toIS6_EEEE10hipError_tPvRmT2_T3_mT4_T5_T6_T7_T8_P12ihipStream_tbENKUlT_T0_E_clISt17integral_constantIbLb1EES10_IbLb0EEEEDaSW_SX_EUlSW_E_NS1_11comp_targetILNS1_3genE10ELNS1_11target_archE1200ELNS1_3gpuE4ELNS1_3repE0EEENS1_30default_config_static_selectorELNS0_4arch9wavefront6targetE1EEEvT1_
	.p2align	8
	.type	_ZN7rocprim17ROCPRIM_400000_NS6detail17trampoline_kernelINS0_14default_configENS1_33run_length_encode_config_selectorIN3c108BFloat16EjNS0_4plusIjEEEEZZNS1_33reduce_by_key_impl_wrapped_configILNS1_25lookback_scan_determinismE0ES3_S9_PKS6_NS0_17constant_iteratorIjlEEPS6_PlSH_S8_NS0_8equal_toIS6_EEEE10hipError_tPvRmT2_T3_mT4_T5_T6_T7_T8_P12ihipStream_tbENKUlT_T0_E_clISt17integral_constantIbLb1EES10_IbLb0EEEEDaSW_SX_EUlSW_E_NS1_11comp_targetILNS1_3genE10ELNS1_11target_archE1200ELNS1_3gpuE4ELNS1_3repE0EEENS1_30default_config_static_selectorELNS0_4arch9wavefront6targetE1EEEvT1_,@function
_ZN7rocprim17ROCPRIM_400000_NS6detail17trampoline_kernelINS0_14default_configENS1_33run_length_encode_config_selectorIN3c108BFloat16EjNS0_4plusIjEEEEZZNS1_33reduce_by_key_impl_wrapped_configILNS1_25lookback_scan_determinismE0ES3_S9_PKS6_NS0_17constant_iteratorIjlEEPS6_PlSH_S8_NS0_8equal_toIS6_EEEE10hipError_tPvRmT2_T3_mT4_T5_T6_T7_T8_P12ihipStream_tbENKUlT_T0_E_clISt17integral_constantIbLb1EES10_IbLb0EEEEDaSW_SX_EUlSW_E_NS1_11comp_targetILNS1_3genE10ELNS1_11target_archE1200ELNS1_3gpuE4ELNS1_3repE0EEENS1_30default_config_static_selectorELNS0_4arch9wavefront6targetE1EEEvT1_: ; @_ZN7rocprim17ROCPRIM_400000_NS6detail17trampoline_kernelINS0_14default_configENS1_33run_length_encode_config_selectorIN3c108BFloat16EjNS0_4plusIjEEEEZZNS1_33reduce_by_key_impl_wrapped_configILNS1_25lookback_scan_determinismE0ES3_S9_PKS6_NS0_17constant_iteratorIjlEEPS6_PlSH_S8_NS0_8equal_toIS6_EEEE10hipError_tPvRmT2_T3_mT4_T5_T6_T7_T8_P12ihipStream_tbENKUlT_T0_E_clISt17integral_constantIbLb1EES10_IbLb0EEEEDaSW_SX_EUlSW_E_NS1_11comp_targetILNS1_3genE10ELNS1_11target_archE1200ELNS1_3gpuE4ELNS1_3repE0EEENS1_30default_config_static_selectorELNS0_4arch9wavefront6targetE1EEEvT1_
; %bb.0:
	.section	.rodata,"a",@progbits
	.p2align	6, 0x0
	.amdhsa_kernel _ZN7rocprim17ROCPRIM_400000_NS6detail17trampoline_kernelINS0_14default_configENS1_33run_length_encode_config_selectorIN3c108BFloat16EjNS0_4plusIjEEEEZZNS1_33reduce_by_key_impl_wrapped_configILNS1_25lookback_scan_determinismE0ES3_S9_PKS6_NS0_17constant_iteratorIjlEEPS6_PlSH_S8_NS0_8equal_toIS6_EEEE10hipError_tPvRmT2_T3_mT4_T5_T6_T7_T8_P12ihipStream_tbENKUlT_T0_E_clISt17integral_constantIbLb1EES10_IbLb0EEEEDaSW_SX_EUlSW_E_NS1_11comp_targetILNS1_3genE10ELNS1_11target_archE1200ELNS1_3gpuE4ELNS1_3repE0EEENS1_30default_config_static_selectorELNS0_4arch9wavefront6targetE1EEEvT1_
		.amdhsa_group_segment_fixed_size 0
		.amdhsa_private_segment_fixed_size 0
		.amdhsa_kernarg_size 128
		.amdhsa_user_sgpr_count 2
		.amdhsa_user_sgpr_dispatch_ptr 0
		.amdhsa_user_sgpr_queue_ptr 0
		.amdhsa_user_sgpr_kernarg_segment_ptr 1
		.amdhsa_user_sgpr_dispatch_id 0
		.amdhsa_user_sgpr_kernarg_preload_length 0
		.amdhsa_user_sgpr_kernarg_preload_offset 0
		.amdhsa_user_sgpr_private_segment_size 0
		.amdhsa_uses_dynamic_stack 0
		.amdhsa_enable_private_segment 0
		.amdhsa_system_sgpr_workgroup_id_x 1
		.amdhsa_system_sgpr_workgroup_id_y 0
		.amdhsa_system_sgpr_workgroup_id_z 0
		.amdhsa_system_sgpr_workgroup_info 0
		.amdhsa_system_vgpr_workitem_id 0
		.amdhsa_next_free_vgpr 1
		.amdhsa_next_free_sgpr 0
		.amdhsa_accum_offset 4
		.amdhsa_reserve_vcc 0
		.amdhsa_float_round_mode_32 0
		.amdhsa_float_round_mode_16_64 0
		.amdhsa_float_denorm_mode_32 3
		.amdhsa_float_denorm_mode_16_64 3
		.amdhsa_dx10_clamp 1
		.amdhsa_ieee_mode 1
		.amdhsa_fp16_overflow 0
		.amdhsa_tg_split 0
		.amdhsa_exception_fp_ieee_invalid_op 0
		.amdhsa_exception_fp_denorm_src 0
		.amdhsa_exception_fp_ieee_div_zero 0
		.amdhsa_exception_fp_ieee_overflow 0
		.amdhsa_exception_fp_ieee_underflow 0
		.amdhsa_exception_fp_ieee_inexact 0
		.amdhsa_exception_int_div_zero 0
	.end_amdhsa_kernel
	.section	.text._ZN7rocprim17ROCPRIM_400000_NS6detail17trampoline_kernelINS0_14default_configENS1_33run_length_encode_config_selectorIN3c108BFloat16EjNS0_4plusIjEEEEZZNS1_33reduce_by_key_impl_wrapped_configILNS1_25lookback_scan_determinismE0ES3_S9_PKS6_NS0_17constant_iteratorIjlEEPS6_PlSH_S8_NS0_8equal_toIS6_EEEE10hipError_tPvRmT2_T3_mT4_T5_T6_T7_T8_P12ihipStream_tbENKUlT_T0_E_clISt17integral_constantIbLb1EES10_IbLb0EEEEDaSW_SX_EUlSW_E_NS1_11comp_targetILNS1_3genE10ELNS1_11target_archE1200ELNS1_3gpuE4ELNS1_3repE0EEENS1_30default_config_static_selectorELNS0_4arch9wavefront6targetE1EEEvT1_,"axG",@progbits,_ZN7rocprim17ROCPRIM_400000_NS6detail17trampoline_kernelINS0_14default_configENS1_33run_length_encode_config_selectorIN3c108BFloat16EjNS0_4plusIjEEEEZZNS1_33reduce_by_key_impl_wrapped_configILNS1_25lookback_scan_determinismE0ES3_S9_PKS6_NS0_17constant_iteratorIjlEEPS6_PlSH_S8_NS0_8equal_toIS6_EEEE10hipError_tPvRmT2_T3_mT4_T5_T6_T7_T8_P12ihipStream_tbENKUlT_T0_E_clISt17integral_constantIbLb1EES10_IbLb0EEEEDaSW_SX_EUlSW_E_NS1_11comp_targetILNS1_3genE10ELNS1_11target_archE1200ELNS1_3gpuE4ELNS1_3repE0EEENS1_30default_config_static_selectorELNS0_4arch9wavefront6targetE1EEEvT1_,comdat
.Lfunc_end880:
	.size	_ZN7rocprim17ROCPRIM_400000_NS6detail17trampoline_kernelINS0_14default_configENS1_33run_length_encode_config_selectorIN3c108BFloat16EjNS0_4plusIjEEEEZZNS1_33reduce_by_key_impl_wrapped_configILNS1_25lookback_scan_determinismE0ES3_S9_PKS6_NS0_17constant_iteratorIjlEEPS6_PlSH_S8_NS0_8equal_toIS6_EEEE10hipError_tPvRmT2_T3_mT4_T5_T6_T7_T8_P12ihipStream_tbENKUlT_T0_E_clISt17integral_constantIbLb1EES10_IbLb0EEEEDaSW_SX_EUlSW_E_NS1_11comp_targetILNS1_3genE10ELNS1_11target_archE1200ELNS1_3gpuE4ELNS1_3repE0EEENS1_30default_config_static_selectorELNS0_4arch9wavefront6targetE1EEEvT1_, .Lfunc_end880-_ZN7rocprim17ROCPRIM_400000_NS6detail17trampoline_kernelINS0_14default_configENS1_33run_length_encode_config_selectorIN3c108BFloat16EjNS0_4plusIjEEEEZZNS1_33reduce_by_key_impl_wrapped_configILNS1_25lookback_scan_determinismE0ES3_S9_PKS6_NS0_17constant_iteratorIjlEEPS6_PlSH_S8_NS0_8equal_toIS6_EEEE10hipError_tPvRmT2_T3_mT4_T5_T6_T7_T8_P12ihipStream_tbENKUlT_T0_E_clISt17integral_constantIbLb1EES10_IbLb0EEEEDaSW_SX_EUlSW_E_NS1_11comp_targetILNS1_3genE10ELNS1_11target_archE1200ELNS1_3gpuE4ELNS1_3repE0EEENS1_30default_config_static_selectorELNS0_4arch9wavefront6targetE1EEEvT1_
                                        ; -- End function
	.section	.AMDGPU.csdata,"",@progbits
; Kernel info:
; codeLenInByte = 0
; NumSgprs: 6
; NumVgprs: 0
; NumAgprs: 0
; TotalNumVgprs: 0
; ScratchSize: 0
; MemoryBound: 0
; FloatMode: 240
; IeeeMode: 1
; LDSByteSize: 0 bytes/workgroup (compile time only)
; SGPRBlocks: 0
; VGPRBlocks: 0
; NumSGPRsForWavesPerEU: 6
; NumVGPRsForWavesPerEU: 1
; AccumOffset: 4
; Occupancy: 8
; WaveLimiterHint : 0
; COMPUTE_PGM_RSRC2:SCRATCH_EN: 0
; COMPUTE_PGM_RSRC2:USER_SGPR: 2
; COMPUTE_PGM_RSRC2:TRAP_HANDLER: 0
; COMPUTE_PGM_RSRC2:TGID_X_EN: 1
; COMPUTE_PGM_RSRC2:TGID_Y_EN: 0
; COMPUTE_PGM_RSRC2:TGID_Z_EN: 0
; COMPUTE_PGM_RSRC2:TIDIG_COMP_CNT: 0
; COMPUTE_PGM_RSRC3_GFX90A:ACCUM_OFFSET: 0
; COMPUTE_PGM_RSRC3_GFX90A:TG_SPLIT: 0
	.section	.text._ZN7rocprim17ROCPRIM_400000_NS6detail17trampoline_kernelINS0_14default_configENS1_33run_length_encode_config_selectorIN3c108BFloat16EjNS0_4plusIjEEEEZZNS1_33reduce_by_key_impl_wrapped_configILNS1_25lookback_scan_determinismE0ES3_S9_PKS6_NS0_17constant_iteratorIjlEEPS6_PlSH_S8_NS0_8equal_toIS6_EEEE10hipError_tPvRmT2_T3_mT4_T5_T6_T7_T8_P12ihipStream_tbENKUlT_T0_E_clISt17integral_constantIbLb1EES10_IbLb0EEEEDaSW_SX_EUlSW_E_NS1_11comp_targetILNS1_3genE9ELNS1_11target_archE1100ELNS1_3gpuE3ELNS1_3repE0EEENS1_30default_config_static_selectorELNS0_4arch9wavefront6targetE1EEEvT1_,"axG",@progbits,_ZN7rocprim17ROCPRIM_400000_NS6detail17trampoline_kernelINS0_14default_configENS1_33run_length_encode_config_selectorIN3c108BFloat16EjNS0_4plusIjEEEEZZNS1_33reduce_by_key_impl_wrapped_configILNS1_25lookback_scan_determinismE0ES3_S9_PKS6_NS0_17constant_iteratorIjlEEPS6_PlSH_S8_NS0_8equal_toIS6_EEEE10hipError_tPvRmT2_T3_mT4_T5_T6_T7_T8_P12ihipStream_tbENKUlT_T0_E_clISt17integral_constantIbLb1EES10_IbLb0EEEEDaSW_SX_EUlSW_E_NS1_11comp_targetILNS1_3genE9ELNS1_11target_archE1100ELNS1_3gpuE3ELNS1_3repE0EEENS1_30default_config_static_selectorELNS0_4arch9wavefront6targetE1EEEvT1_,comdat
	.protected	_ZN7rocprim17ROCPRIM_400000_NS6detail17trampoline_kernelINS0_14default_configENS1_33run_length_encode_config_selectorIN3c108BFloat16EjNS0_4plusIjEEEEZZNS1_33reduce_by_key_impl_wrapped_configILNS1_25lookback_scan_determinismE0ES3_S9_PKS6_NS0_17constant_iteratorIjlEEPS6_PlSH_S8_NS0_8equal_toIS6_EEEE10hipError_tPvRmT2_T3_mT4_T5_T6_T7_T8_P12ihipStream_tbENKUlT_T0_E_clISt17integral_constantIbLb1EES10_IbLb0EEEEDaSW_SX_EUlSW_E_NS1_11comp_targetILNS1_3genE9ELNS1_11target_archE1100ELNS1_3gpuE3ELNS1_3repE0EEENS1_30default_config_static_selectorELNS0_4arch9wavefront6targetE1EEEvT1_ ; -- Begin function _ZN7rocprim17ROCPRIM_400000_NS6detail17trampoline_kernelINS0_14default_configENS1_33run_length_encode_config_selectorIN3c108BFloat16EjNS0_4plusIjEEEEZZNS1_33reduce_by_key_impl_wrapped_configILNS1_25lookback_scan_determinismE0ES3_S9_PKS6_NS0_17constant_iteratorIjlEEPS6_PlSH_S8_NS0_8equal_toIS6_EEEE10hipError_tPvRmT2_T3_mT4_T5_T6_T7_T8_P12ihipStream_tbENKUlT_T0_E_clISt17integral_constantIbLb1EES10_IbLb0EEEEDaSW_SX_EUlSW_E_NS1_11comp_targetILNS1_3genE9ELNS1_11target_archE1100ELNS1_3gpuE3ELNS1_3repE0EEENS1_30default_config_static_selectorELNS0_4arch9wavefront6targetE1EEEvT1_
	.globl	_ZN7rocprim17ROCPRIM_400000_NS6detail17trampoline_kernelINS0_14default_configENS1_33run_length_encode_config_selectorIN3c108BFloat16EjNS0_4plusIjEEEEZZNS1_33reduce_by_key_impl_wrapped_configILNS1_25lookback_scan_determinismE0ES3_S9_PKS6_NS0_17constant_iteratorIjlEEPS6_PlSH_S8_NS0_8equal_toIS6_EEEE10hipError_tPvRmT2_T3_mT4_T5_T6_T7_T8_P12ihipStream_tbENKUlT_T0_E_clISt17integral_constantIbLb1EES10_IbLb0EEEEDaSW_SX_EUlSW_E_NS1_11comp_targetILNS1_3genE9ELNS1_11target_archE1100ELNS1_3gpuE3ELNS1_3repE0EEENS1_30default_config_static_selectorELNS0_4arch9wavefront6targetE1EEEvT1_
	.p2align	8
	.type	_ZN7rocprim17ROCPRIM_400000_NS6detail17trampoline_kernelINS0_14default_configENS1_33run_length_encode_config_selectorIN3c108BFloat16EjNS0_4plusIjEEEEZZNS1_33reduce_by_key_impl_wrapped_configILNS1_25lookback_scan_determinismE0ES3_S9_PKS6_NS0_17constant_iteratorIjlEEPS6_PlSH_S8_NS0_8equal_toIS6_EEEE10hipError_tPvRmT2_T3_mT4_T5_T6_T7_T8_P12ihipStream_tbENKUlT_T0_E_clISt17integral_constantIbLb1EES10_IbLb0EEEEDaSW_SX_EUlSW_E_NS1_11comp_targetILNS1_3genE9ELNS1_11target_archE1100ELNS1_3gpuE3ELNS1_3repE0EEENS1_30default_config_static_selectorELNS0_4arch9wavefront6targetE1EEEvT1_,@function
_ZN7rocprim17ROCPRIM_400000_NS6detail17trampoline_kernelINS0_14default_configENS1_33run_length_encode_config_selectorIN3c108BFloat16EjNS0_4plusIjEEEEZZNS1_33reduce_by_key_impl_wrapped_configILNS1_25lookback_scan_determinismE0ES3_S9_PKS6_NS0_17constant_iteratorIjlEEPS6_PlSH_S8_NS0_8equal_toIS6_EEEE10hipError_tPvRmT2_T3_mT4_T5_T6_T7_T8_P12ihipStream_tbENKUlT_T0_E_clISt17integral_constantIbLb1EES10_IbLb0EEEEDaSW_SX_EUlSW_E_NS1_11comp_targetILNS1_3genE9ELNS1_11target_archE1100ELNS1_3gpuE3ELNS1_3repE0EEENS1_30default_config_static_selectorELNS0_4arch9wavefront6targetE1EEEvT1_: ; @_ZN7rocprim17ROCPRIM_400000_NS6detail17trampoline_kernelINS0_14default_configENS1_33run_length_encode_config_selectorIN3c108BFloat16EjNS0_4plusIjEEEEZZNS1_33reduce_by_key_impl_wrapped_configILNS1_25lookback_scan_determinismE0ES3_S9_PKS6_NS0_17constant_iteratorIjlEEPS6_PlSH_S8_NS0_8equal_toIS6_EEEE10hipError_tPvRmT2_T3_mT4_T5_T6_T7_T8_P12ihipStream_tbENKUlT_T0_E_clISt17integral_constantIbLb1EES10_IbLb0EEEEDaSW_SX_EUlSW_E_NS1_11comp_targetILNS1_3genE9ELNS1_11target_archE1100ELNS1_3gpuE3ELNS1_3repE0EEENS1_30default_config_static_selectorELNS0_4arch9wavefront6targetE1EEEvT1_
; %bb.0:
	.section	.rodata,"a",@progbits
	.p2align	6, 0x0
	.amdhsa_kernel _ZN7rocprim17ROCPRIM_400000_NS6detail17trampoline_kernelINS0_14default_configENS1_33run_length_encode_config_selectorIN3c108BFloat16EjNS0_4plusIjEEEEZZNS1_33reduce_by_key_impl_wrapped_configILNS1_25lookback_scan_determinismE0ES3_S9_PKS6_NS0_17constant_iteratorIjlEEPS6_PlSH_S8_NS0_8equal_toIS6_EEEE10hipError_tPvRmT2_T3_mT4_T5_T6_T7_T8_P12ihipStream_tbENKUlT_T0_E_clISt17integral_constantIbLb1EES10_IbLb0EEEEDaSW_SX_EUlSW_E_NS1_11comp_targetILNS1_3genE9ELNS1_11target_archE1100ELNS1_3gpuE3ELNS1_3repE0EEENS1_30default_config_static_selectorELNS0_4arch9wavefront6targetE1EEEvT1_
		.amdhsa_group_segment_fixed_size 0
		.amdhsa_private_segment_fixed_size 0
		.amdhsa_kernarg_size 128
		.amdhsa_user_sgpr_count 2
		.amdhsa_user_sgpr_dispatch_ptr 0
		.amdhsa_user_sgpr_queue_ptr 0
		.amdhsa_user_sgpr_kernarg_segment_ptr 1
		.amdhsa_user_sgpr_dispatch_id 0
		.amdhsa_user_sgpr_kernarg_preload_length 0
		.amdhsa_user_sgpr_kernarg_preload_offset 0
		.amdhsa_user_sgpr_private_segment_size 0
		.amdhsa_uses_dynamic_stack 0
		.amdhsa_enable_private_segment 0
		.amdhsa_system_sgpr_workgroup_id_x 1
		.amdhsa_system_sgpr_workgroup_id_y 0
		.amdhsa_system_sgpr_workgroup_id_z 0
		.amdhsa_system_sgpr_workgroup_info 0
		.amdhsa_system_vgpr_workitem_id 0
		.amdhsa_next_free_vgpr 1
		.amdhsa_next_free_sgpr 0
		.amdhsa_accum_offset 4
		.amdhsa_reserve_vcc 0
		.amdhsa_float_round_mode_32 0
		.amdhsa_float_round_mode_16_64 0
		.amdhsa_float_denorm_mode_32 3
		.amdhsa_float_denorm_mode_16_64 3
		.amdhsa_dx10_clamp 1
		.amdhsa_ieee_mode 1
		.amdhsa_fp16_overflow 0
		.amdhsa_tg_split 0
		.amdhsa_exception_fp_ieee_invalid_op 0
		.amdhsa_exception_fp_denorm_src 0
		.amdhsa_exception_fp_ieee_div_zero 0
		.amdhsa_exception_fp_ieee_overflow 0
		.amdhsa_exception_fp_ieee_underflow 0
		.amdhsa_exception_fp_ieee_inexact 0
		.amdhsa_exception_int_div_zero 0
	.end_amdhsa_kernel
	.section	.text._ZN7rocprim17ROCPRIM_400000_NS6detail17trampoline_kernelINS0_14default_configENS1_33run_length_encode_config_selectorIN3c108BFloat16EjNS0_4plusIjEEEEZZNS1_33reduce_by_key_impl_wrapped_configILNS1_25lookback_scan_determinismE0ES3_S9_PKS6_NS0_17constant_iteratorIjlEEPS6_PlSH_S8_NS0_8equal_toIS6_EEEE10hipError_tPvRmT2_T3_mT4_T5_T6_T7_T8_P12ihipStream_tbENKUlT_T0_E_clISt17integral_constantIbLb1EES10_IbLb0EEEEDaSW_SX_EUlSW_E_NS1_11comp_targetILNS1_3genE9ELNS1_11target_archE1100ELNS1_3gpuE3ELNS1_3repE0EEENS1_30default_config_static_selectorELNS0_4arch9wavefront6targetE1EEEvT1_,"axG",@progbits,_ZN7rocprim17ROCPRIM_400000_NS6detail17trampoline_kernelINS0_14default_configENS1_33run_length_encode_config_selectorIN3c108BFloat16EjNS0_4plusIjEEEEZZNS1_33reduce_by_key_impl_wrapped_configILNS1_25lookback_scan_determinismE0ES3_S9_PKS6_NS0_17constant_iteratorIjlEEPS6_PlSH_S8_NS0_8equal_toIS6_EEEE10hipError_tPvRmT2_T3_mT4_T5_T6_T7_T8_P12ihipStream_tbENKUlT_T0_E_clISt17integral_constantIbLb1EES10_IbLb0EEEEDaSW_SX_EUlSW_E_NS1_11comp_targetILNS1_3genE9ELNS1_11target_archE1100ELNS1_3gpuE3ELNS1_3repE0EEENS1_30default_config_static_selectorELNS0_4arch9wavefront6targetE1EEEvT1_,comdat
.Lfunc_end881:
	.size	_ZN7rocprim17ROCPRIM_400000_NS6detail17trampoline_kernelINS0_14default_configENS1_33run_length_encode_config_selectorIN3c108BFloat16EjNS0_4plusIjEEEEZZNS1_33reduce_by_key_impl_wrapped_configILNS1_25lookback_scan_determinismE0ES3_S9_PKS6_NS0_17constant_iteratorIjlEEPS6_PlSH_S8_NS0_8equal_toIS6_EEEE10hipError_tPvRmT2_T3_mT4_T5_T6_T7_T8_P12ihipStream_tbENKUlT_T0_E_clISt17integral_constantIbLb1EES10_IbLb0EEEEDaSW_SX_EUlSW_E_NS1_11comp_targetILNS1_3genE9ELNS1_11target_archE1100ELNS1_3gpuE3ELNS1_3repE0EEENS1_30default_config_static_selectorELNS0_4arch9wavefront6targetE1EEEvT1_, .Lfunc_end881-_ZN7rocprim17ROCPRIM_400000_NS6detail17trampoline_kernelINS0_14default_configENS1_33run_length_encode_config_selectorIN3c108BFloat16EjNS0_4plusIjEEEEZZNS1_33reduce_by_key_impl_wrapped_configILNS1_25lookback_scan_determinismE0ES3_S9_PKS6_NS0_17constant_iteratorIjlEEPS6_PlSH_S8_NS0_8equal_toIS6_EEEE10hipError_tPvRmT2_T3_mT4_T5_T6_T7_T8_P12ihipStream_tbENKUlT_T0_E_clISt17integral_constantIbLb1EES10_IbLb0EEEEDaSW_SX_EUlSW_E_NS1_11comp_targetILNS1_3genE9ELNS1_11target_archE1100ELNS1_3gpuE3ELNS1_3repE0EEENS1_30default_config_static_selectorELNS0_4arch9wavefront6targetE1EEEvT1_
                                        ; -- End function
	.section	.AMDGPU.csdata,"",@progbits
; Kernel info:
; codeLenInByte = 0
; NumSgprs: 6
; NumVgprs: 0
; NumAgprs: 0
; TotalNumVgprs: 0
; ScratchSize: 0
; MemoryBound: 0
; FloatMode: 240
; IeeeMode: 1
; LDSByteSize: 0 bytes/workgroup (compile time only)
; SGPRBlocks: 0
; VGPRBlocks: 0
; NumSGPRsForWavesPerEU: 6
; NumVGPRsForWavesPerEU: 1
; AccumOffset: 4
; Occupancy: 8
; WaveLimiterHint : 0
; COMPUTE_PGM_RSRC2:SCRATCH_EN: 0
; COMPUTE_PGM_RSRC2:USER_SGPR: 2
; COMPUTE_PGM_RSRC2:TRAP_HANDLER: 0
; COMPUTE_PGM_RSRC2:TGID_X_EN: 1
; COMPUTE_PGM_RSRC2:TGID_Y_EN: 0
; COMPUTE_PGM_RSRC2:TGID_Z_EN: 0
; COMPUTE_PGM_RSRC2:TIDIG_COMP_CNT: 0
; COMPUTE_PGM_RSRC3_GFX90A:ACCUM_OFFSET: 0
; COMPUTE_PGM_RSRC3_GFX90A:TG_SPLIT: 0
	.section	.text._ZN7rocprim17ROCPRIM_400000_NS6detail17trampoline_kernelINS0_14default_configENS1_33run_length_encode_config_selectorIN3c108BFloat16EjNS0_4plusIjEEEEZZNS1_33reduce_by_key_impl_wrapped_configILNS1_25lookback_scan_determinismE0ES3_S9_PKS6_NS0_17constant_iteratorIjlEEPS6_PlSH_S8_NS0_8equal_toIS6_EEEE10hipError_tPvRmT2_T3_mT4_T5_T6_T7_T8_P12ihipStream_tbENKUlT_T0_E_clISt17integral_constantIbLb1EES10_IbLb0EEEEDaSW_SX_EUlSW_E_NS1_11comp_targetILNS1_3genE8ELNS1_11target_archE1030ELNS1_3gpuE2ELNS1_3repE0EEENS1_30default_config_static_selectorELNS0_4arch9wavefront6targetE1EEEvT1_,"axG",@progbits,_ZN7rocprim17ROCPRIM_400000_NS6detail17trampoline_kernelINS0_14default_configENS1_33run_length_encode_config_selectorIN3c108BFloat16EjNS0_4plusIjEEEEZZNS1_33reduce_by_key_impl_wrapped_configILNS1_25lookback_scan_determinismE0ES3_S9_PKS6_NS0_17constant_iteratorIjlEEPS6_PlSH_S8_NS0_8equal_toIS6_EEEE10hipError_tPvRmT2_T3_mT4_T5_T6_T7_T8_P12ihipStream_tbENKUlT_T0_E_clISt17integral_constantIbLb1EES10_IbLb0EEEEDaSW_SX_EUlSW_E_NS1_11comp_targetILNS1_3genE8ELNS1_11target_archE1030ELNS1_3gpuE2ELNS1_3repE0EEENS1_30default_config_static_selectorELNS0_4arch9wavefront6targetE1EEEvT1_,comdat
	.protected	_ZN7rocprim17ROCPRIM_400000_NS6detail17trampoline_kernelINS0_14default_configENS1_33run_length_encode_config_selectorIN3c108BFloat16EjNS0_4plusIjEEEEZZNS1_33reduce_by_key_impl_wrapped_configILNS1_25lookback_scan_determinismE0ES3_S9_PKS6_NS0_17constant_iteratorIjlEEPS6_PlSH_S8_NS0_8equal_toIS6_EEEE10hipError_tPvRmT2_T3_mT4_T5_T6_T7_T8_P12ihipStream_tbENKUlT_T0_E_clISt17integral_constantIbLb1EES10_IbLb0EEEEDaSW_SX_EUlSW_E_NS1_11comp_targetILNS1_3genE8ELNS1_11target_archE1030ELNS1_3gpuE2ELNS1_3repE0EEENS1_30default_config_static_selectorELNS0_4arch9wavefront6targetE1EEEvT1_ ; -- Begin function _ZN7rocprim17ROCPRIM_400000_NS6detail17trampoline_kernelINS0_14default_configENS1_33run_length_encode_config_selectorIN3c108BFloat16EjNS0_4plusIjEEEEZZNS1_33reduce_by_key_impl_wrapped_configILNS1_25lookback_scan_determinismE0ES3_S9_PKS6_NS0_17constant_iteratorIjlEEPS6_PlSH_S8_NS0_8equal_toIS6_EEEE10hipError_tPvRmT2_T3_mT4_T5_T6_T7_T8_P12ihipStream_tbENKUlT_T0_E_clISt17integral_constantIbLb1EES10_IbLb0EEEEDaSW_SX_EUlSW_E_NS1_11comp_targetILNS1_3genE8ELNS1_11target_archE1030ELNS1_3gpuE2ELNS1_3repE0EEENS1_30default_config_static_selectorELNS0_4arch9wavefront6targetE1EEEvT1_
	.globl	_ZN7rocprim17ROCPRIM_400000_NS6detail17trampoline_kernelINS0_14default_configENS1_33run_length_encode_config_selectorIN3c108BFloat16EjNS0_4plusIjEEEEZZNS1_33reduce_by_key_impl_wrapped_configILNS1_25lookback_scan_determinismE0ES3_S9_PKS6_NS0_17constant_iteratorIjlEEPS6_PlSH_S8_NS0_8equal_toIS6_EEEE10hipError_tPvRmT2_T3_mT4_T5_T6_T7_T8_P12ihipStream_tbENKUlT_T0_E_clISt17integral_constantIbLb1EES10_IbLb0EEEEDaSW_SX_EUlSW_E_NS1_11comp_targetILNS1_3genE8ELNS1_11target_archE1030ELNS1_3gpuE2ELNS1_3repE0EEENS1_30default_config_static_selectorELNS0_4arch9wavefront6targetE1EEEvT1_
	.p2align	8
	.type	_ZN7rocprim17ROCPRIM_400000_NS6detail17trampoline_kernelINS0_14default_configENS1_33run_length_encode_config_selectorIN3c108BFloat16EjNS0_4plusIjEEEEZZNS1_33reduce_by_key_impl_wrapped_configILNS1_25lookback_scan_determinismE0ES3_S9_PKS6_NS0_17constant_iteratorIjlEEPS6_PlSH_S8_NS0_8equal_toIS6_EEEE10hipError_tPvRmT2_T3_mT4_T5_T6_T7_T8_P12ihipStream_tbENKUlT_T0_E_clISt17integral_constantIbLb1EES10_IbLb0EEEEDaSW_SX_EUlSW_E_NS1_11comp_targetILNS1_3genE8ELNS1_11target_archE1030ELNS1_3gpuE2ELNS1_3repE0EEENS1_30default_config_static_selectorELNS0_4arch9wavefront6targetE1EEEvT1_,@function
_ZN7rocprim17ROCPRIM_400000_NS6detail17trampoline_kernelINS0_14default_configENS1_33run_length_encode_config_selectorIN3c108BFloat16EjNS0_4plusIjEEEEZZNS1_33reduce_by_key_impl_wrapped_configILNS1_25lookback_scan_determinismE0ES3_S9_PKS6_NS0_17constant_iteratorIjlEEPS6_PlSH_S8_NS0_8equal_toIS6_EEEE10hipError_tPvRmT2_T3_mT4_T5_T6_T7_T8_P12ihipStream_tbENKUlT_T0_E_clISt17integral_constantIbLb1EES10_IbLb0EEEEDaSW_SX_EUlSW_E_NS1_11comp_targetILNS1_3genE8ELNS1_11target_archE1030ELNS1_3gpuE2ELNS1_3repE0EEENS1_30default_config_static_selectorELNS0_4arch9wavefront6targetE1EEEvT1_: ; @_ZN7rocprim17ROCPRIM_400000_NS6detail17trampoline_kernelINS0_14default_configENS1_33run_length_encode_config_selectorIN3c108BFloat16EjNS0_4plusIjEEEEZZNS1_33reduce_by_key_impl_wrapped_configILNS1_25lookback_scan_determinismE0ES3_S9_PKS6_NS0_17constant_iteratorIjlEEPS6_PlSH_S8_NS0_8equal_toIS6_EEEE10hipError_tPvRmT2_T3_mT4_T5_T6_T7_T8_P12ihipStream_tbENKUlT_T0_E_clISt17integral_constantIbLb1EES10_IbLb0EEEEDaSW_SX_EUlSW_E_NS1_11comp_targetILNS1_3genE8ELNS1_11target_archE1030ELNS1_3gpuE2ELNS1_3repE0EEENS1_30default_config_static_selectorELNS0_4arch9wavefront6targetE1EEEvT1_
; %bb.0:
	.section	.rodata,"a",@progbits
	.p2align	6, 0x0
	.amdhsa_kernel _ZN7rocprim17ROCPRIM_400000_NS6detail17trampoline_kernelINS0_14default_configENS1_33run_length_encode_config_selectorIN3c108BFloat16EjNS0_4plusIjEEEEZZNS1_33reduce_by_key_impl_wrapped_configILNS1_25lookback_scan_determinismE0ES3_S9_PKS6_NS0_17constant_iteratorIjlEEPS6_PlSH_S8_NS0_8equal_toIS6_EEEE10hipError_tPvRmT2_T3_mT4_T5_T6_T7_T8_P12ihipStream_tbENKUlT_T0_E_clISt17integral_constantIbLb1EES10_IbLb0EEEEDaSW_SX_EUlSW_E_NS1_11comp_targetILNS1_3genE8ELNS1_11target_archE1030ELNS1_3gpuE2ELNS1_3repE0EEENS1_30default_config_static_selectorELNS0_4arch9wavefront6targetE1EEEvT1_
		.amdhsa_group_segment_fixed_size 0
		.amdhsa_private_segment_fixed_size 0
		.amdhsa_kernarg_size 128
		.amdhsa_user_sgpr_count 2
		.amdhsa_user_sgpr_dispatch_ptr 0
		.amdhsa_user_sgpr_queue_ptr 0
		.amdhsa_user_sgpr_kernarg_segment_ptr 1
		.amdhsa_user_sgpr_dispatch_id 0
		.amdhsa_user_sgpr_kernarg_preload_length 0
		.amdhsa_user_sgpr_kernarg_preload_offset 0
		.amdhsa_user_sgpr_private_segment_size 0
		.amdhsa_uses_dynamic_stack 0
		.amdhsa_enable_private_segment 0
		.amdhsa_system_sgpr_workgroup_id_x 1
		.amdhsa_system_sgpr_workgroup_id_y 0
		.amdhsa_system_sgpr_workgroup_id_z 0
		.amdhsa_system_sgpr_workgroup_info 0
		.amdhsa_system_vgpr_workitem_id 0
		.amdhsa_next_free_vgpr 1
		.amdhsa_next_free_sgpr 0
		.amdhsa_accum_offset 4
		.amdhsa_reserve_vcc 0
		.amdhsa_float_round_mode_32 0
		.amdhsa_float_round_mode_16_64 0
		.amdhsa_float_denorm_mode_32 3
		.amdhsa_float_denorm_mode_16_64 3
		.amdhsa_dx10_clamp 1
		.amdhsa_ieee_mode 1
		.amdhsa_fp16_overflow 0
		.amdhsa_tg_split 0
		.amdhsa_exception_fp_ieee_invalid_op 0
		.amdhsa_exception_fp_denorm_src 0
		.amdhsa_exception_fp_ieee_div_zero 0
		.amdhsa_exception_fp_ieee_overflow 0
		.amdhsa_exception_fp_ieee_underflow 0
		.amdhsa_exception_fp_ieee_inexact 0
		.amdhsa_exception_int_div_zero 0
	.end_amdhsa_kernel
	.section	.text._ZN7rocprim17ROCPRIM_400000_NS6detail17trampoline_kernelINS0_14default_configENS1_33run_length_encode_config_selectorIN3c108BFloat16EjNS0_4plusIjEEEEZZNS1_33reduce_by_key_impl_wrapped_configILNS1_25lookback_scan_determinismE0ES3_S9_PKS6_NS0_17constant_iteratorIjlEEPS6_PlSH_S8_NS0_8equal_toIS6_EEEE10hipError_tPvRmT2_T3_mT4_T5_T6_T7_T8_P12ihipStream_tbENKUlT_T0_E_clISt17integral_constantIbLb1EES10_IbLb0EEEEDaSW_SX_EUlSW_E_NS1_11comp_targetILNS1_3genE8ELNS1_11target_archE1030ELNS1_3gpuE2ELNS1_3repE0EEENS1_30default_config_static_selectorELNS0_4arch9wavefront6targetE1EEEvT1_,"axG",@progbits,_ZN7rocprim17ROCPRIM_400000_NS6detail17trampoline_kernelINS0_14default_configENS1_33run_length_encode_config_selectorIN3c108BFloat16EjNS0_4plusIjEEEEZZNS1_33reduce_by_key_impl_wrapped_configILNS1_25lookback_scan_determinismE0ES3_S9_PKS6_NS0_17constant_iteratorIjlEEPS6_PlSH_S8_NS0_8equal_toIS6_EEEE10hipError_tPvRmT2_T3_mT4_T5_T6_T7_T8_P12ihipStream_tbENKUlT_T0_E_clISt17integral_constantIbLb1EES10_IbLb0EEEEDaSW_SX_EUlSW_E_NS1_11comp_targetILNS1_3genE8ELNS1_11target_archE1030ELNS1_3gpuE2ELNS1_3repE0EEENS1_30default_config_static_selectorELNS0_4arch9wavefront6targetE1EEEvT1_,comdat
.Lfunc_end882:
	.size	_ZN7rocprim17ROCPRIM_400000_NS6detail17trampoline_kernelINS0_14default_configENS1_33run_length_encode_config_selectorIN3c108BFloat16EjNS0_4plusIjEEEEZZNS1_33reduce_by_key_impl_wrapped_configILNS1_25lookback_scan_determinismE0ES3_S9_PKS6_NS0_17constant_iteratorIjlEEPS6_PlSH_S8_NS0_8equal_toIS6_EEEE10hipError_tPvRmT2_T3_mT4_T5_T6_T7_T8_P12ihipStream_tbENKUlT_T0_E_clISt17integral_constantIbLb1EES10_IbLb0EEEEDaSW_SX_EUlSW_E_NS1_11comp_targetILNS1_3genE8ELNS1_11target_archE1030ELNS1_3gpuE2ELNS1_3repE0EEENS1_30default_config_static_selectorELNS0_4arch9wavefront6targetE1EEEvT1_, .Lfunc_end882-_ZN7rocprim17ROCPRIM_400000_NS6detail17trampoline_kernelINS0_14default_configENS1_33run_length_encode_config_selectorIN3c108BFloat16EjNS0_4plusIjEEEEZZNS1_33reduce_by_key_impl_wrapped_configILNS1_25lookback_scan_determinismE0ES3_S9_PKS6_NS0_17constant_iteratorIjlEEPS6_PlSH_S8_NS0_8equal_toIS6_EEEE10hipError_tPvRmT2_T3_mT4_T5_T6_T7_T8_P12ihipStream_tbENKUlT_T0_E_clISt17integral_constantIbLb1EES10_IbLb0EEEEDaSW_SX_EUlSW_E_NS1_11comp_targetILNS1_3genE8ELNS1_11target_archE1030ELNS1_3gpuE2ELNS1_3repE0EEENS1_30default_config_static_selectorELNS0_4arch9wavefront6targetE1EEEvT1_
                                        ; -- End function
	.section	.AMDGPU.csdata,"",@progbits
; Kernel info:
; codeLenInByte = 0
; NumSgprs: 6
; NumVgprs: 0
; NumAgprs: 0
; TotalNumVgprs: 0
; ScratchSize: 0
; MemoryBound: 0
; FloatMode: 240
; IeeeMode: 1
; LDSByteSize: 0 bytes/workgroup (compile time only)
; SGPRBlocks: 0
; VGPRBlocks: 0
; NumSGPRsForWavesPerEU: 6
; NumVGPRsForWavesPerEU: 1
; AccumOffset: 4
; Occupancy: 8
; WaveLimiterHint : 0
; COMPUTE_PGM_RSRC2:SCRATCH_EN: 0
; COMPUTE_PGM_RSRC2:USER_SGPR: 2
; COMPUTE_PGM_RSRC2:TRAP_HANDLER: 0
; COMPUTE_PGM_RSRC2:TGID_X_EN: 1
; COMPUTE_PGM_RSRC2:TGID_Y_EN: 0
; COMPUTE_PGM_RSRC2:TGID_Z_EN: 0
; COMPUTE_PGM_RSRC2:TIDIG_COMP_CNT: 0
; COMPUTE_PGM_RSRC3_GFX90A:ACCUM_OFFSET: 0
; COMPUTE_PGM_RSRC3_GFX90A:TG_SPLIT: 0
	.section	.text._ZN7rocprim17ROCPRIM_400000_NS6detail17trampoline_kernelINS0_14default_configENS1_33run_length_encode_config_selectorIN3c108BFloat16EjNS0_4plusIjEEEEZZNS1_33reduce_by_key_impl_wrapped_configILNS1_25lookback_scan_determinismE0ES3_S9_PKS6_NS0_17constant_iteratorIjlEEPS6_PlSH_S8_NS0_8equal_toIS6_EEEE10hipError_tPvRmT2_T3_mT4_T5_T6_T7_T8_P12ihipStream_tbENKUlT_T0_E_clISt17integral_constantIbLb0EES10_IbLb1EEEEDaSW_SX_EUlSW_E_NS1_11comp_targetILNS1_3genE0ELNS1_11target_archE4294967295ELNS1_3gpuE0ELNS1_3repE0EEENS1_30default_config_static_selectorELNS0_4arch9wavefront6targetE1EEEvT1_,"axG",@progbits,_ZN7rocprim17ROCPRIM_400000_NS6detail17trampoline_kernelINS0_14default_configENS1_33run_length_encode_config_selectorIN3c108BFloat16EjNS0_4plusIjEEEEZZNS1_33reduce_by_key_impl_wrapped_configILNS1_25lookback_scan_determinismE0ES3_S9_PKS6_NS0_17constant_iteratorIjlEEPS6_PlSH_S8_NS0_8equal_toIS6_EEEE10hipError_tPvRmT2_T3_mT4_T5_T6_T7_T8_P12ihipStream_tbENKUlT_T0_E_clISt17integral_constantIbLb0EES10_IbLb1EEEEDaSW_SX_EUlSW_E_NS1_11comp_targetILNS1_3genE0ELNS1_11target_archE4294967295ELNS1_3gpuE0ELNS1_3repE0EEENS1_30default_config_static_selectorELNS0_4arch9wavefront6targetE1EEEvT1_,comdat
	.protected	_ZN7rocprim17ROCPRIM_400000_NS6detail17trampoline_kernelINS0_14default_configENS1_33run_length_encode_config_selectorIN3c108BFloat16EjNS0_4plusIjEEEEZZNS1_33reduce_by_key_impl_wrapped_configILNS1_25lookback_scan_determinismE0ES3_S9_PKS6_NS0_17constant_iteratorIjlEEPS6_PlSH_S8_NS0_8equal_toIS6_EEEE10hipError_tPvRmT2_T3_mT4_T5_T6_T7_T8_P12ihipStream_tbENKUlT_T0_E_clISt17integral_constantIbLb0EES10_IbLb1EEEEDaSW_SX_EUlSW_E_NS1_11comp_targetILNS1_3genE0ELNS1_11target_archE4294967295ELNS1_3gpuE0ELNS1_3repE0EEENS1_30default_config_static_selectorELNS0_4arch9wavefront6targetE1EEEvT1_ ; -- Begin function _ZN7rocprim17ROCPRIM_400000_NS6detail17trampoline_kernelINS0_14default_configENS1_33run_length_encode_config_selectorIN3c108BFloat16EjNS0_4plusIjEEEEZZNS1_33reduce_by_key_impl_wrapped_configILNS1_25lookback_scan_determinismE0ES3_S9_PKS6_NS0_17constant_iteratorIjlEEPS6_PlSH_S8_NS0_8equal_toIS6_EEEE10hipError_tPvRmT2_T3_mT4_T5_T6_T7_T8_P12ihipStream_tbENKUlT_T0_E_clISt17integral_constantIbLb0EES10_IbLb1EEEEDaSW_SX_EUlSW_E_NS1_11comp_targetILNS1_3genE0ELNS1_11target_archE4294967295ELNS1_3gpuE0ELNS1_3repE0EEENS1_30default_config_static_selectorELNS0_4arch9wavefront6targetE1EEEvT1_
	.globl	_ZN7rocprim17ROCPRIM_400000_NS6detail17trampoline_kernelINS0_14default_configENS1_33run_length_encode_config_selectorIN3c108BFloat16EjNS0_4plusIjEEEEZZNS1_33reduce_by_key_impl_wrapped_configILNS1_25lookback_scan_determinismE0ES3_S9_PKS6_NS0_17constant_iteratorIjlEEPS6_PlSH_S8_NS0_8equal_toIS6_EEEE10hipError_tPvRmT2_T3_mT4_T5_T6_T7_T8_P12ihipStream_tbENKUlT_T0_E_clISt17integral_constantIbLb0EES10_IbLb1EEEEDaSW_SX_EUlSW_E_NS1_11comp_targetILNS1_3genE0ELNS1_11target_archE4294967295ELNS1_3gpuE0ELNS1_3repE0EEENS1_30default_config_static_selectorELNS0_4arch9wavefront6targetE1EEEvT1_
	.p2align	8
	.type	_ZN7rocprim17ROCPRIM_400000_NS6detail17trampoline_kernelINS0_14default_configENS1_33run_length_encode_config_selectorIN3c108BFloat16EjNS0_4plusIjEEEEZZNS1_33reduce_by_key_impl_wrapped_configILNS1_25lookback_scan_determinismE0ES3_S9_PKS6_NS0_17constant_iteratorIjlEEPS6_PlSH_S8_NS0_8equal_toIS6_EEEE10hipError_tPvRmT2_T3_mT4_T5_T6_T7_T8_P12ihipStream_tbENKUlT_T0_E_clISt17integral_constantIbLb0EES10_IbLb1EEEEDaSW_SX_EUlSW_E_NS1_11comp_targetILNS1_3genE0ELNS1_11target_archE4294967295ELNS1_3gpuE0ELNS1_3repE0EEENS1_30default_config_static_selectorELNS0_4arch9wavefront6targetE1EEEvT1_,@function
_ZN7rocprim17ROCPRIM_400000_NS6detail17trampoline_kernelINS0_14default_configENS1_33run_length_encode_config_selectorIN3c108BFloat16EjNS0_4plusIjEEEEZZNS1_33reduce_by_key_impl_wrapped_configILNS1_25lookback_scan_determinismE0ES3_S9_PKS6_NS0_17constant_iteratorIjlEEPS6_PlSH_S8_NS0_8equal_toIS6_EEEE10hipError_tPvRmT2_T3_mT4_T5_T6_T7_T8_P12ihipStream_tbENKUlT_T0_E_clISt17integral_constantIbLb0EES10_IbLb1EEEEDaSW_SX_EUlSW_E_NS1_11comp_targetILNS1_3genE0ELNS1_11target_archE4294967295ELNS1_3gpuE0ELNS1_3repE0EEENS1_30default_config_static_selectorELNS0_4arch9wavefront6targetE1EEEvT1_: ; @_ZN7rocprim17ROCPRIM_400000_NS6detail17trampoline_kernelINS0_14default_configENS1_33run_length_encode_config_selectorIN3c108BFloat16EjNS0_4plusIjEEEEZZNS1_33reduce_by_key_impl_wrapped_configILNS1_25lookback_scan_determinismE0ES3_S9_PKS6_NS0_17constant_iteratorIjlEEPS6_PlSH_S8_NS0_8equal_toIS6_EEEE10hipError_tPvRmT2_T3_mT4_T5_T6_T7_T8_P12ihipStream_tbENKUlT_T0_E_clISt17integral_constantIbLb0EES10_IbLb1EEEEDaSW_SX_EUlSW_E_NS1_11comp_targetILNS1_3genE0ELNS1_11target_archE4294967295ELNS1_3gpuE0ELNS1_3repE0EEENS1_30default_config_static_selectorELNS0_4arch9wavefront6targetE1EEEvT1_
; %bb.0:
	.section	.rodata,"a",@progbits
	.p2align	6, 0x0
	.amdhsa_kernel _ZN7rocprim17ROCPRIM_400000_NS6detail17trampoline_kernelINS0_14default_configENS1_33run_length_encode_config_selectorIN3c108BFloat16EjNS0_4plusIjEEEEZZNS1_33reduce_by_key_impl_wrapped_configILNS1_25lookback_scan_determinismE0ES3_S9_PKS6_NS0_17constant_iteratorIjlEEPS6_PlSH_S8_NS0_8equal_toIS6_EEEE10hipError_tPvRmT2_T3_mT4_T5_T6_T7_T8_P12ihipStream_tbENKUlT_T0_E_clISt17integral_constantIbLb0EES10_IbLb1EEEEDaSW_SX_EUlSW_E_NS1_11comp_targetILNS1_3genE0ELNS1_11target_archE4294967295ELNS1_3gpuE0ELNS1_3repE0EEENS1_30default_config_static_selectorELNS0_4arch9wavefront6targetE1EEEvT1_
		.amdhsa_group_segment_fixed_size 0
		.amdhsa_private_segment_fixed_size 0
		.amdhsa_kernarg_size 128
		.amdhsa_user_sgpr_count 2
		.amdhsa_user_sgpr_dispatch_ptr 0
		.amdhsa_user_sgpr_queue_ptr 0
		.amdhsa_user_sgpr_kernarg_segment_ptr 1
		.amdhsa_user_sgpr_dispatch_id 0
		.amdhsa_user_sgpr_kernarg_preload_length 0
		.amdhsa_user_sgpr_kernarg_preload_offset 0
		.amdhsa_user_sgpr_private_segment_size 0
		.amdhsa_uses_dynamic_stack 0
		.amdhsa_enable_private_segment 0
		.amdhsa_system_sgpr_workgroup_id_x 1
		.amdhsa_system_sgpr_workgroup_id_y 0
		.amdhsa_system_sgpr_workgroup_id_z 0
		.amdhsa_system_sgpr_workgroup_info 0
		.amdhsa_system_vgpr_workitem_id 0
		.amdhsa_next_free_vgpr 1
		.amdhsa_next_free_sgpr 0
		.amdhsa_accum_offset 4
		.amdhsa_reserve_vcc 0
		.amdhsa_float_round_mode_32 0
		.amdhsa_float_round_mode_16_64 0
		.amdhsa_float_denorm_mode_32 3
		.amdhsa_float_denorm_mode_16_64 3
		.amdhsa_dx10_clamp 1
		.amdhsa_ieee_mode 1
		.amdhsa_fp16_overflow 0
		.amdhsa_tg_split 0
		.amdhsa_exception_fp_ieee_invalid_op 0
		.amdhsa_exception_fp_denorm_src 0
		.amdhsa_exception_fp_ieee_div_zero 0
		.amdhsa_exception_fp_ieee_overflow 0
		.amdhsa_exception_fp_ieee_underflow 0
		.amdhsa_exception_fp_ieee_inexact 0
		.amdhsa_exception_int_div_zero 0
	.end_amdhsa_kernel
	.section	.text._ZN7rocprim17ROCPRIM_400000_NS6detail17trampoline_kernelINS0_14default_configENS1_33run_length_encode_config_selectorIN3c108BFloat16EjNS0_4plusIjEEEEZZNS1_33reduce_by_key_impl_wrapped_configILNS1_25lookback_scan_determinismE0ES3_S9_PKS6_NS0_17constant_iteratorIjlEEPS6_PlSH_S8_NS0_8equal_toIS6_EEEE10hipError_tPvRmT2_T3_mT4_T5_T6_T7_T8_P12ihipStream_tbENKUlT_T0_E_clISt17integral_constantIbLb0EES10_IbLb1EEEEDaSW_SX_EUlSW_E_NS1_11comp_targetILNS1_3genE0ELNS1_11target_archE4294967295ELNS1_3gpuE0ELNS1_3repE0EEENS1_30default_config_static_selectorELNS0_4arch9wavefront6targetE1EEEvT1_,"axG",@progbits,_ZN7rocprim17ROCPRIM_400000_NS6detail17trampoline_kernelINS0_14default_configENS1_33run_length_encode_config_selectorIN3c108BFloat16EjNS0_4plusIjEEEEZZNS1_33reduce_by_key_impl_wrapped_configILNS1_25lookback_scan_determinismE0ES3_S9_PKS6_NS0_17constant_iteratorIjlEEPS6_PlSH_S8_NS0_8equal_toIS6_EEEE10hipError_tPvRmT2_T3_mT4_T5_T6_T7_T8_P12ihipStream_tbENKUlT_T0_E_clISt17integral_constantIbLb0EES10_IbLb1EEEEDaSW_SX_EUlSW_E_NS1_11comp_targetILNS1_3genE0ELNS1_11target_archE4294967295ELNS1_3gpuE0ELNS1_3repE0EEENS1_30default_config_static_selectorELNS0_4arch9wavefront6targetE1EEEvT1_,comdat
.Lfunc_end883:
	.size	_ZN7rocprim17ROCPRIM_400000_NS6detail17trampoline_kernelINS0_14default_configENS1_33run_length_encode_config_selectorIN3c108BFloat16EjNS0_4plusIjEEEEZZNS1_33reduce_by_key_impl_wrapped_configILNS1_25lookback_scan_determinismE0ES3_S9_PKS6_NS0_17constant_iteratorIjlEEPS6_PlSH_S8_NS0_8equal_toIS6_EEEE10hipError_tPvRmT2_T3_mT4_T5_T6_T7_T8_P12ihipStream_tbENKUlT_T0_E_clISt17integral_constantIbLb0EES10_IbLb1EEEEDaSW_SX_EUlSW_E_NS1_11comp_targetILNS1_3genE0ELNS1_11target_archE4294967295ELNS1_3gpuE0ELNS1_3repE0EEENS1_30default_config_static_selectorELNS0_4arch9wavefront6targetE1EEEvT1_, .Lfunc_end883-_ZN7rocprim17ROCPRIM_400000_NS6detail17trampoline_kernelINS0_14default_configENS1_33run_length_encode_config_selectorIN3c108BFloat16EjNS0_4plusIjEEEEZZNS1_33reduce_by_key_impl_wrapped_configILNS1_25lookback_scan_determinismE0ES3_S9_PKS6_NS0_17constant_iteratorIjlEEPS6_PlSH_S8_NS0_8equal_toIS6_EEEE10hipError_tPvRmT2_T3_mT4_T5_T6_T7_T8_P12ihipStream_tbENKUlT_T0_E_clISt17integral_constantIbLb0EES10_IbLb1EEEEDaSW_SX_EUlSW_E_NS1_11comp_targetILNS1_3genE0ELNS1_11target_archE4294967295ELNS1_3gpuE0ELNS1_3repE0EEENS1_30default_config_static_selectorELNS0_4arch9wavefront6targetE1EEEvT1_
                                        ; -- End function
	.section	.AMDGPU.csdata,"",@progbits
; Kernel info:
; codeLenInByte = 0
; NumSgprs: 6
; NumVgprs: 0
; NumAgprs: 0
; TotalNumVgprs: 0
; ScratchSize: 0
; MemoryBound: 0
; FloatMode: 240
; IeeeMode: 1
; LDSByteSize: 0 bytes/workgroup (compile time only)
; SGPRBlocks: 0
; VGPRBlocks: 0
; NumSGPRsForWavesPerEU: 6
; NumVGPRsForWavesPerEU: 1
; AccumOffset: 4
; Occupancy: 8
; WaveLimiterHint : 0
; COMPUTE_PGM_RSRC2:SCRATCH_EN: 0
; COMPUTE_PGM_RSRC2:USER_SGPR: 2
; COMPUTE_PGM_RSRC2:TRAP_HANDLER: 0
; COMPUTE_PGM_RSRC2:TGID_X_EN: 1
; COMPUTE_PGM_RSRC2:TGID_Y_EN: 0
; COMPUTE_PGM_RSRC2:TGID_Z_EN: 0
; COMPUTE_PGM_RSRC2:TIDIG_COMP_CNT: 0
; COMPUTE_PGM_RSRC3_GFX90A:ACCUM_OFFSET: 0
; COMPUTE_PGM_RSRC3_GFX90A:TG_SPLIT: 0
	.section	.text._ZN7rocprim17ROCPRIM_400000_NS6detail17trampoline_kernelINS0_14default_configENS1_33run_length_encode_config_selectorIN3c108BFloat16EjNS0_4plusIjEEEEZZNS1_33reduce_by_key_impl_wrapped_configILNS1_25lookback_scan_determinismE0ES3_S9_PKS6_NS0_17constant_iteratorIjlEEPS6_PlSH_S8_NS0_8equal_toIS6_EEEE10hipError_tPvRmT2_T3_mT4_T5_T6_T7_T8_P12ihipStream_tbENKUlT_T0_E_clISt17integral_constantIbLb0EES10_IbLb1EEEEDaSW_SX_EUlSW_E_NS1_11comp_targetILNS1_3genE5ELNS1_11target_archE942ELNS1_3gpuE9ELNS1_3repE0EEENS1_30default_config_static_selectorELNS0_4arch9wavefront6targetE1EEEvT1_,"axG",@progbits,_ZN7rocprim17ROCPRIM_400000_NS6detail17trampoline_kernelINS0_14default_configENS1_33run_length_encode_config_selectorIN3c108BFloat16EjNS0_4plusIjEEEEZZNS1_33reduce_by_key_impl_wrapped_configILNS1_25lookback_scan_determinismE0ES3_S9_PKS6_NS0_17constant_iteratorIjlEEPS6_PlSH_S8_NS0_8equal_toIS6_EEEE10hipError_tPvRmT2_T3_mT4_T5_T6_T7_T8_P12ihipStream_tbENKUlT_T0_E_clISt17integral_constantIbLb0EES10_IbLb1EEEEDaSW_SX_EUlSW_E_NS1_11comp_targetILNS1_3genE5ELNS1_11target_archE942ELNS1_3gpuE9ELNS1_3repE0EEENS1_30default_config_static_selectorELNS0_4arch9wavefront6targetE1EEEvT1_,comdat
	.protected	_ZN7rocprim17ROCPRIM_400000_NS6detail17trampoline_kernelINS0_14default_configENS1_33run_length_encode_config_selectorIN3c108BFloat16EjNS0_4plusIjEEEEZZNS1_33reduce_by_key_impl_wrapped_configILNS1_25lookback_scan_determinismE0ES3_S9_PKS6_NS0_17constant_iteratorIjlEEPS6_PlSH_S8_NS0_8equal_toIS6_EEEE10hipError_tPvRmT2_T3_mT4_T5_T6_T7_T8_P12ihipStream_tbENKUlT_T0_E_clISt17integral_constantIbLb0EES10_IbLb1EEEEDaSW_SX_EUlSW_E_NS1_11comp_targetILNS1_3genE5ELNS1_11target_archE942ELNS1_3gpuE9ELNS1_3repE0EEENS1_30default_config_static_selectorELNS0_4arch9wavefront6targetE1EEEvT1_ ; -- Begin function _ZN7rocprim17ROCPRIM_400000_NS6detail17trampoline_kernelINS0_14default_configENS1_33run_length_encode_config_selectorIN3c108BFloat16EjNS0_4plusIjEEEEZZNS1_33reduce_by_key_impl_wrapped_configILNS1_25lookback_scan_determinismE0ES3_S9_PKS6_NS0_17constant_iteratorIjlEEPS6_PlSH_S8_NS0_8equal_toIS6_EEEE10hipError_tPvRmT2_T3_mT4_T5_T6_T7_T8_P12ihipStream_tbENKUlT_T0_E_clISt17integral_constantIbLb0EES10_IbLb1EEEEDaSW_SX_EUlSW_E_NS1_11comp_targetILNS1_3genE5ELNS1_11target_archE942ELNS1_3gpuE9ELNS1_3repE0EEENS1_30default_config_static_selectorELNS0_4arch9wavefront6targetE1EEEvT1_
	.globl	_ZN7rocprim17ROCPRIM_400000_NS6detail17trampoline_kernelINS0_14default_configENS1_33run_length_encode_config_selectorIN3c108BFloat16EjNS0_4plusIjEEEEZZNS1_33reduce_by_key_impl_wrapped_configILNS1_25lookback_scan_determinismE0ES3_S9_PKS6_NS0_17constant_iteratorIjlEEPS6_PlSH_S8_NS0_8equal_toIS6_EEEE10hipError_tPvRmT2_T3_mT4_T5_T6_T7_T8_P12ihipStream_tbENKUlT_T0_E_clISt17integral_constantIbLb0EES10_IbLb1EEEEDaSW_SX_EUlSW_E_NS1_11comp_targetILNS1_3genE5ELNS1_11target_archE942ELNS1_3gpuE9ELNS1_3repE0EEENS1_30default_config_static_selectorELNS0_4arch9wavefront6targetE1EEEvT1_
	.p2align	8
	.type	_ZN7rocprim17ROCPRIM_400000_NS6detail17trampoline_kernelINS0_14default_configENS1_33run_length_encode_config_selectorIN3c108BFloat16EjNS0_4plusIjEEEEZZNS1_33reduce_by_key_impl_wrapped_configILNS1_25lookback_scan_determinismE0ES3_S9_PKS6_NS0_17constant_iteratorIjlEEPS6_PlSH_S8_NS0_8equal_toIS6_EEEE10hipError_tPvRmT2_T3_mT4_T5_T6_T7_T8_P12ihipStream_tbENKUlT_T0_E_clISt17integral_constantIbLb0EES10_IbLb1EEEEDaSW_SX_EUlSW_E_NS1_11comp_targetILNS1_3genE5ELNS1_11target_archE942ELNS1_3gpuE9ELNS1_3repE0EEENS1_30default_config_static_selectorELNS0_4arch9wavefront6targetE1EEEvT1_,@function
_ZN7rocprim17ROCPRIM_400000_NS6detail17trampoline_kernelINS0_14default_configENS1_33run_length_encode_config_selectorIN3c108BFloat16EjNS0_4plusIjEEEEZZNS1_33reduce_by_key_impl_wrapped_configILNS1_25lookback_scan_determinismE0ES3_S9_PKS6_NS0_17constant_iteratorIjlEEPS6_PlSH_S8_NS0_8equal_toIS6_EEEE10hipError_tPvRmT2_T3_mT4_T5_T6_T7_T8_P12ihipStream_tbENKUlT_T0_E_clISt17integral_constantIbLb0EES10_IbLb1EEEEDaSW_SX_EUlSW_E_NS1_11comp_targetILNS1_3genE5ELNS1_11target_archE942ELNS1_3gpuE9ELNS1_3repE0EEENS1_30default_config_static_selectorELNS0_4arch9wavefront6targetE1EEEvT1_: ; @_ZN7rocprim17ROCPRIM_400000_NS6detail17trampoline_kernelINS0_14default_configENS1_33run_length_encode_config_selectorIN3c108BFloat16EjNS0_4plusIjEEEEZZNS1_33reduce_by_key_impl_wrapped_configILNS1_25lookback_scan_determinismE0ES3_S9_PKS6_NS0_17constant_iteratorIjlEEPS6_PlSH_S8_NS0_8equal_toIS6_EEEE10hipError_tPvRmT2_T3_mT4_T5_T6_T7_T8_P12ihipStream_tbENKUlT_T0_E_clISt17integral_constantIbLb0EES10_IbLb1EEEEDaSW_SX_EUlSW_E_NS1_11comp_targetILNS1_3genE5ELNS1_11target_archE942ELNS1_3gpuE9ELNS1_3repE0EEENS1_30default_config_static_selectorELNS0_4arch9wavefront6targetE1EEEvT1_
; %bb.0:
	s_load_dword s10, s[0:1], 0x10
	s_load_dwordx4 s[48:51], s[0:1], 0x20
	s_load_dwordx2 s[56:57], s[0:1], 0x30
	s_load_dwordx2 s[58:59], s[0:1], 0x70
	s_load_dwordx4 s[52:55], s[0:1], 0x60
	s_load_dwordx8 s[40:47], s[0:1], 0x40
	v_cmp_ne_u32_e64 s[2:3], 0, v0
	v_cmp_eq_u32_e64 s[34:35], 0, v0
	s_and_saveexec_b64 s[4:5], s[34:35]
	s_cbranch_execz .LBB884_4
; %bb.1:
	s_mov_b64 s[8:9], exec
	v_mbcnt_lo_u32_b32 v1, s8, 0
	v_mbcnt_hi_u32_b32 v1, s9, v1
	v_cmp_eq_u32_e32 vcc, 0, v1
                                        ; implicit-def: $vgpr2
	s_and_saveexec_b64 s[6:7], vcc
	s_cbranch_execz .LBB884_3
; %bb.2:
	s_load_dwordx2 s[12:13], s[0:1], 0x78
	s_bcnt1_i32_b64 s8, s[8:9]
	v_mov_b32_e32 v2, 0
	v_mov_b32_e32 v3, s8
	s_waitcnt lgkmcnt(0)
	global_atomic_add v2, v2, v3, s[12:13] sc0
.LBB884_3:
	s_or_b64 exec, exec, s[6:7]
	s_waitcnt vmcnt(0)
	v_readfirstlane_b32 s6, v2
	v_mov_b32_e32 v2, 0
	s_nop 0
	v_add_u32_e32 v1, s6, v1
	ds_write_b32 v2, v1
.LBB884_4:
	s_or_b64 exec, exec, s[4:5]
	s_load_dwordx4 s[4:7], s[0:1], 0x0
	v_mov_b32_e32 v3, 0
	s_waitcnt lgkmcnt(0)
	s_barrier
	ds_read_b32 v1, v3
	s_mul_i32 s0, s44, s43
	s_mul_hi_u32 s1, s44, s42
	s_add_i32 s0, s1, s0
	s_mul_i32 s1, s45, s42
	s_add_i32 s8, s0, s1
	s_lshl_b64 s[0:1], s[6:7], 1
	s_add_u32 s0, s4, s0
	s_movk_i32 s4, 0xf00
	s_waitcnt lgkmcnt(0)
	v_mul_lo_u32 v2, v1, s4
	s_mul_i32 s9, s44, s42
	s_addc_u32 s1, s5, s1
	v_readfirstlane_b32 s60, v1
	v_lshlrev_b64 v[4:5], 1, v[2:3]
	v_lshl_add_u64 v[6:7], s[0:1], 0, v[4:5]
	s_add_u32 s0, s9, s60
	s_addc_u32 s1, s8, 0
	s_add_u32 s8, s46, -1
	s_addc_u32 s9, s47, -1
	s_cmp_eq_u64 s[0:1], s[8:9]
	s_cselect_b64 s[44:45], -1, 0
	s_cmp_lg_u64 s[0:1], s[8:9]
	s_mov_b64 s[6:7], -1
	s_cselect_b64 s[4:5], -1, 0
	s_mul_i32 s33, s8, 0xfffff100
	s_and_b64 vcc, exec, s[44:45]
	s_barrier
	s_cbranch_vccnz .LBB884_6
; %bb.5:
	v_lshlrev_b32_e32 v2, 1, v0
	v_lshl_add_u64 v[4:5], v[6:7], 0, v[2:3]
	v_add_co_u32_e32 v4, vcc, 0x1000, v4
	v_readfirstlane_b32 s6, v6
	v_readfirstlane_b32 s7, v7
	v_addc_co_u32_e32 v5, vcc, 0, v5, vcc
	s_nop 3
	global_load_ushort v1, v2, s[6:7]
	global_load_ushort v3, v2, s[6:7] offset:512
	global_load_ushort v12, v2, s[6:7] offset:1024
	;; [unrolled: 1-line block ×7, first 2 shown]
	global_load_ushort v20, v[4:5], off
	global_load_ushort v21, v[4:5], off offset:512
	global_load_ushort v24, v[4:5], off offset:1024
	global_load_ushort v25, v[4:5], off offset:1536
	global_load_ushort v26, v[4:5], off offset:2048
	global_load_ushort v27, v[4:5], off offset:2560
	global_load_ushort v28, v[4:5], off offset:3072
	v_mad_u32_u24 v30, v0, 28, v2
	s_movk_i32 s6, 0xffe6
	v_mul_u32_u24_e32 v8, 15, v0
	v_mad_u32_u24 v16, v0, 15, 2
	v_mad_u32_u24 v11, v0, 15, 4
	;; [unrolled: 1-line block ×7, first 2 shown]
	v_mov_b32_e32 v29, s10
	v_mad_i32_i24 v31, v0, s6, v30
	s_waitcnt vmcnt(14)
	ds_write_b16 v2, v1
	s_waitcnt vmcnt(13)
	ds_write_b16 v2, v3 offset:512
	s_waitcnt vmcnt(12)
	ds_write_b16 v2, v12 offset:1024
	;; [unrolled: 2-line block ×14, first 2 shown]
	s_waitcnt lgkmcnt(0)
	s_barrier
	ds_read_b128 v[2:5], v30
	ds_read_b96 v[12:14], v30 offset:16
	ds_read_u16 v1, v30 offset:28
	s_waitcnt lgkmcnt(0)
	s_barrier
	ds_write2st64_b32 v31, v29, v29 offset1:4
	ds_write2st64_b32 v31, v29, v29 offset0:8 offset1:12
	ds_write2st64_b32 v31, v29, v29 offset0:16 offset1:20
	;; [unrolled: 1-line block ×6, first 2 shown]
	ds_write_b32 v31, v29 offset:14336
	s_waitcnt lgkmcnt(0)
	s_barrier
	s_add_i32 s33, s33, s52
	s_cbranch_execz .LBB884_7
	s_branch .LBB884_38
.LBB884_6:
                                        ; implicit-def: $vgpr14
                                        ; implicit-def: $vgpr5
                                        ; implicit-def: $vgpr15
                                        ; implicit-def: $vgpr22
                                        ; implicit-def: $vgpr23
                                        ; implicit-def: $vgpr9
                                        ; implicit-def: $vgpr10
                                        ; implicit-def: $vgpr11
                                        ; implicit-def: $vgpr16
                                        ; implicit-def: $vgpr8
                                        ; implicit-def: $vgpr1
	s_andn2_b64 vcc, exec, s[6:7]
	s_add_i32 s33, s33, s52
	s_cbranch_vccnz .LBB884_38
.LBB884_7:
	v_cmp_gt_u32_e32 vcc, s33, v0
                                        ; implicit-def: $vgpr1
	s_and_saveexec_b64 s[6:7], vcc
	s_cbranch_execz .LBB884_9
; %bb.8:
	v_lshlrev_b32_e32 v1, 1, v0
	v_readfirstlane_b32 s8, v6
	v_readfirstlane_b32 s9, v7
	s_nop 4
	global_load_ushort v1, v1, s[8:9]
.LBB884_9:
	s_or_b64 exec, exec, s[6:7]
	v_or_b32_e32 v2, 0x100, v0
	v_cmp_gt_u32_e32 vcc, s33, v2
                                        ; implicit-def: $vgpr2
	s_and_saveexec_b64 s[6:7], vcc
	s_cbranch_execz .LBB884_11
; %bb.10:
	v_lshlrev_b32_e32 v2, 1, v0
	v_readfirstlane_b32 s8, v6
	v_readfirstlane_b32 s9, v7
	s_nop 4
	global_load_ushort v2, v2, s[8:9] offset:512
.LBB884_11:
	s_or_b64 exec, exec, s[6:7]
	v_or_b32_e32 v3, 0x200, v0
	v_cmp_gt_u32_e32 vcc, s33, v3
                                        ; implicit-def: $vgpr3
	s_and_saveexec_b64 s[6:7], vcc
	s_cbranch_execz .LBB884_13
; %bb.12:
	v_lshlrev_b32_e32 v3, 1, v0
	v_readfirstlane_b32 s8, v6
	v_readfirstlane_b32 s9, v7
	s_nop 4
	global_load_ushort v3, v3, s[8:9] offset:1024
.LBB884_13:
	s_or_b64 exec, exec, s[6:7]
	v_or_b32_e32 v4, 0x300, v0
	v_cmp_gt_u32_e32 vcc, s33, v4
                                        ; implicit-def: $vgpr4
	s_and_saveexec_b64 s[6:7], vcc
	s_cbranch_execz .LBB884_15
; %bb.14:
	v_lshlrev_b32_e32 v4, 1, v0
	v_readfirstlane_b32 s8, v6
	v_readfirstlane_b32 s9, v7
	s_nop 4
	global_load_ushort v4, v4, s[8:9] offset:1536
.LBB884_15:
	s_or_b64 exec, exec, s[6:7]
	v_or_b32_e32 v5, 0x400, v0
	v_cmp_gt_u32_e32 vcc, s33, v5
                                        ; implicit-def: $vgpr5
	s_and_saveexec_b64 s[6:7], vcc
	s_cbranch_execz .LBB884_17
; %bb.16:
	v_lshlrev_b32_e32 v5, 1, v0
	v_readfirstlane_b32 s8, v6
	v_readfirstlane_b32 s9, v7
	s_nop 4
	global_load_ushort v5, v5, s[8:9] offset:2048
.LBB884_17:
	s_or_b64 exec, exec, s[6:7]
	v_or_b32_e32 v8, 0x500, v0
	v_cmp_gt_u32_e32 vcc, s33, v8
                                        ; implicit-def: $vgpr8
	s_and_saveexec_b64 s[6:7], vcc
	s_cbranch_execz .LBB884_19
; %bb.18:
	v_lshlrev_b32_e32 v8, 1, v0
	v_readfirstlane_b32 s8, v6
	v_readfirstlane_b32 s9, v7
	s_nop 4
	global_load_ushort v8, v8, s[8:9] offset:2560
.LBB884_19:
	s_or_b64 exec, exec, s[6:7]
	v_or_b32_e32 v9, 0x600, v0
	v_cmp_gt_u32_e32 vcc, s33, v9
                                        ; implicit-def: $vgpr9
	s_and_saveexec_b64 s[6:7], vcc
	s_cbranch_execz .LBB884_21
; %bb.20:
	v_lshlrev_b32_e32 v9, 1, v0
	v_readfirstlane_b32 s8, v6
	v_readfirstlane_b32 s9, v7
	s_nop 4
	global_load_ushort v9, v9, s[8:9] offset:3072
.LBB884_21:
	s_or_b64 exec, exec, s[6:7]
	v_or_b32_e32 v10, 0x700, v0
	v_cmp_gt_u32_e32 vcc, s33, v10
                                        ; implicit-def: $vgpr10
	s_and_saveexec_b64 s[6:7], vcc
	s_cbranch_execz .LBB884_23
; %bb.22:
	v_lshlrev_b32_e32 v10, 1, v0
	v_readfirstlane_b32 s8, v6
	v_readfirstlane_b32 s9, v7
	s_nop 4
	global_load_ushort v10, v10, s[8:9] offset:3584
.LBB884_23:
	s_or_b64 exec, exec, s[6:7]
	v_or_b32_e32 v12, 0x800, v0
	v_cmp_gt_u32_e32 vcc, s33, v12
                                        ; implicit-def: $vgpr11
	s_and_saveexec_b64 s[6:7], vcc
	s_cbranch_execz .LBB884_25
; %bb.24:
	v_lshlrev_b32_e32 v11, 1, v12
	v_readfirstlane_b32 s8, v6
	v_readfirstlane_b32 s9, v7
	s_nop 4
	global_load_ushort v11, v11, s[8:9]
.LBB884_25:
	s_or_b64 exec, exec, s[6:7]
	v_or_b32_e32 v13, 0x900, v0
	v_cmp_gt_u32_e32 vcc, s33, v13
                                        ; implicit-def: $vgpr12
	s_and_saveexec_b64 s[6:7], vcc
	s_cbranch_execz .LBB884_27
; %bb.26:
	v_lshlrev_b32_e32 v12, 1, v13
	v_readfirstlane_b32 s8, v6
	v_readfirstlane_b32 s9, v7
	s_nop 4
	global_load_ushort v12, v12, s[8:9]
.LBB884_27:
	s_or_b64 exec, exec, s[6:7]
	v_or_b32_e32 v14, 0xa00, v0
	v_cmp_gt_u32_e32 vcc, s33, v14
                                        ; implicit-def: $vgpr13
	s_and_saveexec_b64 s[6:7], vcc
	s_cbranch_execz .LBB884_29
; %bb.28:
	v_lshlrev_b32_e32 v13, 1, v14
	v_readfirstlane_b32 s8, v6
	v_readfirstlane_b32 s9, v7
	s_nop 4
	global_load_ushort v13, v13, s[8:9]
.LBB884_29:
	s_or_b64 exec, exec, s[6:7]
	v_or_b32_e32 v15, 0xb00, v0
	v_cmp_gt_u32_e32 vcc, s33, v15
                                        ; implicit-def: $vgpr14
	s_and_saveexec_b64 s[6:7], vcc
	s_cbranch_execz .LBB884_31
; %bb.30:
	v_lshlrev_b32_e32 v14, 1, v15
	v_readfirstlane_b32 s8, v6
	v_readfirstlane_b32 s9, v7
	s_nop 4
	global_load_ushort v14, v14, s[8:9]
.LBB884_31:
	s_or_b64 exec, exec, s[6:7]
	v_or_b32_e32 v16, 0xc00, v0
	v_cmp_gt_u32_e32 vcc, s33, v16
                                        ; implicit-def: $vgpr15
	s_and_saveexec_b64 s[6:7], vcc
	s_cbranch_execz .LBB884_33
; %bb.32:
	v_lshlrev_b32_e32 v15, 1, v16
	v_readfirstlane_b32 s8, v6
	v_readfirstlane_b32 s9, v7
	s_nop 4
	global_load_ushort v15, v15, s[8:9]
.LBB884_33:
	s_or_b64 exec, exec, s[6:7]
	v_or_b32_e32 v17, 0xd00, v0
	v_cmp_gt_u32_e32 vcc, s33, v17
                                        ; implicit-def: $vgpr16
	s_and_saveexec_b64 s[6:7], vcc
	s_cbranch_execz .LBB884_35
; %bb.34:
	v_lshlrev_b32_e32 v16, 1, v17
	v_readfirstlane_b32 s8, v6
	v_readfirstlane_b32 s9, v7
	s_nop 4
	global_load_ushort v16, v16, s[8:9]
.LBB884_35:
	s_or_b64 exec, exec, s[6:7]
	v_or_b32_e32 v18, 0xe00, v0
	v_cmp_gt_u32_e32 vcc, s33, v18
                                        ; implicit-def: $vgpr17
	s_and_saveexec_b64 s[6:7], vcc
	s_cbranch_execz .LBB884_37
; %bb.36:
	v_lshlrev_b32_e32 v17, 1, v18
	v_readfirstlane_b32 s8, v6
	v_readfirstlane_b32 s9, v7
	s_nop 4
	global_load_ushort v17, v17, s[8:9]
.LBB884_37:
	s_or_b64 exec, exec, s[6:7]
	v_lshlrev_b32_e32 v18, 1, v0
	s_waitcnt vmcnt(0)
	ds_write_b16 v18, v1
	ds_write_b16 v18, v2 offset:512
	ds_write_b16 v18, v3 offset:1024
	;; [unrolled: 1-line block ×14, first 2 shown]
	v_mad_u32_u24 v17, v0, 28, v18
	s_waitcnt lgkmcnt(0)
	s_barrier
	ds_read_b128 v[2:5], v17
	ds_read_b96 v[12:14], v17 offset:16
	ds_read_u16 v1, v17 offset:28
	s_movk_i32 s6, 0xffe6
	v_mul_u32_u24_e32 v8, 15, v0
	v_mad_u32_u24 v16, v0, 15, 2
	v_mad_u32_u24 v11, v0, 15, 4
	;; [unrolled: 1-line block ×7, first 2 shown]
	v_mad_i32_i24 v17, v0, s6, v17
	v_mov_b32_e32 v18, s10
	s_waitcnt lgkmcnt(0)
	s_barrier
	ds_write2st64_b32 v17, v18, v18 offset1:4
	ds_write2st64_b32 v17, v18, v18 offset0:8 offset1:12
	ds_write2st64_b32 v17, v18, v18 offset0:16 offset1:20
	;; [unrolled: 1-line block ×6, first 2 shown]
	ds_write_b32 v17, v18 offset:14336
	s_waitcnt lgkmcnt(0)
	s_barrier
.LBB884_38:
	v_lshlrev_b32_e32 v8, 2, v8
	v_lshlrev_b32_e32 v24, 2, v16
	ds_read2_b32 v[20:21], v8 offset0:3 offset1:5
	ds_read2_b32 v[18:19], v8 offset0:7 offset1:9
	;; [unrolled: 1-line block ×3, first 2 shown]
	v_lshlrev_b32_e32 v11, 2, v11
	v_lshlrev_b32_e32 v10, 2, v10
	;; [unrolled: 1-line block ×6, first 2 shown]
	ds_read2_b32 v[22:23], v8 offset1:1
	ds_read_b32 v75, v24
	ds_read_b32 v74, v11
	ds_read_b32 v73, v10
	ds_read_b32 v72, v9
	ds_read_b32 v71, v25
	ds_read_b32 v70, v26
	ds_read_b32 v76, v15
	s_cmp_eq_u64 s[0:1], 0
	s_cselect_b64 s[46:47], -1, 0
	s_cmp_lg_u64 s[0:1], 0
	s_mov_b64 s[6:7], 0
	s_cselect_b64 s[8:9], -1, 0
	s_and_b64 vcc, exec, s[4:5]
	s_waitcnt lgkmcnt(0)
	s_barrier
	s_cbranch_vccz .LBB884_44
; %bb.39:
	s_and_b64 vcc, exec, s[8:9]
	s_cbranch_vccz .LBB884_45
; %bb.40:
	global_load_ushort v8, v[6:7], off offset:-2
	v_lshlrev_b32_e32 v9, 1, v0
	ds_write_b16 v9, v1
	s_waitcnt lgkmcnt(0)
	s_barrier
	s_and_saveexec_b64 s[4:5], s[2:3]
	s_cbranch_execz .LBB884_42
; %bb.41:
	s_waitcnt vmcnt(0)
	v_add_u32_e32 v8, -2, v9
	ds_read_u16 v8, v8
.LBB884_42:
	s_or_b64 exec, exec, s[4:5]
	v_and_b32_e32 v32, 0xffff0000, v2
	v_lshlrev_b32_e32 v33, 16, v2
	v_lshlrev_b32_e32 v34, 16, v3
	v_cmp_neq_f32_e32 vcc, v32, v33
	v_and_b32_e32 v31, 0xffff0000, v3
	v_lshlrev_b32_e32 v29, 16, v4
	v_cndmask_b32_e64 v67, 0, 1, vcc
	v_cmp_neq_f32_e32 vcc, v32, v34
	v_and_b32_e32 v28, 0xffff0000, v4
	v_lshlrev_b32_e32 v30, 16, v5
	v_cndmask_b32_e64 v68, 0, 1, vcc
	;; [unrolled: 4-line block ×6, first 2 shown]
	v_cmp_neq_f32_e32 vcc, v30, v27
	s_waitcnt vmcnt(0) lgkmcnt(0)
	v_lshlrev_b32_e32 v8, 16, v8
	v_cmp_neq_f32_e64 s[4:5], v33, v8
	v_cndmask_b32_e64 v64, 0, 1, vcc
	v_cmp_neq_f32_e32 vcc, v25, v27
	s_mov_b64 s[6:7], -1
	s_nop 0
	v_cndmask_b32_e64 v57, 0, 1, vcc
	v_cmp_neq_f32_e32 vcc, v24, v25
	s_nop 1
	v_cndmask_b32_e64 v56, 0, 1, vcc
	v_cmp_neq_f32_e32 vcc, v24, v26
	;; [unrolled: 3-line block ×6, first 2 shown]
	s_nop 1
	v_cndmask_b32_e64 v59, 0, 1, vcc
.LBB884_43:
                                        ; implicit-def: $sgpr12
	s_branch .LBB884_57
.LBB884_44:
                                        ; implicit-def: $sgpr4_sgpr5
                                        ; implicit-def: $vgpr59
                                        ; implicit-def: $vgpr58
                                        ; implicit-def: $vgpr15
                                        ; implicit-def: $vgpr61
                                        ; implicit-def: $vgpr62
                                        ; implicit-def: $vgpr56
                                        ; implicit-def: $vgpr57
                                        ; implicit-def: $vgpr64
                                        ; implicit-def: $vgpr65
                                        ; implicit-def: $vgpr60
                                        ; implicit-def: $vgpr63
                                        ; implicit-def: $vgpr66
                                        ; implicit-def: $vgpr68
                                        ; implicit-def: $vgpr67
                                        ; implicit-def: $sgpr12
	s_cbranch_execnz .LBB884_49
	s_branch .LBB884_57
.LBB884_45:
                                        ; implicit-def: $sgpr4_sgpr5
                                        ; implicit-def: $vgpr59
                                        ; implicit-def: $vgpr58
                                        ; implicit-def: $vgpr15
                                        ; implicit-def: $vgpr61
                                        ; implicit-def: $vgpr62
                                        ; implicit-def: $vgpr56
                                        ; implicit-def: $vgpr57
                                        ; implicit-def: $vgpr64
                                        ; implicit-def: $vgpr65
                                        ; implicit-def: $vgpr60
                                        ; implicit-def: $vgpr63
                                        ; implicit-def: $vgpr66
                                        ; implicit-def: $vgpr68
                                        ; implicit-def: $vgpr67
	s_cbranch_execz .LBB884_43
; %bb.46:
	v_and_b32_e32 v33, 0xffff0000, v2
	v_lshlrev_b32_e32 v9, 16, v2
	v_lshlrev_b32_e32 v34, 16, v3
	v_cmp_neq_f32_e32 vcc, v33, v9
	v_and_b32_e32 v32, 0xffff0000, v3
	v_lshlrev_b32_e32 v30, 16, v4
	v_cndmask_b32_e64 v67, 0, 1, vcc
	v_cmp_neq_f32_e32 vcc, v33, v34
	v_and_b32_e32 v29, 0xffff0000, v4
	v_lshlrev_b32_e32 v31, 16, v5
	v_cndmask_b32_e64 v68, 0, 1, vcc
	;; [unrolled: 4-line block ×6, first 2 shown]
	v_cmp_neq_f32_e32 vcc, v31, v28
	s_mov_b32 s12, 1
	v_lshlrev_b32_e32 v8, 1, v0
	v_cndmask_b32_e64 v64, 0, 1, vcc
	v_cmp_neq_f32_e32 vcc, v26, v28
	ds_write_b16 v8, v1
	s_waitcnt lgkmcnt(0)
	v_cndmask_b32_e64 v57, 0, 1, vcc
	v_cmp_neq_f32_e32 vcc, v25, v26
	s_barrier
	s_nop 0
	v_cndmask_b32_e64 v56, 0, 1, vcc
	v_cmp_neq_f32_e32 vcc, v25, v27
                                        ; implicit-def: $sgpr4_sgpr5
	s_nop 1
	v_cndmask_b32_e64 v62, 0, 1, vcc
	v_cmp_neq_f32_e32 vcc, v27, v15
	s_nop 1
	v_cndmask_b32_e64 v61, 0, 1, vcc
	v_cmp_neq_f32_e32 vcc, v11, v15
	s_nop 1
	v_cndmask_b32_e64 v15, 0, 1, vcc
	v_cmp_neq_f32_e32 vcc, v10, v11
	s_nop 1
	v_cndmask_b32_e64 v58, 0, 1, vcc
	v_cmp_neq_f32_e32 vcc, v10, v24
	s_nop 1
	v_cndmask_b32_e64 v59, 0, 1, vcc
	s_and_saveexec_b64 s[10:11], s[2:3]
	s_xor_b64 s[10:11], exec, s[10:11]
	s_cbranch_execz .LBB884_48
; %bb.47:
	v_add_u32_e32 v8, -2, v8
	ds_read_u16 v8, v8
	s_or_b64 s[6:7], s[6:7], exec
	s_waitcnt lgkmcnt(0)
	v_lshlrev_b32_e32 v8, 16, v8
	v_cmp_neq_f32_e32 vcc, v9, v8
	s_and_b64 s[4:5], vcc, exec
.LBB884_48:
	s_or_b64 exec, exec, s[10:11]
	s_branch .LBB884_57
.LBB884_49:
	s_mul_hi_u32 s4, s0, 0xfffff100
	s_mulk_i32 s1, 0xf100
	s_sub_i32 s4, s4, s0
	s_add_i32 s4, s4, s1
	s_mulk_i32 s0, 0xf100
	s_add_u32 s52, s0, s52
	s_addc_u32 s53, s4, s53
	s_and_b64 vcc, exec, s[8:9]
	s_cbranch_vccz .LBB884_54
; %bb.50:
	global_load_ushort v8, v[6:7], off offset:-2
	v_lshlrev_b32_e32 v7, 1, v0
	v_mul_u32_u24_e32 v6, 15, v0
	ds_write_b16 v7, v1
	s_waitcnt lgkmcnt(0)
	s_barrier
	s_and_saveexec_b64 s[0:1], s[2:3]
	s_cbranch_execz .LBB884_52
; %bb.51:
	v_add_u32_e32 v7, -2, v7
	s_waitcnt vmcnt(0)
	ds_read_u16 v8, v7
.LBB884_52:
	s_or_b64 exec, exec, s[0:1]
	s_mov_b32 s0, 0xe000d
	v_pk_add_u16 v9, v6, s0 op_sel_hi:[0,1]
	v_mov_b32_e32 v25, 0
	v_alignbit_b32 v10, 0, v9, 16
	v_and_b32_e32 v24, 0xffff, v9
	v_mov_b32_e32 v11, v25
	v_cmp_gt_u64_e32 vcc, s[52:53], v[24:25]
	v_cmp_gt_u64_e64 s[4:5], s[52:53], v[10:11]
	v_lshlrev_b32_e32 v10, 16, v14
	v_add_u32_e32 v24, 12, v6
	v_and_b32_e32 v26, 0xffff0000, v13
	v_cmp_gt_u64_e64 s[0:1], s[52:53], v[24:25]
	v_cmp_neq_f32_e64 s[10:11], v26, v10
	s_and_b64 s[0:1], s[0:1], s[10:11]
	v_cndmask_b32_e64 v15, 0, 1, s[0:1]
	s_mov_b32 s0, 0xb000a
	v_and_b32_e32 v7, 0xffff0000, v14
	v_lshlrev_b32_e32 v9, 16, v1
	v_pk_add_u16 v11, v6, s0 op_sel_hi:[0,1]
	v_cmp_neq_f32_e64 s[8:9], v7, v10
	v_cmp_neq_f32_e64 s[6:7], v7, v9
	v_lshlrev_b32_e32 v7, 16, v13
	v_and_b32_e32 v9, 0xffff0000, v12
	v_and_b32_e32 v24, 0xffff, v11
	v_cmp_gt_u64_e64 s[0:1], s[52:53], v[24:25]
	v_cmp_neq_f32_e64 s[12:13], v7, v9
	v_cmp_neq_f32_e64 s[14:15], v7, v26
	v_add_u32_e32 v24, 9, v6
	v_lshlrev_b32_e32 v7, 16, v12
	v_cmp_gt_u64_e64 s[16:17], s[52:53], v[24:25]
	v_cmp_neq_f32_e64 s[18:19], v9, v7
	s_and_b64 s[16:17], s[16:17], s[18:19]
	v_add_u32_e32 v24, 8, v6
	v_and_b32_e32 v27, 0xffff0000, v5
	v_cndmask_b32_e64 v56, 0, 1, s[16:17]
	v_cmp_gt_u64_e64 s[16:17], s[52:53], v[24:25]
	v_cmp_neq_f32_e64 s[18:19], v27, v7
	s_and_b64 s[16:17], s[16:17], s[18:19]
	v_cndmask_b32_e64 v57, 0, 1, s[16:17]
	s_mov_b32 s16, 0x70006
	v_pk_add_u16 v7, v6, s16 op_sel_hi:[0,1]
	v_alignbit_b32 v10, 0, v11, 16
	v_mov_b32_e32 v11, v25
	v_and_b32_e32 v24, 0xffff, v7
	v_cmp_gt_u64_e64 s[10:11], s[52:53], v[10:11]
	v_and_b32_e32 v26, 0xffff0000, v4
	v_alignbit_b32 v10, 0, v7, 16
	v_cmp_gt_u64_e64 s[16:17], s[52:53], v[24:25]
	v_add_u32_e32 v24, 5, v6
	v_lshlrev_b32_e32 v7, 16, v4
	v_lshlrev_b32_e32 v9, 16, v5
	v_cmp_gt_u64_e64 s[24:25], s[52:53], v[24:25]
	v_cmp_neq_f32_e64 s[26:27], v26, v7
	v_cmp_neq_f32_e64 s[22:23], v9, v27
	s_and_b64 s[24:25], s[24:25], s[26:27]
	v_add_u32_e32 v24, 4, v6
	v_and_b32_e32 v27, 0xffff0000, v3
	v_cndmask_b32_e64 v60, 0, 1, s[24:25]
	v_cmp_gt_u64_e64 s[24:25], s[52:53], v[24:25]
	v_cmp_neq_f32_e64 s[26:27], v27, v7
	s_and_b64 s[24:25], s[24:25], s[26:27]
	v_cndmask_b32_e64 v63, 0, 1, s[24:25]
	s_mov_b32 s24, 0x30002
	v_pk_add_u16 v7, v6, s24 op_sel_hi:[0,1]
	s_and_b64 s[0:1], s[0:1], s[12:13]
	v_cmp_neq_f32_e64 s[20:21], v9, v26
	v_lshlrev_b32_e32 v9, 16, v3
	v_and_b32_e32 v26, 0xffff0000, v2
	v_and_b32_e32 v24, 0xffff, v7
	v_cndmask_b32_e64 v62, 0, 1, s[0:1]
	s_and_b64 s[0:1], s[10:11], s[14:15]
	v_cmp_gt_u64_e64 s[18:19], s[52:53], v[10:11]
	v_alignbit_b32 v10, 0, v7, 16
	v_cmp_gt_u64_e64 s[24:25], s[52:53], v[24:25]
	v_cmp_neq_f32_e64 s[28:29], v9, v26
	v_cmp_neq_f32_e64 s[30:31], v9, v27
	v_add_u32_e32 v24, 1, v6
	v_lshlrev_b32_e32 v9, 16, v2
	v_cndmask_b32_e64 v61, 0, 1, s[0:1]
	s_and_b64 s[0:1], vcc, s[8:9]
	v_mov_b32_e32 v7, v25
	v_cmp_gt_u64_e64 s[26:27], s[52:53], v[10:11]
	v_cmp_gt_u64_e64 s[36:37], s[52:53], v[24:25]
	v_cmp_neq_f32_e64 s[38:39], v26, v9
	s_and_b64 s[24:25], s[24:25], s[28:29]
	s_and_b64 s[16:17], s[16:17], s[20:21]
	v_cndmask_b32_e64 v58, 0, 1, s[0:1]
	s_and_b64 s[0:1], s[4:5], s[6:7]
	v_cmp_gt_u64_e32 vcc, s[52:53], v[6:7]
	s_waitcnt vmcnt(0) lgkmcnt(0)
	v_lshlrev_b32_e32 v6, 16, v8
	s_and_b64 s[36:37], s[36:37], s[38:39]
	v_cndmask_b32_e64 v68, 0, 1, s[24:25]
	s_and_b64 s[24:25], s[26:27], s[30:31]
	v_cndmask_b32_e64 v65, 0, 1, s[16:17]
	;; [unrolled: 2-line block ×3, first 2 shown]
	v_cmp_neq_f32_e64 s[0:1], v6, v9
	v_cndmask_b32_e64 v67, 0, 1, s[36:37]
	v_cndmask_b32_e64 v66, 0, 1, s[24:25]
	;; [unrolled: 1-line block ×3, first 2 shown]
	s_and_b64 s[4:5], vcc, s[0:1]
	s_mov_b64 s[6:7], -1
.LBB884_53:
                                        ; implicit-def: $sgpr12
	v_mov_b32_e32 v69, s12
	s_and_saveexec_b64 s[0:1], s[6:7]
	s_cbranch_execnz .LBB884_58
	s_branch .LBB884_59
.LBB884_54:
                                        ; implicit-def: $sgpr4_sgpr5
                                        ; implicit-def: $vgpr59
                                        ; implicit-def: $vgpr58
                                        ; implicit-def: $vgpr15
                                        ; implicit-def: $vgpr61
                                        ; implicit-def: $vgpr62
                                        ; implicit-def: $vgpr56
                                        ; implicit-def: $vgpr57
                                        ; implicit-def: $vgpr64
                                        ; implicit-def: $vgpr65
                                        ; implicit-def: $vgpr60
                                        ; implicit-def: $vgpr63
                                        ; implicit-def: $vgpr66
                                        ; implicit-def: $vgpr68
                                        ; implicit-def: $vgpr67
	s_cbranch_execz .LBB884_53
; %bb.55:
	v_mad_u32_u24 v6, v0, 15, 14
	v_mov_b32_e32 v7, 0
	v_cmp_gt_u64_e32 vcc, s[52:53], v[6:7]
	v_mad_u32_u24 v6, v0, 15, 13
	v_lshlrev_b32_e32 v9, 16, v1
	v_cmp_gt_u64_e64 s[0:1], s[52:53], v[6:7]
	v_and_b32_e32 v6, 0xffff0000, v14
	v_lshlrev_b32_e32 v10, 16, v14
	v_cmp_neq_f32_e64 s[4:5], v6, v9
	s_and_b64 s[4:5], vcc, s[4:5]
	v_cmp_neq_f32_e32 vcc, v10, v6
	v_mad_u32_u24 v6, v0, 15, 12
	s_and_b64 s[0:1], s[0:1], vcc
	v_cmp_gt_u64_e32 vcc, s[52:53], v[6:7]
	v_mad_u32_u24 v6, v0, 15, 11
	v_cndmask_b32_e64 v58, 0, 1, s[0:1]
	v_cmp_gt_u64_e64 s[0:1], s[52:53], v[6:7]
	v_and_b32_e32 v6, 0xffff0000, v13
	v_cndmask_b32_e64 v59, 0, 1, s[4:5]
	v_lshlrev_b32_e32 v9, 16, v13
	v_cmp_neq_f32_e64 s[4:5], v6, v10
	s_and_b64 s[4:5], vcc, s[4:5]
	v_cmp_neq_f32_e32 vcc, v9, v6
	v_mad_u32_u24 v6, v0, 15, 10
	s_and_b64 s[0:1], s[0:1], vcc
	v_cmp_gt_u64_e32 vcc, s[52:53], v[6:7]
	v_mad_u32_u24 v6, v0, 15, 9
	v_cndmask_b32_e64 v61, 0, 1, s[0:1]
	v_cmp_gt_u64_e64 s[0:1], s[52:53], v[6:7]
	v_and_b32_e32 v6, 0xffff0000, v12
	v_cndmask_b32_e64 v15, 0, 1, s[4:5]
	;; [unrolled: 12-line block ×6, first 2 shown]
	v_lshlrev_b32_e32 v9, 16, v2
	v_cmp_neq_f32_e64 s[4:5], v6, v11
	s_and_b64 s[4:5], vcc, s[4:5]
	v_cmp_neq_f32_e32 vcc, v9, v6
	s_and_b64 s[0:1], s[0:1], vcc
	s_mov_b32 s12, 1
	v_lshlrev_b32_e32 v8, 1, v0
	v_cndmask_b32_e64 v68, 0, 1, s[4:5]
	v_cndmask_b32_e64 v67, 0, 1, s[0:1]
	ds_write_b16 v8, v1
	s_waitcnt lgkmcnt(0)
	s_barrier
	s_waitcnt lgkmcnt(0)
                                        ; implicit-def: $sgpr4_sgpr5
	s_and_saveexec_b64 s[8:9], s[2:3]
	s_cbranch_execz .LBB884_150
; %bb.56:
	v_add_u32_e32 v6, -2, v8
	ds_read_u16 v8, v6
	v_mul_u32_u24_e32 v6, 15, v0
	v_cmp_gt_u64_e32 vcc, s[52:53], v[6:7]
	s_or_b64 s[6:7], s[6:7], exec
	s_waitcnt lgkmcnt(0)
	v_lshlrev_b32_e32 v6, 16, v8
	v_cmp_neq_f32_e64 s[0:1], v9, v6
	s_and_b64 s[0:1], vcc, s[0:1]
	s_and_b64 s[4:5], s[0:1], exec
	s_or_b64 exec, exec, s[8:9]
.LBB884_57:
	v_mov_b32_e32 v69, s12
	s_and_saveexec_b64 s[0:1], s[6:7]
.LBB884_58:
	v_cndmask_b32_e64 v69, 0, 1, s[4:5]
.LBB884_59:
	s_or_b64 exec, exec, s[0:1]
	s_cmp_eq_u64 s[42:43], 0
	v_add3_u32 v6, v67, v69, v68
	s_cselect_b64 s[30:31], -1, 0
	s_cmp_lg_u32 s60, 0
	v_cmp_eq_u32_e64 s[26:27], 0, v67
	v_cmp_eq_u32_e64 s[24:25], 0, v68
	;; [unrolled: 1-line block ×3, first 2 shown]
	v_add3_u32 v80, v6, v66, v63
	v_cmp_eq_u32_e64 s[20:21], 0, v63
	v_cmp_eq_u32_e64 s[18:19], 0, v60
	v_cmp_eq_u32_e64 s[16:17], 0, v65
	v_cmp_eq_u32_e64 s[14:15], 0, v64
	v_cmp_eq_u32_e64 s[12:13], 0, v57
	v_cmp_eq_u32_e64 s[10:11], 0, v56
	v_cmp_eq_u32_e64 s[8:9], 0, v62
	v_cmp_eq_u32_e64 s[6:7], 0, v61
	v_cmp_eq_u32_e64 s[4:5], 0, v15
	v_cmp_eq_u32_e64 s[2:3], 0, v58
	v_cmp_eq_u32_e32 vcc, 0, v59
	v_mbcnt_lo_u32_b32 v79, -1, 0
	v_lshrrev_b32_e32 v77, 6, v0
	v_or_b32_e32 v78, 63, v0
	s_cbranch_scc0 .LBB884_86
; %bb.60:
	v_cndmask_b32_e64 v6, 0, v22, s[26:27]
	v_add_u32_e32 v6, v6, v23
	v_cndmask_b32_e64 v6, 0, v6, s[24:25]
	v_add_u32_e32 v6, v6, v75
	;; [unrolled: 2-line block ×11, first 2 shown]
	v_cndmask_b32_e64 v6, 0, v6, s[4:5]
	v_add3_u32 v7, v80, v60, v65
	v_add_u32_e32 v6, v6, v70
	v_add3_u32 v7, v7, v64, v57
	v_cndmask_b32_e64 v6, 0, v6, s[2:3]
	v_add3_u32 v7, v7, v56, v62
	v_add_u32_e32 v6, v6, v17
	v_add3_u32 v7, v7, v61, v15
	v_cndmask_b32_e32 v6, 0, v6, vcc
	v_add3_u32 v7, v7, v58, v59
	v_add_u32_e32 v6, v6, v76
	v_mbcnt_hi_u32_b32 v27, -1, v79
	v_and_b32_e32 v8, 15, v27
	v_mov_b32_dpp v10, v6 row_shr:1 row_mask:0xf bank_mask:0xf
	v_cmp_eq_u32_e32 vcc, 0, v7
	v_mov_b32_dpp v9, v7 row_shr:1 row_mask:0xf bank_mask:0xf
	v_cmp_lt_u32_e64 s[0:1], 1, v8
	v_cndmask_b32_e32 v10, 0, v10, vcc
	v_cmp_eq_u32_e32 vcc, 0, v8
	s_nop 1
	v_cndmask_b32_e64 v9, v9, 0, vcc
	v_add_u32_e32 v7, v9, v7
	v_cndmask_b32_e64 v9, v10, 0, vcc
	v_add_u32_e32 v6, v9, v6
	v_cmp_eq_u32_e32 vcc, 0, v7
	v_mov_b32_dpp v9, v7 row_shr:2 row_mask:0xf bank_mask:0xf
	v_mov_b32_dpp v10, v6 row_shr:2 row_mask:0xf bank_mask:0xf
	v_cndmask_b32_e64 v9, 0, v9, s[0:1]
	s_and_b64 vcc, s[0:1], vcc
	v_cndmask_b32_e32 v10, 0, v10, vcc
	v_add_u32_e32 v7, v7, v9
	v_add_u32_e32 v6, v10, v6
	v_cmp_eq_u32_e32 vcc, 0, v7
	v_mov_b32_dpp v9, v7 row_shr:4 row_mask:0xf bank_mask:0xf
	v_cmp_lt_u32_e64 s[0:1], 3, v8
	v_mov_b32_dpp v10, v6 row_shr:4 row_mask:0xf bank_mask:0xf
	s_and_b64 vcc, s[0:1], vcc
	v_cndmask_b32_e64 v9, 0, v9, s[0:1]
	v_cndmask_b32_e32 v10, 0, v10, vcc
	v_add_u32_e32 v7, v9, v7
	v_add_u32_e32 v6, v6, v10
	v_cmp_eq_u32_e32 vcc, 0, v7
	v_cmp_lt_u32_e64 s[0:1], 7, v8
	v_mov_b32_dpp v9, v7 row_shr:8 row_mask:0xf bank_mask:0xf
	v_mov_b32_dpp v10, v6 row_shr:8 row_mask:0xf bank_mask:0xf
	s_and_b64 vcc, s[0:1], vcc
	v_cndmask_b32_e64 v8, 0, v9, s[0:1]
	v_cndmask_b32_e32 v9, 0, v10, vcc
	v_add_u32_e32 v6, v9, v6
	v_add_u32_e32 v7, v8, v7
	v_bfe_i32 v10, v27, 4, 1
	v_mov_b32_dpp v9, v6 row_bcast:15 row_mask:0xf bank_mask:0xf
	v_mov_b32_dpp v8, v7 row_bcast:15 row_mask:0xf bank_mask:0xf
	v_cmp_eq_u32_e32 vcc, 0, v7
	v_and_b32_e32 v8, v10, v8
	v_add_u32_e32 v7, v8, v7
	v_cndmask_b32_e32 v9, 0, v9, vcc
	v_and_b32_e32 v8, v10, v9
	v_add_u32_e32 v8, v8, v6
	v_mov_b32_dpp v6, v7 row_bcast:31 row_mask:0xf bank_mask:0xf
	v_cmp_eq_u32_e32 vcc, 0, v7
	v_cmp_lt_u32_e64 s[0:1], 31, v27
	v_mov_b32_dpp v9, v8 row_bcast:31 row_mask:0xf bank_mask:0xf
	s_and_b64 vcc, s[0:1], vcc
	v_cndmask_b32_e64 v6, 0, v6, s[0:1]
	v_add_u32_e32 v6, v6, v7
	v_cndmask_b32_e32 v7, 0, v9, vcc
	v_add_u32_e32 v7, v7, v8
	v_cmp_eq_u32_e32 vcc, v78, v0
	v_lshlrev_b32_e32 v8, 3, v77
	s_and_saveexec_b64 s[0:1], vcc
	s_cbranch_execz .LBB884_62
; %bb.61:
	ds_write_b64 v8, v[6:7] offset:1040
.LBB884_62:
	s_or_b64 exec, exec, s[0:1]
	v_cmp_gt_u32_e32 vcc, 4, v0
	s_waitcnt lgkmcnt(0)
	s_barrier
	s_and_saveexec_b64 s[28:29], vcc
	s_cbranch_execz .LBB884_64
; %bb.63:
	v_lshlrev_b32_e32 v9, 3, v0
	ds_read_b64 v[10:11], v9 offset:1040
	v_and_b32_e32 v24, 3, v27
	v_cmp_lt_u32_e64 s[0:1], 1, v24
	s_waitcnt lgkmcnt(0)
	v_mov_b32_dpp v26, v11 row_shr:1 row_mask:0xf bank_mask:0xf
	v_cmp_eq_u32_e32 vcc, 0, v10
	v_mov_b32_dpp v25, v10 row_shr:1 row_mask:0xf bank_mask:0xf
	s_nop 0
	v_cndmask_b32_e32 v26, 0, v26, vcc
	v_cmp_eq_u32_e32 vcc, 0, v24
	s_nop 1
	v_cndmask_b32_e64 v25, v25, 0, vcc
	v_add_u32_e32 v10, v25, v10
	v_cndmask_b32_e64 v25, v26, 0, vcc
	v_add_u32_e32 v11, v25, v11
	v_cmp_eq_u32_e32 vcc, 0, v10
	v_mov_b32_dpp v25, v10 row_shr:2 row_mask:0xf bank_mask:0xf
	v_mov_b32_dpp v26, v11 row_shr:2 row_mask:0xf bank_mask:0xf
	v_cndmask_b32_e64 v24, 0, v25, s[0:1]
	s_and_b64 vcc, s[0:1], vcc
	v_add_u32_e32 v10, v24, v10
	v_cndmask_b32_e32 v24, 0, v26, vcc
	v_add_u32_e32 v11, v24, v11
	ds_write_b64 v9, v[10:11] offset:1040
.LBB884_64:
	s_or_b64 exec, exec, s[28:29]
	v_cmp_gt_u32_e32 vcc, 64, v0
	v_cmp_lt_u32_e64 s[0:1], 63, v0
	v_mov_b32_e32 v24, 0
	v_mov_b32_e32 v25, 0
	s_waitcnt lgkmcnt(0)
	s_barrier
	s_and_saveexec_b64 s[28:29], s[0:1]
	s_cbranch_execz .LBB884_66
; %bb.65:
	ds_read_b64 v[24:25], v8 offset:1032
	v_cmp_eq_u32_e64 s[0:1], 0, v6
	s_waitcnt lgkmcnt(0)
	v_add_u32_e32 v8, v24, v6
	v_cndmask_b32_e64 v6, 0, v25, s[0:1]
	v_add_u32_e32 v7, v6, v7
	v_mov_b32_e32 v6, v8
.LBB884_66:
	s_or_b64 exec, exec, s[28:29]
	v_add_u32_e32 v8, -1, v27
	v_and_b32_e32 v9, 64, v27
	v_cmp_lt_i32_e64 s[0:1], v8, v9
	v_cmp_eq_u32_e64 s[28:29], 0, v27
	s_nop 0
	v_cndmask_b32_e64 v8, v8, v27, s[0:1]
	v_lshlrev_b32_e32 v8, 2, v8
	ds_bpermute_b32 v32, v8, v6
	ds_bpermute_b32 v33, v8, v7
	s_and_saveexec_b64 s[36:37], vcc
	s_cbranch_execz .LBB884_85
; %bb.67:
	v_mov_b32_e32 v11, 0
	ds_read_b64 v[6:7], v11 offset:1064
	s_waitcnt lgkmcnt(0)
	v_readfirstlane_b32 s42, v6
	v_readfirstlane_b32 s43, v7
	s_and_saveexec_b64 s[0:1], s[28:29]
	s_cbranch_execz .LBB884_69
; %bb.68:
	s_add_i32 s38, s60, 64
	s_mov_b32 s39, 0
	s_lshl_b64 s[52:53], s[38:39], 4
	s_add_u32 s52, s40, s52
	s_addc_u32 s53, s41, s53
	s_and_b32 s63, s43, 0xff000000
	s_mov_b32 s62, s39
	s_and_b32 s65, s43, 0xff0000
	s_mov_b32 s64, s39
	s_or_b64 s[62:63], s[64:65], s[62:63]
	s_and_b32 s65, s43, 0xff00
	s_or_b64 s[62:63], s[62:63], s[64:65]
	s_and_b32 s65, s43, 0xff
	s_or_b64 s[38:39], s[62:63], s[64:65]
	v_mov_b32_e32 v8, s42
	v_mov_b32_e32 v9, s39
	;; [unrolled: 1-line block ×3, first 2 shown]
	v_mov_b64_e32 v[6:7], s[52:53]
	;;#ASMSTART
	global_store_dwordx4 v[6:7], v[8:11] off sc1	
s_waitcnt vmcnt(0)
	;;#ASMEND
.LBB884_69:
	s_or_b64 exec, exec, s[0:1]
	v_xad_u32 v26, v27, -1, s60
	v_add_u32_e32 v10, 64, v26
	v_lshl_add_u64 v[28:29], v[10:11], 4, s[40:41]
	;;#ASMSTART
	global_load_dwordx4 v[6:9], v[28:29] off sc1	
s_waitcnt vmcnt(0)
	;;#ASMEND
	s_nop 0
	v_and_b32_e32 v9, 0xff, v7
	v_and_b32_e32 v10, 0xff00, v7
	v_or3_b32 v6, v6, 0, 0
	v_and_b32_e32 v30, 0xff000000, v7
	v_or3_b32 v9, 0, v9, v10
	;; [unrolled: 2-line block ×3, first 2 shown]
	v_or3_b32 v6, v6, 0, 0
	v_cmp_eq_u16_sdwa s[38:39], v8, v11 src0_sel:BYTE_0 src1_sel:DWORD
	s_and_saveexec_b64 s[0:1], s[38:39]
	s_cbranch_execz .LBB884_73
; %bb.70:
	s_mov_b64 s[38:39], 0
	v_mov_b32_e32 v10, 0
.LBB884_71:                             ; =>This Inner Loop Header: Depth=1
	;;#ASMSTART
	global_load_dwordx4 v[6:9], v[28:29] off sc1	
s_waitcnt vmcnt(0)
	;;#ASMEND
	s_nop 0
	v_cmp_ne_u16_sdwa s[52:53], v8, v10 src0_sel:BYTE_0 src1_sel:DWORD
	s_or_b64 s[38:39], s[52:53], s[38:39]
	s_andn2_b64 exec, exec, s[38:39]
	s_cbranch_execnz .LBB884_71
; %bb.72:
	s_or_b64 exec, exec, s[38:39]
.LBB884_73:
	s_or_b64 exec, exec, s[0:1]
	v_mov_b32_e32 v34, 2
	v_cmp_eq_u16_sdwa s[0:1], v8, v34 src0_sel:BYTE_0 src1_sel:DWORD
	v_lshlrev_b64 v[28:29], v27, -1
	v_and_b32_e32 v35, 63, v27
	v_and_b32_e32 v9, s1, v29
	v_or_b32_e32 v9, 0x80000000, v9
	v_cmp_ne_u32_e32 vcc, 63, v35
	v_and_b32_e32 v10, s0, v28
	v_ffbl_b32_e32 v9, v9
	v_addc_co_u32_e32 v11, vcc, 0, v27, vcc
	v_add_u32_e32 v9, 32, v9
	v_ffbl_b32_e32 v10, v10
	v_lshlrev_b32_e32 v36, 2, v11
	v_min_u32_e32 v9, v10, v9
	ds_bpermute_b32 v10, v36, v7
	v_cmp_eq_u32_e32 vcc, 0, v6
	v_cmp_lt_u32_e64 s[0:1], v35, v9
	ds_bpermute_b32 v11, v36, v6
	s_and_b64 vcc, s[0:1], vcc
	s_waitcnt lgkmcnt(1)
	v_cndmask_b32_e32 v10, 0, v10, vcc
	v_cmp_gt_u32_e32 vcc, 62, v35
	v_add_u32_e32 v7, v10, v7
	s_waitcnt lgkmcnt(0)
	v_cndmask_b32_e64 v11, 0, v11, s[0:1]
	v_cndmask_b32_e64 v10, 0, 1, vcc
	v_lshlrev_b32_e32 v10, 1, v10
	v_add_lshl_u32 v37, v10, v27, 2
	ds_bpermute_b32 v10, v37, v7
	v_add_u32_e32 v6, v11, v6
	ds_bpermute_b32 v11, v37, v6
	v_add_u32_e32 v38, 2, v35
	v_cmp_eq_u32_e32 vcc, 0, v6
	v_add_u32_e32 v40, 4, v35
	v_add_u32_e32 v42, 8, v35
	s_waitcnt lgkmcnt(1)
	v_cndmask_b32_e32 v10, 0, v10, vcc
	v_cmp_gt_u32_e32 vcc, v38, v9
	v_add_u32_e32 v44, 16, v35
	v_add_u32_e32 v46, 32, v35
	v_cndmask_b32_e64 v10, v10, 0, vcc
	v_add_u32_e32 v7, v10, v7
	s_waitcnt lgkmcnt(0)
	v_cndmask_b32_e64 v10, v11, 0, vcc
	v_cmp_gt_u32_e32 vcc, 60, v35
	v_add_u32_e32 v6, v6, v10
	s_nop 0
	v_cndmask_b32_e64 v11, 0, 1, vcc
	v_lshlrev_b32_e32 v11, 2, v11
	v_add_lshl_u32 v39, v11, v27, 2
	ds_bpermute_b32 v11, v39, v7
	ds_bpermute_b32 v10, v39, v6
	v_cmp_eq_u32_e32 vcc, 0, v6
	s_waitcnt lgkmcnt(1)
	s_nop 0
	v_cndmask_b32_e32 v11, 0, v11, vcc
	v_cmp_gt_u32_e32 vcc, v40, v9
	s_nop 1
	v_cndmask_b32_e64 v11, v11, 0, vcc
	s_waitcnt lgkmcnt(0)
	v_cndmask_b32_e64 v10, v10, 0, vcc
	v_cmp_gt_u32_e32 vcc, 56, v35
	v_add_u32_e32 v7, v7, v11
	v_add_u32_e32 v6, v6, v10
	v_cndmask_b32_e64 v11, 0, 1, vcc
	v_lshlrev_b32_e32 v11, 3, v11
	v_add_lshl_u32 v41, v11, v27, 2
	ds_bpermute_b32 v11, v41, v7
	ds_bpermute_b32 v10, v41, v6
	v_cmp_eq_u32_e32 vcc, 0, v6
	s_waitcnt lgkmcnt(1)
	s_nop 0
	v_cndmask_b32_e32 v11, 0, v11, vcc
	v_cmp_gt_u32_e32 vcc, v42, v9
	s_nop 1
	v_cndmask_b32_e64 v11, v11, 0, vcc
	s_waitcnt lgkmcnt(0)
	v_cndmask_b32_e64 v10, v10, 0, vcc
	v_cmp_gt_u32_e32 vcc, 48, v35
	v_add_u32_e32 v7, v7, v11
	v_add_u32_e32 v6, v6, v10
	;; [unrolled: 17-line block ×3, first 2 shown]
	v_cndmask_b32_e64 v11, 0, 1, vcc
	v_lshlrev_b32_e32 v11, 5, v11
	v_add_lshl_u32 v45, v11, v27, 2
	ds_bpermute_b32 v11, v45, v7
	ds_bpermute_b32 v10, v45, v6
	v_cmp_eq_u32_e32 vcc, 0, v6
	v_mov_b32_e32 v27, 0
	s_waitcnt lgkmcnt(1)
	v_cndmask_b32_e32 v11, 0, v11, vcc
	v_cmp_gt_u32_e32 vcc, v46, v9
	s_nop 1
	v_cndmask_b32_e64 v9, v11, 0, vcc
	v_add_u32_e32 v7, v9, v7
	s_waitcnt lgkmcnt(0)
	v_cndmask_b32_e64 v9, v10, 0, vcc
	v_add_u32_e32 v6, v9, v6
	s_branch .LBB884_75
.LBB884_74:                             ;   in Loop: Header=BB884_75 Depth=1
	s_or_b64 exec, exec, s[0:1]
	v_cmp_eq_u16_sdwa s[0:1], v8, v34 src0_sel:BYTE_0 src1_sel:DWORD
	v_cmp_eq_u32_e32 vcc, 0, v6
	ds_bpermute_b32 v31, v36, v6
	v_and_b32_e32 v9, s1, v29
	v_or_b32_e32 v9, 0x80000000, v9
	v_and_b32_e32 v30, s0, v28
	v_ffbl_b32_e32 v9, v9
	v_add_u32_e32 v9, 32, v9
	v_ffbl_b32_e32 v30, v30
	v_min_u32_e32 v9, v30, v9
	ds_bpermute_b32 v30, v36, v7
	v_cmp_lt_u32_e64 s[0:1], v35, v9
	s_and_b64 vcc, s[0:1], vcc
	v_subrev_u32_e32 v26, 64, v26
	s_waitcnt lgkmcnt(1)
	v_cndmask_b32_e64 v31, 0, v31, s[0:1]
	s_waitcnt lgkmcnt(0)
	v_cndmask_b32_e32 v30, 0, v30, vcc
	v_add_u32_e32 v7, v30, v7
	ds_bpermute_b32 v30, v37, v7
	v_add_u32_e32 v6, v31, v6
	v_cmp_eq_u32_e32 vcc, 0, v6
	ds_bpermute_b32 v31, v37, v6
	s_waitcnt lgkmcnt(1)
	v_cndmask_b32_e32 v30, 0, v30, vcc
	v_cmp_gt_u32_e32 vcc, v38, v9
	s_nop 1
	v_cndmask_b32_e64 v30, v30, 0, vcc
	v_add_u32_e32 v7, v30, v7
	ds_bpermute_b32 v30, v39, v7
	s_waitcnt lgkmcnt(1)
	v_cndmask_b32_e64 v31, v31, 0, vcc
	v_add_u32_e32 v6, v6, v31
	v_cmp_eq_u32_e32 vcc, 0, v6
	ds_bpermute_b32 v31, v39, v6
	s_waitcnt lgkmcnt(1)
	v_cndmask_b32_e32 v30, 0, v30, vcc
	v_cmp_gt_u32_e32 vcc, v40, v9
	s_nop 1
	v_cndmask_b32_e64 v30, v30, 0, vcc
	v_add_u32_e32 v7, v7, v30
	ds_bpermute_b32 v30, v41, v7
	s_waitcnt lgkmcnt(1)
	v_cndmask_b32_e64 v31, v31, 0, vcc
	v_add_u32_e32 v6, v6, v31
	ds_bpermute_b32 v31, v41, v6
	v_cmp_eq_u32_e32 vcc, 0, v6
	s_waitcnt lgkmcnt(1)
	s_nop 0
	v_cndmask_b32_e32 v30, 0, v30, vcc
	v_cmp_gt_u32_e32 vcc, v42, v9
	s_nop 1
	v_cndmask_b32_e64 v30, v30, 0, vcc
	v_add_u32_e32 v7, v7, v30
	ds_bpermute_b32 v30, v43, v7
	s_waitcnt lgkmcnt(1)
	v_cndmask_b32_e64 v31, v31, 0, vcc
	v_add_u32_e32 v6, v6, v31
	ds_bpermute_b32 v31, v43, v6
	v_cmp_eq_u32_e32 vcc, 0, v6
	s_waitcnt lgkmcnt(1)
	s_nop 0
	;; [unrolled: 13-line block ×3, first 2 shown]
	v_cndmask_b32_e32 v30, 0, v30, vcc
	v_cmp_gt_u32_e32 vcc, v46, v9
	s_nop 1
	v_cndmask_b32_e64 v9, v30, 0, vcc
	v_add_u32_e32 v7, v9, v7
	s_waitcnt lgkmcnt(0)
	v_cndmask_b32_e64 v9, v31, 0, vcc
	v_cmp_eq_u32_e32 vcc, 0, v10
	v_add3_u32 v6, v6, v10, v9
	s_nop 0
	v_cndmask_b32_e32 v7, 0, v7, vcc
	v_add_u32_e32 v7, v7, v11
.LBB884_75:                             ; =>This Loop Header: Depth=1
                                        ;     Child Loop BB884_78 Depth 2
	v_cmp_ne_u16_sdwa s[0:1], v8, v34 src0_sel:BYTE_0 src1_sel:DWORD
	v_mov_b32_e32 v11, v7
	v_mov_b32_e32 v10, v6
	v_cndmask_b32_e64 v7, 0, 1, s[0:1]
	;;#ASMSTART
	;;#ASMEND
	s_nop 0
	v_cmp_ne_u32_e32 vcc, 0, v7
	s_cmp_lg_u64 vcc, exec
	s_cbranch_scc1 .LBB884_80
; %bb.76:                               ;   in Loop: Header=BB884_75 Depth=1
	v_lshl_add_u64 v[30:31], v[26:27], 4, s[40:41]
	;;#ASMSTART
	global_load_dwordx4 v[6:9], v[30:31] off sc1	
s_waitcnt vmcnt(0)
	;;#ASMEND
	s_nop 0
	v_and_b32_e32 v9, 0xff, v7
	v_and_b32_e32 v47, 0xff00, v7
	v_or3_b32 v6, v6, 0, 0
	v_and_b32_e32 v48, 0xff000000, v7
	v_or3_b32 v9, 0, v9, v47
	v_and_b32_e32 v7, 0xff0000, v7
	v_or3_b32 v7, v9, v7, v48
	v_or3_b32 v6, v6, 0, 0
	v_cmp_eq_u16_sdwa s[38:39], v8, v27 src0_sel:BYTE_0 src1_sel:DWORD
	s_and_saveexec_b64 s[0:1], s[38:39]
	s_cbranch_execz .LBB884_74
; %bb.77:                               ;   in Loop: Header=BB884_75 Depth=1
	s_mov_b64 s[38:39], 0
.LBB884_78:                             ;   Parent Loop BB884_75 Depth=1
                                        ; =>  This Inner Loop Header: Depth=2
	;;#ASMSTART
	global_load_dwordx4 v[6:9], v[30:31] off sc1	
s_waitcnt vmcnt(0)
	;;#ASMEND
	s_nop 0
	v_cmp_ne_u16_sdwa s[52:53], v8, v27 src0_sel:BYTE_0 src1_sel:DWORD
	s_or_b64 s[38:39], s[52:53], s[38:39]
	s_andn2_b64 exec, exec, s[38:39]
	s_cbranch_execnz .LBB884_78
; %bb.79:                               ;   in Loop: Header=BB884_75 Depth=1
	s_or_b64 exec, exec, s[38:39]
	s_branch .LBB884_74
.LBB884_80:                             ;   in Loop: Header=BB884_75 Depth=1
                                        ; implicit-def: $vgpr7
                                        ; implicit-def: $vgpr6
                                        ; implicit-def: $vgpr8
	s_cbranch_execz .LBB884_75
; %bb.81:
	s_and_saveexec_b64 s[0:1], s[28:29]
	s_cbranch_execz .LBB884_83
; %bb.82:
	s_cmp_eq_u32 s42, 0
	s_cselect_b64 vcc, -1, 0
	s_mov_b32 s39, 0
	v_cndmask_b32_e32 v6, 0, v11, vcc
	s_add_i32 s38, s60, 64
	v_add_u32_e32 v6, s43, v6
	s_lshl_b64 s[38:39], s[38:39], 4
	s_add_u32 s38, s40, s38
	v_and_b32_e32 v7, 0xff000000, v6
	v_and_b32_e32 v8, 0xff0000, v6
	s_addc_u32 s39, s41, s39
	v_or_b32_e32 v7, v8, v7
	v_and_b32_e32 v8, 0xff00, v6
	v_and_b32_e32 v6, 0xff, v6
	v_add_u32_e32 v26, s42, v10
	v_mov_b32_e32 v29, 0
	v_or3_b32 v27, v7, v8, v6
	v_mov_b32_e32 v28, 2
	v_mov_b64_e32 v[6:7], s[38:39]
	;;#ASMSTART
	global_store_dwordx4 v[6:7], v[26:29] off sc1	
s_waitcnt vmcnt(0)
	;;#ASMEND
	v_mov_b32_e32 v8, s42
	v_mov_b32_e32 v9, s43
	ds_write_b128 v29, v[8:11] offset:1024
.LBB884_83:
	s_or_b64 exec, exec, s[0:1]
	s_and_b64 exec, exec, s[34:35]
	s_cbranch_execz .LBB884_85
; %bb.84:
	v_mov_b32_e32 v6, 0
	ds_write_b64 v6, v[10:11] offset:1064
.LBB884_85:
	s_or_b64 exec, exec, s[36:37]
	v_mov_b32_e32 v8, 0
	s_waitcnt lgkmcnt(0)
	s_barrier
	ds_read_b64 v[6:7], v8 offset:1064
	v_cndmask_b32_e64 v10, v32, v24, s[28:29]
	v_cmp_eq_u32_e32 vcc, 0, v10
	v_cndmask_b32_e64 v9, v33, v25, s[28:29]
	s_waitcnt lgkmcnt(0)
	v_cndmask_b32_e32 v11, 0, v7, vcc
	v_add_u32_e32 v9, v11, v9
	v_cndmask_b32_e64 v55, v9, v7, s[34:35]
	v_cndmask_b32_e64 v7, v10, 0, s[34:35]
	v_cmp_eq_u32_e32 vcc, 0, v69
	v_add_u32_e32 v54, v6, v7
	v_add_u32_e32 v52, v54, v69
	v_cndmask_b32_e32 v6, 0, v55, vcc
	v_add_u32_e32 v53, v6, v22
	v_cndmask_b32_e64 v6, 0, v53, s[26:27]
	v_add_u32_e32 v51, v6, v23
	v_cndmask_b32_e64 v6, 0, v51, s[24:25]
	;; [unrolled: 2-line block ×8, first 2 shown]
	v_add_u32_e32 v37, v6, v72
	v_add_u32_e32 v50, v52, v67
	v_cndmask_b32_e64 v6, 0, v37, s[10:11]
	v_add_u32_e32 v48, v50, v68
	v_add_u32_e32 v35, v6, v19
	v_add_u32_e32 v46, v48, v66
	v_cndmask_b32_e64 v6, 0, v35, s[8:9]
	v_add_u32_e32 v44, v46, v63
	;; [unrolled: 4-line block ×3, first 2 shown]
	v_add_u32_e32 v31, v6, v16
	s_barrier
	ds_read_b128 v[6:9], v8 offset:1024
	v_add_u32_e32 v38, v40, v64
	v_add_u32_e32 v36, v38, v57
	;; [unrolled: 1-line block ×4, first 2 shown]
	v_cndmask_b32_e64 v10, 0, v31, s[4:5]
	v_add_u32_e32 v30, v32, v61
	v_add_u32_e32 v29, v10, v70
	s_waitcnt lgkmcnt(0)
	v_cmp_eq_u32_e32 vcc, 0, v6
	v_add_u32_e32 v28, v30, v15
	v_cndmask_b32_e64 v10, 0, v29, s[2:3]
	v_cndmask_b32_e32 v9, 0, v9, vcc
	v_add_u32_e32 v26, v28, v58
	v_add_u32_e32 v27, v10, v17
	;; [unrolled: 1-line block ×3, first 2 shown]
	s_branch .LBB884_98
.LBB884_86:
                                        ; implicit-def: $vgpr6
                                        ; implicit-def: $vgpr24
                                        ; implicit-def: $vgpr54_vgpr55
                                        ; implicit-def: $vgpr52_vgpr53
                                        ; implicit-def: $vgpr50_vgpr51
                                        ; implicit-def: $vgpr48_vgpr49
                                        ; implicit-def: $vgpr46_vgpr47
                                        ; implicit-def: $vgpr44_vgpr45
                                        ; implicit-def: $vgpr42_vgpr43
                                        ; implicit-def: $vgpr40_vgpr41
                                        ; implicit-def: $vgpr38_vgpr39
                                        ; implicit-def: $vgpr36_vgpr37
                                        ; implicit-def: $vgpr34_vgpr35
                                        ; implicit-def: $vgpr32_vgpr33
                                        ; implicit-def: $vgpr30_vgpr31
                                        ; implicit-def: $vgpr28_vgpr29
                                        ; implicit-def: $vgpr26_vgpr27
	s_cbranch_execz .LBB884_98
; %bb.87:
	s_and_b64 s[0:1], s[30:31], exec
	s_cselect_b32 s1, 0, s59
	s_cselect_b32 s0, 0, s58
	s_cmp_eq_u64 s[0:1], 0
	v_mov_b32_e32 v10, v22
	s_cbranch_scc1 .LBB884_89
; %bb.88:
	v_mov_b32_e32 v6, 0
	global_load_dword v10, v6, s[0:1]
.LBB884_89:
	v_cmp_eq_u32_e64 s[2:3], 0, v67
	v_cmp_eq_u32_e64 s[4:5], 0, v68
	v_cmp_eq_u32_e64 s[6:7], 0, v66
	v_cndmask_b32_e64 v6, 0, v22, s[2:3]
	v_add_u32_e32 v6, v6, v23
	v_cndmask_b32_e64 v6, 0, v6, s[4:5]
	v_add_u32_e32 v6, v6, v75
	v_cndmask_b32_e64 v6, 0, v6, s[6:7]
	v_add_u32_e32 v6, v6, v20
	v_cmp_eq_u32_e64 s[8:9], 0, v63
	v_cmp_eq_u32_e64 s[10:11], 0, v60
	v_cmp_eq_u32_e64 s[12:13], 0, v65
	v_cndmask_b32_e64 v6, 0, v6, s[8:9]
	v_add_u32_e32 v6, v6, v74
	v_cndmask_b32_e64 v6, 0, v6, s[10:11]
	v_add_u32_e32 v6, v6, v21
	v_cndmask_b32_e64 v6, 0, v6, s[12:13]
	v_add_u32_e32 v6, v6, v73
	;; [unrolled: 9-line block ×3, first 2 shown]
	v_cmp_eq_u32_e64 s[20:21], 0, v62
	v_cmp_eq_u32_e64 s[22:23], 0, v61
	;; [unrolled: 1-line block ×3, first 2 shown]
	v_cndmask_b32_e64 v6, 0, v6, s[20:21]
	v_add_u32_e32 v6, v6, v71
	v_cndmask_b32_e64 v6, 0, v6, s[22:23]
	v_add_u32_e32 v6, v6, v16
	v_cndmask_b32_e64 v6, 0, v6, s[24:25]
	v_add3_u32 v7, v80, v60, v65
	v_add_u32_e32 v6, v6, v70
	v_cmp_eq_u32_e32 vcc, 0, v58
	v_add3_u32 v7, v7, v64, v57
	v_add3_u32 v7, v7, v56, v62
	v_cndmask_b32_e32 v6, 0, v6, vcc
	v_add_u32_e32 v6, v6, v17
	v_cmp_eq_u32_e64 s[0:1], 0, v59
	v_add3_u32 v7, v7, v61, v15
	v_add3_u32 v7, v7, v58, v59
	v_cndmask_b32_e64 v6, 0, v6, s[0:1]
	v_add_u32_e32 v6, v6, v76
	v_mbcnt_hi_u32_b32 v11, -1, v79
	v_and_b32_e32 v8, 15, v11
	v_mov_b32_dpp v24, v6 row_shr:1 row_mask:0xf bank_mask:0xf
	v_cmp_eq_u32_e64 s[0:1], 0, v7
	v_mov_b32_dpp v9, v7 row_shr:1 row_mask:0xf bank_mask:0xf
	v_cmp_lt_u32_e64 s[26:27], 1, v8
	v_cndmask_b32_e64 v24, 0, v24, s[0:1]
	v_cmp_eq_u32_e64 s[0:1], 0, v8
	s_nop 1
	v_cndmask_b32_e64 v9, v9, 0, s[0:1]
	v_add_u32_e32 v7, v9, v7
	v_cndmask_b32_e64 v9, v24, 0, s[0:1]
	v_add_u32_e32 v6, v9, v6
	v_cmp_eq_u32_e64 s[0:1], 0, v7
	v_mov_b32_dpp v9, v7 row_shr:2 row_mask:0xf bank_mask:0xf
	v_mov_b32_dpp v24, v6 row_shr:2 row_mask:0xf bank_mask:0xf
	v_cndmask_b32_e64 v9, 0, v9, s[26:27]
	s_and_b64 s[0:1], s[26:27], s[0:1]
	v_cndmask_b32_e64 v24, 0, v24, s[0:1]
	v_add_u32_e32 v7, v7, v9
	v_add_u32_e32 v6, v24, v6
	v_cmp_eq_u32_e64 s[0:1], 0, v7
	v_mov_b32_dpp v9, v7 row_shr:4 row_mask:0xf bank_mask:0xf
	v_cmp_lt_u32_e64 s[26:27], 3, v8
	v_mov_b32_dpp v24, v6 row_shr:4 row_mask:0xf bank_mask:0xf
	s_and_b64 s[0:1], s[26:27], s[0:1]
	v_cndmask_b32_e64 v9, 0, v9, s[26:27]
	v_cndmask_b32_e64 v24, 0, v24, s[0:1]
	v_add_u32_e32 v7, v9, v7
	v_add_u32_e32 v6, v6, v24
	v_cmp_eq_u32_e64 s[0:1], 0, v7
	v_cmp_lt_u32_e64 s[26:27], 7, v8
	v_mov_b32_dpp v9, v7 row_shr:8 row_mask:0xf bank_mask:0xf
	v_mov_b32_dpp v24, v6 row_shr:8 row_mask:0xf bank_mask:0xf
	s_and_b64 s[0:1], s[26:27], s[0:1]
	v_cndmask_b32_e64 v8, 0, v9, s[26:27]
	v_cndmask_b32_e64 v9, 0, v24, s[0:1]
	v_add_u32_e32 v6, v9, v6
	v_add_u32_e32 v7, v8, v7
	v_bfe_i32 v24, v11, 4, 1
	v_mov_b32_dpp v9, v6 row_bcast:15 row_mask:0xf bank_mask:0xf
	v_mov_b32_dpp v8, v7 row_bcast:15 row_mask:0xf bank_mask:0xf
	v_cmp_eq_u32_e64 s[0:1], 0, v7
	v_and_b32_e32 v8, v24, v8
	v_add_u32_e32 v7, v8, v7
	v_cndmask_b32_e64 v9, 0, v9, s[0:1]
	v_and_b32_e32 v8, v24, v9
	v_add_u32_e32 v8, v8, v6
	v_mov_b32_dpp v6, v7 row_bcast:31 row_mask:0xf bank_mask:0xf
	v_cmp_eq_u32_e64 s[0:1], 0, v7
	v_cmp_lt_u32_e64 s[26:27], 31, v11
	v_mov_b32_dpp v9, v8 row_bcast:31 row_mask:0xf bank_mask:0xf
	s_and_b64 s[0:1], s[26:27], s[0:1]
	v_cndmask_b32_e64 v6, 0, v6, s[26:27]
	v_add_u32_e32 v6, v6, v7
	v_cndmask_b32_e64 v7, 0, v9, s[0:1]
	v_add_u32_e32 v7, v7, v8
	v_cmp_eq_u32_e64 s[0:1], v78, v0
	v_lshlrev_b32_e32 v9, 3, v77
	s_and_saveexec_b64 s[26:27], s[0:1]
	s_cbranch_execz .LBB884_91
; %bb.90:
	ds_write_b64 v9, v[6:7] offset:1040
.LBB884_91:
	s_or_b64 exec, exec, s[26:27]
	v_cmp_gt_u32_e64 s[0:1], 4, v0
	s_waitcnt lgkmcnt(0)
	s_barrier
	s_and_saveexec_b64 s[28:29], s[0:1]
	s_cbranch_execz .LBB884_93
; %bb.92:
	v_lshlrev_b32_e32 v8, 3, v0
	ds_read_b64 v[24:25], v8 offset:1040
	v_and_b32_e32 v26, 3, v11
	v_cmp_lt_u32_e64 s[26:27], 1, v26
	s_waitcnt lgkmcnt(0)
	v_mov_b32_dpp v28, v25 row_shr:1 row_mask:0xf bank_mask:0xf
	v_cmp_eq_u32_e64 s[0:1], 0, v24
	v_mov_b32_dpp v27, v24 row_shr:1 row_mask:0xf bank_mask:0xf
	s_nop 0
	v_cndmask_b32_e64 v28, 0, v28, s[0:1]
	v_cmp_eq_u32_e64 s[0:1], 0, v26
	s_nop 1
	v_cndmask_b32_e64 v27, v27, 0, s[0:1]
	v_add_u32_e32 v24, v27, v24
	v_cndmask_b32_e64 v27, v28, 0, s[0:1]
	v_add_u32_e32 v25, v27, v25
	v_cmp_eq_u32_e64 s[0:1], 0, v24
	v_mov_b32_dpp v27, v24 row_shr:2 row_mask:0xf bank_mask:0xf
	v_mov_b32_dpp v28, v25 row_shr:2 row_mask:0xf bank_mask:0xf
	v_cndmask_b32_e64 v26, 0, v27, s[26:27]
	s_and_b64 s[0:1], s[26:27], s[0:1]
	v_add_u32_e32 v24, v26, v24
	v_cndmask_b32_e64 v26, 0, v28, s[0:1]
	v_add_u32_e32 v25, v26, v25
	ds_write_b64 v8, v[24:25] offset:1040
.LBB884_93:
	s_or_b64 exec, exec, s[28:29]
	v_cmp_lt_u32_e64 s[0:1], 63, v0
	v_mov_b32_e32 v24, 0
	v_mov_b32_e32 v8, 0
	s_waitcnt vmcnt(0)
	v_mov_b32_e32 v25, v10
	s_waitcnt lgkmcnt(0)
	s_barrier
	s_and_saveexec_b64 s[26:27], s[0:1]
	s_cbranch_execz .LBB884_95
; %bb.94:
	ds_read_b64 v[8:9], v9 offset:1032
	s_waitcnt lgkmcnt(0)
	v_cmp_eq_u32_e64 s[0:1], 0, v8
	s_nop 1
	v_cndmask_b32_e64 v25, 0, v10, s[0:1]
	v_add_u32_e32 v25, v25, v9
.LBB884_95:
	s_or_b64 exec, exec, s[26:27]
	v_cmp_eq_u32_e64 s[0:1], 0, v6
	v_add_u32_e32 v9, v8, v6
	v_and_b32_e32 v26, 64, v11
	v_cndmask_b32_e64 v6, 0, v25, s[0:1]
	v_add_u32_e32 v6, v6, v7
	v_add_u32_e32 v7, -1, v11
	v_cmp_lt_i32_e64 s[0:1], v7, v26
	s_nop 1
	v_cndmask_b32_e64 v7, v7, v11, s[0:1]
	v_lshlrev_b32_e32 v7, 2, v7
	ds_bpermute_b32 v6, v7, v6
	ds_bpermute_b32 v9, v7, v9
	v_cmp_eq_u32_e64 s[0:1], 0, v11
	s_waitcnt lgkmcnt(1)
	s_nop 0
	v_cndmask_b32_e64 v6, v6, v25, s[0:1]
	s_waitcnt lgkmcnt(0)
	v_cndmask_b32_e64 v7, v9, v8, s[0:1]
	v_cndmask_b32_e64 v55, v6, v10, s[34:35]
	v_cmp_eq_u32_e64 s[0:1], 0, v69
	v_cndmask_b32_e64 v54, v7, 0, s[34:35]
	v_add_u32_e32 v52, v54, v69
	v_cndmask_b32_e64 v6, 0, v55, s[0:1]
	v_add_u32_e32 v53, v6, v22
	v_cndmask_b32_e64 v6, 0, v53, s[2:3]
	v_add_u32_e32 v51, v6, v23
	v_cndmask_b32_e64 v6, 0, v51, s[4:5]
	v_add_u32_e32 v49, v6, v75
	v_cndmask_b32_e64 v6, 0, v49, s[6:7]
	v_add_u32_e32 v47, v6, v20
	v_cndmask_b32_e64 v6, 0, v47, s[8:9]
	v_add_u32_e32 v45, v6, v74
	v_cndmask_b32_e64 v6, 0, v45, s[10:11]
	v_add_u32_e32 v43, v6, v21
	v_cndmask_b32_e64 v6, 0, v43, s[12:13]
	v_add_u32_e32 v41, v6, v73
	v_cndmask_b32_e64 v6, 0, v41, s[14:15]
	v_add_u32_e32 v39, v6, v18
	v_cndmask_b32_e64 v6, 0, v39, s[16:17]
	v_add_u32_e32 v37, v6, v72
	v_add_u32_e32 v50, v52, v67
	v_cndmask_b32_e64 v6, 0, v37, s[18:19]
	v_add_u32_e32 v48, v50, v68
	v_add_u32_e32 v35, v6, v19
	v_add_u32_e32 v46, v48, v66
	v_cndmask_b32_e64 v6, 0, v35, s[20:21]
	v_add_u32_e32 v44, v46, v63
	v_add_u32_e32 v33, v6, v71
	;; [unrolled: 4-line block ×3, first 2 shown]
	ds_read_b64 v[6:7], v24 offset:1064
	v_add_u32_e32 v38, v40, v64
	v_add_u32_e32 v36, v38, v57
	;; [unrolled: 1-line block ×3, first 2 shown]
	v_cndmask_b32_e64 v8, 0, v31, s[24:25]
	v_add_u32_e32 v32, v34, v62
	v_add_u32_e32 v29, v8, v70
	;; [unrolled: 1-line block ×3, first 2 shown]
	v_cndmask_b32_e32 v8, 0, v29, vcc
	s_waitcnt lgkmcnt(0)
	v_cmp_eq_u32_e32 vcc, 0, v6
	v_add_u32_e32 v28, v30, v15
	v_add_u32_e32 v27, v8, v17
	v_cndmask_b32_e32 v8, 0, v10, vcc
	v_add_u32_e32 v26, v28, v58
	v_add_u32_e32 v24, v8, v7
	s_and_saveexec_b64 s[0:1], s[34:35]
	s_cbranch_execz .LBB884_97
; %bb.96:
	s_add_u32 s2, s40, 0x400
	v_and_b32_e32 v7, 0xff000000, v24
	v_and_b32_e32 v8, 0xff0000, v24
	s_addc_u32 s3, s41, 0
	v_or_b32_e32 v7, v8, v7
	v_and_b32_e32 v8, 0xff00, v24
	v_and_b32_e32 v10, 0xff, v24
	v_mov_b32_e32 v9, 0
	v_or3_b32 v7, v7, v8, v10
	v_mov_b32_e32 v8, 2
	v_mov_b64_e32 v[10:11], s[2:3]
	;;#ASMSTART
	global_store_dwordx4 v[10:11], v[6:9] off sc1	
s_waitcnt vmcnt(0)
	;;#ASMEND
.LBB884_97:
	s_or_b64 exec, exec, s[0:1]
	v_mov_b32_e32 v8, 0
.LBB884_98:
	s_and_b64 s[0:1], s[30:31], exec
	s_cselect_b32 s1, 0, s55
	s_cselect_b32 s0, 0, s54
	s_cmp_eq_u64 s[0:1], 0
	v_mov_b64_e32 v[16:17], 0
	s_barrier
	s_cbranch_scc1 .LBB884_100
; %bb.99:
	v_mov_b32_e32 v7, 0
	global_load_dwordx2 v[16:17], v7, s[0:1]
.LBB884_100:
	s_waitcnt vmcnt(0)
	v_lshlrev_b64 v[10:11], 1, v[16:17]
	v_mov_b32_e32 v9, 0
	v_cmp_eq_u32_e32 vcc, 0, v69
	v_lshl_add_u64 v[10:11], s[48:49], 0, v[10:11]
	v_lshlrev_b64 v[18:19], 1, v[8:9]
	v_cndmask_b32_e64 v7, 1, 2, vcc
	v_cmp_eq_u32_e32 vcc, 0, v67
	v_lshl_add_u64 v[18:19], v[10:11], 0, v[18:19]
	s_movk_i32 s0, 0x100
	v_cndmask_b32_e64 v10, 1, 2, vcc
	v_cmp_eq_u32_e32 vcc, 0, v68
	v_and_b32_e32 v7, v10, v7
	v_cmp_ne_u32_e64 s[30:31], 0, v69
	v_cndmask_b32_e64 v10, 1, 2, vcc
	v_cmp_eq_u32_e32 vcc, 0, v66
	v_and_b32_e32 v7, v7, v10
	v_cmp_ne_u32_e64 s[28:29], 0, v67
	;; [unrolled: 4-line block ×13, first 2 shown]
	v_cndmask_b32_e64 v10, 1, 2, vcc
	v_and_b32_e32 v7, v7, v10
	v_cmp_gt_u32_e32 vcc, s0, v6
	v_cmp_ne_u32_e64 s[4:5], 0, v58
	v_cmp_ne_u32_e64 s[2:3], 0, v59
	s_mov_b64 s[36:37], -1
	v_cmp_gt_i16_e64 s[0:1], 2, v7
	s_cbranch_vccz .LBB884_107
; %bb.101:
	s_and_saveexec_b64 s[36:37], s[0:1]
	s_cbranch_execz .LBB884_106
; %bb.102:
	v_cmp_ne_u16_e32 vcc, 1, v7
	s_mov_b64 s[38:39], 0
	s_and_saveexec_b64 s[0:1], vcc
	s_xor_b64 s[0:1], exec, s[0:1]
	s_cbranch_execnz .LBB884_151
; %bb.103:
	s_andn2_saveexec_b64 s[0:1], s[0:1]
	s_cbranch_execnz .LBB884_167
.LBB884_104:
	s_or_b64 exec, exec, s[0:1]
	s_and_b64 exec, exec, s[38:39]
	s_cbranch_execz .LBB884_106
.LBB884_105:
	v_sub_u32_e32 v10, v26, v8
	v_mov_b32_e32 v11, 0
	v_lshl_add_u64 v[10:11], v[10:11], 1, v[18:19]
	global_store_short v[10:11], v1, off
.LBB884_106:
	s_or_b64 exec, exec, s[36:37]
	s_mov_b64 s[36:37], 0
.LBB884_107:
	s_and_b64 vcc, exec, s[36:37]
	s_cbranch_vccz .LBB884_129
; %bb.108:
	v_cmp_gt_i16_e32 vcc, 2, v7
	s_and_saveexec_b64 s[0:1], vcc
	s_cbranch_execz .LBB884_113
; %bb.109:
	v_cmp_ne_u16_e32 vcc, 1, v7
	s_mov_b64 s[38:39], 0
	s_and_saveexec_b64 s[36:37], vcc
	s_xor_b64 s[36:37], exec, s[36:37]
	s_cbranch_execnz .LBB884_168
; %bb.110:
	s_andn2_saveexec_b64 s[2:3], s[36:37]
	s_cbranch_execnz .LBB884_184
.LBB884_111:
	s_or_b64 exec, exec, s[2:3]
	s_and_b64 exec, exec, s[38:39]
	s_cbranch_execz .LBB884_113
.LBB884_112:
	v_sub_u32_e32 v2, v26, v8
	v_lshlrev_b32_e32 v2, 1, v2
	ds_write_b16 v2, v1
.LBB884_113:
	s_or_b64 exec, exec, s[0:1]
	v_cmp_lt_u32_e32 vcc, v0, v6
	s_waitcnt lgkmcnt(0)
	s_barrier
	s_and_saveexec_b64 s[0:1], vcc
	s_cbranch_execz .LBB884_128
; %bb.114:
	v_xad_u32 v1, v0, -1, v6
	s_movk_i32 s2, 0x1700
	s_movk_i32 s4, 0x16ff
	v_cmp_gt_u32_e64 s[2:3], s2, v1
	v_cmp_lt_u32_e32 vcc, s4, v1
	v_mov_b32_e32 v2, v0
	s_and_saveexec_b64 s[4:5], vcc
	s_cbranch_execz .LBB884_125
; %bb.115:
	v_sub_u32_e32 v2, v0, v6
	v_or_b32_e32 v2, 0xff, v2
	v_cmp_ge_u32_e32 vcc, v2, v0
	s_mov_b64 s[8:9], -1
	v_mov_b32_e32 v2, v0
	s_and_saveexec_b64 s[6:7], vcc
	s_cbranch_execz .LBB884_124
; %bb.116:
	v_lshrrev_b32_e32 v7, 8, v1
	v_or_b32_e32 v3, 0x300, v0
	v_or_b32_e32 v2, 0x200, v0
	v_add_u32_e32 v4, -3, v7
	v_or_b32_e32 v1, 0x100, v0
	v_lshrrev_b32_e32 v5, 2, v4
	v_mov_b64_e32 v[12:13], v[2:3]
	v_add_u32_e32 v20, 1, v5
	v_cmp_lt_u32_e32 vcc, 11, v4
	v_mov_b32_e32 v23, 0
	v_lshlrev_b32_e32 v14, 1, v0
	v_mov_b64_e32 v[10:11], v[0:1]
	s_and_saveexec_b64 s[8:9], vcc
	s_cbranch_execz .LBB884_120
; %bb.117:
	v_mov_b64_e32 v[12:13], v[2:3]
	v_and_b32_e32 v21, 0x7ffffffc, v20
	s_mov_b32 s12, 0
	s_mov_b64 s[10:11], 0
	v_mov_b32_e32 v5, 0
	v_mov_b32_e32 v22, v14
	v_mov_b64_e32 v[10:11], v[0:1]
.LBB884_118:                            ; =>This Inner Loop Header: Depth=1
	v_mov_b32_e32 v4, v10
	ds_read_u16 v1, v22
	ds_read_u16 v25, v22 offset:512
	ds_read_u16 v94, v22 offset:1024
	ds_read_u16 v95, v22 offset:1536
	ds_read_u16 v96, v22 offset:2048
	ds_read_u16 v97, v22 offset:2560
	ds_read_u16 v98, v22 offset:3072
	ds_read_u16 v99, v22 offset:3584
	v_lshl_add_u64 v[86:87], v[4:5], 1, v[18:19]
	v_mov_b32_e32 v4, v11
	v_lshl_add_u64 v[88:89], v[4:5], 1, v[18:19]
	v_mov_b32_e32 v4, v12
	ds_read_u16 v100, v22 offset:4096
	ds_read_u16 v101, v22 offset:4608
	;; [unrolled: 1-line block ×8, first 2 shown]
	v_lshl_add_u64 v[90:91], v[4:5], 1, v[18:19]
	v_mov_b32_e32 v4, v13
	v_add_u32_e32 v2, 0x400, v13
	v_mov_b32_e32 v3, v5
	v_lshl_add_u64 v[92:93], v[4:5], 1, v[18:19]
	v_add_u32_e32 v4, 0x400, v10
	v_add_u32_e32 v70, 0x400, v12
	;; [unrolled: 1-line block ×3, first 2 shown]
	v_mov_b32_e32 v73, v5
	v_mov_b32_e32 v71, v5
	v_add_u32_e32 v21, -4, v21
	v_lshl_add_u64 v[2:3], v[2:3], 1, v[18:19]
	s_waitcnt lgkmcnt(14)
	global_store_short v[86:87], v1, off
	global_store_short v[88:89], v25, off
	s_waitcnt lgkmcnt(13)
	global_store_short v[90:91], v94, off
	s_waitcnt lgkmcnt(12)
	global_store_short v[92:93], v95, off
	v_lshl_add_u64 v[86:87], v[4:5], 1, v[18:19]
	v_add_u32_e32 v4, 0x800, v10
	v_add_u32_e32 v74, 0x800, v13
	;; [unrolled: 1-line block ×4, first 2 shown]
	v_mov_b32_e32 v79, v5
	v_mov_b32_e32 v77, v5
	;; [unrolled: 1-line block ×3, first 2 shown]
	s_add_i32 s12, s12, 16
	v_lshl_add_u64 v[72:73], v[72:73], 1, v[18:19]
	v_lshl_add_u64 v[70:71], v[70:71], 1, v[18:19]
	v_cmp_eq_u32_e32 vcc, 0, v21
	s_waitcnt lgkmcnt(11)
	global_store_short v[86:87], v96, off
	s_waitcnt lgkmcnt(10)
	global_store_short v[72:73], v97, off
	;; [unrolled: 2-line block ×4, first 2 shown]
	v_lshl_add_u64 v[2:3], v[4:5], 1, v[18:19]
	v_add_u32_e32 v4, 0xc00, v10
	v_add_u32_e32 v80, 0xc00, v13
	v_add_u32_e32 v82, 0xc00, v12
	v_add_u32_e32 v84, 0xc00, v11
	v_mov_b32_e32 v85, v5
	v_mov_b32_e32 v83, v5
	;; [unrolled: 1-line block ×3, first 2 shown]
	v_add_u32_e32 v22, 0x2000, v22
	v_lshl_add_u64 v[78:79], v[78:79], 1, v[18:19]
	v_lshl_add_u64 v[76:77], v[76:77], 1, v[18:19]
	;; [unrolled: 1-line block ×3, first 2 shown]
	v_add_u32_e32 v11, 0x1000, v11
	v_mov_b32_e32 v23, s12
	v_add_u32_e32 v12, 0x1000, v12
	s_or_b64 s[10:11], vcc, s[10:11]
	v_add_u32_e32 v13, 0x1000, v13
	v_add_u32_e32 v10, 0x1000, v10
	s_waitcnt lgkmcnt(7)
	global_store_short v[2:3], v100, off
	s_waitcnt lgkmcnt(6)
	global_store_short v[78:79], v101, off
	;; [unrolled: 2-line block ×4, first 2 shown]
	v_lshl_add_u64 v[2:3], v[4:5], 1, v[18:19]
	v_lshl_add_u64 v[84:85], v[84:85], 1, v[18:19]
	;; [unrolled: 1-line block ×4, first 2 shown]
	s_waitcnt lgkmcnt(3)
	global_store_short v[2:3], v104, off
	s_waitcnt lgkmcnt(2)
	global_store_short v[84:85], v105, off
	;; [unrolled: 2-line block ×4, first 2 shown]
	s_andn2_b64 exec, exec, s[10:11]
	s_cbranch_execnz .LBB884_118
; %bb.119:
	s_or_b64 exec, exec, s[10:11]
.LBB884_120:
	s_or_b64 exec, exec, s[8:9]
	v_and_b32_e32 v1, 3, v20
	v_cmp_ne_u32_e32 vcc, 0, v1
	s_and_saveexec_b64 s[8:9], vcc
	s_cbranch_execz .LBB884_123
; %bb.121:
	v_lshl_or_b32 v4, v23, 9, v14
	s_mov_b64 s[10:11], 0
	v_mov_b32_e32 v3, 0
.LBB884_122:                            ; =>This Inner Loop Header: Depth=1
	ds_read_u16 v5, v4
	ds_read_u16 v14, v4 offset:512
	ds_read_u16 v25, v4 offset:1024
	;; [unrolled: 1-line block ×3, first 2 shown]
	v_mov_b32_e32 v2, v10
	v_add_u32_e32 v1, -1, v1
	v_lshl_add_u64 v[20:21], v[2:3], 1, v[18:19]
	v_mov_b32_e32 v2, v11
	v_cmp_eq_u32_e32 vcc, 0, v1
	v_lshl_add_u64 v[22:23], v[2:3], 1, v[18:19]
	v_mov_b32_e32 v2, v12
	v_add_u32_e32 v10, 0x400, v10
	v_add_u32_e32 v4, 0x800, v4
	;; [unrolled: 1-line block ×4, first 2 shown]
	s_or_b64 s[10:11], vcc, s[10:11]
	v_lshl_add_u64 v[70:71], v[2:3], 1, v[18:19]
	v_mov_b32_e32 v2, v13
	v_add_u32_e32 v13, 0x400, v13
	v_lshl_add_u64 v[72:73], v[2:3], 1, v[18:19]
	s_waitcnt lgkmcnt(3)
	global_store_short v[20:21], v5, off
	s_waitcnt lgkmcnt(2)
	global_store_short v[22:23], v14, off
	;; [unrolled: 2-line block ×4, first 2 shown]
	s_andn2_b64 exec, exec, s[10:11]
	s_cbranch_execnz .LBB884_122
.LBB884_123:
	s_or_b64 exec, exec, s[8:9]
	v_add_u32_e32 v1, 1, v7
	v_and_b32_e32 v3, 0x1fffffc, v1
	v_cmp_ne_u32_e32 vcc, v1, v3
	v_lshl_or_b32 v2, v3, 8, v0
	s_orn2_b64 s[8:9], vcc, exec
.LBB884_124:
	s_or_b64 exec, exec, s[6:7]
	s_andn2_b64 s[2:3], s[2:3], exec
	s_and_b64 s[6:7], s[8:9], exec
	s_or_b64 s[2:3], s[2:3], s[6:7]
.LBB884_125:
	s_or_b64 exec, exec, s[4:5]
	s_and_b64 exec, exec, s[2:3]
	s_cbranch_execz .LBB884_128
; %bb.126:
	v_lshlrev_b32_e32 v1, 1, v2
	s_mov_b64 s[2:3], 0
	v_mov_b32_e32 v3, 0
.LBB884_127:                            ; =>This Inner Loop Header: Depth=1
	ds_read_u16 v7, v1
	v_lshl_add_u64 v[4:5], v[2:3], 1, v[18:19]
	v_add_u32_e32 v2, 0x100, v2
	v_cmp_ge_u32_e32 vcc, v2, v6
	v_add_u32_e32 v1, 0x200, v1
	s_or_b64 s[2:3], vcc, s[2:3]
	s_waitcnt lgkmcnt(0)
	global_store_short v[4:5], v7, off
	s_andn2_b64 exec, exec, s[2:3]
	s_cbranch_execnz .LBB884_127
.LBB884_128:
	s_or_b64 exec, exec, s[0:1]
.LBB884_129:
	s_cmpk_lg_i32 s33, 0xf00
	s_cselect_b64 s[0:1], -1, 0
	v_cndmask_b32_e64 v7, 0, 1, s[46:47]
	s_and_b64 s[0:1], s[0:1], s[44:45]
	v_sub_u32_e32 v1, v6, v7
	v_cndmask_b32_e64 v2, 0, 1, s[0:1]
	s_and_b64 s[0:1], s[34:35], s[46:47]
	v_add_u32_e32 v1, v1, v2
	v_cndmask_b32_e64 v2, v69, 0, s[0:1]
	s_mul_hi_u32 s0, s33, 0x88888889
	s_lshr_b32 s0, s0, 3
	v_mad_i32_i24 v3, v0, -15, s33
	v_cmp_eq_u32_e32 vcc, s0, v0
	v_cmp_ne_u32_e64 s[0:1], 0, v3
	s_and_b64 vcc, vcc, s[44:45]
	s_movk_i32 s30, 0x100
	v_cndmask_b32_e64 v4, 1, v2, s[0:1]
	v_cmp_ne_u32_e64 s[0:1], 1, v3
	s_mov_b64 s[34:35], -1
	s_nop 0
	v_cndmask_b32_e64 v5, 1, v67, s[0:1]
	v_cmp_ne_u32_e64 s[0:1], 2, v3
	s_barrier
	s_nop 0
	v_cndmask_b32_e64 v10, 1, v68, s[0:1]
	v_cmp_ne_u32_e64 s[0:1], 3, v3
	v_cndmask_b32_e32 v10, v68, v10, vcc
	v_cmp_ne_u32_e64 s[24:25], 0, v10
	v_cndmask_b32_e64 v11, 1, v66, s[0:1]
	v_cmp_ne_u32_e64 s[0:1], 4, v3
	v_cndmask_b32_e32 v11, v66, v11, vcc
	v_cmp_ne_u32_e64 s[22:23], 0, v11
	v_cndmask_b32_e64 v12, 1, v63, s[0:1]
	v_cmp_ne_u32_e64 s[0:1], 5, v3
	v_cndmask_b32_e32 v12, v63, v12, vcc
	v_cmp_ne_u32_e64 s[20:21], 0, v12
	v_cndmask_b32_e64 v13, 1, v60, s[0:1]
	v_cmp_ne_u32_e64 s[0:1], 6, v3
	v_cndmask_b32_e32 v13, v60, v13, vcc
	v_cmp_ne_u32_e64 s[18:19], 0, v13
	v_cndmask_b32_e64 v14, 1, v65, s[0:1]
	v_cmp_ne_u32_e64 s[0:1], 7, v3
	v_cndmask_b32_e32 v14, v65, v14, vcc
	v_cmp_ne_u32_e64 s[16:17], 0, v14
	v_cndmask_b32_e64 v18, 1, v64, s[0:1]
	v_cmp_ne_u32_e64 s[0:1], 8, v3
	v_cndmask_b32_e32 v18, v64, v18, vcc
	v_cmp_ne_u32_e64 s[14:15], 0, v18
	v_cndmask_b32_e64 v19, 1, v57, s[0:1]
	v_cmp_ne_u32_e64 s[0:1], 9, v3
	v_cndmask_b32_e32 v19, v57, v19, vcc
	v_cmp_ne_u32_e64 s[12:13], 0, v19
	v_cndmask_b32_e64 v20, 1, v56, s[0:1]
	v_cmp_ne_u32_e64 s[0:1], 10, v3
	v_cndmask_b32_e32 v20, v56, v20, vcc
	v_cndmask_b32_e32 v56, v2, v4, vcc
	v_cndmask_b32_e64 v21, 1, v62, s[0:1]
	v_cmp_ne_u32_e64 s[0:1], 11, v3
	v_cndmask_b32_e32 v21, v62, v21, vcc
	v_cmp_ne_u32_e64 s[28:29], 0, v56
	v_cndmask_b32_e64 v22, 1, v61, s[0:1]
	v_cmp_ne_u32_e64 s[0:1], 12, v3
	v_cndmask_b32_e32 v22, v61, v22, vcc
	v_cmp_ne_u32_e64 s[10:11], 0, v20
	v_cndmask_b32_e64 v23, 1, v15, s[0:1]
	v_cmp_ne_u32_e64 s[0:1], 13, v3
	v_cndmask_b32_e32 v15, v15, v23, vcc
	v_cndmask_b32_e32 v23, v67, v5, vcc
	v_cndmask_b32_e64 v25, 1, v58, s[0:1]
	v_cmp_ne_u32_e64 s[0:1], 14, v3
	v_cndmask_b32_e32 v25, v58, v25, vcc
	v_cmp_ne_u32_e64 s[26:27], 0, v23
	v_cndmask_b32_e64 v3, 1, v59, s[0:1]
	v_cndmask_b32_e32 v59, v59, v3, vcc
	v_cmp_eq_u32_e32 vcc, 0, v56
	v_lshlrev_b64 v[2:3], 3, v[16:17]
	v_lshl_add_u64 v[2:3], s[50:51], 0, v[2:3]
	v_cndmask_b32_e64 v56, 1, 2, vcc
	v_cmp_eq_u32_e32 vcc, 0, v23
	v_lshlrev_b64 v[4:5], 3, v[8:9]
	v_lshl_add_u64 v[2:3], v[2:3], 0, v[4:5]
	v_cndmask_b32_e64 v23, 1, 2, vcc
	v_cmp_eq_u32_e32 vcc, 0, v10
	v_and_b32_e32 v23, v23, v56
	v_lshlrev_b32_e32 v4, 3, v7
	v_cndmask_b32_e64 v10, 1, 2, vcc
	v_cmp_eq_u32_e32 vcc, 0, v11
	v_and_b32_e32 v10, v23, v10
	v_mov_b32_e32 v5, 0
	v_cndmask_b32_e64 v11, 1, 2, vcc
	v_cmp_eq_u32_e32 vcc, 0, v12
	v_and_b32_e32 v10, v10, v11
	v_lshl_add_u64 v[4:5], v[4:5], 0, v[2:3]
	v_cndmask_b32_e64 v11, 1, 2, vcc
	v_cmp_eq_u32_e32 vcc, 0, v13
	v_and_b32_e32 v10, v10, v11
	v_lshl_add_u64 v[4:5], v[4:5], 0, -8
	v_cndmask_b32_e64 v11, 1, 2, vcc
	v_cmp_eq_u32_e32 vcc, 0, v14
	v_and_b32_e32 v10, v10, v11
	v_add_u32_e32 v7, v8, v7
	v_cndmask_b32_e64 v11, 1, 2, vcc
	v_cmp_eq_u32_e32 vcc, 0, v18
	v_and_b32_e32 v10, v10, v11
	v_cmp_ne_u32_e64 s[8:9], 0, v21
	v_cndmask_b32_e64 v11, 1, 2, vcc
	v_cmp_eq_u32_e32 vcc, 0, v19
	v_and_b32_e32 v10, v10, v11
	v_cmp_ne_u32_e64 s[6:7], 0, v22
	;; [unrolled: 4-line block ×5, first 2 shown]
	v_cndmask_b32_e64 v11, 1, 2, vcc
	v_cmp_eq_u32_e32 vcc, 0, v15
	v_and_b32_e32 v10, v10, v11
	s_nop 0
	v_cndmask_b32_e64 v11, 1, 2, vcc
	v_cmp_eq_u32_e32 vcc, 0, v25
	v_and_b32_e32 v10, v10, v11
	s_nop 0
	;; [unrolled: 4-line block ×3, first 2 shown]
	v_cndmask_b32_e64 v11, 1, 2, vcc
	v_and_b32_e32 v10, v10, v11
	v_cmp_gt_u32_e32 vcc, s30, v1
	v_cmp_gt_i16_e64 s[30:31], 2, v10
	s_cbranch_vccz .LBB884_136
; %bb.130:
	s_and_saveexec_b64 s[34:35], s[30:31]
	s_cbranch_execz .LBB884_135
; %bb.131:
	v_cmp_ne_u16_e32 vcc, 1, v10
	s_mov_b64 s[36:37], 0
	s_and_saveexec_b64 s[30:31], vcc
	s_xor_b64 s[30:31], exec, s[30:31]
	s_cbranch_execnz .LBB884_185
; %bb.132:
	s_andn2_saveexec_b64 s[30:31], s[30:31]
	s_cbranch_execnz .LBB884_201
.LBB884_133:
	s_or_b64 exec, exec, s[30:31]
	s_and_b64 exec, exec, s[36:37]
	s_cbranch_execz .LBB884_135
.LBB884_134:
	v_mov_b32_e32 v13, 0
	v_sub_u32_e32 v14, v26, v7
	v_mov_b32_e32 v15, v13
	v_mov_b32_e32 v12, v27
	v_lshl_add_u64 v[14:15], v[14:15], 3, v[4:5]
	global_store_dwordx2 v[14:15], v[12:13], off
.LBB884_135:
	s_or_b64 exec, exec, s[34:35]
	s_mov_b64 s[34:35], 0
.LBB884_136:
	s_and_b64 vcc, exec, s[34:35]
	s_cbranch_vccz .LBB884_146
; %bb.137:
	v_cmp_gt_i16_e32 vcc, 2, v10
	s_and_saveexec_b64 s[30:31], vcc
	s_cbranch_execz .LBB884_142
; %bb.138:
	v_cmp_ne_u16_e32 vcc, 1, v10
	s_mov_b64 s[36:37], 0
	s_and_saveexec_b64 s[34:35], vcc
	s_xor_b64 s[34:35], exec, s[34:35]
	s_cbranch_execnz .LBB884_202
; %bb.139:
	s_andn2_saveexec_b64 s[0:1], s[34:35]
	s_cbranch_execnz .LBB884_218
.LBB884_140:
	s_or_b64 exec, exec, s[0:1]
	s_and_b64 exec, exec, s[36:37]
	s_cbranch_execz .LBB884_142
.LBB884_141:
	v_sub_u32_e32 v7, v26, v7
	v_lshlrev_b32_e32 v7, 2, v7
	ds_write_b32 v7, v27
.LBB884_142:
	s_or_b64 exec, exec, s[30:31]
	v_cmp_lt_u32_e32 vcc, v0, v1
	s_waitcnt lgkmcnt(0)
	s_barrier
	s_and_saveexec_b64 s[0:1], vcc
	s_cbranch_execz .LBB884_145
; %bb.143:
	v_lshlrev_b32_e32 v7, 2, v0
	s_mov_b64 s[2:3], 0
	v_mov_b32_e32 v11, 0
	v_mov_b32_e32 v10, v0
.LBB884_144:                            ; =>This Inner Loop Header: Depth=1
	ds_read_b32 v12, v7
	v_lshl_add_u64 v[14:15], v[10:11], 3, v[4:5]
	v_add_u32_e32 v10, 0x100, v10
	v_cmp_ge_u32_e32 vcc, v10, v1
	v_mov_b32_e32 v13, v11
	v_add_u32_e32 v7, 0x400, v7
	s_or_b64 s[2:3], vcc, s[2:3]
	s_waitcnt lgkmcnt(0)
	global_store_dwordx2 v[14:15], v[12:13], off
	s_andn2_b64 exec, exec, s[2:3]
	s_cbranch_execnz .LBB884_144
.LBB884_145:
	s_or_b64 exec, exec, s[0:1]
.LBB884_146:
	s_movk_i32 s0, 0xff
	v_cmp_eq_u32_e32 vcc, s0, v0
	s_and_b64 s[0:1], vcc, s[44:45]
	s_and_saveexec_b64 s[2:3], s[0:1]
	s_cbranch_execz .LBB884_149
; %bb.147:
	v_mov_b32_e32 v7, 0
	v_lshl_add_u64 v[0:1], v[6:7], 0, v[8:9]
	v_lshl_add_u64 v[0:1], v[0:1], 0, v[16:17]
	s_cmpk_lg_i32 s33, 0xf00
	global_store_dwordx2 v7, v[0:1], s[56:57]
	s_cbranch_scc1 .LBB884_149
; %bb.148:
	v_lshlrev_b64 v[0:1], 3, v[6:7]
	v_mov_b32_e32 v25, v7
	v_lshl_add_u64 v[0:1], v[2:3], 0, v[0:1]
	global_store_dwordx2 v[0:1], v[24:25], off offset:-8
.LBB884_149:
	s_endpgm
.LBB884_150:
	s_or_b64 exec, exec, s[8:9]
	v_mov_b32_e32 v69, s12
	s_and_saveexec_b64 s[0:1], s[6:7]
	s_cbranch_execnz .LBB884_58
	s_branch .LBB884_59
.LBB884_151:
	s_and_saveexec_b64 s[38:39], s[30:31]
	s_cbranch_execnz .LBB884_219
; %bb.152:
	s_or_b64 exec, exec, s[38:39]
	s_and_saveexec_b64 s[38:39], s[28:29]
	s_cbranch_execnz .LBB884_220
.LBB884_153:
	s_or_b64 exec, exec, s[38:39]
	s_and_saveexec_b64 s[38:39], s[26:27]
	s_cbranch_execnz .LBB884_221
.LBB884_154:
	s_or_b64 exec, exec, s[38:39]
	s_and_saveexec_b64 s[38:39], s[24:25]
	s_cbranch_execnz .LBB884_222
.LBB884_155:
	s_or_b64 exec, exec, s[38:39]
	s_and_saveexec_b64 s[38:39], s[22:23]
	s_cbranch_execnz .LBB884_223
.LBB884_156:
	s_or_b64 exec, exec, s[38:39]
	s_and_saveexec_b64 s[38:39], s[20:21]
	s_cbranch_execnz .LBB884_224
.LBB884_157:
	s_or_b64 exec, exec, s[38:39]
	s_and_saveexec_b64 s[38:39], s[18:19]
	s_cbranch_execnz .LBB884_225
.LBB884_158:
	s_or_b64 exec, exec, s[38:39]
	s_and_saveexec_b64 s[38:39], s[16:17]
	s_cbranch_execnz .LBB884_226
.LBB884_159:
	s_or_b64 exec, exec, s[38:39]
	s_and_saveexec_b64 s[38:39], s[14:15]
	s_cbranch_execnz .LBB884_227
.LBB884_160:
	s_or_b64 exec, exec, s[38:39]
	s_and_saveexec_b64 s[38:39], s[12:13]
	s_cbranch_execnz .LBB884_228
.LBB884_161:
	s_or_b64 exec, exec, s[38:39]
	s_and_saveexec_b64 s[38:39], s[10:11]
	s_cbranch_execnz .LBB884_229
.LBB884_162:
	s_or_b64 exec, exec, s[38:39]
	s_and_saveexec_b64 s[38:39], s[8:9]
	s_cbranch_execnz .LBB884_230
.LBB884_163:
	s_or_b64 exec, exec, s[38:39]
	s_and_saveexec_b64 s[38:39], s[6:7]
	s_cbranch_execnz .LBB884_231
.LBB884_164:
	s_or_b64 exec, exec, s[38:39]
	s_and_saveexec_b64 s[38:39], s[4:5]
	s_cbranch_execz .LBB884_166
.LBB884_165:
	v_sub_u32_e32 v10, v28, v8
	v_mov_b32_e32 v11, 0
	v_lshl_add_u64 v[10:11], v[10:11], 1, v[18:19]
	global_store_short_d16_hi v[10:11], v14, off
.LBB884_166:
	s_or_b64 exec, exec, s[38:39]
	s_and_b64 s[38:39], s[2:3], exec
	s_andn2_saveexec_b64 s[0:1], s[0:1]
	s_cbranch_execz .LBB884_104
.LBB884_167:
	v_sub_u32_e32 v10, v54, v8
	v_mov_b32_e32 v11, 0
	v_lshl_add_u64 v[20:21], v[10:11], 1, v[18:19]
	v_sub_u32_e32 v10, v52, v8
	global_store_short v[20:21], v2, off
	v_lshl_add_u64 v[20:21], v[10:11], 1, v[18:19]
	v_sub_u32_e32 v10, v50, v8
	global_store_short_d16_hi v[20:21], v2, off
	v_lshl_add_u64 v[20:21], v[10:11], 1, v[18:19]
	v_sub_u32_e32 v10, v48, v8
	global_store_short v[20:21], v3, off
	v_lshl_add_u64 v[20:21], v[10:11], 1, v[18:19]
	v_sub_u32_e32 v10, v46, v8
	global_store_short_d16_hi v[20:21], v3, off
	;; [unrolled: 6-line block ×6, first 2 shown]
	v_lshl_add_u64 v[20:21], v[10:11], 1, v[18:19]
	v_sub_u32_e32 v10, v28, v8
	v_lshl_add_u64 v[10:11], v[10:11], 1, v[18:19]
	s_or_b64 s[38:39], s[38:39], exec
	global_store_short v[20:21], v14, off
	global_store_short_d16_hi v[10:11], v14, off
	s_or_b64 exec, exec, s[0:1]
	s_and_b64 exec, exec, s[38:39]
	s_cbranch_execnz .LBB884_105
	s_branch .LBB884_106
.LBB884_168:
	s_and_saveexec_b64 s[38:39], s[30:31]
	s_cbranch_execnz .LBB884_232
; %bb.169:
	s_or_b64 exec, exec, s[38:39]
	s_and_saveexec_b64 s[30:31], s[28:29]
	s_cbranch_execnz .LBB884_233
.LBB884_170:
	s_or_b64 exec, exec, s[30:31]
	s_and_saveexec_b64 s[28:29], s[26:27]
	s_cbranch_execnz .LBB884_234
.LBB884_171:
	s_or_b64 exec, exec, s[28:29]
	s_and_saveexec_b64 s[26:27], s[24:25]
	s_cbranch_execnz .LBB884_235
.LBB884_172:
	s_or_b64 exec, exec, s[26:27]
	s_and_saveexec_b64 s[24:25], s[22:23]
	s_cbranch_execnz .LBB884_236
.LBB884_173:
	s_or_b64 exec, exec, s[24:25]
	s_and_saveexec_b64 s[22:23], s[20:21]
	s_cbranch_execnz .LBB884_237
.LBB884_174:
	s_or_b64 exec, exec, s[22:23]
	s_and_saveexec_b64 s[20:21], s[18:19]
	s_cbranch_execnz .LBB884_238
.LBB884_175:
	s_or_b64 exec, exec, s[20:21]
	s_and_saveexec_b64 s[18:19], s[16:17]
	s_cbranch_execnz .LBB884_239
.LBB884_176:
	s_or_b64 exec, exec, s[18:19]
	s_and_saveexec_b64 s[16:17], s[14:15]
	s_cbranch_execnz .LBB884_240
.LBB884_177:
	s_or_b64 exec, exec, s[16:17]
	s_and_saveexec_b64 s[14:15], s[12:13]
	s_cbranch_execnz .LBB884_241
.LBB884_178:
	s_or_b64 exec, exec, s[14:15]
	s_and_saveexec_b64 s[12:13], s[10:11]
	s_cbranch_execnz .LBB884_242
.LBB884_179:
	s_or_b64 exec, exec, s[12:13]
	s_and_saveexec_b64 s[10:11], s[8:9]
	s_cbranch_execnz .LBB884_243
.LBB884_180:
	s_or_b64 exec, exec, s[10:11]
	s_and_saveexec_b64 s[8:9], s[6:7]
	s_cbranch_execnz .LBB884_244
.LBB884_181:
	s_or_b64 exec, exec, s[8:9]
	s_and_saveexec_b64 s[6:7], s[4:5]
	s_cbranch_execz .LBB884_183
.LBB884_182:
	v_sub_u32_e32 v2, v28, v8
	v_lshlrev_b32_e32 v2, 1, v2
	ds_write_b16_d16_hi v2, v14
.LBB884_183:
	s_or_b64 exec, exec, s[6:7]
	s_and_b64 s[38:39], s[2:3], exec
                                        ; implicit-def: $vgpr2
                                        ; implicit-def: $vgpr12
	s_andn2_saveexec_b64 s[2:3], s[36:37]
	s_cbranch_execz .LBB884_111
.LBB884_184:
	v_sub_u32_e32 v7, v54, v8
	v_lshlrev_b32_e32 v7, 1, v7
	ds_write_b16 v7, v2
	v_sub_u32_e32 v7, v52, v8
	v_lshlrev_b32_e32 v7, 1, v7
	ds_write_b16_d16_hi v7, v2
	v_sub_u32_e32 v2, v50, v8
	v_lshlrev_b32_e32 v2, 1, v2
	ds_write_b16 v2, v3
	v_sub_u32_e32 v2, v48, v8
	v_lshlrev_b32_e32 v2, 1, v2
	ds_write_b16_d16_hi v2, v3
	;; [unrolled: 6-line block ×6, first 2 shown]
	v_sub_u32_e32 v2, v30, v8
	v_lshlrev_b32_e32 v2, 1, v2
	ds_write_b16 v2, v14
	v_sub_u32_e32 v2, v28, v8
	v_lshlrev_b32_e32 v2, 1, v2
	s_or_b64 s[38:39], s[38:39], exec
	ds_write_b16_d16_hi v2, v14
	s_or_b64 exec, exec, s[2:3]
	s_and_b64 exec, exec, s[38:39]
	s_cbranch_execnz .LBB884_112
	s_branch .LBB884_113
.LBB884_185:
	s_and_saveexec_b64 s[36:37], s[28:29]
	s_cbranch_execnz .LBB884_245
; %bb.186:
	s_or_b64 exec, exec, s[36:37]
	s_and_saveexec_b64 s[36:37], s[26:27]
	s_cbranch_execnz .LBB884_246
.LBB884_187:
	s_or_b64 exec, exec, s[36:37]
	s_and_saveexec_b64 s[36:37], s[24:25]
	s_cbranch_execnz .LBB884_247
.LBB884_188:
	s_or_b64 exec, exec, s[36:37]
	s_and_saveexec_b64 s[36:37], s[22:23]
	s_cbranch_execnz .LBB884_248
.LBB884_189:
	s_or_b64 exec, exec, s[36:37]
	s_and_saveexec_b64 s[36:37], s[20:21]
	s_cbranch_execnz .LBB884_249
.LBB884_190:
	s_or_b64 exec, exec, s[36:37]
	s_and_saveexec_b64 s[36:37], s[18:19]
	s_cbranch_execnz .LBB884_250
.LBB884_191:
	s_or_b64 exec, exec, s[36:37]
	s_and_saveexec_b64 s[36:37], s[16:17]
	s_cbranch_execnz .LBB884_251
.LBB884_192:
	s_or_b64 exec, exec, s[36:37]
	s_and_saveexec_b64 s[36:37], s[14:15]
	s_cbranch_execnz .LBB884_252
.LBB884_193:
	s_or_b64 exec, exec, s[36:37]
	s_and_saveexec_b64 s[36:37], s[12:13]
	s_cbranch_execnz .LBB884_253
.LBB884_194:
	s_or_b64 exec, exec, s[36:37]
	s_and_saveexec_b64 s[36:37], s[10:11]
	s_cbranch_execnz .LBB884_254
.LBB884_195:
	s_or_b64 exec, exec, s[36:37]
	s_and_saveexec_b64 s[36:37], s[8:9]
	s_cbranch_execnz .LBB884_255
.LBB884_196:
	s_or_b64 exec, exec, s[36:37]
	s_and_saveexec_b64 s[36:37], s[6:7]
	s_cbranch_execnz .LBB884_256
.LBB884_197:
	s_or_b64 exec, exec, s[36:37]
	s_and_saveexec_b64 s[36:37], s[4:5]
	s_cbranch_execnz .LBB884_257
.LBB884_198:
	s_or_b64 exec, exec, s[36:37]
	s_and_saveexec_b64 s[36:37], s[2:3]
	s_cbranch_execz .LBB884_200
.LBB884_199:
	v_sub_u32_e32 v12, v28, v7
	v_mov_b32_e32 v13, 0
	v_lshl_add_u64 v[14:15], v[12:13], 3, v[4:5]
	v_mov_b32_e32 v12, v29
	global_store_dwordx2 v[14:15], v[12:13], off
.LBB884_200:
	s_or_b64 exec, exec, s[36:37]
	s_and_b64 s[36:37], s[0:1], exec
	s_andn2_saveexec_b64 s[30:31], s[30:31]
	s_cbranch_execz .LBB884_133
.LBB884_201:
	v_mov_b32_e32 v13, 0
	v_sub_u32_e32 v14, v54, v7
	v_mov_b32_e32 v15, v13
	v_mov_b32_e32 v12, v55
	v_lshl_add_u64 v[14:15], v[14:15], 3, v[4:5]
	global_store_dwordx2 v[14:15], v[12:13], off
	v_sub_u32_e32 v14, v52, v7
	v_mov_b32_e32 v15, v13
	v_mov_b32_e32 v12, v53
	v_lshl_add_u64 v[14:15], v[14:15], 3, v[4:5]
	global_store_dwordx2 v[14:15], v[12:13], off
	;; [unrolled: 5-line block ×13, first 2 shown]
	v_sub_u32_e32 v14, v28, v7
	v_mov_b32_e32 v15, v13
	v_mov_b32_e32 v12, v29
	v_lshl_add_u64 v[14:15], v[14:15], 3, v[4:5]
	s_or_b64 s[36:37], s[36:37], exec
	global_store_dwordx2 v[14:15], v[12:13], off
	s_or_b64 exec, exec, s[30:31]
	s_and_b64 exec, exec, s[36:37]
	s_cbranch_execnz .LBB884_134
	s_branch .LBB884_135
.LBB884_202:
	s_and_saveexec_b64 s[36:37], s[28:29]
	s_cbranch_execnz .LBB884_258
; %bb.203:
	s_or_b64 exec, exec, s[36:37]
	s_and_saveexec_b64 s[28:29], s[26:27]
	s_cbranch_execnz .LBB884_259
.LBB884_204:
	s_or_b64 exec, exec, s[28:29]
	s_and_saveexec_b64 s[26:27], s[24:25]
	s_cbranch_execnz .LBB884_260
.LBB884_205:
	s_or_b64 exec, exec, s[26:27]
	s_and_saveexec_b64 s[24:25], s[22:23]
	s_cbranch_execnz .LBB884_261
.LBB884_206:
	s_or_b64 exec, exec, s[24:25]
	s_and_saveexec_b64 s[22:23], s[20:21]
	s_cbranch_execnz .LBB884_262
.LBB884_207:
	s_or_b64 exec, exec, s[22:23]
	s_and_saveexec_b64 s[20:21], s[18:19]
	s_cbranch_execnz .LBB884_263
.LBB884_208:
	s_or_b64 exec, exec, s[20:21]
	s_and_saveexec_b64 s[18:19], s[16:17]
	s_cbranch_execnz .LBB884_264
.LBB884_209:
	s_or_b64 exec, exec, s[18:19]
	s_and_saveexec_b64 s[16:17], s[14:15]
	s_cbranch_execnz .LBB884_265
.LBB884_210:
	s_or_b64 exec, exec, s[16:17]
	s_and_saveexec_b64 s[14:15], s[12:13]
	s_cbranch_execnz .LBB884_266
.LBB884_211:
	s_or_b64 exec, exec, s[14:15]
	s_and_saveexec_b64 s[12:13], s[10:11]
	s_cbranch_execnz .LBB884_267
.LBB884_212:
	s_or_b64 exec, exec, s[12:13]
	s_and_saveexec_b64 s[10:11], s[8:9]
	s_cbranch_execnz .LBB884_268
.LBB884_213:
	s_or_b64 exec, exec, s[10:11]
	s_and_saveexec_b64 s[8:9], s[6:7]
	s_cbranch_execnz .LBB884_269
.LBB884_214:
	s_or_b64 exec, exec, s[8:9]
	s_and_saveexec_b64 s[6:7], s[4:5]
	s_cbranch_execnz .LBB884_270
.LBB884_215:
	s_or_b64 exec, exec, s[6:7]
	s_and_saveexec_b64 s[4:5], s[2:3]
	s_cbranch_execz .LBB884_217
.LBB884_216:
	v_sub_u32_e32 v10, v28, v7
	v_lshlrev_b32_e32 v10, 2, v10
	ds_write_b32 v10, v29
.LBB884_217:
	s_or_b64 exec, exec, s[4:5]
	s_and_b64 s[36:37], s[0:1], exec
                                        ; implicit-def: $vgpr54_vgpr55
                                        ; implicit-def: $vgpr52_vgpr53
                                        ; implicit-def: $vgpr50_vgpr51
                                        ; implicit-def: $vgpr48_vgpr49
                                        ; implicit-def: $vgpr46_vgpr47
                                        ; implicit-def: $vgpr44_vgpr45
                                        ; implicit-def: $vgpr42_vgpr43
                                        ; implicit-def: $vgpr40_vgpr41
                                        ; implicit-def: $vgpr38_vgpr39
                                        ; implicit-def: $vgpr36_vgpr37
                                        ; implicit-def: $vgpr34_vgpr35
                                        ; implicit-def: $vgpr32_vgpr33
                                        ; implicit-def: $vgpr30_vgpr31
                                        ; implicit-def: $vgpr28_vgpr29
	s_andn2_saveexec_b64 s[0:1], s[34:35]
	s_cbranch_execz .LBB884_140
.LBB884_218:
	v_sub_u32_e32 v10, v54, v7
	v_lshlrev_b32_e32 v10, 2, v10
	ds_write_b32 v10, v55
	v_sub_u32_e32 v10, v52, v7
	v_lshlrev_b32_e32 v10, 2, v10
	ds_write_b32 v10, v53
	;; [unrolled: 3-line block ×13, first 2 shown]
	v_sub_u32_e32 v10, v28, v7
	v_lshlrev_b32_e32 v10, 2, v10
	s_or_b64 s[36:37], s[36:37], exec
	ds_write_b32 v10, v29
	s_or_b64 exec, exec, s[0:1]
	s_and_b64 exec, exec, s[36:37]
	s_cbranch_execnz .LBB884_141
	s_branch .LBB884_142
.LBB884_219:
	v_sub_u32_e32 v10, v54, v8
	v_mov_b32_e32 v11, 0
	v_lshl_add_u64 v[10:11], v[10:11], 1, v[18:19]
	global_store_short v[10:11], v2, off
	s_or_b64 exec, exec, s[38:39]
	s_and_saveexec_b64 s[38:39], s[28:29]
	s_cbranch_execz .LBB884_153
.LBB884_220:
	v_sub_u32_e32 v10, v52, v8
	v_mov_b32_e32 v11, 0
	v_lshl_add_u64 v[10:11], v[10:11], 1, v[18:19]
	global_store_short_d16_hi v[10:11], v2, off
	s_or_b64 exec, exec, s[38:39]
	s_and_saveexec_b64 s[38:39], s[26:27]
	s_cbranch_execz .LBB884_154
.LBB884_221:
	v_sub_u32_e32 v10, v50, v8
	v_mov_b32_e32 v11, 0
	v_lshl_add_u64 v[10:11], v[10:11], 1, v[18:19]
	global_store_short v[10:11], v3, off
	s_or_b64 exec, exec, s[38:39]
	s_and_saveexec_b64 s[38:39], s[24:25]
	s_cbranch_execz .LBB884_155
.LBB884_222:
	v_sub_u32_e32 v10, v48, v8
	v_mov_b32_e32 v11, 0
	v_lshl_add_u64 v[10:11], v[10:11], 1, v[18:19]
	global_store_short_d16_hi v[10:11], v3, off
	s_or_b64 exec, exec, s[38:39]
	s_and_saveexec_b64 s[38:39], s[22:23]
	s_cbranch_execz .LBB884_156
.LBB884_223:
	v_sub_u32_e32 v10, v46, v8
	v_mov_b32_e32 v11, 0
	v_lshl_add_u64 v[10:11], v[10:11], 1, v[18:19]
	global_store_short v[10:11], v4, off
	s_or_b64 exec, exec, s[38:39]
	s_and_saveexec_b64 s[38:39], s[20:21]
	s_cbranch_execz .LBB884_157
.LBB884_224:
	v_sub_u32_e32 v10, v44, v8
	v_mov_b32_e32 v11, 0
	v_lshl_add_u64 v[10:11], v[10:11], 1, v[18:19]
	global_store_short_d16_hi v[10:11], v4, off
	s_or_b64 exec, exec, s[38:39]
	s_and_saveexec_b64 s[38:39], s[18:19]
	s_cbranch_execz .LBB884_158
.LBB884_225:
	v_sub_u32_e32 v10, v42, v8
	v_mov_b32_e32 v11, 0
	v_lshl_add_u64 v[10:11], v[10:11], 1, v[18:19]
	global_store_short v[10:11], v5, off
	s_or_b64 exec, exec, s[38:39]
	s_and_saveexec_b64 s[38:39], s[16:17]
	s_cbranch_execz .LBB884_159
.LBB884_226:
	v_sub_u32_e32 v10, v40, v8
	v_mov_b32_e32 v11, 0
	v_lshl_add_u64 v[10:11], v[10:11], 1, v[18:19]
	global_store_short_d16_hi v[10:11], v5, off
	s_or_b64 exec, exec, s[38:39]
	s_and_saveexec_b64 s[38:39], s[14:15]
	s_cbranch_execz .LBB884_160
.LBB884_227:
	v_sub_u32_e32 v10, v38, v8
	v_mov_b32_e32 v11, 0
	v_lshl_add_u64 v[10:11], v[10:11], 1, v[18:19]
	global_store_short v[10:11], v12, off
	s_or_b64 exec, exec, s[38:39]
	s_and_saveexec_b64 s[38:39], s[12:13]
	s_cbranch_execz .LBB884_161
.LBB884_228:
	v_sub_u32_e32 v10, v36, v8
	v_mov_b32_e32 v11, 0
	v_lshl_add_u64 v[10:11], v[10:11], 1, v[18:19]
	global_store_short_d16_hi v[10:11], v12, off
	s_or_b64 exec, exec, s[38:39]
	s_and_saveexec_b64 s[38:39], s[10:11]
	s_cbranch_execz .LBB884_162
.LBB884_229:
	v_sub_u32_e32 v10, v34, v8
	v_mov_b32_e32 v11, 0
	v_lshl_add_u64 v[10:11], v[10:11], 1, v[18:19]
	global_store_short v[10:11], v13, off
	s_or_b64 exec, exec, s[38:39]
	s_and_saveexec_b64 s[38:39], s[8:9]
	s_cbranch_execz .LBB884_163
.LBB884_230:
	v_sub_u32_e32 v10, v32, v8
	v_mov_b32_e32 v11, 0
	v_lshl_add_u64 v[10:11], v[10:11], 1, v[18:19]
	global_store_short_d16_hi v[10:11], v13, off
	s_or_b64 exec, exec, s[38:39]
	s_and_saveexec_b64 s[38:39], s[6:7]
	s_cbranch_execz .LBB884_164
.LBB884_231:
	v_sub_u32_e32 v10, v30, v8
	v_mov_b32_e32 v11, 0
	v_lshl_add_u64 v[10:11], v[10:11], 1, v[18:19]
	global_store_short v[10:11], v14, off
	s_or_b64 exec, exec, s[38:39]
	s_and_saveexec_b64 s[38:39], s[4:5]
	s_cbranch_execnz .LBB884_165
	s_branch .LBB884_166
.LBB884_232:
	v_sub_u32_e32 v7, v54, v8
	v_lshlrev_b32_e32 v7, 1, v7
	ds_write_b16 v7, v2
	s_or_b64 exec, exec, s[38:39]
	s_and_saveexec_b64 s[30:31], s[28:29]
	s_cbranch_execz .LBB884_170
.LBB884_233:
	v_sub_u32_e32 v7, v52, v8
	v_lshlrev_b32_e32 v7, 1, v7
	ds_write_b16_d16_hi v7, v2
	s_or_b64 exec, exec, s[30:31]
	s_and_saveexec_b64 s[28:29], s[26:27]
	s_cbranch_execz .LBB884_171
.LBB884_234:
	v_sub_u32_e32 v2, v50, v8
	v_lshlrev_b32_e32 v2, 1, v2
	ds_write_b16 v2, v3
	s_or_b64 exec, exec, s[28:29]
	s_and_saveexec_b64 s[26:27], s[24:25]
	s_cbranch_execz .LBB884_172
.LBB884_235:
	v_sub_u32_e32 v2, v48, v8
	v_lshlrev_b32_e32 v2, 1, v2
	ds_write_b16_d16_hi v2, v3
	s_or_b64 exec, exec, s[26:27]
	s_and_saveexec_b64 s[24:25], s[22:23]
	s_cbranch_execz .LBB884_173
.LBB884_236:
	v_sub_u32_e32 v2, v46, v8
	v_lshlrev_b32_e32 v2, 1, v2
	ds_write_b16 v2, v4
	s_or_b64 exec, exec, s[24:25]
	s_and_saveexec_b64 s[22:23], s[20:21]
	s_cbranch_execz .LBB884_174
.LBB884_237:
	v_sub_u32_e32 v2, v44, v8
	v_lshlrev_b32_e32 v2, 1, v2
	ds_write_b16_d16_hi v2, v4
	s_or_b64 exec, exec, s[22:23]
	s_and_saveexec_b64 s[20:21], s[18:19]
	s_cbranch_execz .LBB884_175
.LBB884_238:
	v_sub_u32_e32 v2, v42, v8
	v_lshlrev_b32_e32 v2, 1, v2
	ds_write_b16 v2, v5
	s_or_b64 exec, exec, s[20:21]
	s_and_saveexec_b64 s[18:19], s[16:17]
	s_cbranch_execz .LBB884_176
.LBB884_239:
	v_sub_u32_e32 v2, v40, v8
	v_lshlrev_b32_e32 v2, 1, v2
	ds_write_b16_d16_hi v2, v5
	s_or_b64 exec, exec, s[18:19]
	s_and_saveexec_b64 s[16:17], s[14:15]
	s_cbranch_execz .LBB884_177
.LBB884_240:
	v_sub_u32_e32 v2, v38, v8
	v_lshlrev_b32_e32 v2, 1, v2
	ds_write_b16 v2, v12
	s_or_b64 exec, exec, s[16:17]
	s_and_saveexec_b64 s[14:15], s[12:13]
	s_cbranch_execz .LBB884_178
.LBB884_241:
	v_sub_u32_e32 v2, v36, v8
	v_lshlrev_b32_e32 v2, 1, v2
	ds_write_b16_d16_hi v2, v12
	s_or_b64 exec, exec, s[14:15]
	s_and_saveexec_b64 s[12:13], s[10:11]
	s_cbranch_execz .LBB884_179
.LBB884_242:
	v_sub_u32_e32 v2, v34, v8
	v_lshlrev_b32_e32 v2, 1, v2
	ds_write_b16 v2, v13
	s_or_b64 exec, exec, s[12:13]
	s_and_saveexec_b64 s[10:11], s[8:9]
	s_cbranch_execz .LBB884_180
.LBB884_243:
	v_sub_u32_e32 v2, v32, v8
	v_lshlrev_b32_e32 v2, 1, v2
	ds_write_b16_d16_hi v2, v13
	s_or_b64 exec, exec, s[10:11]
	s_and_saveexec_b64 s[8:9], s[6:7]
	s_cbranch_execz .LBB884_181
.LBB884_244:
	v_sub_u32_e32 v2, v30, v8
	v_lshlrev_b32_e32 v2, 1, v2
	ds_write_b16 v2, v14
	s_or_b64 exec, exec, s[8:9]
	s_and_saveexec_b64 s[6:7], s[4:5]
	s_cbranch_execnz .LBB884_182
	s_branch .LBB884_183
.LBB884_245:
	v_sub_u32_e32 v12, v54, v7
	v_mov_b32_e32 v13, 0
	v_lshl_add_u64 v[14:15], v[12:13], 3, v[4:5]
	v_mov_b32_e32 v12, v55
	global_store_dwordx2 v[14:15], v[12:13], off
	s_or_b64 exec, exec, s[36:37]
	s_and_saveexec_b64 s[36:37], s[26:27]
	s_cbranch_execz .LBB884_187
.LBB884_246:
	v_sub_u32_e32 v12, v52, v7
	v_mov_b32_e32 v13, 0
	v_lshl_add_u64 v[14:15], v[12:13], 3, v[4:5]
	v_mov_b32_e32 v12, v53
	global_store_dwordx2 v[14:15], v[12:13], off
	s_or_b64 exec, exec, s[36:37]
	s_and_saveexec_b64 s[36:37], s[24:25]
	s_cbranch_execz .LBB884_188
.LBB884_247:
	v_sub_u32_e32 v12, v50, v7
	v_mov_b32_e32 v13, 0
	v_lshl_add_u64 v[14:15], v[12:13], 3, v[4:5]
	v_mov_b32_e32 v12, v51
	global_store_dwordx2 v[14:15], v[12:13], off
	s_or_b64 exec, exec, s[36:37]
	s_and_saveexec_b64 s[36:37], s[22:23]
	s_cbranch_execz .LBB884_189
.LBB884_248:
	v_sub_u32_e32 v12, v48, v7
	v_mov_b32_e32 v13, 0
	v_lshl_add_u64 v[14:15], v[12:13], 3, v[4:5]
	v_mov_b32_e32 v12, v49
	global_store_dwordx2 v[14:15], v[12:13], off
	s_or_b64 exec, exec, s[36:37]
	s_and_saveexec_b64 s[36:37], s[20:21]
	s_cbranch_execz .LBB884_190
.LBB884_249:
	v_sub_u32_e32 v12, v46, v7
	v_mov_b32_e32 v13, 0
	v_lshl_add_u64 v[14:15], v[12:13], 3, v[4:5]
	v_mov_b32_e32 v12, v47
	global_store_dwordx2 v[14:15], v[12:13], off
	s_or_b64 exec, exec, s[36:37]
	s_and_saveexec_b64 s[36:37], s[18:19]
	s_cbranch_execz .LBB884_191
.LBB884_250:
	v_sub_u32_e32 v12, v44, v7
	v_mov_b32_e32 v13, 0
	v_lshl_add_u64 v[14:15], v[12:13], 3, v[4:5]
	v_mov_b32_e32 v12, v45
	global_store_dwordx2 v[14:15], v[12:13], off
	s_or_b64 exec, exec, s[36:37]
	s_and_saveexec_b64 s[36:37], s[16:17]
	s_cbranch_execz .LBB884_192
.LBB884_251:
	v_sub_u32_e32 v12, v42, v7
	v_mov_b32_e32 v13, 0
	v_lshl_add_u64 v[14:15], v[12:13], 3, v[4:5]
	v_mov_b32_e32 v12, v43
	global_store_dwordx2 v[14:15], v[12:13], off
	s_or_b64 exec, exec, s[36:37]
	s_and_saveexec_b64 s[36:37], s[14:15]
	s_cbranch_execz .LBB884_193
.LBB884_252:
	v_sub_u32_e32 v12, v40, v7
	v_mov_b32_e32 v13, 0
	v_lshl_add_u64 v[14:15], v[12:13], 3, v[4:5]
	v_mov_b32_e32 v12, v41
	global_store_dwordx2 v[14:15], v[12:13], off
	s_or_b64 exec, exec, s[36:37]
	s_and_saveexec_b64 s[36:37], s[12:13]
	s_cbranch_execz .LBB884_194
.LBB884_253:
	v_sub_u32_e32 v12, v38, v7
	v_mov_b32_e32 v13, 0
	v_lshl_add_u64 v[14:15], v[12:13], 3, v[4:5]
	v_mov_b32_e32 v12, v39
	global_store_dwordx2 v[14:15], v[12:13], off
	s_or_b64 exec, exec, s[36:37]
	s_and_saveexec_b64 s[36:37], s[10:11]
	s_cbranch_execz .LBB884_195
.LBB884_254:
	v_sub_u32_e32 v12, v36, v7
	v_mov_b32_e32 v13, 0
	v_lshl_add_u64 v[14:15], v[12:13], 3, v[4:5]
	v_mov_b32_e32 v12, v37
	global_store_dwordx2 v[14:15], v[12:13], off
	s_or_b64 exec, exec, s[36:37]
	s_and_saveexec_b64 s[36:37], s[8:9]
	s_cbranch_execz .LBB884_196
.LBB884_255:
	v_sub_u32_e32 v12, v34, v7
	v_mov_b32_e32 v13, 0
	v_lshl_add_u64 v[14:15], v[12:13], 3, v[4:5]
	v_mov_b32_e32 v12, v35
	global_store_dwordx2 v[14:15], v[12:13], off
	s_or_b64 exec, exec, s[36:37]
	s_and_saveexec_b64 s[36:37], s[6:7]
	s_cbranch_execz .LBB884_197
.LBB884_256:
	v_sub_u32_e32 v12, v32, v7
	v_mov_b32_e32 v13, 0
	v_lshl_add_u64 v[14:15], v[12:13], 3, v[4:5]
	v_mov_b32_e32 v12, v33
	global_store_dwordx2 v[14:15], v[12:13], off
	s_or_b64 exec, exec, s[36:37]
	s_and_saveexec_b64 s[36:37], s[4:5]
	s_cbranch_execz .LBB884_198
.LBB884_257:
	v_sub_u32_e32 v12, v30, v7
	v_mov_b32_e32 v13, 0
	v_lshl_add_u64 v[14:15], v[12:13], 3, v[4:5]
	v_mov_b32_e32 v12, v31
	global_store_dwordx2 v[14:15], v[12:13], off
	s_or_b64 exec, exec, s[36:37]
	s_and_saveexec_b64 s[36:37], s[2:3]
	s_cbranch_execnz .LBB884_199
	s_branch .LBB884_200
.LBB884_258:
	v_sub_u32_e32 v10, v54, v7
	v_lshlrev_b32_e32 v10, 2, v10
	ds_write_b32 v10, v55
	s_or_b64 exec, exec, s[36:37]
	s_and_saveexec_b64 s[28:29], s[26:27]
	s_cbranch_execz .LBB884_204
.LBB884_259:
	v_sub_u32_e32 v10, v52, v7
	v_lshlrev_b32_e32 v10, 2, v10
	ds_write_b32 v10, v53
	s_or_b64 exec, exec, s[28:29]
	s_and_saveexec_b64 s[26:27], s[24:25]
	s_cbranch_execz .LBB884_205
.LBB884_260:
	v_sub_u32_e32 v10, v50, v7
	v_lshlrev_b32_e32 v10, 2, v10
	ds_write_b32 v10, v51
	s_or_b64 exec, exec, s[26:27]
	s_and_saveexec_b64 s[24:25], s[22:23]
	s_cbranch_execz .LBB884_206
.LBB884_261:
	v_sub_u32_e32 v10, v48, v7
	v_lshlrev_b32_e32 v10, 2, v10
	ds_write_b32 v10, v49
	s_or_b64 exec, exec, s[24:25]
	s_and_saveexec_b64 s[22:23], s[20:21]
	s_cbranch_execz .LBB884_207
.LBB884_262:
	v_sub_u32_e32 v10, v46, v7
	v_lshlrev_b32_e32 v10, 2, v10
	ds_write_b32 v10, v47
	s_or_b64 exec, exec, s[22:23]
	s_and_saveexec_b64 s[20:21], s[18:19]
	s_cbranch_execz .LBB884_208
.LBB884_263:
	v_sub_u32_e32 v10, v44, v7
	v_lshlrev_b32_e32 v10, 2, v10
	ds_write_b32 v10, v45
	s_or_b64 exec, exec, s[20:21]
	s_and_saveexec_b64 s[18:19], s[16:17]
	s_cbranch_execz .LBB884_209
.LBB884_264:
	v_sub_u32_e32 v10, v42, v7
	v_lshlrev_b32_e32 v10, 2, v10
	ds_write_b32 v10, v43
	s_or_b64 exec, exec, s[18:19]
	s_and_saveexec_b64 s[16:17], s[14:15]
	s_cbranch_execz .LBB884_210
.LBB884_265:
	v_sub_u32_e32 v10, v40, v7
	v_lshlrev_b32_e32 v10, 2, v10
	ds_write_b32 v10, v41
	s_or_b64 exec, exec, s[16:17]
	s_and_saveexec_b64 s[14:15], s[12:13]
	s_cbranch_execz .LBB884_211
.LBB884_266:
	v_sub_u32_e32 v10, v38, v7
	v_lshlrev_b32_e32 v10, 2, v10
	ds_write_b32 v10, v39
	s_or_b64 exec, exec, s[14:15]
	s_and_saveexec_b64 s[12:13], s[10:11]
	s_cbranch_execz .LBB884_212
.LBB884_267:
	v_sub_u32_e32 v10, v36, v7
	v_lshlrev_b32_e32 v10, 2, v10
	ds_write_b32 v10, v37
	s_or_b64 exec, exec, s[12:13]
	s_and_saveexec_b64 s[10:11], s[8:9]
	s_cbranch_execz .LBB884_213
.LBB884_268:
	v_sub_u32_e32 v10, v34, v7
	v_lshlrev_b32_e32 v10, 2, v10
	ds_write_b32 v10, v35
	s_or_b64 exec, exec, s[10:11]
	s_and_saveexec_b64 s[8:9], s[6:7]
	s_cbranch_execz .LBB884_214
.LBB884_269:
	v_sub_u32_e32 v10, v32, v7
	v_lshlrev_b32_e32 v10, 2, v10
	ds_write_b32 v10, v33
	s_or_b64 exec, exec, s[8:9]
	s_and_saveexec_b64 s[6:7], s[4:5]
	s_cbranch_execz .LBB884_215
.LBB884_270:
	v_sub_u32_e32 v10, v30, v7
	v_lshlrev_b32_e32 v10, 2, v10
	ds_write_b32 v10, v31
	s_or_b64 exec, exec, s[6:7]
	s_and_saveexec_b64 s[4:5], s[2:3]
	s_cbranch_execnz .LBB884_216
	s_branch .LBB884_217
	.section	.rodata,"a",@progbits
	.p2align	6, 0x0
	.amdhsa_kernel _ZN7rocprim17ROCPRIM_400000_NS6detail17trampoline_kernelINS0_14default_configENS1_33run_length_encode_config_selectorIN3c108BFloat16EjNS0_4plusIjEEEEZZNS1_33reduce_by_key_impl_wrapped_configILNS1_25lookback_scan_determinismE0ES3_S9_PKS6_NS0_17constant_iteratorIjlEEPS6_PlSH_S8_NS0_8equal_toIS6_EEEE10hipError_tPvRmT2_T3_mT4_T5_T6_T7_T8_P12ihipStream_tbENKUlT_T0_E_clISt17integral_constantIbLb0EES10_IbLb1EEEEDaSW_SX_EUlSW_E_NS1_11comp_targetILNS1_3genE5ELNS1_11target_archE942ELNS1_3gpuE9ELNS1_3repE0EEENS1_30default_config_static_selectorELNS0_4arch9wavefront6targetE1EEEvT1_
		.amdhsa_group_segment_fixed_size 15360
		.amdhsa_private_segment_fixed_size 0
		.amdhsa_kernarg_size 128
		.amdhsa_user_sgpr_count 2
		.amdhsa_user_sgpr_dispatch_ptr 0
		.amdhsa_user_sgpr_queue_ptr 0
		.amdhsa_user_sgpr_kernarg_segment_ptr 1
		.amdhsa_user_sgpr_dispatch_id 0
		.amdhsa_user_sgpr_kernarg_preload_length 0
		.amdhsa_user_sgpr_kernarg_preload_offset 0
		.amdhsa_user_sgpr_private_segment_size 0
		.amdhsa_uses_dynamic_stack 0
		.amdhsa_enable_private_segment 0
		.amdhsa_system_sgpr_workgroup_id_x 1
		.amdhsa_system_sgpr_workgroup_id_y 0
		.amdhsa_system_sgpr_workgroup_id_z 0
		.amdhsa_system_sgpr_workgroup_info 0
		.amdhsa_system_vgpr_workitem_id 0
		.amdhsa_next_free_vgpr 108
		.amdhsa_next_free_sgpr 66
		.amdhsa_accum_offset 108
		.amdhsa_reserve_vcc 1
		.amdhsa_float_round_mode_32 0
		.amdhsa_float_round_mode_16_64 0
		.amdhsa_float_denorm_mode_32 3
		.amdhsa_float_denorm_mode_16_64 3
		.amdhsa_dx10_clamp 1
		.amdhsa_ieee_mode 1
		.amdhsa_fp16_overflow 0
		.amdhsa_tg_split 0
		.amdhsa_exception_fp_ieee_invalid_op 0
		.amdhsa_exception_fp_denorm_src 0
		.amdhsa_exception_fp_ieee_div_zero 0
		.amdhsa_exception_fp_ieee_overflow 0
		.amdhsa_exception_fp_ieee_underflow 0
		.amdhsa_exception_fp_ieee_inexact 0
		.amdhsa_exception_int_div_zero 0
	.end_amdhsa_kernel
	.section	.text._ZN7rocprim17ROCPRIM_400000_NS6detail17trampoline_kernelINS0_14default_configENS1_33run_length_encode_config_selectorIN3c108BFloat16EjNS0_4plusIjEEEEZZNS1_33reduce_by_key_impl_wrapped_configILNS1_25lookback_scan_determinismE0ES3_S9_PKS6_NS0_17constant_iteratorIjlEEPS6_PlSH_S8_NS0_8equal_toIS6_EEEE10hipError_tPvRmT2_T3_mT4_T5_T6_T7_T8_P12ihipStream_tbENKUlT_T0_E_clISt17integral_constantIbLb0EES10_IbLb1EEEEDaSW_SX_EUlSW_E_NS1_11comp_targetILNS1_3genE5ELNS1_11target_archE942ELNS1_3gpuE9ELNS1_3repE0EEENS1_30default_config_static_selectorELNS0_4arch9wavefront6targetE1EEEvT1_,"axG",@progbits,_ZN7rocprim17ROCPRIM_400000_NS6detail17trampoline_kernelINS0_14default_configENS1_33run_length_encode_config_selectorIN3c108BFloat16EjNS0_4plusIjEEEEZZNS1_33reduce_by_key_impl_wrapped_configILNS1_25lookback_scan_determinismE0ES3_S9_PKS6_NS0_17constant_iteratorIjlEEPS6_PlSH_S8_NS0_8equal_toIS6_EEEE10hipError_tPvRmT2_T3_mT4_T5_T6_T7_T8_P12ihipStream_tbENKUlT_T0_E_clISt17integral_constantIbLb0EES10_IbLb1EEEEDaSW_SX_EUlSW_E_NS1_11comp_targetILNS1_3genE5ELNS1_11target_archE942ELNS1_3gpuE9ELNS1_3repE0EEENS1_30default_config_static_selectorELNS0_4arch9wavefront6targetE1EEEvT1_,comdat
.Lfunc_end884:
	.size	_ZN7rocprim17ROCPRIM_400000_NS6detail17trampoline_kernelINS0_14default_configENS1_33run_length_encode_config_selectorIN3c108BFloat16EjNS0_4plusIjEEEEZZNS1_33reduce_by_key_impl_wrapped_configILNS1_25lookback_scan_determinismE0ES3_S9_PKS6_NS0_17constant_iteratorIjlEEPS6_PlSH_S8_NS0_8equal_toIS6_EEEE10hipError_tPvRmT2_T3_mT4_T5_T6_T7_T8_P12ihipStream_tbENKUlT_T0_E_clISt17integral_constantIbLb0EES10_IbLb1EEEEDaSW_SX_EUlSW_E_NS1_11comp_targetILNS1_3genE5ELNS1_11target_archE942ELNS1_3gpuE9ELNS1_3repE0EEENS1_30default_config_static_selectorELNS0_4arch9wavefront6targetE1EEEvT1_, .Lfunc_end884-_ZN7rocprim17ROCPRIM_400000_NS6detail17trampoline_kernelINS0_14default_configENS1_33run_length_encode_config_selectorIN3c108BFloat16EjNS0_4plusIjEEEEZZNS1_33reduce_by_key_impl_wrapped_configILNS1_25lookback_scan_determinismE0ES3_S9_PKS6_NS0_17constant_iteratorIjlEEPS6_PlSH_S8_NS0_8equal_toIS6_EEEE10hipError_tPvRmT2_T3_mT4_T5_T6_T7_T8_P12ihipStream_tbENKUlT_T0_E_clISt17integral_constantIbLb0EES10_IbLb1EEEEDaSW_SX_EUlSW_E_NS1_11comp_targetILNS1_3genE5ELNS1_11target_archE942ELNS1_3gpuE9ELNS1_3repE0EEENS1_30default_config_static_selectorELNS0_4arch9wavefront6targetE1EEEvT1_
                                        ; -- End function
	.section	.AMDGPU.csdata,"",@progbits
; Kernel info:
; codeLenInByte = 15660
; NumSgprs: 72
; NumVgprs: 108
; NumAgprs: 0
; TotalNumVgprs: 108
; ScratchSize: 0
; MemoryBound: 0
; FloatMode: 240
; IeeeMode: 1
; LDSByteSize: 15360 bytes/workgroup (compile time only)
; SGPRBlocks: 8
; VGPRBlocks: 13
; NumSGPRsForWavesPerEU: 72
; NumVGPRsForWavesPerEU: 108
; AccumOffset: 108
; Occupancy: 4
; WaveLimiterHint : 1
; COMPUTE_PGM_RSRC2:SCRATCH_EN: 0
; COMPUTE_PGM_RSRC2:USER_SGPR: 2
; COMPUTE_PGM_RSRC2:TRAP_HANDLER: 0
; COMPUTE_PGM_RSRC2:TGID_X_EN: 1
; COMPUTE_PGM_RSRC2:TGID_Y_EN: 0
; COMPUTE_PGM_RSRC2:TGID_Z_EN: 0
; COMPUTE_PGM_RSRC2:TIDIG_COMP_CNT: 0
; COMPUTE_PGM_RSRC3_GFX90A:ACCUM_OFFSET: 26
; COMPUTE_PGM_RSRC3_GFX90A:TG_SPLIT: 0
	.section	.text._ZN7rocprim17ROCPRIM_400000_NS6detail17trampoline_kernelINS0_14default_configENS1_33run_length_encode_config_selectorIN3c108BFloat16EjNS0_4plusIjEEEEZZNS1_33reduce_by_key_impl_wrapped_configILNS1_25lookback_scan_determinismE0ES3_S9_PKS6_NS0_17constant_iteratorIjlEEPS6_PlSH_S8_NS0_8equal_toIS6_EEEE10hipError_tPvRmT2_T3_mT4_T5_T6_T7_T8_P12ihipStream_tbENKUlT_T0_E_clISt17integral_constantIbLb0EES10_IbLb1EEEEDaSW_SX_EUlSW_E_NS1_11comp_targetILNS1_3genE4ELNS1_11target_archE910ELNS1_3gpuE8ELNS1_3repE0EEENS1_30default_config_static_selectorELNS0_4arch9wavefront6targetE1EEEvT1_,"axG",@progbits,_ZN7rocprim17ROCPRIM_400000_NS6detail17trampoline_kernelINS0_14default_configENS1_33run_length_encode_config_selectorIN3c108BFloat16EjNS0_4plusIjEEEEZZNS1_33reduce_by_key_impl_wrapped_configILNS1_25lookback_scan_determinismE0ES3_S9_PKS6_NS0_17constant_iteratorIjlEEPS6_PlSH_S8_NS0_8equal_toIS6_EEEE10hipError_tPvRmT2_T3_mT4_T5_T6_T7_T8_P12ihipStream_tbENKUlT_T0_E_clISt17integral_constantIbLb0EES10_IbLb1EEEEDaSW_SX_EUlSW_E_NS1_11comp_targetILNS1_3genE4ELNS1_11target_archE910ELNS1_3gpuE8ELNS1_3repE0EEENS1_30default_config_static_selectorELNS0_4arch9wavefront6targetE1EEEvT1_,comdat
	.protected	_ZN7rocprim17ROCPRIM_400000_NS6detail17trampoline_kernelINS0_14default_configENS1_33run_length_encode_config_selectorIN3c108BFloat16EjNS0_4plusIjEEEEZZNS1_33reduce_by_key_impl_wrapped_configILNS1_25lookback_scan_determinismE0ES3_S9_PKS6_NS0_17constant_iteratorIjlEEPS6_PlSH_S8_NS0_8equal_toIS6_EEEE10hipError_tPvRmT2_T3_mT4_T5_T6_T7_T8_P12ihipStream_tbENKUlT_T0_E_clISt17integral_constantIbLb0EES10_IbLb1EEEEDaSW_SX_EUlSW_E_NS1_11comp_targetILNS1_3genE4ELNS1_11target_archE910ELNS1_3gpuE8ELNS1_3repE0EEENS1_30default_config_static_selectorELNS0_4arch9wavefront6targetE1EEEvT1_ ; -- Begin function _ZN7rocprim17ROCPRIM_400000_NS6detail17trampoline_kernelINS0_14default_configENS1_33run_length_encode_config_selectorIN3c108BFloat16EjNS0_4plusIjEEEEZZNS1_33reduce_by_key_impl_wrapped_configILNS1_25lookback_scan_determinismE0ES3_S9_PKS6_NS0_17constant_iteratorIjlEEPS6_PlSH_S8_NS0_8equal_toIS6_EEEE10hipError_tPvRmT2_T3_mT4_T5_T6_T7_T8_P12ihipStream_tbENKUlT_T0_E_clISt17integral_constantIbLb0EES10_IbLb1EEEEDaSW_SX_EUlSW_E_NS1_11comp_targetILNS1_3genE4ELNS1_11target_archE910ELNS1_3gpuE8ELNS1_3repE0EEENS1_30default_config_static_selectorELNS0_4arch9wavefront6targetE1EEEvT1_
	.globl	_ZN7rocprim17ROCPRIM_400000_NS6detail17trampoline_kernelINS0_14default_configENS1_33run_length_encode_config_selectorIN3c108BFloat16EjNS0_4plusIjEEEEZZNS1_33reduce_by_key_impl_wrapped_configILNS1_25lookback_scan_determinismE0ES3_S9_PKS6_NS0_17constant_iteratorIjlEEPS6_PlSH_S8_NS0_8equal_toIS6_EEEE10hipError_tPvRmT2_T3_mT4_T5_T6_T7_T8_P12ihipStream_tbENKUlT_T0_E_clISt17integral_constantIbLb0EES10_IbLb1EEEEDaSW_SX_EUlSW_E_NS1_11comp_targetILNS1_3genE4ELNS1_11target_archE910ELNS1_3gpuE8ELNS1_3repE0EEENS1_30default_config_static_selectorELNS0_4arch9wavefront6targetE1EEEvT1_
	.p2align	8
	.type	_ZN7rocprim17ROCPRIM_400000_NS6detail17trampoline_kernelINS0_14default_configENS1_33run_length_encode_config_selectorIN3c108BFloat16EjNS0_4plusIjEEEEZZNS1_33reduce_by_key_impl_wrapped_configILNS1_25lookback_scan_determinismE0ES3_S9_PKS6_NS0_17constant_iteratorIjlEEPS6_PlSH_S8_NS0_8equal_toIS6_EEEE10hipError_tPvRmT2_T3_mT4_T5_T6_T7_T8_P12ihipStream_tbENKUlT_T0_E_clISt17integral_constantIbLb0EES10_IbLb1EEEEDaSW_SX_EUlSW_E_NS1_11comp_targetILNS1_3genE4ELNS1_11target_archE910ELNS1_3gpuE8ELNS1_3repE0EEENS1_30default_config_static_selectorELNS0_4arch9wavefront6targetE1EEEvT1_,@function
_ZN7rocprim17ROCPRIM_400000_NS6detail17trampoline_kernelINS0_14default_configENS1_33run_length_encode_config_selectorIN3c108BFloat16EjNS0_4plusIjEEEEZZNS1_33reduce_by_key_impl_wrapped_configILNS1_25lookback_scan_determinismE0ES3_S9_PKS6_NS0_17constant_iteratorIjlEEPS6_PlSH_S8_NS0_8equal_toIS6_EEEE10hipError_tPvRmT2_T3_mT4_T5_T6_T7_T8_P12ihipStream_tbENKUlT_T0_E_clISt17integral_constantIbLb0EES10_IbLb1EEEEDaSW_SX_EUlSW_E_NS1_11comp_targetILNS1_3genE4ELNS1_11target_archE910ELNS1_3gpuE8ELNS1_3repE0EEENS1_30default_config_static_selectorELNS0_4arch9wavefront6targetE1EEEvT1_: ; @_ZN7rocprim17ROCPRIM_400000_NS6detail17trampoline_kernelINS0_14default_configENS1_33run_length_encode_config_selectorIN3c108BFloat16EjNS0_4plusIjEEEEZZNS1_33reduce_by_key_impl_wrapped_configILNS1_25lookback_scan_determinismE0ES3_S9_PKS6_NS0_17constant_iteratorIjlEEPS6_PlSH_S8_NS0_8equal_toIS6_EEEE10hipError_tPvRmT2_T3_mT4_T5_T6_T7_T8_P12ihipStream_tbENKUlT_T0_E_clISt17integral_constantIbLb0EES10_IbLb1EEEEDaSW_SX_EUlSW_E_NS1_11comp_targetILNS1_3genE4ELNS1_11target_archE910ELNS1_3gpuE8ELNS1_3repE0EEENS1_30default_config_static_selectorELNS0_4arch9wavefront6targetE1EEEvT1_
; %bb.0:
	.section	.rodata,"a",@progbits
	.p2align	6, 0x0
	.amdhsa_kernel _ZN7rocprim17ROCPRIM_400000_NS6detail17trampoline_kernelINS0_14default_configENS1_33run_length_encode_config_selectorIN3c108BFloat16EjNS0_4plusIjEEEEZZNS1_33reduce_by_key_impl_wrapped_configILNS1_25lookback_scan_determinismE0ES3_S9_PKS6_NS0_17constant_iteratorIjlEEPS6_PlSH_S8_NS0_8equal_toIS6_EEEE10hipError_tPvRmT2_T3_mT4_T5_T6_T7_T8_P12ihipStream_tbENKUlT_T0_E_clISt17integral_constantIbLb0EES10_IbLb1EEEEDaSW_SX_EUlSW_E_NS1_11comp_targetILNS1_3genE4ELNS1_11target_archE910ELNS1_3gpuE8ELNS1_3repE0EEENS1_30default_config_static_selectorELNS0_4arch9wavefront6targetE1EEEvT1_
		.amdhsa_group_segment_fixed_size 0
		.amdhsa_private_segment_fixed_size 0
		.amdhsa_kernarg_size 128
		.amdhsa_user_sgpr_count 2
		.amdhsa_user_sgpr_dispatch_ptr 0
		.amdhsa_user_sgpr_queue_ptr 0
		.amdhsa_user_sgpr_kernarg_segment_ptr 1
		.amdhsa_user_sgpr_dispatch_id 0
		.amdhsa_user_sgpr_kernarg_preload_length 0
		.amdhsa_user_sgpr_kernarg_preload_offset 0
		.amdhsa_user_sgpr_private_segment_size 0
		.amdhsa_uses_dynamic_stack 0
		.amdhsa_enable_private_segment 0
		.amdhsa_system_sgpr_workgroup_id_x 1
		.amdhsa_system_sgpr_workgroup_id_y 0
		.amdhsa_system_sgpr_workgroup_id_z 0
		.amdhsa_system_sgpr_workgroup_info 0
		.amdhsa_system_vgpr_workitem_id 0
		.amdhsa_next_free_vgpr 1
		.amdhsa_next_free_sgpr 0
		.amdhsa_accum_offset 4
		.amdhsa_reserve_vcc 0
		.amdhsa_float_round_mode_32 0
		.amdhsa_float_round_mode_16_64 0
		.amdhsa_float_denorm_mode_32 3
		.amdhsa_float_denorm_mode_16_64 3
		.amdhsa_dx10_clamp 1
		.amdhsa_ieee_mode 1
		.amdhsa_fp16_overflow 0
		.amdhsa_tg_split 0
		.amdhsa_exception_fp_ieee_invalid_op 0
		.amdhsa_exception_fp_denorm_src 0
		.amdhsa_exception_fp_ieee_div_zero 0
		.amdhsa_exception_fp_ieee_overflow 0
		.amdhsa_exception_fp_ieee_underflow 0
		.amdhsa_exception_fp_ieee_inexact 0
		.amdhsa_exception_int_div_zero 0
	.end_amdhsa_kernel
	.section	.text._ZN7rocprim17ROCPRIM_400000_NS6detail17trampoline_kernelINS0_14default_configENS1_33run_length_encode_config_selectorIN3c108BFloat16EjNS0_4plusIjEEEEZZNS1_33reduce_by_key_impl_wrapped_configILNS1_25lookback_scan_determinismE0ES3_S9_PKS6_NS0_17constant_iteratorIjlEEPS6_PlSH_S8_NS0_8equal_toIS6_EEEE10hipError_tPvRmT2_T3_mT4_T5_T6_T7_T8_P12ihipStream_tbENKUlT_T0_E_clISt17integral_constantIbLb0EES10_IbLb1EEEEDaSW_SX_EUlSW_E_NS1_11comp_targetILNS1_3genE4ELNS1_11target_archE910ELNS1_3gpuE8ELNS1_3repE0EEENS1_30default_config_static_selectorELNS0_4arch9wavefront6targetE1EEEvT1_,"axG",@progbits,_ZN7rocprim17ROCPRIM_400000_NS6detail17trampoline_kernelINS0_14default_configENS1_33run_length_encode_config_selectorIN3c108BFloat16EjNS0_4plusIjEEEEZZNS1_33reduce_by_key_impl_wrapped_configILNS1_25lookback_scan_determinismE0ES3_S9_PKS6_NS0_17constant_iteratorIjlEEPS6_PlSH_S8_NS0_8equal_toIS6_EEEE10hipError_tPvRmT2_T3_mT4_T5_T6_T7_T8_P12ihipStream_tbENKUlT_T0_E_clISt17integral_constantIbLb0EES10_IbLb1EEEEDaSW_SX_EUlSW_E_NS1_11comp_targetILNS1_3genE4ELNS1_11target_archE910ELNS1_3gpuE8ELNS1_3repE0EEENS1_30default_config_static_selectorELNS0_4arch9wavefront6targetE1EEEvT1_,comdat
.Lfunc_end885:
	.size	_ZN7rocprim17ROCPRIM_400000_NS6detail17trampoline_kernelINS0_14default_configENS1_33run_length_encode_config_selectorIN3c108BFloat16EjNS0_4plusIjEEEEZZNS1_33reduce_by_key_impl_wrapped_configILNS1_25lookback_scan_determinismE0ES3_S9_PKS6_NS0_17constant_iteratorIjlEEPS6_PlSH_S8_NS0_8equal_toIS6_EEEE10hipError_tPvRmT2_T3_mT4_T5_T6_T7_T8_P12ihipStream_tbENKUlT_T0_E_clISt17integral_constantIbLb0EES10_IbLb1EEEEDaSW_SX_EUlSW_E_NS1_11comp_targetILNS1_3genE4ELNS1_11target_archE910ELNS1_3gpuE8ELNS1_3repE0EEENS1_30default_config_static_selectorELNS0_4arch9wavefront6targetE1EEEvT1_, .Lfunc_end885-_ZN7rocprim17ROCPRIM_400000_NS6detail17trampoline_kernelINS0_14default_configENS1_33run_length_encode_config_selectorIN3c108BFloat16EjNS0_4plusIjEEEEZZNS1_33reduce_by_key_impl_wrapped_configILNS1_25lookback_scan_determinismE0ES3_S9_PKS6_NS0_17constant_iteratorIjlEEPS6_PlSH_S8_NS0_8equal_toIS6_EEEE10hipError_tPvRmT2_T3_mT4_T5_T6_T7_T8_P12ihipStream_tbENKUlT_T0_E_clISt17integral_constantIbLb0EES10_IbLb1EEEEDaSW_SX_EUlSW_E_NS1_11comp_targetILNS1_3genE4ELNS1_11target_archE910ELNS1_3gpuE8ELNS1_3repE0EEENS1_30default_config_static_selectorELNS0_4arch9wavefront6targetE1EEEvT1_
                                        ; -- End function
	.section	.AMDGPU.csdata,"",@progbits
; Kernel info:
; codeLenInByte = 0
; NumSgprs: 6
; NumVgprs: 0
; NumAgprs: 0
; TotalNumVgprs: 0
; ScratchSize: 0
; MemoryBound: 0
; FloatMode: 240
; IeeeMode: 1
; LDSByteSize: 0 bytes/workgroup (compile time only)
; SGPRBlocks: 0
; VGPRBlocks: 0
; NumSGPRsForWavesPerEU: 6
; NumVGPRsForWavesPerEU: 1
; AccumOffset: 4
; Occupancy: 8
; WaveLimiterHint : 0
; COMPUTE_PGM_RSRC2:SCRATCH_EN: 0
; COMPUTE_PGM_RSRC2:USER_SGPR: 2
; COMPUTE_PGM_RSRC2:TRAP_HANDLER: 0
; COMPUTE_PGM_RSRC2:TGID_X_EN: 1
; COMPUTE_PGM_RSRC2:TGID_Y_EN: 0
; COMPUTE_PGM_RSRC2:TGID_Z_EN: 0
; COMPUTE_PGM_RSRC2:TIDIG_COMP_CNT: 0
; COMPUTE_PGM_RSRC3_GFX90A:ACCUM_OFFSET: 0
; COMPUTE_PGM_RSRC3_GFX90A:TG_SPLIT: 0
	.section	.text._ZN7rocprim17ROCPRIM_400000_NS6detail17trampoline_kernelINS0_14default_configENS1_33run_length_encode_config_selectorIN3c108BFloat16EjNS0_4plusIjEEEEZZNS1_33reduce_by_key_impl_wrapped_configILNS1_25lookback_scan_determinismE0ES3_S9_PKS6_NS0_17constant_iteratorIjlEEPS6_PlSH_S8_NS0_8equal_toIS6_EEEE10hipError_tPvRmT2_T3_mT4_T5_T6_T7_T8_P12ihipStream_tbENKUlT_T0_E_clISt17integral_constantIbLb0EES10_IbLb1EEEEDaSW_SX_EUlSW_E_NS1_11comp_targetILNS1_3genE3ELNS1_11target_archE908ELNS1_3gpuE7ELNS1_3repE0EEENS1_30default_config_static_selectorELNS0_4arch9wavefront6targetE1EEEvT1_,"axG",@progbits,_ZN7rocprim17ROCPRIM_400000_NS6detail17trampoline_kernelINS0_14default_configENS1_33run_length_encode_config_selectorIN3c108BFloat16EjNS0_4plusIjEEEEZZNS1_33reduce_by_key_impl_wrapped_configILNS1_25lookback_scan_determinismE0ES3_S9_PKS6_NS0_17constant_iteratorIjlEEPS6_PlSH_S8_NS0_8equal_toIS6_EEEE10hipError_tPvRmT2_T3_mT4_T5_T6_T7_T8_P12ihipStream_tbENKUlT_T0_E_clISt17integral_constantIbLb0EES10_IbLb1EEEEDaSW_SX_EUlSW_E_NS1_11comp_targetILNS1_3genE3ELNS1_11target_archE908ELNS1_3gpuE7ELNS1_3repE0EEENS1_30default_config_static_selectorELNS0_4arch9wavefront6targetE1EEEvT1_,comdat
	.protected	_ZN7rocprim17ROCPRIM_400000_NS6detail17trampoline_kernelINS0_14default_configENS1_33run_length_encode_config_selectorIN3c108BFloat16EjNS0_4plusIjEEEEZZNS1_33reduce_by_key_impl_wrapped_configILNS1_25lookback_scan_determinismE0ES3_S9_PKS6_NS0_17constant_iteratorIjlEEPS6_PlSH_S8_NS0_8equal_toIS6_EEEE10hipError_tPvRmT2_T3_mT4_T5_T6_T7_T8_P12ihipStream_tbENKUlT_T0_E_clISt17integral_constantIbLb0EES10_IbLb1EEEEDaSW_SX_EUlSW_E_NS1_11comp_targetILNS1_3genE3ELNS1_11target_archE908ELNS1_3gpuE7ELNS1_3repE0EEENS1_30default_config_static_selectorELNS0_4arch9wavefront6targetE1EEEvT1_ ; -- Begin function _ZN7rocprim17ROCPRIM_400000_NS6detail17trampoline_kernelINS0_14default_configENS1_33run_length_encode_config_selectorIN3c108BFloat16EjNS0_4plusIjEEEEZZNS1_33reduce_by_key_impl_wrapped_configILNS1_25lookback_scan_determinismE0ES3_S9_PKS6_NS0_17constant_iteratorIjlEEPS6_PlSH_S8_NS0_8equal_toIS6_EEEE10hipError_tPvRmT2_T3_mT4_T5_T6_T7_T8_P12ihipStream_tbENKUlT_T0_E_clISt17integral_constantIbLb0EES10_IbLb1EEEEDaSW_SX_EUlSW_E_NS1_11comp_targetILNS1_3genE3ELNS1_11target_archE908ELNS1_3gpuE7ELNS1_3repE0EEENS1_30default_config_static_selectorELNS0_4arch9wavefront6targetE1EEEvT1_
	.globl	_ZN7rocprim17ROCPRIM_400000_NS6detail17trampoline_kernelINS0_14default_configENS1_33run_length_encode_config_selectorIN3c108BFloat16EjNS0_4plusIjEEEEZZNS1_33reduce_by_key_impl_wrapped_configILNS1_25lookback_scan_determinismE0ES3_S9_PKS6_NS0_17constant_iteratorIjlEEPS6_PlSH_S8_NS0_8equal_toIS6_EEEE10hipError_tPvRmT2_T3_mT4_T5_T6_T7_T8_P12ihipStream_tbENKUlT_T0_E_clISt17integral_constantIbLb0EES10_IbLb1EEEEDaSW_SX_EUlSW_E_NS1_11comp_targetILNS1_3genE3ELNS1_11target_archE908ELNS1_3gpuE7ELNS1_3repE0EEENS1_30default_config_static_selectorELNS0_4arch9wavefront6targetE1EEEvT1_
	.p2align	8
	.type	_ZN7rocprim17ROCPRIM_400000_NS6detail17trampoline_kernelINS0_14default_configENS1_33run_length_encode_config_selectorIN3c108BFloat16EjNS0_4plusIjEEEEZZNS1_33reduce_by_key_impl_wrapped_configILNS1_25lookback_scan_determinismE0ES3_S9_PKS6_NS0_17constant_iteratorIjlEEPS6_PlSH_S8_NS0_8equal_toIS6_EEEE10hipError_tPvRmT2_T3_mT4_T5_T6_T7_T8_P12ihipStream_tbENKUlT_T0_E_clISt17integral_constantIbLb0EES10_IbLb1EEEEDaSW_SX_EUlSW_E_NS1_11comp_targetILNS1_3genE3ELNS1_11target_archE908ELNS1_3gpuE7ELNS1_3repE0EEENS1_30default_config_static_selectorELNS0_4arch9wavefront6targetE1EEEvT1_,@function
_ZN7rocprim17ROCPRIM_400000_NS6detail17trampoline_kernelINS0_14default_configENS1_33run_length_encode_config_selectorIN3c108BFloat16EjNS0_4plusIjEEEEZZNS1_33reduce_by_key_impl_wrapped_configILNS1_25lookback_scan_determinismE0ES3_S9_PKS6_NS0_17constant_iteratorIjlEEPS6_PlSH_S8_NS0_8equal_toIS6_EEEE10hipError_tPvRmT2_T3_mT4_T5_T6_T7_T8_P12ihipStream_tbENKUlT_T0_E_clISt17integral_constantIbLb0EES10_IbLb1EEEEDaSW_SX_EUlSW_E_NS1_11comp_targetILNS1_3genE3ELNS1_11target_archE908ELNS1_3gpuE7ELNS1_3repE0EEENS1_30default_config_static_selectorELNS0_4arch9wavefront6targetE1EEEvT1_: ; @_ZN7rocprim17ROCPRIM_400000_NS6detail17trampoline_kernelINS0_14default_configENS1_33run_length_encode_config_selectorIN3c108BFloat16EjNS0_4plusIjEEEEZZNS1_33reduce_by_key_impl_wrapped_configILNS1_25lookback_scan_determinismE0ES3_S9_PKS6_NS0_17constant_iteratorIjlEEPS6_PlSH_S8_NS0_8equal_toIS6_EEEE10hipError_tPvRmT2_T3_mT4_T5_T6_T7_T8_P12ihipStream_tbENKUlT_T0_E_clISt17integral_constantIbLb0EES10_IbLb1EEEEDaSW_SX_EUlSW_E_NS1_11comp_targetILNS1_3genE3ELNS1_11target_archE908ELNS1_3gpuE7ELNS1_3repE0EEENS1_30default_config_static_selectorELNS0_4arch9wavefront6targetE1EEEvT1_
; %bb.0:
	.section	.rodata,"a",@progbits
	.p2align	6, 0x0
	.amdhsa_kernel _ZN7rocprim17ROCPRIM_400000_NS6detail17trampoline_kernelINS0_14default_configENS1_33run_length_encode_config_selectorIN3c108BFloat16EjNS0_4plusIjEEEEZZNS1_33reduce_by_key_impl_wrapped_configILNS1_25lookback_scan_determinismE0ES3_S9_PKS6_NS0_17constant_iteratorIjlEEPS6_PlSH_S8_NS0_8equal_toIS6_EEEE10hipError_tPvRmT2_T3_mT4_T5_T6_T7_T8_P12ihipStream_tbENKUlT_T0_E_clISt17integral_constantIbLb0EES10_IbLb1EEEEDaSW_SX_EUlSW_E_NS1_11comp_targetILNS1_3genE3ELNS1_11target_archE908ELNS1_3gpuE7ELNS1_3repE0EEENS1_30default_config_static_selectorELNS0_4arch9wavefront6targetE1EEEvT1_
		.amdhsa_group_segment_fixed_size 0
		.amdhsa_private_segment_fixed_size 0
		.amdhsa_kernarg_size 128
		.amdhsa_user_sgpr_count 2
		.amdhsa_user_sgpr_dispatch_ptr 0
		.amdhsa_user_sgpr_queue_ptr 0
		.amdhsa_user_sgpr_kernarg_segment_ptr 1
		.amdhsa_user_sgpr_dispatch_id 0
		.amdhsa_user_sgpr_kernarg_preload_length 0
		.amdhsa_user_sgpr_kernarg_preload_offset 0
		.amdhsa_user_sgpr_private_segment_size 0
		.amdhsa_uses_dynamic_stack 0
		.amdhsa_enable_private_segment 0
		.amdhsa_system_sgpr_workgroup_id_x 1
		.amdhsa_system_sgpr_workgroup_id_y 0
		.amdhsa_system_sgpr_workgroup_id_z 0
		.amdhsa_system_sgpr_workgroup_info 0
		.amdhsa_system_vgpr_workitem_id 0
		.amdhsa_next_free_vgpr 1
		.amdhsa_next_free_sgpr 0
		.amdhsa_accum_offset 4
		.amdhsa_reserve_vcc 0
		.amdhsa_float_round_mode_32 0
		.amdhsa_float_round_mode_16_64 0
		.amdhsa_float_denorm_mode_32 3
		.amdhsa_float_denorm_mode_16_64 3
		.amdhsa_dx10_clamp 1
		.amdhsa_ieee_mode 1
		.amdhsa_fp16_overflow 0
		.amdhsa_tg_split 0
		.amdhsa_exception_fp_ieee_invalid_op 0
		.amdhsa_exception_fp_denorm_src 0
		.amdhsa_exception_fp_ieee_div_zero 0
		.amdhsa_exception_fp_ieee_overflow 0
		.amdhsa_exception_fp_ieee_underflow 0
		.amdhsa_exception_fp_ieee_inexact 0
		.amdhsa_exception_int_div_zero 0
	.end_amdhsa_kernel
	.section	.text._ZN7rocprim17ROCPRIM_400000_NS6detail17trampoline_kernelINS0_14default_configENS1_33run_length_encode_config_selectorIN3c108BFloat16EjNS0_4plusIjEEEEZZNS1_33reduce_by_key_impl_wrapped_configILNS1_25lookback_scan_determinismE0ES3_S9_PKS6_NS0_17constant_iteratorIjlEEPS6_PlSH_S8_NS0_8equal_toIS6_EEEE10hipError_tPvRmT2_T3_mT4_T5_T6_T7_T8_P12ihipStream_tbENKUlT_T0_E_clISt17integral_constantIbLb0EES10_IbLb1EEEEDaSW_SX_EUlSW_E_NS1_11comp_targetILNS1_3genE3ELNS1_11target_archE908ELNS1_3gpuE7ELNS1_3repE0EEENS1_30default_config_static_selectorELNS0_4arch9wavefront6targetE1EEEvT1_,"axG",@progbits,_ZN7rocprim17ROCPRIM_400000_NS6detail17trampoline_kernelINS0_14default_configENS1_33run_length_encode_config_selectorIN3c108BFloat16EjNS0_4plusIjEEEEZZNS1_33reduce_by_key_impl_wrapped_configILNS1_25lookback_scan_determinismE0ES3_S9_PKS6_NS0_17constant_iteratorIjlEEPS6_PlSH_S8_NS0_8equal_toIS6_EEEE10hipError_tPvRmT2_T3_mT4_T5_T6_T7_T8_P12ihipStream_tbENKUlT_T0_E_clISt17integral_constantIbLb0EES10_IbLb1EEEEDaSW_SX_EUlSW_E_NS1_11comp_targetILNS1_3genE3ELNS1_11target_archE908ELNS1_3gpuE7ELNS1_3repE0EEENS1_30default_config_static_selectorELNS0_4arch9wavefront6targetE1EEEvT1_,comdat
.Lfunc_end886:
	.size	_ZN7rocprim17ROCPRIM_400000_NS6detail17trampoline_kernelINS0_14default_configENS1_33run_length_encode_config_selectorIN3c108BFloat16EjNS0_4plusIjEEEEZZNS1_33reduce_by_key_impl_wrapped_configILNS1_25lookback_scan_determinismE0ES3_S9_PKS6_NS0_17constant_iteratorIjlEEPS6_PlSH_S8_NS0_8equal_toIS6_EEEE10hipError_tPvRmT2_T3_mT4_T5_T6_T7_T8_P12ihipStream_tbENKUlT_T0_E_clISt17integral_constantIbLb0EES10_IbLb1EEEEDaSW_SX_EUlSW_E_NS1_11comp_targetILNS1_3genE3ELNS1_11target_archE908ELNS1_3gpuE7ELNS1_3repE0EEENS1_30default_config_static_selectorELNS0_4arch9wavefront6targetE1EEEvT1_, .Lfunc_end886-_ZN7rocprim17ROCPRIM_400000_NS6detail17trampoline_kernelINS0_14default_configENS1_33run_length_encode_config_selectorIN3c108BFloat16EjNS0_4plusIjEEEEZZNS1_33reduce_by_key_impl_wrapped_configILNS1_25lookback_scan_determinismE0ES3_S9_PKS6_NS0_17constant_iteratorIjlEEPS6_PlSH_S8_NS0_8equal_toIS6_EEEE10hipError_tPvRmT2_T3_mT4_T5_T6_T7_T8_P12ihipStream_tbENKUlT_T0_E_clISt17integral_constantIbLb0EES10_IbLb1EEEEDaSW_SX_EUlSW_E_NS1_11comp_targetILNS1_3genE3ELNS1_11target_archE908ELNS1_3gpuE7ELNS1_3repE0EEENS1_30default_config_static_selectorELNS0_4arch9wavefront6targetE1EEEvT1_
                                        ; -- End function
	.section	.AMDGPU.csdata,"",@progbits
; Kernel info:
; codeLenInByte = 0
; NumSgprs: 6
; NumVgprs: 0
; NumAgprs: 0
; TotalNumVgprs: 0
; ScratchSize: 0
; MemoryBound: 0
; FloatMode: 240
; IeeeMode: 1
; LDSByteSize: 0 bytes/workgroup (compile time only)
; SGPRBlocks: 0
; VGPRBlocks: 0
; NumSGPRsForWavesPerEU: 6
; NumVGPRsForWavesPerEU: 1
; AccumOffset: 4
; Occupancy: 8
; WaveLimiterHint : 0
; COMPUTE_PGM_RSRC2:SCRATCH_EN: 0
; COMPUTE_PGM_RSRC2:USER_SGPR: 2
; COMPUTE_PGM_RSRC2:TRAP_HANDLER: 0
; COMPUTE_PGM_RSRC2:TGID_X_EN: 1
; COMPUTE_PGM_RSRC2:TGID_Y_EN: 0
; COMPUTE_PGM_RSRC2:TGID_Z_EN: 0
; COMPUTE_PGM_RSRC2:TIDIG_COMP_CNT: 0
; COMPUTE_PGM_RSRC3_GFX90A:ACCUM_OFFSET: 0
; COMPUTE_PGM_RSRC3_GFX90A:TG_SPLIT: 0
	.section	.text._ZN7rocprim17ROCPRIM_400000_NS6detail17trampoline_kernelINS0_14default_configENS1_33run_length_encode_config_selectorIN3c108BFloat16EjNS0_4plusIjEEEEZZNS1_33reduce_by_key_impl_wrapped_configILNS1_25lookback_scan_determinismE0ES3_S9_PKS6_NS0_17constant_iteratorIjlEEPS6_PlSH_S8_NS0_8equal_toIS6_EEEE10hipError_tPvRmT2_T3_mT4_T5_T6_T7_T8_P12ihipStream_tbENKUlT_T0_E_clISt17integral_constantIbLb0EES10_IbLb1EEEEDaSW_SX_EUlSW_E_NS1_11comp_targetILNS1_3genE2ELNS1_11target_archE906ELNS1_3gpuE6ELNS1_3repE0EEENS1_30default_config_static_selectorELNS0_4arch9wavefront6targetE1EEEvT1_,"axG",@progbits,_ZN7rocprim17ROCPRIM_400000_NS6detail17trampoline_kernelINS0_14default_configENS1_33run_length_encode_config_selectorIN3c108BFloat16EjNS0_4plusIjEEEEZZNS1_33reduce_by_key_impl_wrapped_configILNS1_25lookback_scan_determinismE0ES3_S9_PKS6_NS0_17constant_iteratorIjlEEPS6_PlSH_S8_NS0_8equal_toIS6_EEEE10hipError_tPvRmT2_T3_mT4_T5_T6_T7_T8_P12ihipStream_tbENKUlT_T0_E_clISt17integral_constantIbLb0EES10_IbLb1EEEEDaSW_SX_EUlSW_E_NS1_11comp_targetILNS1_3genE2ELNS1_11target_archE906ELNS1_3gpuE6ELNS1_3repE0EEENS1_30default_config_static_selectorELNS0_4arch9wavefront6targetE1EEEvT1_,comdat
	.protected	_ZN7rocprim17ROCPRIM_400000_NS6detail17trampoline_kernelINS0_14default_configENS1_33run_length_encode_config_selectorIN3c108BFloat16EjNS0_4plusIjEEEEZZNS1_33reduce_by_key_impl_wrapped_configILNS1_25lookback_scan_determinismE0ES3_S9_PKS6_NS0_17constant_iteratorIjlEEPS6_PlSH_S8_NS0_8equal_toIS6_EEEE10hipError_tPvRmT2_T3_mT4_T5_T6_T7_T8_P12ihipStream_tbENKUlT_T0_E_clISt17integral_constantIbLb0EES10_IbLb1EEEEDaSW_SX_EUlSW_E_NS1_11comp_targetILNS1_3genE2ELNS1_11target_archE906ELNS1_3gpuE6ELNS1_3repE0EEENS1_30default_config_static_selectorELNS0_4arch9wavefront6targetE1EEEvT1_ ; -- Begin function _ZN7rocprim17ROCPRIM_400000_NS6detail17trampoline_kernelINS0_14default_configENS1_33run_length_encode_config_selectorIN3c108BFloat16EjNS0_4plusIjEEEEZZNS1_33reduce_by_key_impl_wrapped_configILNS1_25lookback_scan_determinismE0ES3_S9_PKS6_NS0_17constant_iteratorIjlEEPS6_PlSH_S8_NS0_8equal_toIS6_EEEE10hipError_tPvRmT2_T3_mT4_T5_T6_T7_T8_P12ihipStream_tbENKUlT_T0_E_clISt17integral_constantIbLb0EES10_IbLb1EEEEDaSW_SX_EUlSW_E_NS1_11comp_targetILNS1_3genE2ELNS1_11target_archE906ELNS1_3gpuE6ELNS1_3repE0EEENS1_30default_config_static_selectorELNS0_4arch9wavefront6targetE1EEEvT1_
	.globl	_ZN7rocprim17ROCPRIM_400000_NS6detail17trampoline_kernelINS0_14default_configENS1_33run_length_encode_config_selectorIN3c108BFloat16EjNS0_4plusIjEEEEZZNS1_33reduce_by_key_impl_wrapped_configILNS1_25lookback_scan_determinismE0ES3_S9_PKS6_NS0_17constant_iteratorIjlEEPS6_PlSH_S8_NS0_8equal_toIS6_EEEE10hipError_tPvRmT2_T3_mT4_T5_T6_T7_T8_P12ihipStream_tbENKUlT_T0_E_clISt17integral_constantIbLb0EES10_IbLb1EEEEDaSW_SX_EUlSW_E_NS1_11comp_targetILNS1_3genE2ELNS1_11target_archE906ELNS1_3gpuE6ELNS1_3repE0EEENS1_30default_config_static_selectorELNS0_4arch9wavefront6targetE1EEEvT1_
	.p2align	8
	.type	_ZN7rocprim17ROCPRIM_400000_NS6detail17trampoline_kernelINS0_14default_configENS1_33run_length_encode_config_selectorIN3c108BFloat16EjNS0_4plusIjEEEEZZNS1_33reduce_by_key_impl_wrapped_configILNS1_25lookback_scan_determinismE0ES3_S9_PKS6_NS0_17constant_iteratorIjlEEPS6_PlSH_S8_NS0_8equal_toIS6_EEEE10hipError_tPvRmT2_T3_mT4_T5_T6_T7_T8_P12ihipStream_tbENKUlT_T0_E_clISt17integral_constantIbLb0EES10_IbLb1EEEEDaSW_SX_EUlSW_E_NS1_11comp_targetILNS1_3genE2ELNS1_11target_archE906ELNS1_3gpuE6ELNS1_3repE0EEENS1_30default_config_static_selectorELNS0_4arch9wavefront6targetE1EEEvT1_,@function
_ZN7rocprim17ROCPRIM_400000_NS6detail17trampoline_kernelINS0_14default_configENS1_33run_length_encode_config_selectorIN3c108BFloat16EjNS0_4plusIjEEEEZZNS1_33reduce_by_key_impl_wrapped_configILNS1_25lookback_scan_determinismE0ES3_S9_PKS6_NS0_17constant_iteratorIjlEEPS6_PlSH_S8_NS0_8equal_toIS6_EEEE10hipError_tPvRmT2_T3_mT4_T5_T6_T7_T8_P12ihipStream_tbENKUlT_T0_E_clISt17integral_constantIbLb0EES10_IbLb1EEEEDaSW_SX_EUlSW_E_NS1_11comp_targetILNS1_3genE2ELNS1_11target_archE906ELNS1_3gpuE6ELNS1_3repE0EEENS1_30default_config_static_selectorELNS0_4arch9wavefront6targetE1EEEvT1_: ; @_ZN7rocprim17ROCPRIM_400000_NS6detail17trampoline_kernelINS0_14default_configENS1_33run_length_encode_config_selectorIN3c108BFloat16EjNS0_4plusIjEEEEZZNS1_33reduce_by_key_impl_wrapped_configILNS1_25lookback_scan_determinismE0ES3_S9_PKS6_NS0_17constant_iteratorIjlEEPS6_PlSH_S8_NS0_8equal_toIS6_EEEE10hipError_tPvRmT2_T3_mT4_T5_T6_T7_T8_P12ihipStream_tbENKUlT_T0_E_clISt17integral_constantIbLb0EES10_IbLb1EEEEDaSW_SX_EUlSW_E_NS1_11comp_targetILNS1_3genE2ELNS1_11target_archE906ELNS1_3gpuE6ELNS1_3repE0EEENS1_30default_config_static_selectorELNS0_4arch9wavefront6targetE1EEEvT1_
; %bb.0:
	.section	.rodata,"a",@progbits
	.p2align	6, 0x0
	.amdhsa_kernel _ZN7rocprim17ROCPRIM_400000_NS6detail17trampoline_kernelINS0_14default_configENS1_33run_length_encode_config_selectorIN3c108BFloat16EjNS0_4plusIjEEEEZZNS1_33reduce_by_key_impl_wrapped_configILNS1_25lookback_scan_determinismE0ES3_S9_PKS6_NS0_17constant_iteratorIjlEEPS6_PlSH_S8_NS0_8equal_toIS6_EEEE10hipError_tPvRmT2_T3_mT4_T5_T6_T7_T8_P12ihipStream_tbENKUlT_T0_E_clISt17integral_constantIbLb0EES10_IbLb1EEEEDaSW_SX_EUlSW_E_NS1_11comp_targetILNS1_3genE2ELNS1_11target_archE906ELNS1_3gpuE6ELNS1_3repE0EEENS1_30default_config_static_selectorELNS0_4arch9wavefront6targetE1EEEvT1_
		.amdhsa_group_segment_fixed_size 0
		.amdhsa_private_segment_fixed_size 0
		.amdhsa_kernarg_size 128
		.amdhsa_user_sgpr_count 2
		.amdhsa_user_sgpr_dispatch_ptr 0
		.amdhsa_user_sgpr_queue_ptr 0
		.amdhsa_user_sgpr_kernarg_segment_ptr 1
		.amdhsa_user_sgpr_dispatch_id 0
		.amdhsa_user_sgpr_kernarg_preload_length 0
		.amdhsa_user_sgpr_kernarg_preload_offset 0
		.amdhsa_user_sgpr_private_segment_size 0
		.amdhsa_uses_dynamic_stack 0
		.amdhsa_enable_private_segment 0
		.amdhsa_system_sgpr_workgroup_id_x 1
		.amdhsa_system_sgpr_workgroup_id_y 0
		.amdhsa_system_sgpr_workgroup_id_z 0
		.amdhsa_system_sgpr_workgroup_info 0
		.amdhsa_system_vgpr_workitem_id 0
		.amdhsa_next_free_vgpr 1
		.amdhsa_next_free_sgpr 0
		.amdhsa_accum_offset 4
		.amdhsa_reserve_vcc 0
		.amdhsa_float_round_mode_32 0
		.amdhsa_float_round_mode_16_64 0
		.amdhsa_float_denorm_mode_32 3
		.amdhsa_float_denorm_mode_16_64 3
		.amdhsa_dx10_clamp 1
		.amdhsa_ieee_mode 1
		.amdhsa_fp16_overflow 0
		.amdhsa_tg_split 0
		.amdhsa_exception_fp_ieee_invalid_op 0
		.amdhsa_exception_fp_denorm_src 0
		.amdhsa_exception_fp_ieee_div_zero 0
		.amdhsa_exception_fp_ieee_overflow 0
		.amdhsa_exception_fp_ieee_underflow 0
		.amdhsa_exception_fp_ieee_inexact 0
		.amdhsa_exception_int_div_zero 0
	.end_amdhsa_kernel
	.section	.text._ZN7rocprim17ROCPRIM_400000_NS6detail17trampoline_kernelINS0_14default_configENS1_33run_length_encode_config_selectorIN3c108BFloat16EjNS0_4plusIjEEEEZZNS1_33reduce_by_key_impl_wrapped_configILNS1_25lookback_scan_determinismE0ES3_S9_PKS6_NS0_17constant_iteratorIjlEEPS6_PlSH_S8_NS0_8equal_toIS6_EEEE10hipError_tPvRmT2_T3_mT4_T5_T6_T7_T8_P12ihipStream_tbENKUlT_T0_E_clISt17integral_constantIbLb0EES10_IbLb1EEEEDaSW_SX_EUlSW_E_NS1_11comp_targetILNS1_3genE2ELNS1_11target_archE906ELNS1_3gpuE6ELNS1_3repE0EEENS1_30default_config_static_selectorELNS0_4arch9wavefront6targetE1EEEvT1_,"axG",@progbits,_ZN7rocprim17ROCPRIM_400000_NS6detail17trampoline_kernelINS0_14default_configENS1_33run_length_encode_config_selectorIN3c108BFloat16EjNS0_4plusIjEEEEZZNS1_33reduce_by_key_impl_wrapped_configILNS1_25lookback_scan_determinismE0ES3_S9_PKS6_NS0_17constant_iteratorIjlEEPS6_PlSH_S8_NS0_8equal_toIS6_EEEE10hipError_tPvRmT2_T3_mT4_T5_T6_T7_T8_P12ihipStream_tbENKUlT_T0_E_clISt17integral_constantIbLb0EES10_IbLb1EEEEDaSW_SX_EUlSW_E_NS1_11comp_targetILNS1_3genE2ELNS1_11target_archE906ELNS1_3gpuE6ELNS1_3repE0EEENS1_30default_config_static_selectorELNS0_4arch9wavefront6targetE1EEEvT1_,comdat
.Lfunc_end887:
	.size	_ZN7rocprim17ROCPRIM_400000_NS6detail17trampoline_kernelINS0_14default_configENS1_33run_length_encode_config_selectorIN3c108BFloat16EjNS0_4plusIjEEEEZZNS1_33reduce_by_key_impl_wrapped_configILNS1_25lookback_scan_determinismE0ES3_S9_PKS6_NS0_17constant_iteratorIjlEEPS6_PlSH_S8_NS0_8equal_toIS6_EEEE10hipError_tPvRmT2_T3_mT4_T5_T6_T7_T8_P12ihipStream_tbENKUlT_T0_E_clISt17integral_constantIbLb0EES10_IbLb1EEEEDaSW_SX_EUlSW_E_NS1_11comp_targetILNS1_3genE2ELNS1_11target_archE906ELNS1_3gpuE6ELNS1_3repE0EEENS1_30default_config_static_selectorELNS0_4arch9wavefront6targetE1EEEvT1_, .Lfunc_end887-_ZN7rocprim17ROCPRIM_400000_NS6detail17trampoline_kernelINS0_14default_configENS1_33run_length_encode_config_selectorIN3c108BFloat16EjNS0_4plusIjEEEEZZNS1_33reduce_by_key_impl_wrapped_configILNS1_25lookback_scan_determinismE0ES3_S9_PKS6_NS0_17constant_iteratorIjlEEPS6_PlSH_S8_NS0_8equal_toIS6_EEEE10hipError_tPvRmT2_T3_mT4_T5_T6_T7_T8_P12ihipStream_tbENKUlT_T0_E_clISt17integral_constantIbLb0EES10_IbLb1EEEEDaSW_SX_EUlSW_E_NS1_11comp_targetILNS1_3genE2ELNS1_11target_archE906ELNS1_3gpuE6ELNS1_3repE0EEENS1_30default_config_static_selectorELNS0_4arch9wavefront6targetE1EEEvT1_
                                        ; -- End function
	.section	.AMDGPU.csdata,"",@progbits
; Kernel info:
; codeLenInByte = 0
; NumSgprs: 6
; NumVgprs: 0
; NumAgprs: 0
; TotalNumVgprs: 0
; ScratchSize: 0
; MemoryBound: 0
; FloatMode: 240
; IeeeMode: 1
; LDSByteSize: 0 bytes/workgroup (compile time only)
; SGPRBlocks: 0
; VGPRBlocks: 0
; NumSGPRsForWavesPerEU: 6
; NumVGPRsForWavesPerEU: 1
; AccumOffset: 4
; Occupancy: 8
; WaveLimiterHint : 0
; COMPUTE_PGM_RSRC2:SCRATCH_EN: 0
; COMPUTE_PGM_RSRC2:USER_SGPR: 2
; COMPUTE_PGM_RSRC2:TRAP_HANDLER: 0
; COMPUTE_PGM_RSRC2:TGID_X_EN: 1
; COMPUTE_PGM_RSRC2:TGID_Y_EN: 0
; COMPUTE_PGM_RSRC2:TGID_Z_EN: 0
; COMPUTE_PGM_RSRC2:TIDIG_COMP_CNT: 0
; COMPUTE_PGM_RSRC3_GFX90A:ACCUM_OFFSET: 0
; COMPUTE_PGM_RSRC3_GFX90A:TG_SPLIT: 0
	.section	.text._ZN7rocprim17ROCPRIM_400000_NS6detail17trampoline_kernelINS0_14default_configENS1_33run_length_encode_config_selectorIN3c108BFloat16EjNS0_4plusIjEEEEZZNS1_33reduce_by_key_impl_wrapped_configILNS1_25lookback_scan_determinismE0ES3_S9_PKS6_NS0_17constant_iteratorIjlEEPS6_PlSH_S8_NS0_8equal_toIS6_EEEE10hipError_tPvRmT2_T3_mT4_T5_T6_T7_T8_P12ihipStream_tbENKUlT_T0_E_clISt17integral_constantIbLb0EES10_IbLb1EEEEDaSW_SX_EUlSW_E_NS1_11comp_targetILNS1_3genE10ELNS1_11target_archE1201ELNS1_3gpuE5ELNS1_3repE0EEENS1_30default_config_static_selectorELNS0_4arch9wavefront6targetE1EEEvT1_,"axG",@progbits,_ZN7rocprim17ROCPRIM_400000_NS6detail17trampoline_kernelINS0_14default_configENS1_33run_length_encode_config_selectorIN3c108BFloat16EjNS0_4plusIjEEEEZZNS1_33reduce_by_key_impl_wrapped_configILNS1_25lookback_scan_determinismE0ES3_S9_PKS6_NS0_17constant_iteratorIjlEEPS6_PlSH_S8_NS0_8equal_toIS6_EEEE10hipError_tPvRmT2_T3_mT4_T5_T6_T7_T8_P12ihipStream_tbENKUlT_T0_E_clISt17integral_constantIbLb0EES10_IbLb1EEEEDaSW_SX_EUlSW_E_NS1_11comp_targetILNS1_3genE10ELNS1_11target_archE1201ELNS1_3gpuE5ELNS1_3repE0EEENS1_30default_config_static_selectorELNS0_4arch9wavefront6targetE1EEEvT1_,comdat
	.protected	_ZN7rocprim17ROCPRIM_400000_NS6detail17trampoline_kernelINS0_14default_configENS1_33run_length_encode_config_selectorIN3c108BFloat16EjNS0_4plusIjEEEEZZNS1_33reduce_by_key_impl_wrapped_configILNS1_25lookback_scan_determinismE0ES3_S9_PKS6_NS0_17constant_iteratorIjlEEPS6_PlSH_S8_NS0_8equal_toIS6_EEEE10hipError_tPvRmT2_T3_mT4_T5_T6_T7_T8_P12ihipStream_tbENKUlT_T0_E_clISt17integral_constantIbLb0EES10_IbLb1EEEEDaSW_SX_EUlSW_E_NS1_11comp_targetILNS1_3genE10ELNS1_11target_archE1201ELNS1_3gpuE5ELNS1_3repE0EEENS1_30default_config_static_selectorELNS0_4arch9wavefront6targetE1EEEvT1_ ; -- Begin function _ZN7rocprim17ROCPRIM_400000_NS6detail17trampoline_kernelINS0_14default_configENS1_33run_length_encode_config_selectorIN3c108BFloat16EjNS0_4plusIjEEEEZZNS1_33reduce_by_key_impl_wrapped_configILNS1_25lookback_scan_determinismE0ES3_S9_PKS6_NS0_17constant_iteratorIjlEEPS6_PlSH_S8_NS0_8equal_toIS6_EEEE10hipError_tPvRmT2_T3_mT4_T5_T6_T7_T8_P12ihipStream_tbENKUlT_T0_E_clISt17integral_constantIbLb0EES10_IbLb1EEEEDaSW_SX_EUlSW_E_NS1_11comp_targetILNS1_3genE10ELNS1_11target_archE1201ELNS1_3gpuE5ELNS1_3repE0EEENS1_30default_config_static_selectorELNS0_4arch9wavefront6targetE1EEEvT1_
	.globl	_ZN7rocprim17ROCPRIM_400000_NS6detail17trampoline_kernelINS0_14default_configENS1_33run_length_encode_config_selectorIN3c108BFloat16EjNS0_4plusIjEEEEZZNS1_33reduce_by_key_impl_wrapped_configILNS1_25lookback_scan_determinismE0ES3_S9_PKS6_NS0_17constant_iteratorIjlEEPS6_PlSH_S8_NS0_8equal_toIS6_EEEE10hipError_tPvRmT2_T3_mT4_T5_T6_T7_T8_P12ihipStream_tbENKUlT_T0_E_clISt17integral_constantIbLb0EES10_IbLb1EEEEDaSW_SX_EUlSW_E_NS1_11comp_targetILNS1_3genE10ELNS1_11target_archE1201ELNS1_3gpuE5ELNS1_3repE0EEENS1_30default_config_static_selectorELNS0_4arch9wavefront6targetE1EEEvT1_
	.p2align	8
	.type	_ZN7rocprim17ROCPRIM_400000_NS6detail17trampoline_kernelINS0_14default_configENS1_33run_length_encode_config_selectorIN3c108BFloat16EjNS0_4plusIjEEEEZZNS1_33reduce_by_key_impl_wrapped_configILNS1_25lookback_scan_determinismE0ES3_S9_PKS6_NS0_17constant_iteratorIjlEEPS6_PlSH_S8_NS0_8equal_toIS6_EEEE10hipError_tPvRmT2_T3_mT4_T5_T6_T7_T8_P12ihipStream_tbENKUlT_T0_E_clISt17integral_constantIbLb0EES10_IbLb1EEEEDaSW_SX_EUlSW_E_NS1_11comp_targetILNS1_3genE10ELNS1_11target_archE1201ELNS1_3gpuE5ELNS1_3repE0EEENS1_30default_config_static_selectorELNS0_4arch9wavefront6targetE1EEEvT1_,@function
_ZN7rocprim17ROCPRIM_400000_NS6detail17trampoline_kernelINS0_14default_configENS1_33run_length_encode_config_selectorIN3c108BFloat16EjNS0_4plusIjEEEEZZNS1_33reduce_by_key_impl_wrapped_configILNS1_25lookback_scan_determinismE0ES3_S9_PKS6_NS0_17constant_iteratorIjlEEPS6_PlSH_S8_NS0_8equal_toIS6_EEEE10hipError_tPvRmT2_T3_mT4_T5_T6_T7_T8_P12ihipStream_tbENKUlT_T0_E_clISt17integral_constantIbLb0EES10_IbLb1EEEEDaSW_SX_EUlSW_E_NS1_11comp_targetILNS1_3genE10ELNS1_11target_archE1201ELNS1_3gpuE5ELNS1_3repE0EEENS1_30default_config_static_selectorELNS0_4arch9wavefront6targetE1EEEvT1_: ; @_ZN7rocprim17ROCPRIM_400000_NS6detail17trampoline_kernelINS0_14default_configENS1_33run_length_encode_config_selectorIN3c108BFloat16EjNS0_4plusIjEEEEZZNS1_33reduce_by_key_impl_wrapped_configILNS1_25lookback_scan_determinismE0ES3_S9_PKS6_NS0_17constant_iteratorIjlEEPS6_PlSH_S8_NS0_8equal_toIS6_EEEE10hipError_tPvRmT2_T3_mT4_T5_T6_T7_T8_P12ihipStream_tbENKUlT_T0_E_clISt17integral_constantIbLb0EES10_IbLb1EEEEDaSW_SX_EUlSW_E_NS1_11comp_targetILNS1_3genE10ELNS1_11target_archE1201ELNS1_3gpuE5ELNS1_3repE0EEENS1_30default_config_static_selectorELNS0_4arch9wavefront6targetE1EEEvT1_
; %bb.0:
	.section	.rodata,"a",@progbits
	.p2align	6, 0x0
	.amdhsa_kernel _ZN7rocprim17ROCPRIM_400000_NS6detail17trampoline_kernelINS0_14default_configENS1_33run_length_encode_config_selectorIN3c108BFloat16EjNS0_4plusIjEEEEZZNS1_33reduce_by_key_impl_wrapped_configILNS1_25lookback_scan_determinismE0ES3_S9_PKS6_NS0_17constant_iteratorIjlEEPS6_PlSH_S8_NS0_8equal_toIS6_EEEE10hipError_tPvRmT2_T3_mT4_T5_T6_T7_T8_P12ihipStream_tbENKUlT_T0_E_clISt17integral_constantIbLb0EES10_IbLb1EEEEDaSW_SX_EUlSW_E_NS1_11comp_targetILNS1_3genE10ELNS1_11target_archE1201ELNS1_3gpuE5ELNS1_3repE0EEENS1_30default_config_static_selectorELNS0_4arch9wavefront6targetE1EEEvT1_
		.amdhsa_group_segment_fixed_size 0
		.amdhsa_private_segment_fixed_size 0
		.amdhsa_kernarg_size 128
		.amdhsa_user_sgpr_count 2
		.amdhsa_user_sgpr_dispatch_ptr 0
		.amdhsa_user_sgpr_queue_ptr 0
		.amdhsa_user_sgpr_kernarg_segment_ptr 1
		.amdhsa_user_sgpr_dispatch_id 0
		.amdhsa_user_sgpr_kernarg_preload_length 0
		.amdhsa_user_sgpr_kernarg_preload_offset 0
		.amdhsa_user_sgpr_private_segment_size 0
		.amdhsa_uses_dynamic_stack 0
		.amdhsa_enable_private_segment 0
		.amdhsa_system_sgpr_workgroup_id_x 1
		.amdhsa_system_sgpr_workgroup_id_y 0
		.amdhsa_system_sgpr_workgroup_id_z 0
		.amdhsa_system_sgpr_workgroup_info 0
		.amdhsa_system_vgpr_workitem_id 0
		.amdhsa_next_free_vgpr 1
		.amdhsa_next_free_sgpr 0
		.amdhsa_accum_offset 4
		.amdhsa_reserve_vcc 0
		.amdhsa_float_round_mode_32 0
		.amdhsa_float_round_mode_16_64 0
		.amdhsa_float_denorm_mode_32 3
		.amdhsa_float_denorm_mode_16_64 3
		.amdhsa_dx10_clamp 1
		.amdhsa_ieee_mode 1
		.amdhsa_fp16_overflow 0
		.amdhsa_tg_split 0
		.amdhsa_exception_fp_ieee_invalid_op 0
		.amdhsa_exception_fp_denorm_src 0
		.amdhsa_exception_fp_ieee_div_zero 0
		.amdhsa_exception_fp_ieee_overflow 0
		.amdhsa_exception_fp_ieee_underflow 0
		.amdhsa_exception_fp_ieee_inexact 0
		.amdhsa_exception_int_div_zero 0
	.end_amdhsa_kernel
	.section	.text._ZN7rocprim17ROCPRIM_400000_NS6detail17trampoline_kernelINS0_14default_configENS1_33run_length_encode_config_selectorIN3c108BFloat16EjNS0_4plusIjEEEEZZNS1_33reduce_by_key_impl_wrapped_configILNS1_25lookback_scan_determinismE0ES3_S9_PKS6_NS0_17constant_iteratorIjlEEPS6_PlSH_S8_NS0_8equal_toIS6_EEEE10hipError_tPvRmT2_T3_mT4_T5_T6_T7_T8_P12ihipStream_tbENKUlT_T0_E_clISt17integral_constantIbLb0EES10_IbLb1EEEEDaSW_SX_EUlSW_E_NS1_11comp_targetILNS1_3genE10ELNS1_11target_archE1201ELNS1_3gpuE5ELNS1_3repE0EEENS1_30default_config_static_selectorELNS0_4arch9wavefront6targetE1EEEvT1_,"axG",@progbits,_ZN7rocprim17ROCPRIM_400000_NS6detail17trampoline_kernelINS0_14default_configENS1_33run_length_encode_config_selectorIN3c108BFloat16EjNS0_4plusIjEEEEZZNS1_33reduce_by_key_impl_wrapped_configILNS1_25lookback_scan_determinismE0ES3_S9_PKS6_NS0_17constant_iteratorIjlEEPS6_PlSH_S8_NS0_8equal_toIS6_EEEE10hipError_tPvRmT2_T3_mT4_T5_T6_T7_T8_P12ihipStream_tbENKUlT_T0_E_clISt17integral_constantIbLb0EES10_IbLb1EEEEDaSW_SX_EUlSW_E_NS1_11comp_targetILNS1_3genE10ELNS1_11target_archE1201ELNS1_3gpuE5ELNS1_3repE0EEENS1_30default_config_static_selectorELNS0_4arch9wavefront6targetE1EEEvT1_,comdat
.Lfunc_end888:
	.size	_ZN7rocprim17ROCPRIM_400000_NS6detail17trampoline_kernelINS0_14default_configENS1_33run_length_encode_config_selectorIN3c108BFloat16EjNS0_4plusIjEEEEZZNS1_33reduce_by_key_impl_wrapped_configILNS1_25lookback_scan_determinismE0ES3_S9_PKS6_NS0_17constant_iteratorIjlEEPS6_PlSH_S8_NS0_8equal_toIS6_EEEE10hipError_tPvRmT2_T3_mT4_T5_T6_T7_T8_P12ihipStream_tbENKUlT_T0_E_clISt17integral_constantIbLb0EES10_IbLb1EEEEDaSW_SX_EUlSW_E_NS1_11comp_targetILNS1_3genE10ELNS1_11target_archE1201ELNS1_3gpuE5ELNS1_3repE0EEENS1_30default_config_static_selectorELNS0_4arch9wavefront6targetE1EEEvT1_, .Lfunc_end888-_ZN7rocprim17ROCPRIM_400000_NS6detail17trampoline_kernelINS0_14default_configENS1_33run_length_encode_config_selectorIN3c108BFloat16EjNS0_4plusIjEEEEZZNS1_33reduce_by_key_impl_wrapped_configILNS1_25lookback_scan_determinismE0ES3_S9_PKS6_NS0_17constant_iteratorIjlEEPS6_PlSH_S8_NS0_8equal_toIS6_EEEE10hipError_tPvRmT2_T3_mT4_T5_T6_T7_T8_P12ihipStream_tbENKUlT_T0_E_clISt17integral_constantIbLb0EES10_IbLb1EEEEDaSW_SX_EUlSW_E_NS1_11comp_targetILNS1_3genE10ELNS1_11target_archE1201ELNS1_3gpuE5ELNS1_3repE0EEENS1_30default_config_static_selectorELNS0_4arch9wavefront6targetE1EEEvT1_
                                        ; -- End function
	.section	.AMDGPU.csdata,"",@progbits
; Kernel info:
; codeLenInByte = 0
; NumSgprs: 6
; NumVgprs: 0
; NumAgprs: 0
; TotalNumVgprs: 0
; ScratchSize: 0
; MemoryBound: 0
; FloatMode: 240
; IeeeMode: 1
; LDSByteSize: 0 bytes/workgroup (compile time only)
; SGPRBlocks: 0
; VGPRBlocks: 0
; NumSGPRsForWavesPerEU: 6
; NumVGPRsForWavesPerEU: 1
; AccumOffset: 4
; Occupancy: 8
; WaveLimiterHint : 0
; COMPUTE_PGM_RSRC2:SCRATCH_EN: 0
; COMPUTE_PGM_RSRC2:USER_SGPR: 2
; COMPUTE_PGM_RSRC2:TRAP_HANDLER: 0
; COMPUTE_PGM_RSRC2:TGID_X_EN: 1
; COMPUTE_PGM_RSRC2:TGID_Y_EN: 0
; COMPUTE_PGM_RSRC2:TGID_Z_EN: 0
; COMPUTE_PGM_RSRC2:TIDIG_COMP_CNT: 0
; COMPUTE_PGM_RSRC3_GFX90A:ACCUM_OFFSET: 0
; COMPUTE_PGM_RSRC3_GFX90A:TG_SPLIT: 0
	.section	.text._ZN7rocprim17ROCPRIM_400000_NS6detail17trampoline_kernelINS0_14default_configENS1_33run_length_encode_config_selectorIN3c108BFloat16EjNS0_4plusIjEEEEZZNS1_33reduce_by_key_impl_wrapped_configILNS1_25lookback_scan_determinismE0ES3_S9_PKS6_NS0_17constant_iteratorIjlEEPS6_PlSH_S8_NS0_8equal_toIS6_EEEE10hipError_tPvRmT2_T3_mT4_T5_T6_T7_T8_P12ihipStream_tbENKUlT_T0_E_clISt17integral_constantIbLb0EES10_IbLb1EEEEDaSW_SX_EUlSW_E_NS1_11comp_targetILNS1_3genE10ELNS1_11target_archE1200ELNS1_3gpuE4ELNS1_3repE0EEENS1_30default_config_static_selectorELNS0_4arch9wavefront6targetE1EEEvT1_,"axG",@progbits,_ZN7rocprim17ROCPRIM_400000_NS6detail17trampoline_kernelINS0_14default_configENS1_33run_length_encode_config_selectorIN3c108BFloat16EjNS0_4plusIjEEEEZZNS1_33reduce_by_key_impl_wrapped_configILNS1_25lookback_scan_determinismE0ES3_S9_PKS6_NS0_17constant_iteratorIjlEEPS6_PlSH_S8_NS0_8equal_toIS6_EEEE10hipError_tPvRmT2_T3_mT4_T5_T6_T7_T8_P12ihipStream_tbENKUlT_T0_E_clISt17integral_constantIbLb0EES10_IbLb1EEEEDaSW_SX_EUlSW_E_NS1_11comp_targetILNS1_3genE10ELNS1_11target_archE1200ELNS1_3gpuE4ELNS1_3repE0EEENS1_30default_config_static_selectorELNS0_4arch9wavefront6targetE1EEEvT1_,comdat
	.protected	_ZN7rocprim17ROCPRIM_400000_NS6detail17trampoline_kernelINS0_14default_configENS1_33run_length_encode_config_selectorIN3c108BFloat16EjNS0_4plusIjEEEEZZNS1_33reduce_by_key_impl_wrapped_configILNS1_25lookback_scan_determinismE0ES3_S9_PKS6_NS0_17constant_iteratorIjlEEPS6_PlSH_S8_NS0_8equal_toIS6_EEEE10hipError_tPvRmT2_T3_mT4_T5_T6_T7_T8_P12ihipStream_tbENKUlT_T0_E_clISt17integral_constantIbLb0EES10_IbLb1EEEEDaSW_SX_EUlSW_E_NS1_11comp_targetILNS1_3genE10ELNS1_11target_archE1200ELNS1_3gpuE4ELNS1_3repE0EEENS1_30default_config_static_selectorELNS0_4arch9wavefront6targetE1EEEvT1_ ; -- Begin function _ZN7rocprim17ROCPRIM_400000_NS6detail17trampoline_kernelINS0_14default_configENS1_33run_length_encode_config_selectorIN3c108BFloat16EjNS0_4plusIjEEEEZZNS1_33reduce_by_key_impl_wrapped_configILNS1_25lookback_scan_determinismE0ES3_S9_PKS6_NS0_17constant_iteratorIjlEEPS6_PlSH_S8_NS0_8equal_toIS6_EEEE10hipError_tPvRmT2_T3_mT4_T5_T6_T7_T8_P12ihipStream_tbENKUlT_T0_E_clISt17integral_constantIbLb0EES10_IbLb1EEEEDaSW_SX_EUlSW_E_NS1_11comp_targetILNS1_3genE10ELNS1_11target_archE1200ELNS1_3gpuE4ELNS1_3repE0EEENS1_30default_config_static_selectorELNS0_4arch9wavefront6targetE1EEEvT1_
	.globl	_ZN7rocprim17ROCPRIM_400000_NS6detail17trampoline_kernelINS0_14default_configENS1_33run_length_encode_config_selectorIN3c108BFloat16EjNS0_4plusIjEEEEZZNS1_33reduce_by_key_impl_wrapped_configILNS1_25lookback_scan_determinismE0ES3_S9_PKS6_NS0_17constant_iteratorIjlEEPS6_PlSH_S8_NS0_8equal_toIS6_EEEE10hipError_tPvRmT2_T3_mT4_T5_T6_T7_T8_P12ihipStream_tbENKUlT_T0_E_clISt17integral_constantIbLb0EES10_IbLb1EEEEDaSW_SX_EUlSW_E_NS1_11comp_targetILNS1_3genE10ELNS1_11target_archE1200ELNS1_3gpuE4ELNS1_3repE0EEENS1_30default_config_static_selectorELNS0_4arch9wavefront6targetE1EEEvT1_
	.p2align	8
	.type	_ZN7rocprim17ROCPRIM_400000_NS6detail17trampoline_kernelINS0_14default_configENS1_33run_length_encode_config_selectorIN3c108BFloat16EjNS0_4plusIjEEEEZZNS1_33reduce_by_key_impl_wrapped_configILNS1_25lookback_scan_determinismE0ES3_S9_PKS6_NS0_17constant_iteratorIjlEEPS6_PlSH_S8_NS0_8equal_toIS6_EEEE10hipError_tPvRmT2_T3_mT4_T5_T6_T7_T8_P12ihipStream_tbENKUlT_T0_E_clISt17integral_constantIbLb0EES10_IbLb1EEEEDaSW_SX_EUlSW_E_NS1_11comp_targetILNS1_3genE10ELNS1_11target_archE1200ELNS1_3gpuE4ELNS1_3repE0EEENS1_30default_config_static_selectorELNS0_4arch9wavefront6targetE1EEEvT1_,@function
_ZN7rocprim17ROCPRIM_400000_NS6detail17trampoline_kernelINS0_14default_configENS1_33run_length_encode_config_selectorIN3c108BFloat16EjNS0_4plusIjEEEEZZNS1_33reduce_by_key_impl_wrapped_configILNS1_25lookback_scan_determinismE0ES3_S9_PKS6_NS0_17constant_iteratorIjlEEPS6_PlSH_S8_NS0_8equal_toIS6_EEEE10hipError_tPvRmT2_T3_mT4_T5_T6_T7_T8_P12ihipStream_tbENKUlT_T0_E_clISt17integral_constantIbLb0EES10_IbLb1EEEEDaSW_SX_EUlSW_E_NS1_11comp_targetILNS1_3genE10ELNS1_11target_archE1200ELNS1_3gpuE4ELNS1_3repE0EEENS1_30default_config_static_selectorELNS0_4arch9wavefront6targetE1EEEvT1_: ; @_ZN7rocprim17ROCPRIM_400000_NS6detail17trampoline_kernelINS0_14default_configENS1_33run_length_encode_config_selectorIN3c108BFloat16EjNS0_4plusIjEEEEZZNS1_33reduce_by_key_impl_wrapped_configILNS1_25lookback_scan_determinismE0ES3_S9_PKS6_NS0_17constant_iteratorIjlEEPS6_PlSH_S8_NS0_8equal_toIS6_EEEE10hipError_tPvRmT2_T3_mT4_T5_T6_T7_T8_P12ihipStream_tbENKUlT_T0_E_clISt17integral_constantIbLb0EES10_IbLb1EEEEDaSW_SX_EUlSW_E_NS1_11comp_targetILNS1_3genE10ELNS1_11target_archE1200ELNS1_3gpuE4ELNS1_3repE0EEENS1_30default_config_static_selectorELNS0_4arch9wavefront6targetE1EEEvT1_
; %bb.0:
	.section	.rodata,"a",@progbits
	.p2align	6, 0x0
	.amdhsa_kernel _ZN7rocprim17ROCPRIM_400000_NS6detail17trampoline_kernelINS0_14default_configENS1_33run_length_encode_config_selectorIN3c108BFloat16EjNS0_4plusIjEEEEZZNS1_33reduce_by_key_impl_wrapped_configILNS1_25lookback_scan_determinismE0ES3_S9_PKS6_NS0_17constant_iteratorIjlEEPS6_PlSH_S8_NS0_8equal_toIS6_EEEE10hipError_tPvRmT2_T3_mT4_T5_T6_T7_T8_P12ihipStream_tbENKUlT_T0_E_clISt17integral_constantIbLb0EES10_IbLb1EEEEDaSW_SX_EUlSW_E_NS1_11comp_targetILNS1_3genE10ELNS1_11target_archE1200ELNS1_3gpuE4ELNS1_3repE0EEENS1_30default_config_static_selectorELNS0_4arch9wavefront6targetE1EEEvT1_
		.amdhsa_group_segment_fixed_size 0
		.amdhsa_private_segment_fixed_size 0
		.amdhsa_kernarg_size 128
		.amdhsa_user_sgpr_count 2
		.amdhsa_user_sgpr_dispatch_ptr 0
		.amdhsa_user_sgpr_queue_ptr 0
		.amdhsa_user_sgpr_kernarg_segment_ptr 1
		.amdhsa_user_sgpr_dispatch_id 0
		.amdhsa_user_sgpr_kernarg_preload_length 0
		.amdhsa_user_sgpr_kernarg_preload_offset 0
		.amdhsa_user_sgpr_private_segment_size 0
		.amdhsa_uses_dynamic_stack 0
		.amdhsa_enable_private_segment 0
		.amdhsa_system_sgpr_workgroup_id_x 1
		.amdhsa_system_sgpr_workgroup_id_y 0
		.amdhsa_system_sgpr_workgroup_id_z 0
		.amdhsa_system_sgpr_workgroup_info 0
		.amdhsa_system_vgpr_workitem_id 0
		.amdhsa_next_free_vgpr 1
		.amdhsa_next_free_sgpr 0
		.amdhsa_accum_offset 4
		.amdhsa_reserve_vcc 0
		.amdhsa_float_round_mode_32 0
		.amdhsa_float_round_mode_16_64 0
		.amdhsa_float_denorm_mode_32 3
		.amdhsa_float_denorm_mode_16_64 3
		.amdhsa_dx10_clamp 1
		.amdhsa_ieee_mode 1
		.amdhsa_fp16_overflow 0
		.amdhsa_tg_split 0
		.amdhsa_exception_fp_ieee_invalid_op 0
		.amdhsa_exception_fp_denorm_src 0
		.amdhsa_exception_fp_ieee_div_zero 0
		.amdhsa_exception_fp_ieee_overflow 0
		.amdhsa_exception_fp_ieee_underflow 0
		.amdhsa_exception_fp_ieee_inexact 0
		.amdhsa_exception_int_div_zero 0
	.end_amdhsa_kernel
	.section	.text._ZN7rocprim17ROCPRIM_400000_NS6detail17trampoline_kernelINS0_14default_configENS1_33run_length_encode_config_selectorIN3c108BFloat16EjNS0_4plusIjEEEEZZNS1_33reduce_by_key_impl_wrapped_configILNS1_25lookback_scan_determinismE0ES3_S9_PKS6_NS0_17constant_iteratorIjlEEPS6_PlSH_S8_NS0_8equal_toIS6_EEEE10hipError_tPvRmT2_T3_mT4_T5_T6_T7_T8_P12ihipStream_tbENKUlT_T0_E_clISt17integral_constantIbLb0EES10_IbLb1EEEEDaSW_SX_EUlSW_E_NS1_11comp_targetILNS1_3genE10ELNS1_11target_archE1200ELNS1_3gpuE4ELNS1_3repE0EEENS1_30default_config_static_selectorELNS0_4arch9wavefront6targetE1EEEvT1_,"axG",@progbits,_ZN7rocprim17ROCPRIM_400000_NS6detail17trampoline_kernelINS0_14default_configENS1_33run_length_encode_config_selectorIN3c108BFloat16EjNS0_4plusIjEEEEZZNS1_33reduce_by_key_impl_wrapped_configILNS1_25lookback_scan_determinismE0ES3_S9_PKS6_NS0_17constant_iteratorIjlEEPS6_PlSH_S8_NS0_8equal_toIS6_EEEE10hipError_tPvRmT2_T3_mT4_T5_T6_T7_T8_P12ihipStream_tbENKUlT_T0_E_clISt17integral_constantIbLb0EES10_IbLb1EEEEDaSW_SX_EUlSW_E_NS1_11comp_targetILNS1_3genE10ELNS1_11target_archE1200ELNS1_3gpuE4ELNS1_3repE0EEENS1_30default_config_static_selectorELNS0_4arch9wavefront6targetE1EEEvT1_,comdat
.Lfunc_end889:
	.size	_ZN7rocprim17ROCPRIM_400000_NS6detail17trampoline_kernelINS0_14default_configENS1_33run_length_encode_config_selectorIN3c108BFloat16EjNS0_4plusIjEEEEZZNS1_33reduce_by_key_impl_wrapped_configILNS1_25lookback_scan_determinismE0ES3_S9_PKS6_NS0_17constant_iteratorIjlEEPS6_PlSH_S8_NS0_8equal_toIS6_EEEE10hipError_tPvRmT2_T3_mT4_T5_T6_T7_T8_P12ihipStream_tbENKUlT_T0_E_clISt17integral_constantIbLb0EES10_IbLb1EEEEDaSW_SX_EUlSW_E_NS1_11comp_targetILNS1_3genE10ELNS1_11target_archE1200ELNS1_3gpuE4ELNS1_3repE0EEENS1_30default_config_static_selectorELNS0_4arch9wavefront6targetE1EEEvT1_, .Lfunc_end889-_ZN7rocprim17ROCPRIM_400000_NS6detail17trampoline_kernelINS0_14default_configENS1_33run_length_encode_config_selectorIN3c108BFloat16EjNS0_4plusIjEEEEZZNS1_33reduce_by_key_impl_wrapped_configILNS1_25lookback_scan_determinismE0ES3_S9_PKS6_NS0_17constant_iteratorIjlEEPS6_PlSH_S8_NS0_8equal_toIS6_EEEE10hipError_tPvRmT2_T3_mT4_T5_T6_T7_T8_P12ihipStream_tbENKUlT_T0_E_clISt17integral_constantIbLb0EES10_IbLb1EEEEDaSW_SX_EUlSW_E_NS1_11comp_targetILNS1_3genE10ELNS1_11target_archE1200ELNS1_3gpuE4ELNS1_3repE0EEENS1_30default_config_static_selectorELNS0_4arch9wavefront6targetE1EEEvT1_
                                        ; -- End function
	.section	.AMDGPU.csdata,"",@progbits
; Kernel info:
; codeLenInByte = 0
; NumSgprs: 6
; NumVgprs: 0
; NumAgprs: 0
; TotalNumVgprs: 0
; ScratchSize: 0
; MemoryBound: 0
; FloatMode: 240
; IeeeMode: 1
; LDSByteSize: 0 bytes/workgroup (compile time only)
; SGPRBlocks: 0
; VGPRBlocks: 0
; NumSGPRsForWavesPerEU: 6
; NumVGPRsForWavesPerEU: 1
; AccumOffset: 4
; Occupancy: 8
; WaveLimiterHint : 0
; COMPUTE_PGM_RSRC2:SCRATCH_EN: 0
; COMPUTE_PGM_RSRC2:USER_SGPR: 2
; COMPUTE_PGM_RSRC2:TRAP_HANDLER: 0
; COMPUTE_PGM_RSRC2:TGID_X_EN: 1
; COMPUTE_PGM_RSRC2:TGID_Y_EN: 0
; COMPUTE_PGM_RSRC2:TGID_Z_EN: 0
; COMPUTE_PGM_RSRC2:TIDIG_COMP_CNT: 0
; COMPUTE_PGM_RSRC3_GFX90A:ACCUM_OFFSET: 0
; COMPUTE_PGM_RSRC3_GFX90A:TG_SPLIT: 0
	.section	.text._ZN7rocprim17ROCPRIM_400000_NS6detail17trampoline_kernelINS0_14default_configENS1_33run_length_encode_config_selectorIN3c108BFloat16EjNS0_4plusIjEEEEZZNS1_33reduce_by_key_impl_wrapped_configILNS1_25lookback_scan_determinismE0ES3_S9_PKS6_NS0_17constant_iteratorIjlEEPS6_PlSH_S8_NS0_8equal_toIS6_EEEE10hipError_tPvRmT2_T3_mT4_T5_T6_T7_T8_P12ihipStream_tbENKUlT_T0_E_clISt17integral_constantIbLb0EES10_IbLb1EEEEDaSW_SX_EUlSW_E_NS1_11comp_targetILNS1_3genE9ELNS1_11target_archE1100ELNS1_3gpuE3ELNS1_3repE0EEENS1_30default_config_static_selectorELNS0_4arch9wavefront6targetE1EEEvT1_,"axG",@progbits,_ZN7rocprim17ROCPRIM_400000_NS6detail17trampoline_kernelINS0_14default_configENS1_33run_length_encode_config_selectorIN3c108BFloat16EjNS0_4plusIjEEEEZZNS1_33reduce_by_key_impl_wrapped_configILNS1_25lookback_scan_determinismE0ES3_S9_PKS6_NS0_17constant_iteratorIjlEEPS6_PlSH_S8_NS0_8equal_toIS6_EEEE10hipError_tPvRmT2_T3_mT4_T5_T6_T7_T8_P12ihipStream_tbENKUlT_T0_E_clISt17integral_constantIbLb0EES10_IbLb1EEEEDaSW_SX_EUlSW_E_NS1_11comp_targetILNS1_3genE9ELNS1_11target_archE1100ELNS1_3gpuE3ELNS1_3repE0EEENS1_30default_config_static_selectorELNS0_4arch9wavefront6targetE1EEEvT1_,comdat
	.protected	_ZN7rocprim17ROCPRIM_400000_NS6detail17trampoline_kernelINS0_14default_configENS1_33run_length_encode_config_selectorIN3c108BFloat16EjNS0_4plusIjEEEEZZNS1_33reduce_by_key_impl_wrapped_configILNS1_25lookback_scan_determinismE0ES3_S9_PKS6_NS0_17constant_iteratorIjlEEPS6_PlSH_S8_NS0_8equal_toIS6_EEEE10hipError_tPvRmT2_T3_mT4_T5_T6_T7_T8_P12ihipStream_tbENKUlT_T0_E_clISt17integral_constantIbLb0EES10_IbLb1EEEEDaSW_SX_EUlSW_E_NS1_11comp_targetILNS1_3genE9ELNS1_11target_archE1100ELNS1_3gpuE3ELNS1_3repE0EEENS1_30default_config_static_selectorELNS0_4arch9wavefront6targetE1EEEvT1_ ; -- Begin function _ZN7rocprim17ROCPRIM_400000_NS6detail17trampoline_kernelINS0_14default_configENS1_33run_length_encode_config_selectorIN3c108BFloat16EjNS0_4plusIjEEEEZZNS1_33reduce_by_key_impl_wrapped_configILNS1_25lookback_scan_determinismE0ES3_S9_PKS6_NS0_17constant_iteratorIjlEEPS6_PlSH_S8_NS0_8equal_toIS6_EEEE10hipError_tPvRmT2_T3_mT4_T5_T6_T7_T8_P12ihipStream_tbENKUlT_T0_E_clISt17integral_constantIbLb0EES10_IbLb1EEEEDaSW_SX_EUlSW_E_NS1_11comp_targetILNS1_3genE9ELNS1_11target_archE1100ELNS1_3gpuE3ELNS1_3repE0EEENS1_30default_config_static_selectorELNS0_4arch9wavefront6targetE1EEEvT1_
	.globl	_ZN7rocprim17ROCPRIM_400000_NS6detail17trampoline_kernelINS0_14default_configENS1_33run_length_encode_config_selectorIN3c108BFloat16EjNS0_4plusIjEEEEZZNS1_33reduce_by_key_impl_wrapped_configILNS1_25lookback_scan_determinismE0ES3_S9_PKS6_NS0_17constant_iteratorIjlEEPS6_PlSH_S8_NS0_8equal_toIS6_EEEE10hipError_tPvRmT2_T3_mT4_T5_T6_T7_T8_P12ihipStream_tbENKUlT_T0_E_clISt17integral_constantIbLb0EES10_IbLb1EEEEDaSW_SX_EUlSW_E_NS1_11comp_targetILNS1_3genE9ELNS1_11target_archE1100ELNS1_3gpuE3ELNS1_3repE0EEENS1_30default_config_static_selectorELNS0_4arch9wavefront6targetE1EEEvT1_
	.p2align	8
	.type	_ZN7rocprim17ROCPRIM_400000_NS6detail17trampoline_kernelINS0_14default_configENS1_33run_length_encode_config_selectorIN3c108BFloat16EjNS0_4plusIjEEEEZZNS1_33reduce_by_key_impl_wrapped_configILNS1_25lookback_scan_determinismE0ES3_S9_PKS6_NS0_17constant_iteratorIjlEEPS6_PlSH_S8_NS0_8equal_toIS6_EEEE10hipError_tPvRmT2_T3_mT4_T5_T6_T7_T8_P12ihipStream_tbENKUlT_T0_E_clISt17integral_constantIbLb0EES10_IbLb1EEEEDaSW_SX_EUlSW_E_NS1_11comp_targetILNS1_3genE9ELNS1_11target_archE1100ELNS1_3gpuE3ELNS1_3repE0EEENS1_30default_config_static_selectorELNS0_4arch9wavefront6targetE1EEEvT1_,@function
_ZN7rocprim17ROCPRIM_400000_NS6detail17trampoline_kernelINS0_14default_configENS1_33run_length_encode_config_selectorIN3c108BFloat16EjNS0_4plusIjEEEEZZNS1_33reduce_by_key_impl_wrapped_configILNS1_25lookback_scan_determinismE0ES3_S9_PKS6_NS0_17constant_iteratorIjlEEPS6_PlSH_S8_NS0_8equal_toIS6_EEEE10hipError_tPvRmT2_T3_mT4_T5_T6_T7_T8_P12ihipStream_tbENKUlT_T0_E_clISt17integral_constantIbLb0EES10_IbLb1EEEEDaSW_SX_EUlSW_E_NS1_11comp_targetILNS1_3genE9ELNS1_11target_archE1100ELNS1_3gpuE3ELNS1_3repE0EEENS1_30default_config_static_selectorELNS0_4arch9wavefront6targetE1EEEvT1_: ; @_ZN7rocprim17ROCPRIM_400000_NS6detail17trampoline_kernelINS0_14default_configENS1_33run_length_encode_config_selectorIN3c108BFloat16EjNS0_4plusIjEEEEZZNS1_33reduce_by_key_impl_wrapped_configILNS1_25lookback_scan_determinismE0ES3_S9_PKS6_NS0_17constant_iteratorIjlEEPS6_PlSH_S8_NS0_8equal_toIS6_EEEE10hipError_tPvRmT2_T3_mT4_T5_T6_T7_T8_P12ihipStream_tbENKUlT_T0_E_clISt17integral_constantIbLb0EES10_IbLb1EEEEDaSW_SX_EUlSW_E_NS1_11comp_targetILNS1_3genE9ELNS1_11target_archE1100ELNS1_3gpuE3ELNS1_3repE0EEENS1_30default_config_static_selectorELNS0_4arch9wavefront6targetE1EEEvT1_
; %bb.0:
	.section	.rodata,"a",@progbits
	.p2align	6, 0x0
	.amdhsa_kernel _ZN7rocprim17ROCPRIM_400000_NS6detail17trampoline_kernelINS0_14default_configENS1_33run_length_encode_config_selectorIN3c108BFloat16EjNS0_4plusIjEEEEZZNS1_33reduce_by_key_impl_wrapped_configILNS1_25lookback_scan_determinismE0ES3_S9_PKS6_NS0_17constant_iteratorIjlEEPS6_PlSH_S8_NS0_8equal_toIS6_EEEE10hipError_tPvRmT2_T3_mT4_T5_T6_T7_T8_P12ihipStream_tbENKUlT_T0_E_clISt17integral_constantIbLb0EES10_IbLb1EEEEDaSW_SX_EUlSW_E_NS1_11comp_targetILNS1_3genE9ELNS1_11target_archE1100ELNS1_3gpuE3ELNS1_3repE0EEENS1_30default_config_static_selectorELNS0_4arch9wavefront6targetE1EEEvT1_
		.amdhsa_group_segment_fixed_size 0
		.amdhsa_private_segment_fixed_size 0
		.amdhsa_kernarg_size 128
		.amdhsa_user_sgpr_count 2
		.amdhsa_user_sgpr_dispatch_ptr 0
		.amdhsa_user_sgpr_queue_ptr 0
		.amdhsa_user_sgpr_kernarg_segment_ptr 1
		.amdhsa_user_sgpr_dispatch_id 0
		.amdhsa_user_sgpr_kernarg_preload_length 0
		.amdhsa_user_sgpr_kernarg_preload_offset 0
		.amdhsa_user_sgpr_private_segment_size 0
		.amdhsa_uses_dynamic_stack 0
		.amdhsa_enable_private_segment 0
		.amdhsa_system_sgpr_workgroup_id_x 1
		.amdhsa_system_sgpr_workgroup_id_y 0
		.amdhsa_system_sgpr_workgroup_id_z 0
		.amdhsa_system_sgpr_workgroup_info 0
		.amdhsa_system_vgpr_workitem_id 0
		.amdhsa_next_free_vgpr 1
		.amdhsa_next_free_sgpr 0
		.amdhsa_accum_offset 4
		.amdhsa_reserve_vcc 0
		.amdhsa_float_round_mode_32 0
		.amdhsa_float_round_mode_16_64 0
		.amdhsa_float_denorm_mode_32 3
		.amdhsa_float_denorm_mode_16_64 3
		.amdhsa_dx10_clamp 1
		.amdhsa_ieee_mode 1
		.amdhsa_fp16_overflow 0
		.amdhsa_tg_split 0
		.amdhsa_exception_fp_ieee_invalid_op 0
		.amdhsa_exception_fp_denorm_src 0
		.amdhsa_exception_fp_ieee_div_zero 0
		.amdhsa_exception_fp_ieee_overflow 0
		.amdhsa_exception_fp_ieee_underflow 0
		.amdhsa_exception_fp_ieee_inexact 0
		.amdhsa_exception_int_div_zero 0
	.end_amdhsa_kernel
	.section	.text._ZN7rocprim17ROCPRIM_400000_NS6detail17trampoline_kernelINS0_14default_configENS1_33run_length_encode_config_selectorIN3c108BFloat16EjNS0_4plusIjEEEEZZNS1_33reduce_by_key_impl_wrapped_configILNS1_25lookback_scan_determinismE0ES3_S9_PKS6_NS0_17constant_iteratorIjlEEPS6_PlSH_S8_NS0_8equal_toIS6_EEEE10hipError_tPvRmT2_T3_mT4_T5_T6_T7_T8_P12ihipStream_tbENKUlT_T0_E_clISt17integral_constantIbLb0EES10_IbLb1EEEEDaSW_SX_EUlSW_E_NS1_11comp_targetILNS1_3genE9ELNS1_11target_archE1100ELNS1_3gpuE3ELNS1_3repE0EEENS1_30default_config_static_selectorELNS0_4arch9wavefront6targetE1EEEvT1_,"axG",@progbits,_ZN7rocprim17ROCPRIM_400000_NS6detail17trampoline_kernelINS0_14default_configENS1_33run_length_encode_config_selectorIN3c108BFloat16EjNS0_4plusIjEEEEZZNS1_33reduce_by_key_impl_wrapped_configILNS1_25lookback_scan_determinismE0ES3_S9_PKS6_NS0_17constant_iteratorIjlEEPS6_PlSH_S8_NS0_8equal_toIS6_EEEE10hipError_tPvRmT2_T3_mT4_T5_T6_T7_T8_P12ihipStream_tbENKUlT_T0_E_clISt17integral_constantIbLb0EES10_IbLb1EEEEDaSW_SX_EUlSW_E_NS1_11comp_targetILNS1_3genE9ELNS1_11target_archE1100ELNS1_3gpuE3ELNS1_3repE0EEENS1_30default_config_static_selectorELNS0_4arch9wavefront6targetE1EEEvT1_,comdat
.Lfunc_end890:
	.size	_ZN7rocprim17ROCPRIM_400000_NS6detail17trampoline_kernelINS0_14default_configENS1_33run_length_encode_config_selectorIN3c108BFloat16EjNS0_4plusIjEEEEZZNS1_33reduce_by_key_impl_wrapped_configILNS1_25lookback_scan_determinismE0ES3_S9_PKS6_NS0_17constant_iteratorIjlEEPS6_PlSH_S8_NS0_8equal_toIS6_EEEE10hipError_tPvRmT2_T3_mT4_T5_T6_T7_T8_P12ihipStream_tbENKUlT_T0_E_clISt17integral_constantIbLb0EES10_IbLb1EEEEDaSW_SX_EUlSW_E_NS1_11comp_targetILNS1_3genE9ELNS1_11target_archE1100ELNS1_3gpuE3ELNS1_3repE0EEENS1_30default_config_static_selectorELNS0_4arch9wavefront6targetE1EEEvT1_, .Lfunc_end890-_ZN7rocprim17ROCPRIM_400000_NS6detail17trampoline_kernelINS0_14default_configENS1_33run_length_encode_config_selectorIN3c108BFloat16EjNS0_4plusIjEEEEZZNS1_33reduce_by_key_impl_wrapped_configILNS1_25lookback_scan_determinismE0ES3_S9_PKS6_NS0_17constant_iteratorIjlEEPS6_PlSH_S8_NS0_8equal_toIS6_EEEE10hipError_tPvRmT2_T3_mT4_T5_T6_T7_T8_P12ihipStream_tbENKUlT_T0_E_clISt17integral_constantIbLb0EES10_IbLb1EEEEDaSW_SX_EUlSW_E_NS1_11comp_targetILNS1_3genE9ELNS1_11target_archE1100ELNS1_3gpuE3ELNS1_3repE0EEENS1_30default_config_static_selectorELNS0_4arch9wavefront6targetE1EEEvT1_
                                        ; -- End function
	.section	.AMDGPU.csdata,"",@progbits
; Kernel info:
; codeLenInByte = 0
; NumSgprs: 6
; NumVgprs: 0
; NumAgprs: 0
; TotalNumVgprs: 0
; ScratchSize: 0
; MemoryBound: 0
; FloatMode: 240
; IeeeMode: 1
; LDSByteSize: 0 bytes/workgroup (compile time only)
; SGPRBlocks: 0
; VGPRBlocks: 0
; NumSGPRsForWavesPerEU: 6
; NumVGPRsForWavesPerEU: 1
; AccumOffset: 4
; Occupancy: 8
; WaveLimiterHint : 0
; COMPUTE_PGM_RSRC2:SCRATCH_EN: 0
; COMPUTE_PGM_RSRC2:USER_SGPR: 2
; COMPUTE_PGM_RSRC2:TRAP_HANDLER: 0
; COMPUTE_PGM_RSRC2:TGID_X_EN: 1
; COMPUTE_PGM_RSRC2:TGID_Y_EN: 0
; COMPUTE_PGM_RSRC2:TGID_Z_EN: 0
; COMPUTE_PGM_RSRC2:TIDIG_COMP_CNT: 0
; COMPUTE_PGM_RSRC3_GFX90A:ACCUM_OFFSET: 0
; COMPUTE_PGM_RSRC3_GFX90A:TG_SPLIT: 0
	.section	.text._ZN7rocprim17ROCPRIM_400000_NS6detail17trampoline_kernelINS0_14default_configENS1_33run_length_encode_config_selectorIN3c108BFloat16EjNS0_4plusIjEEEEZZNS1_33reduce_by_key_impl_wrapped_configILNS1_25lookback_scan_determinismE0ES3_S9_PKS6_NS0_17constant_iteratorIjlEEPS6_PlSH_S8_NS0_8equal_toIS6_EEEE10hipError_tPvRmT2_T3_mT4_T5_T6_T7_T8_P12ihipStream_tbENKUlT_T0_E_clISt17integral_constantIbLb0EES10_IbLb1EEEEDaSW_SX_EUlSW_E_NS1_11comp_targetILNS1_3genE8ELNS1_11target_archE1030ELNS1_3gpuE2ELNS1_3repE0EEENS1_30default_config_static_selectorELNS0_4arch9wavefront6targetE1EEEvT1_,"axG",@progbits,_ZN7rocprim17ROCPRIM_400000_NS6detail17trampoline_kernelINS0_14default_configENS1_33run_length_encode_config_selectorIN3c108BFloat16EjNS0_4plusIjEEEEZZNS1_33reduce_by_key_impl_wrapped_configILNS1_25lookback_scan_determinismE0ES3_S9_PKS6_NS0_17constant_iteratorIjlEEPS6_PlSH_S8_NS0_8equal_toIS6_EEEE10hipError_tPvRmT2_T3_mT4_T5_T6_T7_T8_P12ihipStream_tbENKUlT_T0_E_clISt17integral_constantIbLb0EES10_IbLb1EEEEDaSW_SX_EUlSW_E_NS1_11comp_targetILNS1_3genE8ELNS1_11target_archE1030ELNS1_3gpuE2ELNS1_3repE0EEENS1_30default_config_static_selectorELNS0_4arch9wavefront6targetE1EEEvT1_,comdat
	.protected	_ZN7rocprim17ROCPRIM_400000_NS6detail17trampoline_kernelINS0_14default_configENS1_33run_length_encode_config_selectorIN3c108BFloat16EjNS0_4plusIjEEEEZZNS1_33reduce_by_key_impl_wrapped_configILNS1_25lookback_scan_determinismE0ES3_S9_PKS6_NS0_17constant_iteratorIjlEEPS6_PlSH_S8_NS0_8equal_toIS6_EEEE10hipError_tPvRmT2_T3_mT4_T5_T6_T7_T8_P12ihipStream_tbENKUlT_T0_E_clISt17integral_constantIbLb0EES10_IbLb1EEEEDaSW_SX_EUlSW_E_NS1_11comp_targetILNS1_3genE8ELNS1_11target_archE1030ELNS1_3gpuE2ELNS1_3repE0EEENS1_30default_config_static_selectorELNS0_4arch9wavefront6targetE1EEEvT1_ ; -- Begin function _ZN7rocprim17ROCPRIM_400000_NS6detail17trampoline_kernelINS0_14default_configENS1_33run_length_encode_config_selectorIN3c108BFloat16EjNS0_4plusIjEEEEZZNS1_33reduce_by_key_impl_wrapped_configILNS1_25lookback_scan_determinismE0ES3_S9_PKS6_NS0_17constant_iteratorIjlEEPS6_PlSH_S8_NS0_8equal_toIS6_EEEE10hipError_tPvRmT2_T3_mT4_T5_T6_T7_T8_P12ihipStream_tbENKUlT_T0_E_clISt17integral_constantIbLb0EES10_IbLb1EEEEDaSW_SX_EUlSW_E_NS1_11comp_targetILNS1_3genE8ELNS1_11target_archE1030ELNS1_3gpuE2ELNS1_3repE0EEENS1_30default_config_static_selectorELNS0_4arch9wavefront6targetE1EEEvT1_
	.globl	_ZN7rocprim17ROCPRIM_400000_NS6detail17trampoline_kernelINS0_14default_configENS1_33run_length_encode_config_selectorIN3c108BFloat16EjNS0_4plusIjEEEEZZNS1_33reduce_by_key_impl_wrapped_configILNS1_25lookback_scan_determinismE0ES3_S9_PKS6_NS0_17constant_iteratorIjlEEPS6_PlSH_S8_NS0_8equal_toIS6_EEEE10hipError_tPvRmT2_T3_mT4_T5_T6_T7_T8_P12ihipStream_tbENKUlT_T0_E_clISt17integral_constantIbLb0EES10_IbLb1EEEEDaSW_SX_EUlSW_E_NS1_11comp_targetILNS1_3genE8ELNS1_11target_archE1030ELNS1_3gpuE2ELNS1_3repE0EEENS1_30default_config_static_selectorELNS0_4arch9wavefront6targetE1EEEvT1_
	.p2align	8
	.type	_ZN7rocprim17ROCPRIM_400000_NS6detail17trampoline_kernelINS0_14default_configENS1_33run_length_encode_config_selectorIN3c108BFloat16EjNS0_4plusIjEEEEZZNS1_33reduce_by_key_impl_wrapped_configILNS1_25lookback_scan_determinismE0ES3_S9_PKS6_NS0_17constant_iteratorIjlEEPS6_PlSH_S8_NS0_8equal_toIS6_EEEE10hipError_tPvRmT2_T3_mT4_T5_T6_T7_T8_P12ihipStream_tbENKUlT_T0_E_clISt17integral_constantIbLb0EES10_IbLb1EEEEDaSW_SX_EUlSW_E_NS1_11comp_targetILNS1_3genE8ELNS1_11target_archE1030ELNS1_3gpuE2ELNS1_3repE0EEENS1_30default_config_static_selectorELNS0_4arch9wavefront6targetE1EEEvT1_,@function
_ZN7rocprim17ROCPRIM_400000_NS6detail17trampoline_kernelINS0_14default_configENS1_33run_length_encode_config_selectorIN3c108BFloat16EjNS0_4plusIjEEEEZZNS1_33reduce_by_key_impl_wrapped_configILNS1_25lookback_scan_determinismE0ES3_S9_PKS6_NS0_17constant_iteratorIjlEEPS6_PlSH_S8_NS0_8equal_toIS6_EEEE10hipError_tPvRmT2_T3_mT4_T5_T6_T7_T8_P12ihipStream_tbENKUlT_T0_E_clISt17integral_constantIbLb0EES10_IbLb1EEEEDaSW_SX_EUlSW_E_NS1_11comp_targetILNS1_3genE8ELNS1_11target_archE1030ELNS1_3gpuE2ELNS1_3repE0EEENS1_30default_config_static_selectorELNS0_4arch9wavefront6targetE1EEEvT1_: ; @_ZN7rocprim17ROCPRIM_400000_NS6detail17trampoline_kernelINS0_14default_configENS1_33run_length_encode_config_selectorIN3c108BFloat16EjNS0_4plusIjEEEEZZNS1_33reduce_by_key_impl_wrapped_configILNS1_25lookback_scan_determinismE0ES3_S9_PKS6_NS0_17constant_iteratorIjlEEPS6_PlSH_S8_NS0_8equal_toIS6_EEEE10hipError_tPvRmT2_T3_mT4_T5_T6_T7_T8_P12ihipStream_tbENKUlT_T0_E_clISt17integral_constantIbLb0EES10_IbLb1EEEEDaSW_SX_EUlSW_E_NS1_11comp_targetILNS1_3genE8ELNS1_11target_archE1030ELNS1_3gpuE2ELNS1_3repE0EEENS1_30default_config_static_selectorELNS0_4arch9wavefront6targetE1EEEvT1_
; %bb.0:
	.section	.rodata,"a",@progbits
	.p2align	6, 0x0
	.amdhsa_kernel _ZN7rocprim17ROCPRIM_400000_NS6detail17trampoline_kernelINS0_14default_configENS1_33run_length_encode_config_selectorIN3c108BFloat16EjNS0_4plusIjEEEEZZNS1_33reduce_by_key_impl_wrapped_configILNS1_25lookback_scan_determinismE0ES3_S9_PKS6_NS0_17constant_iteratorIjlEEPS6_PlSH_S8_NS0_8equal_toIS6_EEEE10hipError_tPvRmT2_T3_mT4_T5_T6_T7_T8_P12ihipStream_tbENKUlT_T0_E_clISt17integral_constantIbLb0EES10_IbLb1EEEEDaSW_SX_EUlSW_E_NS1_11comp_targetILNS1_3genE8ELNS1_11target_archE1030ELNS1_3gpuE2ELNS1_3repE0EEENS1_30default_config_static_selectorELNS0_4arch9wavefront6targetE1EEEvT1_
		.amdhsa_group_segment_fixed_size 0
		.amdhsa_private_segment_fixed_size 0
		.amdhsa_kernarg_size 128
		.amdhsa_user_sgpr_count 2
		.amdhsa_user_sgpr_dispatch_ptr 0
		.amdhsa_user_sgpr_queue_ptr 0
		.amdhsa_user_sgpr_kernarg_segment_ptr 1
		.amdhsa_user_sgpr_dispatch_id 0
		.amdhsa_user_sgpr_kernarg_preload_length 0
		.amdhsa_user_sgpr_kernarg_preload_offset 0
		.amdhsa_user_sgpr_private_segment_size 0
		.amdhsa_uses_dynamic_stack 0
		.amdhsa_enable_private_segment 0
		.amdhsa_system_sgpr_workgroup_id_x 1
		.amdhsa_system_sgpr_workgroup_id_y 0
		.amdhsa_system_sgpr_workgroup_id_z 0
		.amdhsa_system_sgpr_workgroup_info 0
		.amdhsa_system_vgpr_workitem_id 0
		.amdhsa_next_free_vgpr 1
		.amdhsa_next_free_sgpr 0
		.amdhsa_accum_offset 4
		.amdhsa_reserve_vcc 0
		.amdhsa_float_round_mode_32 0
		.amdhsa_float_round_mode_16_64 0
		.amdhsa_float_denorm_mode_32 3
		.amdhsa_float_denorm_mode_16_64 3
		.amdhsa_dx10_clamp 1
		.amdhsa_ieee_mode 1
		.amdhsa_fp16_overflow 0
		.amdhsa_tg_split 0
		.amdhsa_exception_fp_ieee_invalid_op 0
		.amdhsa_exception_fp_denorm_src 0
		.amdhsa_exception_fp_ieee_div_zero 0
		.amdhsa_exception_fp_ieee_overflow 0
		.amdhsa_exception_fp_ieee_underflow 0
		.amdhsa_exception_fp_ieee_inexact 0
		.amdhsa_exception_int_div_zero 0
	.end_amdhsa_kernel
	.section	.text._ZN7rocprim17ROCPRIM_400000_NS6detail17trampoline_kernelINS0_14default_configENS1_33run_length_encode_config_selectorIN3c108BFloat16EjNS0_4plusIjEEEEZZNS1_33reduce_by_key_impl_wrapped_configILNS1_25lookback_scan_determinismE0ES3_S9_PKS6_NS0_17constant_iteratorIjlEEPS6_PlSH_S8_NS0_8equal_toIS6_EEEE10hipError_tPvRmT2_T3_mT4_T5_T6_T7_T8_P12ihipStream_tbENKUlT_T0_E_clISt17integral_constantIbLb0EES10_IbLb1EEEEDaSW_SX_EUlSW_E_NS1_11comp_targetILNS1_3genE8ELNS1_11target_archE1030ELNS1_3gpuE2ELNS1_3repE0EEENS1_30default_config_static_selectorELNS0_4arch9wavefront6targetE1EEEvT1_,"axG",@progbits,_ZN7rocprim17ROCPRIM_400000_NS6detail17trampoline_kernelINS0_14default_configENS1_33run_length_encode_config_selectorIN3c108BFloat16EjNS0_4plusIjEEEEZZNS1_33reduce_by_key_impl_wrapped_configILNS1_25lookback_scan_determinismE0ES3_S9_PKS6_NS0_17constant_iteratorIjlEEPS6_PlSH_S8_NS0_8equal_toIS6_EEEE10hipError_tPvRmT2_T3_mT4_T5_T6_T7_T8_P12ihipStream_tbENKUlT_T0_E_clISt17integral_constantIbLb0EES10_IbLb1EEEEDaSW_SX_EUlSW_E_NS1_11comp_targetILNS1_3genE8ELNS1_11target_archE1030ELNS1_3gpuE2ELNS1_3repE0EEENS1_30default_config_static_selectorELNS0_4arch9wavefront6targetE1EEEvT1_,comdat
.Lfunc_end891:
	.size	_ZN7rocprim17ROCPRIM_400000_NS6detail17trampoline_kernelINS0_14default_configENS1_33run_length_encode_config_selectorIN3c108BFloat16EjNS0_4plusIjEEEEZZNS1_33reduce_by_key_impl_wrapped_configILNS1_25lookback_scan_determinismE0ES3_S9_PKS6_NS0_17constant_iteratorIjlEEPS6_PlSH_S8_NS0_8equal_toIS6_EEEE10hipError_tPvRmT2_T3_mT4_T5_T6_T7_T8_P12ihipStream_tbENKUlT_T0_E_clISt17integral_constantIbLb0EES10_IbLb1EEEEDaSW_SX_EUlSW_E_NS1_11comp_targetILNS1_3genE8ELNS1_11target_archE1030ELNS1_3gpuE2ELNS1_3repE0EEENS1_30default_config_static_selectorELNS0_4arch9wavefront6targetE1EEEvT1_, .Lfunc_end891-_ZN7rocprim17ROCPRIM_400000_NS6detail17trampoline_kernelINS0_14default_configENS1_33run_length_encode_config_selectorIN3c108BFloat16EjNS0_4plusIjEEEEZZNS1_33reduce_by_key_impl_wrapped_configILNS1_25lookback_scan_determinismE0ES3_S9_PKS6_NS0_17constant_iteratorIjlEEPS6_PlSH_S8_NS0_8equal_toIS6_EEEE10hipError_tPvRmT2_T3_mT4_T5_T6_T7_T8_P12ihipStream_tbENKUlT_T0_E_clISt17integral_constantIbLb0EES10_IbLb1EEEEDaSW_SX_EUlSW_E_NS1_11comp_targetILNS1_3genE8ELNS1_11target_archE1030ELNS1_3gpuE2ELNS1_3repE0EEENS1_30default_config_static_selectorELNS0_4arch9wavefront6targetE1EEEvT1_
                                        ; -- End function
	.section	.AMDGPU.csdata,"",@progbits
; Kernel info:
; codeLenInByte = 0
; NumSgprs: 6
; NumVgprs: 0
; NumAgprs: 0
; TotalNumVgprs: 0
; ScratchSize: 0
; MemoryBound: 0
; FloatMode: 240
; IeeeMode: 1
; LDSByteSize: 0 bytes/workgroup (compile time only)
; SGPRBlocks: 0
; VGPRBlocks: 0
; NumSGPRsForWavesPerEU: 6
; NumVGPRsForWavesPerEU: 1
; AccumOffset: 4
; Occupancy: 8
; WaveLimiterHint : 0
; COMPUTE_PGM_RSRC2:SCRATCH_EN: 0
; COMPUTE_PGM_RSRC2:USER_SGPR: 2
; COMPUTE_PGM_RSRC2:TRAP_HANDLER: 0
; COMPUTE_PGM_RSRC2:TGID_X_EN: 1
; COMPUTE_PGM_RSRC2:TGID_Y_EN: 0
; COMPUTE_PGM_RSRC2:TGID_Z_EN: 0
; COMPUTE_PGM_RSRC2:TIDIG_COMP_CNT: 0
; COMPUTE_PGM_RSRC3_GFX90A:ACCUM_OFFSET: 0
; COMPUTE_PGM_RSRC3_GFX90A:TG_SPLIT: 0
	.section	.text._ZN2at6native8internal12_GLOBAL__N_126adjacent_difference_kernelIPKN3c104HalfEEEvlT_Pi,"axG",@progbits,_ZN2at6native8internal12_GLOBAL__N_126adjacent_difference_kernelIPKN3c104HalfEEEvlT_Pi,comdat
	.globl	_ZN2at6native8internal12_GLOBAL__N_126adjacent_difference_kernelIPKN3c104HalfEEEvlT_Pi ; -- Begin function _ZN2at6native8internal12_GLOBAL__N_126adjacent_difference_kernelIPKN3c104HalfEEEvlT_Pi
	.p2align	8
	.type	_ZN2at6native8internal12_GLOBAL__N_126adjacent_difference_kernelIPKN3c104HalfEEEvlT_Pi,@function
_ZN2at6native8internal12_GLOBAL__N_126adjacent_difference_kernelIPKN3c104HalfEEEvlT_Pi: ; @_ZN2at6native8internal12_GLOBAL__N_126adjacent_difference_kernelIPKN3c104HalfEEEvlT_Pi
; %bb.0:
	s_load_dword s3, s[0:1], 0x24
	s_load_dwordx4 s[4:7], s[0:1], 0x0
	s_add_u32 s10, s0, 24
	s_addc_u32 s11, s1, 0
	v_mov_b32_e32 v1, 0
	s_waitcnt lgkmcnt(0)
	s_and_b32 s12, s3, 0xffff
	v_mov_b32_e32 v2, s2
	v_mad_u64_u32 v[4:5], s[8:9], s12, v2, v[0:1]
	v_cmp_gt_i64_e32 vcc, s[4:5], v[4:5]
	s_and_saveexec_b64 s[8:9], vcc
	s_cbranch_execz .LBB892_5
; %bb.1:
	s_load_dword s13, s[10:11], 0x0
	s_load_dwordx2 s[8:9], s[0:1], 0x10
	s_mul_hi_u32 s1, s12, s2
	s_mul_i32 s0, s12, s2
	s_mov_b32 s3, 0
	s_waitcnt lgkmcnt(0)
	s_mul_i32 s2, s13, s12
	v_mov_b32_e32 v2, v1
	v_mov_b32_e32 v3, v4
	s_mov_b32 s10, s3
	s_mov_b32 s11, s2
	s_mov_b64 s[12:13], 0
	v_mov_b64_e32 v[4:5], v[0:1]
	s_branch .LBB892_3
.LBB892_2:                              ;   in Loop: Header=BB892_3 Depth=1
	s_or_b64 exec, exec, s[14:15]
	v_ashrrev_i64 v[6:7], 30, v[2:3]
	v_lshl_add_u64 v[6:7], s[8:9], 0, v[6:7]
	v_lshl_add_u64 v[4:5], v[4:5], 0, s[2:3]
	global_store_dword v[6:7], v0, off
	v_lshl_add_u64 v[6:7], s[0:1], 0, v[4:5]
	v_cmp_le_i64_e32 vcc, s[4:5], v[6:7]
	s_or_b64 s[12:13], vcc, s[12:13]
	v_lshl_add_u64 v[2:3], v[2:3], 0, s[10:11]
	s_andn2_b64 exec, exec, s[12:13]
	s_cbranch_execz .LBB892_5
.LBB892_3:                              ; =>This Inner Loop Header: Depth=1
	v_add_u32_e32 v0, s0, v4
	v_cmp_lt_i32_e32 vcc, 0, v0
	v_mov_b32_e32 v0, 0
	s_and_saveexec_b64 s[14:15], vcc
	s_cbranch_execz .LBB892_2
; %bb.4:                                ;   in Loop: Header=BB892_3 Depth=1
	v_add_u32_e32 v0, s0, v4
	v_lshlrev_b32_e32 v8, 1, v0
	v_add_u32_e32 v0, -1, v0
	v_lshl_add_u64 v[6:7], v[0:1], 1, s[6:7]
	global_load_ushort v0, v8, s[6:7]
	global_load_ushort v9, v[6:7], off
	s_waitcnt vmcnt(0)
	v_cmp_neq_f16_e32 vcc, v0, v9
	s_nop 1
	v_cndmask_b32_e64 v0, 0, 1, vcc
	s_branch .LBB892_2
.LBB892_5:
	s_endpgm
	.section	.rodata,"a",@progbits
	.p2align	6, 0x0
	.amdhsa_kernel _ZN2at6native8internal12_GLOBAL__N_126adjacent_difference_kernelIPKN3c104HalfEEEvlT_Pi
		.amdhsa_group_segment_fixed_size 0
		.amdhsa_private_segment_fixed_size 0
		.amdhsa_kernarg_size 280
		.amdhsa_user_sgpr_count 2
		.amdhsa_user_sgpr_dispatch_ptr 0
		.amdhsa_user_sgpr_queue_ptr 0
		.amdhsa_user_sgpr_kernarg_segment_ptr 1
		.amdhsa_user_sgpr_dispatch_id 0
		.amdhsa_user_sgpr_kernarg_preload_length 0
		.amdhsa_user_sgpr_kernarg_preload_offset 0
		.amdhsa_user_sgpr_private_segment_size 0
		.amdhsa_uses_dynamic_stack 0
		.amdhsa_enable_private_segment 0
		.amdhsa_system_sgpr_workgroup_id_x 1
		.amdhsa_system_sgpr_workgroup_id_y 0
		.amdhsa_system_sgpr_workgroup_id_z 0
		.amdhsa_system_sgpr_workgroup_info 0
		.amdhsa_system_vgpr_workitem_id 0
		.amdhsa_next_free_vgpr 10
		.amdhsa_next_free_sgpr 16
		.amdhsa_accum_offset 12
		.amdhsa_reserve_vcc 1
		.amdhsa_float_round_mode_32 0
		.amdhsa_float_round_mode_16_64 0
		.amdhsa_float_denorm_mode_32 3
		.amdhsa_float_denorm_mode_16_64 3
		.amdhsa_dx10_clamp 1
		.amdhsa_ieee_mode 1
		.amdhsa_fp16_overflow 0
		.amdhsa_tg_split 0
		.amdhsa_exception_fp_ieee_invalid_op 0
		.amdhsa_exception_fp_denorm_src 0
		.amdhsa_exception_fp_ieee_div_zero 0
		.amdhsa_exception_fp_ieee_overflow 0
		.amdhsa_exception_fp_ieee_underflow 0
		.amdhsa_exception_fp_ieee_inexact 0
		.amdhsa_exception_int_div_zero 0
	.end_amdhsa_kernel
	.section	.text._ZN2at6native8internal12_GLOBAL__N_126adjacent_difference_kernelIPKN3c104HalfEEEvlT_Pi,"axG",@progbits,_ZN2at6native8internal12_GLOBAL__N_126adjacent_difference_kernelIPKN3c104HalfEEEvlT_Pi,comdat
.Lfunc_end892:
	.size	_ZN2at6native8internal12_GLOBAL__N_126adjacent_difference_kernelIPKN3c104HalfEEEvlT_Pi, .Lfunc_end892-_ZN2at6native8internal12_GLOBAL__N_126adjacent_difference_kernelIPKN3c104HalfEEEvlT_Pi
                                        ; -- End function
	.section	.AMDGPU.csdata,"",@progbits
; Kernel info:
; codeLenInByte = 280
; NumSgprs: 22
; NumVgprs: 10
; NumAgprs: 0
; TotalNumVgprs: 10
; ScratchSize: 0
; MemoryBound: 0
; FloatMode: 240
; IeeeMode: 1
; LDSByteSize: 0 bytes/workgroup (compile time only)
; SGPRBlocks: 2
; VGPRBlocks: 1
; NumSGPRsForWavesPerEU: 22
; NumVGPRsForWavesPerEU: 10
; AccumOffset: 12
; Occupancy: 8
; WaveLimiterHint : 0
; COMPUTE_PGM_RSRC2:SCRATCH_EN: 0
; COMPUTE_PGM_RSRC2:USER_SGPR: 2
; COMPUTE_PGM_RSRC2:TRAP_HANDLER: 0
; COMPUTE_PGM_RSRC2:TGID_X_EN: 1
; COMPUTE_PGM_RSRC2:TGID_Y_EN: 0
; COMPUTE_PGM_RSRC2:TGID_Z_EN: 0
; COMPUTE_PGM_RSRC2:TIDIG_COMP_CNT: 0
; COMPUTE_PGM_RSRC3_GFX90A:ACCUM_OFFSET: 2
; COMPUTE_PGM_RSRC3_GFX90A:TG_SPLIT: 0
	.section	.text._ZN7rocprim17ROCPRIM_400000_NS6detail17trampoline_kernelINS0_14default_configENS1_25partition_config_selectorILNS1_17partition_subalgoE8EN3c104HalfENS0_10empty_typeEbEEZZNS1_14partition_implILS5_8ELb0ES3_jPKS7_PS8_PKS8_NS0_5tupleIJPS7_S8_EEENSG_IJSD_SD_EEENS0_18inequality_wrapperIN6hipcub16HIPCUB_304000_NS8EqualityEEEPlJS8_EEE10hipError_tPvRmT3_T4_T5_T6_T7_T9_mT8_P12ihipStream_tbDpT10_ENKUlT_T0_E_clISt17integral_constantIbLb0EES19_EEDaS14_S15_EUlS14_E_NS1_11comp_targetILNS1_3genE0ELNS1_11target_archE4294967295ELNS1_3gpuE0ELNS1_3repE0EEENS1_30default_config_static_selectorELNS0_4arch9wavefront6targetE1EEEvT1_,"axG",@progbits,_ZN7rocprim17ROCPRIM_400000_NS6detail17trampoline_kernelINS0_14default_configENS1_25partition_config_selectorILNS1_17partition_subalgoE8EN3c104HalfENS0_10empty_typeEbEEZZNS1_14partition_implILS5_8ELb0ES3_jPKS7_PS8_PKS8_NS0_5tupleIJPS7_S8_EEENSG_IJSD_SD_EEENS0_18inequality_wrapperIN6hipcub16HIPCUB_304000_NS8EqualityEEEPlJS8_EEE10hipError_tPvRmT3_T4_T5_T6_T7_T9_mT8_P12ihipStream_tbDpT10_ENKUlT_T0_E_clISt17integral_constantIbLb0EES19_EEDaS14_S15_EUlS14_E_NS1_11comp_targetILNS1_3genE0ELNS1_11target_archE4294967295ELNS1_3gpuE0ELNS1_3repE0EEENS1_30default_config_static_selectorELNS0_4arch9wavefront6targetE1EEEvT1_,comdat
	.protected	_ZN7rocprim17ROCPRIM_400000_NS6detail17trampoline_kernelINS0_14default_configENS1_25partition_config_selectorILNS1_17partition_subalgoE8EN3c104HalfENS0_10empty_typeEbEEZZNS1_14partition_implILS5_8ELb0ES3_jPKS7_PS8_PKS8_NS0_5tupleIJPS7_S8_EEENSG_IJSD_SD_EEENS0_18inequality_wrapperIN6hipcub16HIPCUB_304000_NS8EqualityEEEPlJS8_EEE10hipError_tPvRmT3_T4_T5_T6_T7_T9_mT8_P12ihipStream_tbDpT10_ENKUlT_T0_E_clISt17integral_constantIbLb0EES19_EEDaS14_S15_EUlS14_E_NS1_11comp_targetILNS1_3genE0ELNS1_11target_archE4294967295ELNS1_3gpuE0ELNS1_3repE0EEENS1_30default_config_static_selectorELNS0_4arch9wavefront6targetE1EEEvT1_ ; -- Begin function _ZN7rocprim17ROCPRIM_400000_NS6detail17trampoline_kernelINS0_14default_configENS1_25partition_config_selectorILNS1_17partition_subalgoE8EN3c104HalfENS0_10empty_typeEbEEZZNS1_14partition_implILS5_8ELb0ES3_jPKS7_PS8_PKS8_NS0_5tupleIJPS7_S8_EEENSG_IJSD_SD_EEENS0_18inequality_wrapperIN6hipcub16HIPCUB_304000_NS8EqualityEEEPlJS8_EEE10hipError_tPvRmT3_T4_T5_T6_T7_T9_mT8_P12ihipStream_tbDpT10_ENKUlT_T0_E_clISt17integral_constantIbLb0EES19_EEDaS14_S15_EUlS14_E_NS1_11comp_targetILNS1_3genE0ELNS1_11target_archE4294967295ELNS1_3gpuE0ELNS1_3repE0EEENS1_30default_config_static_selectorELNS0_4arch9wavefront6targetE1EEEvT1_
	.globl	_ZN7rocprim17ROCPRIM_400000_NS6detail17trampoline_kernelINS0_14default_configENS1_25partition_config_selectorILNS1_17partition_subalgoE8EN3c104HalfENS0_10empty_typeEbEEZZNS1_14partition_implILS5_8ELb0ES3_jPKS7_PS8_PKS8_NS0_5tupleIJPS7_S8_EEENSG_IJSD_SD_EEENS0_18inequality_wrapperIN6hipcub16HIPCUB_304000_NS8EqualityEEEPlJS8_EEE10hipError_tPvRmT3_T4_T5_T6_T7_T9_mT8_P12ihipStream_tbDpT10_ENKUlT_T0_E_clISt17integral_constantIbLb0EES19_EEDaS14_S15_EUlS14_E_NS1_11comp_targetILNS1_3genE0ELNS1_11target_archE4294967295ELNS1_3gpuE0ELNS1_3repE0EEENS1_30default_config_static_selectorELNS0_4arch9wavefront6targetE1EEEvT1_
	.p2align	8
	.type	_ZN7rocprim17ROCPRIM_400000_NS6detail17trampoline_kernelINS0_14default_configENS1_25partition_config_selectorILNS1_17partition_subalgoE8EN3c104HalfENS0_10empty_typeEbEEZZNS1_14partition_implILS5_8ELb0ES3_jPKS7_PS8_PKS8_NS0_5tupleIJPS7_S8_EEENSG_IJSD_SD_EEENS0_18inequality_wrapperIN6hipcub16HIPCUB_304000_NS8EqualityEEEPlJS8_EEE10hipError_tPvRmT3_T4_T5_T6_T7_T9_mT8_P12ihipStream_tbDpT10_ENKUlT_T0_E_clISt17integral_constantIbLb0EES19_EEDaS14_S15_EUlS14_E_NS1_11comp_targetILNS1_3genE0ELNS1_11target_archE4294967295ELNS1_3gpuE0ELNS1_3repE0EEENS1_30default_config_static_selectorELNS0_4arch9wavefront6targetE1EEEvT1_,@function
_ZN7rocprim17ROCPRIM_400000_NS6detail17trampoline_kernelINS0_14default_configENS1_25partition_config_selectorILNS1_17partition_subalgoE8EN3c104HalfENS0_10empty_typeEbEEZZNS1_14partition_implILS5_8ELb0ES3_jPKS7_PS8_PKS8_NS0_5tupleIJPS7_S8_EEENSG_IJSD_SD_EEENS0_18inequality_wrapperIN6hipcub16HIPCUB_304000_NS8EqualityEEEPlJS8_EEE10hipError_tPvRmT3_T4_T5_T6_T7_T9_mT8_P12ihipStream_tbDpT10_ENKUlT_T0_E_clISt17integral_constantIbLb0EES19_EEDaS14_S15_EUlS14_E_NS1_11comp_targetILNS1_3genE0ELNS1_11target_archE4294967295ELNS1_3gpuE0ELNS1_3repE0EEENS1_30default_config_static_selectorELNS0_4arch9wavefront6targetE1EEEvT1_: ; @_ZN7rocprim17ROCPRIM_400000_NS6detail17trampoline_kernelINS0_14default_configENS1_25partition_config_selectorILNS1_17partition_subalgoE8EN3c104HalfENS0_10empty_typeEbEEZZNS1_14partition_implILS5_8ELb0ES3_jPKS7_PS8_PKS8_NS0_5tupleIJPS7_S8_EEENSG_IJSD_SD_EEENS0_18inequality_wrapperIN6hipcub16HIPCUB_304000_NS8EqualityEEEPlJS8_EEE10hipError_tPvRmT3_T4_T5_T6_T7_T9_mT8_P12ihipStream_tbDpT10_ENKUlT_T0_E_clISt17integral_constantIbLb0EES19_EEDaS14_S15_EUlS14_E_NS1_11comp_targetILNS1_3genE0ELNS1_11target_archE4294967295ELNS1_3gpuE0ELNS1_3repE0EEENS1_30default_config_static_selectorELNS0_4arch9wavefront6targetE1EEEvT1_
; %bb.0:
	.section	.rodata,"a",@progbits
	.p2align	6, 0x0
	.amdhsa_kernel _ZN7rocprim17ROCPRIM_400000_NS6detail17trampoline_kernelINS0_14default_configENS1_25partition_config_selectorILNS1_17partition_subalgoE8EN3c104HalfENS0_10empty_typeEbEEZZNS1_14partition_implILS5_8ELb0ES3_jPKS7_PS8_PKS8_NS0_5tupleIJPS7_S8_EEENSG_IJSD_SD_EEENS0_18inequality_wrapperIN6hipcub16HIPCUB_304000_NS8EqualityEEEPlJS8_EEE10hipError_tPvRmT3_T4_T5_T6_T7_T9_mT8_P12ihipStream_tbDpT10_ENKUlT_T0_E_clISt17integral_constantIbLb0EES19_EEDaS14_S15_EUlS14_E_NS1_11comp_targetILNS1_3genE0ELNS1_11target_archE4294967295ELNS1_3gpuE0ELNS1_3repE0EEENS1_30default_config_static_selectorELNS0_4arch9wavefront6targetE1EEEvT1_
		.amdhsa_group_segment_fixed_size 0
		.amdhsa_private_segment_fixed_size 0
		.amdhsa_kernarg_size 112
		.amdhsa_user_sgpr_count 2
		.amdhsa_user_sgpr_dispatch_ptr 0
		.amdhsa_user_sgpr_queue_ptr 0
		.amdhsa_user_sgpr_kernarg_segment_ptr 1
		.amdhsa_user_sgpr_dispatch_id 0
		.amdhsa_user_sgpr_kernarg_preload_length 0
		.amdhsa_user_sgpr_kernarg_preload_offset 0
		.amdhsa_user_sgpr_private_segment_size 0
		.amdhsa_uses_dynamic_stack 0
		.amdhsa_enable_private_segment 0
		.amdhsa_system_sgpr_workgroup_id_x 1
		.amdhsa_system_sgpr_workgroup_id_y 0
		.amdhsa_system_sgpr_workgroup_id_z 0
		.amdhsa_system_sgpr_workgroup_info 0
		.amdhsa_system_vgpr_workitem_id 0
		.amdhsa_next_free_vgpr 1
		.amdhsa_next_free_sgpr 0
		.amdhsa_accum_offset 4
		.amdhsa_reserve_vcc 0
		.amdhsa_float_round_mode_32 0
		.amdhsa_float_round_mode_16_64 0
		.amdhsa_float_denorm_mode_32 3
		.amdhsa_float_denorm_mode_16_64 3
		.amdhsa_dx10_clamp 1
		.amdhsa_ieee_mode 1
		.amdhsa_fp16_overflow 0
		.amdhsa_tg_split 0
		.amdhsa_exception_fp_ieee_invalid_op 0
		.amdhsa_exception_fp_denorm_src 0
		.amdhsa_exception_fp_ieee_div_zero 0
		.amdhsa_exception_fp_ieee_overflow 0
		.amdhsa_exception_fp_ieee_underflow 0
		.amdhsa_exception_fp_ieee_inexact 0
		.amdhsa_exception_int_div_zero 0
	.end_amdhsa_kernel
	.section	.text._ZN7rocprim17ROCPRIM_400000_NS6detail17trampoline_kernelINS0_14default_configENS1_25partition_config_selectorILNS1_17partition_subalgoE8EN3c104HalfENS0_10empty_typeEbEEZZNS1_14partition_implILS5_8ELb0ES3_jPKS7_PS8_PKS8_NS0_5tupleIJPS7_S8_EEENSG_IJSD_SD_EEENS0_18inequality_wrapperIN6hipcub16HIPCUB_304000_NS8EqualityEEEPlJS8_EEE10hipError_tPvRmT3_T4_T5_T6_T7_T9_mT8_P12ihipStream_tbDpT10_ENKUlT_T0_E_clISt17integral_constantIbLb0EES19_EEDaS14_S15_EUlS14_E_NS1_11comp_targetILNS1_3genE0ELNS1_11target_archE4294967295ELNS1_3gpuE0ELNS1_3repE0EEENS1_30default_config_static_selectorELNS0_4arch9wavefront6targetE1EEEvT1_,"axG",@progbits,_ZN7rocprim17ROCPRIM_400000_NS6detail17trampoline_kernelINS0_14default_configENS1_25partition_config_selectorILNS1_17partition_subalgoE8EN3c104HalfENS0_10empty_typeEbEEZZNS1_14partition_implILS5_8ELb0ES3_jPKS7_PS8_PKS8_NS0_5tupleIJPS7_S8_EEENSG_IJSD_SD_EEENS0_18inequality_wrapperIN6hipcub16HIPCUB_304000_NS8EqualityEEEPlJS8_EEE10hipError_tPvRmT3_T4_T5_T6_T7_T9_mT8_P12ihipStream_tbDpT10_ENKUlT_T0_E_clISt17integral_constantIbLb0EES19_EEDaS14_S15_EUlS14_E_NS1_11comp_targetILNS1_3genE0ELNS1_11target_archE4294967295ELNS1_3gpuE0ELNS1_3repE0EEENS1_30default_config_static_selectorELNS0_4arch9wavefront6targetE1EEEvT1_,comdat
.Lfunc_end893:
	.size	_ZN7rocprim17ROCPRIM_400000_NS6detail17trampoline_kernelINS0_14default_configENS1_25partition_config_selectorILNS1_17partition_subalgoE8EN3c104HalfENS0_10empty_typeEbEEZZNS1_14partition_implILS5_8ELb0ES3_jPKS7_PS8_PKS8_NS0_5tupleIJPS7_S8_EEENSG_IJSD_SD_EEENS0_18inequality_wrapperIN6hipcub16HIPCUB_304000_NS8EqualityEEEPlJS8_EEE10hipError_tPvRmT3_T4_T5_T6_T7_T9_mT8_P12ihipStream_tbDpT10_ENKUlT_T0_E_clISt17integral_constantIbLb0EES19_EEDaS14_S15_EUlS14_E_NS1_11comp_targetILNS1_3genE0ELNS1_11target_archE4294967295ELNS1_3gpuE0ELNS1_3repE0EEENS1_30default_config_static_selectorELNS0_4arch9wavefront6targetE1EEEvT1_, .Lfunc_end893-_ZN7rocprim17ROCPRIM_400000_NS6detail17trampoline_kernelINS0_14default_configENS1_25partition_config_selectorILNS1_17partition_subalgoE8EN3c104HalfENS0_10empty_typeEbEEZZNS1_14partition_implILS5_8ELb0ES3_jPKS7_PS8_PKS8_NS0_5tupleIJPS7_S8_EEENSG_IJSD_SD_EEENS0_18inequality_wrapperIN6hipcub16HIPCUB_304000_NS8EqualityEEEPlJS8_EEE10hipError_tPvRmT3_T4_T5_T6_T7_T9_mT8_P12ihipStream_tbDpT10_ENKUlT_T0_E_clISt17integral_constantIbLb0EES19_EEDaS14_S15_EUlS14_E_NS1_11comp_targetILNS1_3genE0ELNS1_11target_archE4294967295ELNS1_3gpuE0ELNS1_3repE0EEENS1_30default_config_static_selectorELNS0_4arch9wavefront6targetE1EEEvT1_
                                        ; -- End function
	.section	.AMDGPU.csdata,"",@progbits
; Kernel info:
; codeLenInByte = 0
; NumSgprs: 6
; NumVgprs: 0
; NumAgprs: 0
; TotalNumVgprs: 0
; ScratchSize: 0
; MemoryBound: 0
; FloatMode: 240
; IeeeMode: 1
; LDSByteSize: 0 bytes/workgroup (compile time only)
; SGPRBlocks: 0
; VGPRBlocks: 0
; NumSGPRsForWavesPerEU: 6
; NumVGPRsForWavesPerEU: 1
; AccumOffset: 4
; Occupancy: 8
; WaveLimiterHint : 0
; COMPUTE_PGM_RSRC2:SCRATCH_EN: 0
; COMPUTE_PGM_RSRC2:USER_SGPR: 2
; COMPUTE_PGM_RSRC2:TRAP_HANDLER: 0
; COMPUTE_PGM_RSRC2:TGID_X_EN: 1
; COMPUTE_PGM_RSRC2:TGID_Y_EN: 0
; COMPUTE_PGM_RSRC2:TGID_Z_EN: 0
; COMPUTE_PGM_RSRC2:TIDIG_COMP_CNT: 0
; COMPUTE_PGM_RSRC3_GFX90A:ACCUM_OFFSET: 0
; COMPUTE_PGM_RSRC3_GFX90A:TG_SPLIT: 0
	.section	.text._ZN7rocprim17ROCPRIM_400000_NS6detail17trampoline_kernelINS0_14default_configENS1_25partition_config_selectorILNS1_17partition_subalgoE8EN3c104HalfENS0_10empty_typeEbEEZZNS1_14partition_implILS5_8ELb0ES3_jPKS7_PS8_PKS8_NS0_5tupleIJPS7_S8_EEENSG_IJSD_SD_EEENS0_18inequality_wrapperIN6hipcub16HIPCUB_304000_NS8EqualityEEEPlJS8_EEE10hipError_tPvRmT3_T4_T5_T6_T7_T9_mT8_P12ihipStream_tbDpT10_ENKUlT_T0_E_clISt17integral_constantIbLb0EES19_EEDaS14_S15_EUlS14_E_NS1_11comp_targetILNS1_3genE5ELNS1_11target_archE942ELNS1_3gpuE9ELNS1_3repE0EEENS1_30default_config_static_selectorELNS0_4arch9wavefront6targetE1EEEvT1_,"axG",@progbits,_ZN7rocprim17ROCPRIM_400000_NS6detail17trampoline_kernelINS0_14default_configENS1_25partition_config_selectorILNS1_17partition_subalgoE8EN3c104HalfENS0_10empty_typeEbEEZZNS1_14partition_implILS5_8ELb0ES3_jPKS7_PS8_PKS8_NS0_5tupleIJPS7_S8_EEENSG_IJSD_SD_EEENS0_18inequality_wrapperIN6hipcub16HIPCUB_304000_NS8EqualityEEEPlJS8_EEE10hipError_tPvRmT3_T4_T5_T6_T7_T9_mT8_P12ihipStream_tbDpT10_ENKUlT_T0_E_clISt17integral_constantIbLb0EES19_EEDaS14_S15_EUlS14_E_NS1_11comp_targetILNS1_3genE5ELNS1_11target_archE942ELNS1_3gpuE9ELNS1_3repE0EEENS1_30default_config_static_selectorELNS0_4arch9wavefront6targetE1EEEvT1_,comdat
	.protected	_ZN7rocprim17ROCPRIM_400000_NS6detail17trampoline_kernelINS0_14default_configENS1_25partition_config_selectorILNS1_17partition_subalgoE8EN3c104HalfENS0_10empty_typeEbEEZZNS1_14partition_implILS5_8ELb0ES3_jPKS7_PS8_PKS8_NS0_5tupleIJPS7_S8_EEENSG_IJSD_SD_EEENS0_18inequality_wrapperIN6hipcub16HIPCUB_304000_NS8EqualityEEEPlJS8_EEE10hipError_tPvRmT3_T4_T5_T6_T7_T9_mT8_P12ihipStream_tbDpT10_ENKUlT_T0_E_clISt17integral_constantIbLb0EES19_EEDaS14_S15_EUlS14_E_NS1_11comp_targetILNS1_3genE5ELNS1_11target_archE942ELNS1_3gpuE9ELNS1_3repE0EEENS1_30default_config_static_selectorELNS0_4arch9wavefront6targetE1EEEvT1_ ; -- Begin function _ZN7rocprim17ROCPRIM_400000_NS6detail17trampoline_kernelINS0_14default_configENS1_25partition_config_selectorILNS1_17partition_subalgoE8EN3c104HalfENS0_10empty_typeEbEEZZNS1_14partition_implILS5_8ELb0ES3_jPKS7_PS8_PKS8_NS0_5tupleIJPS7_S8_EEENSG_IJSD_SD_EEENS0_18inequality_wrapperIN6hipcub16HIPCUB_304000_NS8EqualityEEEPlJS8_EEE10hipError_tPvRmT3_T4_T5_T6_T7_T9_mT8_P12ihipStream_tbDpT10_ENKUlT_T0_E_clISt17integral_constantIbLb0EES19_EEDaS14_S15_EUlS14_E_NS1_11comp_targetILNS1_3genE5ELNS1_11target_archE942ELNS1_3gpuE9ELNS1_3repE0EEENS1_30default_config_static_selectorELNS0_4arch9wavefront6targetE1EEEvT1_
	.globl	_ZN7rocprim17ROCPRIM_400000_NS6detail17trampoline_kernelINS0_14default_configENS1_25partition_config_selectorILNS1_17partition_subalgoE8EN3c104HalfENS0_10empty_typeEbEEZZNS1_14partition_implILS5_8ELb0ES3_jPKS7_PS8_PKS8_NS0_5tupleIJPS7_S8_EEENSG_IJSD_SD_EEENS0_18inequality_wrapperIN6hipcub16HIPCUB_304000_NS8EqualityEEEPlJS8_EEE10hipError_tPvRmT3_T4_T5_T6_T7_T9_mT8_P12ihipStream_tbDpT10_ENKUlT_T0_E_clISt17integral_constantIbLb0EES19_EEDaS14_S15_EUlS14_E_NS1_11comp_targetILNS1_3genE5ELNS1_11target_archE942ELNS1_3gpuE9ELNS1_3repE0EEENS1_30default_config_static_selectorELNS0_4arch9wavefront6targetE1EEEvT1_
	.p2align	8
	.type	_ZN7rocprim17ROCPRIM_400000_NS6detail17trampoline_kernelINS0_14default_configENS1_25partition_config_selectorILNS1_17partition_subalgoE8EN3c104HalfENS0_10empty_typeEbEEZZNS1_14partition_implILS5_8ELb0ES3_jPKS7_PS8_PKS8_NS0_5tupleIJPS7_S8_EEENSG_IJSD_SD_EEENS0_18inequality_wrapperIN6hipcub16HIPCUB_304000_NS8EqualityEEEPlJS8_EEE10hipError_tPvRmT3_T4_T5_T6_T7_T9_mT8_P12ihipStream_tbDpT10_ENKUlT_T0_E_clISt17integral_constantIbLb0EES19_EEDaS14_S15_EUlS14_E_NS1_11comp_targetILNS1_3genE5ELNS1_11target_archE942ELNS1_3gpuE9ELNS1_3repE0EEENS1_30default_config_static_selectorELNS0_4arch9wavefront6targetE1EEEvT1_,@function
_ZN7rocprim17ROCPRIM_400000_NS6detail17trampoline_kernelINS0_14default_configENS1_25partition_config_selectorILNS1_17partition_subalgoE8EN3c104HalfENS0_10empty_typeEbEEZZNS1_14partition_implILS5_8ELb0ES3_jPKS7_PS8_PKS8_NS0_5tupleIJPS7_S8_EEENSG_IJSD_SD_EEENS0_18inequality_wrapperIN6hipcub16HIPCUB_304000_NS8EqualityEEEPlJS8_EEE10hipError_tPvRmT3_T4_T5_T6_T7_T9_mT8_P12ihipStream_tbDpT10_ENKUlT_T0_E_clISt17integral_constantIbLb0EES19_EEDaS14_S15_EUlS14_E_NS1_11comp_targetILNS1_3genE5ELNS1_11target_archE942ELNS1_3gpuE9ELNS1_3repE0EEENS1_30default_config_static_selectorELNS0_4arch9wavefront6targetE1EEEvT1_: ; @_ZN7rocprim17ROCPRIM_400000_NS6detail17trampoline_kernelINS0_14default_configENS1_25partition_config_selectorILNS1_17partition_subalgoE8EN3c104HalfENS0_10empty_typeEbEEZZNS1_14partition_implILS5_8ELb0ES3_jPKS7_PS8_PKS8_NS0_5tupleIJPS7_S8_EEENSG_IJSD_SD_EEENS0_18inequality_wrapperIN6hipcub16HIPCUB_304000_NS8EqualityEEEPlJS8_EEE10hipError_tPvRmT3_T4_T5_T6_T7_T9_mT8_P12ihipStream_tbDpT10_ENKUlT_T0_E_clISt17integral_constantIbLb0EES19_EEDaS14_S15_EUlS14_E_NS1_11comp_targetILNS1_3genE5ELNS1_11target_archE942ELNS1_3gpuE9ELNS1_3repE0EEENS1_30default_config_static_selectorELNS0_4arch9wavefront6targetE1EEEvT1_
; %bb.0:
	s_load_dwordx2 s[8:9], s[0:1], 0x50
	s_load_dwordx4 s[4:7], s[0:1], 0x8
	s_load_dwordx4 s[20:23], s[0:1], 0x40
	s_load_dword s3, s[0:1], 0x68
	s_waitcnt lgkmcnt(0)
	v_mov_b32_e32 v3, s9
	s_lshl_b64 s[10:11], s[6:7], 1
	s_add_u32 s12, s4, s10
	s_mul_i32 s9, s3, 0x3c00
	s_addc_u32 s13, s5, s11
	s_add_i32 s10, s3, -1
	s_add_i32 s3, s9, s6
	s_sub_i32 s3, s8, s3
	v_mov_b32_e32 v2, s8
	s_add_u32 s8, s6, s9
	s_addc_u32 s9, s7, 0
	s_cmp_eq_u32 s2, s10
	s_load_dwordx2 s[22:23], s[22:23], 0x0
	v_cmp_ge_u64_e32 vcc, s[8:9], v[2:3]
	s_cselect_b64 s[24:25], -1, 0
	s_mul_i32 s4, s2, 0x3c00
	s_mov_b32 s5, 0
	s_and_b64 s[8:9], s[24:25], vcc
	s_xor_b64 s[26:27], s[8:9], -1
	s_lshl_b64 s[4:5], s[4:5], 1
	s_add_u32 s4, s12, s4
	s_mov_b64 s[10:11], -1
	s_addc_u32 s5, s13, s5
	s_and_b64 vcc, exec, s[26:27]
	s_cbranch_vccz .LBB894_2
; %bb.1:
	v_lshlrev_b32_e32 v2, 1, v0
	v_mov_b32_e32 v3, 0
	v_lshl_add_u64 v[4:5], s[4:5], 0, v[2:3]
	v_add_co_u32_e32 v6, vcc, 0x1000, v4
	global_load_ushort v1, v2, s[4:5]
	global_load_ushort v3, v2, s[4:5] offset:1024
	global_load_ushort v10, v2, s[4:5] offset:2048
	;; [unrolled: 1-line block ×3, first 2 shown]
	v_addc_co_u32_e32 v7, vcc, 0, v5, vcc
	v_add_co_u32_e32 v8, vcc, 0x2000, v4
	s_mov_b64 s[10:11], 0
	s_nop 0
	v_addc_co_u32_e32 v9, vcc, 0, v5, vcc
	global_load_ushort v12, v[6:7], off
	global_load_ushort v13, v[6:7], off offset:1024
	global_load_ushort v14, v[6:7], off offset:2048
	;; [unrolled: 1-line block ×3, first 2 shown]
	global_load_ushort v16, v[8:9], off
	global_load_ushort v17, v[8:9], off offset:1024
	global_load_ushort v18, v[8:9], off offset:2048
	;; [unrolled: 1-line block ×3, first 2 shown]
	v_add_co_u32_e32 v6, vcc, 0x3000, v4
	s_nop 1
	v_addc_co_u32_e32 v7, vcc, 0, v5, vcc
	v_add_co_u32_e32 v8, vcc, 0x4000, v4
	s_nop 1
	v_addc_co_u32_e32 v9, vcc, 0, v5, vcc
	global_load_ushort v20, v[6:7], off
	global_load_ushort v21, v[6:7], off offset:1024
	global_load_ushort v22, v[6:7], off offset:2048
	;; [unrolled: 1-line block ×3, first 2 shown]
	global_load_ushort v24, v[8:9], off
	global_load_ushort v25, v[8:9], off offset:1024
	global_load_ushort v26, v[8:9], off offset:2048
	;; [unrolled: 1-line block ×3, first 2 shown]
	v_add_co_u32_e32 v6, vcc, 0x5000, v4
	s_nop 1
	v_addc_co_u32_e32 v7, vcc, 0, v5, vcc
	v_add_co_u32_e32 v8, vcc, 0x6000, v4
	s_nop 1
	v_addc_co_u32_e32 v9, vcc, 0, v5, vcc
	v_add_co_u32_e32 v4, vcc, 0x7000, v4
	global_load_ushort v28, v[6:7], off
	global_load_ushort v29, v[6:7], off offset:1024
	global_load_ushort v30, v[6:7], off offset:2048
	global_load_ushort v31, v[6:7], off offset:3072
	global_load_ushort v32, v[8:9], off
	global_load_ushort v33, v[8:9], off offset:1024
	global_load_ushort v34, v[8:9], off offset:2048
	;; [unrolled: 1-line block ×3, first 2 shown]
	v_addc_co_u32_e32 v5, vcc, 0, v5, vcc
	global_load_ushort v6, v[4:5], off
	global_load_ushort v7, v[4:5], off offset:1024
	s_waitcnt vmcnt(29)
	ds_write_b16 v2, v1
	s_waitcnt vmcnt(28)
	ds_write_b16 v2, v3 offset:1024
	s_waitcnt vmcnt(27)
	ds_write_b16 v2, v10 offset:2048
	;; [unrolled: 2-line block ×29, first 2 shown]
	s_waitcnt lgkmcnt(0)
	s_barrier
.LBB894_2:
	s_andn2_b64 vcc, exec, s[10:11]
	s_addk_i32 s3, 0x3c00
	s_cbranch_vccnz .LBB894_64
; %bb.3:
	v_cmp_gt_u32_e32 vcc, s3, v0
                                        ; implicit-def: $vgpr1
	s_and_saveexec_b64 s[10:11], vcc
	s_cbranch_execz .LBB894_5
; %bb.4:
	v_lshlrev_b32_e32 v1, 1, v0
	global_load_ushort v1, v1, s[4:5]
.LBB894_5:
	s_or_b64 exec, exec, s[10:11]
	v_or_b32_e32 v2, 0x200, v0
	v_cmp_gt_u32_e32 vcc, s3, v2
                                        ; implicit-def: $vgpr2
	s_and_saveexec_b64 s[10:11], vcc
	s_cbranch_execz .LBB894_7
; %bb.6:
	v_lshlrev_b32_e32 v2, 1, v0
	global_load_ushort v2, v2, s[4:5] offset:1024
.LBB894_7:
	s_or_b64 exec, exec, s[10:11]
	v_or_b32_e32 v3, 0x400, v0
	v_cmp_gt_u32_e32 vcc, s3, v3
                                        ; implicit-def: $vgpr3
	s_and_saveexec_b64 s[10:11], vcc
	s_cbranch_execz .LBB894_9
; %bb.8:
	v_lshlrev_b32_e32 v3, 1, v0
	global_load_ushort v3, v3, s[4:5] offset:2048
.LBB894_9:
	s_or_b64 exec, exec, s[10:11]
	v_or_b32_e32 v4, 0x600, v0
	v_cmp_gt_u32_e32 vcc, s3, v4
                                        ; implicit-def: $vgpr4
	s_and_saveexec_b64 s[10:11], vcc
	s_cbranch_execz .LBB894_11
; %bb.10:
	v_lshlrev_b32_e32 v4, 1, v0
	global_load_ushort v4, v4, s[4:5] offset:3072
.LBB894_11:
	s_or_b64 exec, exec, s[10:11]
	v_or_b32_e32 v6, 0x800, v0
	v_cmp_gt_u32_e32 vcc, s3, v6
                                        ; implicit-def: $vgpr5
	s_and_saveexec_b64 s[10:11], vcc
	s_cbranch_execz .LBB894_13
; %bb.12:
	v_lshlrev_b32_e32 v5, 1, v6
	global_load_ushort v5, v5, s[4:5]
.LBB894_13:
	s_or_b64 exec, exec, s[10:11]
	v_or_b32_e32 v7, 0xa00, v0
	v_cmp_gt_u32_e32 vcc, s3, v7
                                        ; implicit-def: $vgpr6
	s_and_saveexec_b64 s[10:11], vcc
	s_cbranch_execz .LBB894_15
; %bb.14:
	v_lshlrev_b32_e32 v6, 1, v7
	global_load_ushort v6, v6, s[4:5]
.LBB894_15:
	s_or_b64 exec, exec, s[10:11]
	v_or_b32_e32 v8, 0xc00, v0
	v_cmp_gt_u32_e32 vcc, s3, v8
                                        ; implicit-def: $vgpr7
	s_and_saveexec_b64 s[10:11], vcc
	s_cbranch_execz .LBB894_17
; %bb.16:
	v_lshlrev_b32_e32 v7, 1, v8
	global_load_ushort v7, v7, s[4:5]
.LBB894_17:
	s_or_b64 exec, exec, s[10:11]
	v_or_b32_e32 v9, 0xe00, v0
	v_cmp_gt_u32_e32 vcc, s3, v9
                                        ; implicit-def: $vgpr8
	s_and_saveexec_b64 s[10:11], vcc
	s_cbranch_execz .LBB894_19
; %bb.18:
	v_lshlrev_b32_e32 v8, 1, v9
	global_load_ushort v8, v8, s[4:5]
.LBB894_19:
	s_or_b64 exec, exec, s[10:11]
	v_or_b32_e32 v10, 0x1000, v0
	v_cmp_gt_u32_e32 vcc, s3, v10
                                        ; implicit-def: $vgpr9
	s_and_saveexec_b64 s[10:11], vcc
	s_cbranch_execz .LBB894_21
; %bb.20:
	v_lshlrev_b32_e32 v9, 1, v10
	global_load_ushort v9, v9, s[4:5]
.LBB894_21:
	s_or_b64 exec, exec, s[10:11]
	v_or_b32_e32 v11, 0x1200, v0
	v_cmp_gt_u32_e32 vcc, s3, v11
                                        ; implicit-def: $vgpr10
	s_and_saveexec_b64 s[10:11], vcc
	s_cbranch_execz .LBB894_23
; %bb.22:
	v_lshlrev_b32_e32 v10, 1, v11
	global_load_ushort v10, v10, s[4:5]
.LBB894_23:
	s_or_b64 exec, exec, s[10:11]
	v_or_b32_e32 v12, 0x1400, v0
	v_cmp_gt_u32_e32 vcc, s3, v12
                                        ; implicit-def: $vgpr11
	s_and_saveexec_b64 s[10:11], vcc
	s_cbranch_execz .LBB894_25
; %bb.24:
	v_lshlrev_b32_e32 v11, 1, v12
	global_load_ushort v11, v11, s[4:5]
.LBB894_25:
	s_or_b64 exec, exec, s[10:11]
	v_or_b32_e32 v13, 0x1600, v0
	v_cmp_gt_u32_e32 vcc, s3, v13
                                        ; implicit-def: $vgpr12
	s_and_saveexec_b64 s[10:11], vcc
	s_cbranch_execz .LBB894_27
; %bb.26:
	v_lshlrev_b32_e32 v12, 1, v13
	global_load_ushort v12, v12, s[4:5]
.LBB894_27:
	s_or_b64 exec, exec, s[10:11]
	v_or_b32_e32 v14, 0x1800, v0
	v_cmp_gt_u32_e32 vcc, s3, v14
                                        ; implicit-def: $vgpr13
	s_and_saveexec_b64 s[10:11], vcc
	s_cbranch_execz .LBB894_29
; %bb.28:
	v_lshlrev_b32_e32 v13, 1, v14
	global_load_ushort v13, v13, s[4:5]
.LBB894_29:
	s_or_b64 exec, exec, s[10:11]
	v_or_b32_e32 v15, 0x1a00, v0
	v_cmp_gt_u32_e32 vcc, s3, v15
                                        ; implicit-def: $vgpr14
	s_and_saveexec_b64 s[10:11], vcc
	s_cbranch_execz .LBB894_31
; %bb.30:
	v_lshlrev_b32_e32 v14, 1, v15
	global_load_ushort v14, v14, s[4:5]
.LBB894_31:
	s_or_b64 exec, exec, s[10:11]
	v_or_b32_e32 v16, 0x1c00, v0
	v_cmp_gt_u32_e32 vcc, s3, v16
                                        ; implicit-def: $vgpr15
	s_and_saveexec_b64 s[10:11], vcc
	s_cbranch_execz .LBB894_33
; %bb.32:
	v_lshlrev_b32_e32 v15, 1, v16
	global_load_ushort v15, v15, s[4:5]
.LBB894_33:
	s_or_b64 exec, exec, s[10:11]
	v_or_b32_e32 v17, 0x1e00, v0
	v_cmp_gt_u32_e32 vcc, s3, v17
                                        ; implicit-def: $vgpr16
	s_and_saveexec_b64 s[10:11], vcc
	s_cbranch_execz .LBB894_35
; %bb.34:
	v_lshlrev_b32_e32 v16, 1, v17
	global_load_ushort v16, v16, s[4:5]
.LBB894_35:
	s_or_b64 exec, exec, s[10:11]
	v_or_b32_e32 v18, 0x2000, v0
	v_cmp_gt_u32_e32 vcc, s3, v18
                                        ; implicit-def: $vgpr17
	s_and_saveexec_b64 s[10:11], vcc
	s_cbranch_execz .LBB894_37
; %bb.36:
	v_lshlrev_b32_e32 v17, 1, v18
	global_load_ushort v17, v17, s[4:5]
.LBB894_37:
	s_or_b64 exec, exec, s[10:11]
	v_or_b32_e32 v19, 0x2200, v0
	v_cmp_gt_u32_e32 vcc, s3, v19
                                        ; implicit-def: $vgpr18
	s_and_saveexec_b64 s[10:11], vcc
	s_cbranch_execz .LBB894_39
; %bb.38:
	v_lshlrev_b32_e32 v18, 1, v19
	global_load_ushort v18, v18, s[4:5]
.LBB894_39:
	s_or_b64 exec, exec, s[10:11]
	v_or_b32_e32 v20, 0x2400, v0
	v_cmp_gt_u32_e32 vcc, s3, v20
                                        ; implicit-def: $vgpr19
	s_and_saveexec_b64 s[10:11], vcc
	s_cbranch_execz .LBB894_41
; %bb.40:
	v_lshlrev_b32_e32 v19, 1, v20
	global_load_ushort v19, v19, s[4:5]
.LBB894_41:
	s_or_b64 exec, exec, s[10:11]
	v_or_b32_e32 v21, 0x2600, v0
	v_cmp_gt_u32_e32 vcc, s3, v21
                                        ; implicit-def: $vgpr20
	s_and_saveexec_b64 s[10:11], vcc
	s_cbranch_execz .LBB894_43
; %bb.42:
	v_lshlrev_b32_e32 v20, 1, v21
	global_load_ushort v20, v20, s[4:5]
.LBB894_43:
	s_or_b64 exec, exec, s[10:11]
	v_or_b32_e32 v22, 0x2800, v0
	v_cmp_gt_u32_e32 vcc, s3, v22
                                        ; implicit-def: $vgpr21
	s_and_saveexec_b64 s[10:11], vcc
	s_cbranch_execz .LBB894_45
; %bb.44:
	v_lshlrev_b32_e32 v21, 1, v22
	global_load_ushort v21, v21, s[4:5]
.LBB894_45:
	s_or_b64 exec, exec, s[10:11]
	v_or_b32_e32 v23, 0x2a00, v0
	v_cmp_gt_u32_e32 vcc, s3, v23
                                        ; implicit-def: $vgpr22
	s_and_saveexec_b64 s[10:11], vcc
	s_cbranch_execz .LBB894_47
; %bb.46:
	v_lshlrev_b32_e32 v22, 1, v23
	global_load_ushort v22, v22, s[4:5]
.LBB894_47:
	s_or_b64 exec, exec, s[10:11]
	v_or_b32_e32 v24, 0x2c00, v0
	v_cmp_gt_u32_e32 vcc, s3, v24
                                        ; implicit-def: $vgpr23
	s_and_saveexec_b64 s[10:11], vcc
	s_cbranch_execz .LBB894_49
; %bb.48:
	v_lshlrev_b32_e32 v23, 1, v24
	global_load_ushort v23, v23, s[4:5]
.LBB894_49:
	s_or_b64 exec, exec, s[10:11]
	v_or_b32_e32 v25, 0x2e00, v0
	v_cmp_gt_u32_e32 vcc, s3, v25
                                        ; implicit-def: $vgpr24
	s_and_saveexec_b64 s[10:11], vcc
	s_cbranch_execz .LBB894_51
; %bb.50:
	v_lshlrev_b32_e32 v24, 1, v25
	global_load_ushort v24, v24, s[4:5]
.LBB894_51:
	s_or_b64 exec, exec, s[10:11]
	v_or_b32_e32 v26, 0x3000, v0
	v_cmp_gt_u32_e32 vcc, s3, v26
                                        ; implicit-def: $vgpr25
	s_and_saveexec_b64 s[10:11], vcc
	s_cbranch_execz .LBB894_53
; %bb.52:
	v_lshlrev_b32_e32 v25, 1, v26
	global_load_ushort v25, v25, s[4:5]
.LBB894_53:
	s_or_b64 exec, exec, s[10:11]
	v_or_b32_e32 v27, 0x3200, v0
	v_cmp_gt_u32_e32 vcc, s3, v27
                                        ; implicit-def: $vgpr26
	s_and_saveexec_b64 s[10:11], vcc
	s_cbranch_execz .LBB894_55
; %bb.54:
	v_lshlrev_b32_e32 v26, 1, v27
	global_load_ushort v26, v26, s[4:5]
.LBB894_55:
	s_or_b64 exec, exec, s[10:11]
	v_or_b32_e32 v28, 0x3400, v0
	v_cmp_gt_u32_e32 vcc, s3, v28
                                        ; implicit-def: $vgpr27
	s_and_saveexec_b64 s[10:11], vcc
	s_cbranch_execz .LBB894_57
; %bb.56:
	v_lshlrev_b32_e32 v27, 1, v28
	global_load_ushort v27, v27, s[4:5]
.LBB894_57:
	s_or_b64 exec, exec, s[10:11]
	v_or_b32_e32 v29, 0x3600, v0
	v_cmp_gt_u32_e32 vcc, s3, v29
                                        ; implicit-def: $vgpr28
	s_and_saveexec_b64 s[10:11], vcc
	s_cbranch_execz .LBB894_59
; %bb.58:
	v_lshlrev_b32_e32 v28, 1, v29
	global_load_ushort v28, v28, s[4:5]
.LBB894_59:
	s_or_b64 exec, exec, s[10:11]
	v_or_b32_e32 v30, 0x3800, v0
	v_cmp_gt_u32_e32 vcc, s3, v30
                                        ; implicit-def: $vgpr29
	s_and_saveexec_b64 s[10:11], vcc
	s_cbranch_execz .LBB894_61
; %bb.60:
	v_lshlrev_b32_e32 v29, 1, v30
	global_load_ushort v29, v29, s[4:5]
.LBB894_61:
	s_or_b64 exec, exec, s[10:11]
	v_or_b32_e32 v31, 0x3a00, v0
	v_cmp_gt_u32_e32 vcc, s3, v31
                                        ; implicit-def: $vgpr30
	s_and_saveexec_b64 s[10:11], vcc
	s_cbranch_execz .LBB894_63
; %bb.62:
	v_lshlrev_b32_e32 v30, 1, v31
	global_load_ushort v30, v30, s[4:5]
.LBB894_63:
	s_or_b64 exec, exec, s[10:11]
	v_lshlrev_b32_e32 v31, 1, v0
	s_waitcnt vmcnt(0)
	ds_write_b16 v31, v1
	ds_write_b16 v31, v2 offset:1024
	ds_write_b16 v31, v3 offset:2048
	;; [unrolled: 1-line block ×29, first 2 shown]
	s_waitcnt lgkmcnt(0)
	s_barrier
.LBB894_64:
	v_mul_u32_u24_e32 v24, 30, v0
	v_lshlrev_b32_e32 v46, 1, v24
	s_waitcnt lgkmcnt(0)
	ds_read_b32 v80, v46 offset:56
	ds_read2_b32 v[2:3], v46 offset0:12 offset1:13
	ds_read2_b32 v[14:15], v46 offset1:1
	ds_read2_b32 v[12:13], v46 offset0:2 offset1:3
	ds_read2_b32 v[10:11], v46 offset0:4 offset1:5
	;; [unrolled: 1-line block ×5, first 2 shown]
	s_cmp_lg_u32 s2, 0
	s_cselect_b64 s[16:17], -1, 0
	s_cmp_lg_u64 s[6:7], 0
	s_cselect_b64 s[6:7], -1, 0
	s_or_b64 s[6:7], s[16:17], s[6:7]
	v_mad_u32_u24 v16, v0, 30, 29
	v_mad_u32_u24 v17, v0, 30, 28
	s_waitcnt lgkmcnt(7)
	v_lshrrev_b32_e32 v1, 16, v80
	v_mad_u32_u24 v18, v0, 30, 27
	v_mad_u32_u24 v19, v0, 30, 26
	;; [unrolled: 1-line block ×6, first 2 shown]
	v_or_b32_e32 v44, 1, v24
	v_mad_u32_u24 v45, v0, 30, 2
	v_mad_u32_u24 v43, v0, 30, 3
	;; [unrolled: 1-line block ×20, first 2 shown]
	s_mov_b64 s[10:11], 0
	s_and_b64 vcc, exec, s[6:7]
	s_waitcnt lgkmcnt(0)
	s_barrier
	s_cbranch_vccz .LBB894_69
; %bb.65:
	v_mov_b32_e32 v47, 0
	global_load_ushort v47, v47, s[4:5] offset:-2
	v_lshlrev_b32_e32 v48, 1, v0
	s_and_b64 vcc, exec, s[26:27]
	ds_write_b16 v48, v1
	s_cbranch_vccz .LBB894_71
; %bb.66:
	v_cmp_ne_u32_e32 vcc, 0, v0
	s_waitcnt vmcnt(0)
	v_mov_b32_e32 v49, v47
	s_waitcnt lgkmcnt(0)
	s_barrier
	s_and_saveexec_b64 s[4:5], vcc
	s_cbranch_execz .LBB894_68
; %bb.67:
	v_add_u32_e32 v49, -2, v48
	ds_read_u16 v49, v49
.LBB894_68:
	s_or_b64 exec, exec, s[4:5]
	v_cmp_neq_f16_sdwa s[4:5], v3, v80 src0_sel:WORD_1 src1_sel:DWORD
	v_cmp_neq_f16_e32 vcc, v80, v1
	s_nop 0
	v_cndmask_b32_e64 v82, 0, 1, s[4:5]
	v_cmp_neq_f16_sdwa s[4:5], v3, v3 src0_sel:DWORD src1_sel:WORD_1
	v_cndmask_b32_e64 v81, 0, 1, vcc
	s_nop 0
	v_cndmask_b32_e64 v83, 0, 1, s[4:5]
	v_cmp_neq_f16_sdwa s[4:5], v2, v3 src0_sel:WORD_1 src1_sel:DWORD
	s_nop 1
	v_cndmask_b32_e64 v84, 0, 1, s[4:5]
	v_cmp_neq_f16_sdwa s[4:5], v2, v2 src0_sel:DWORD src1_sel:WORD_1
	s_nop 1
	v_cndmask_b32_e64 v85, 0, 1, s[4:5]
	v_cmp_neq_f16_sdwa s[4:5], v5, v2 src0_sel:WORD_1 src1_sel:DWORD
	s_nop 1
	v_cndmask_b32_e64 v86, 0, 1, s[4:5]
	v_cmp_neq_f16_sdwa s[4:5], v5, v5 src0_sel:DWORD src1_sel:WORD_1
	;; [unrolled: 6-line block ×13, first 2 shown]
	s_nop 1
	v_cndmask_b32_e64 v109, 0, 1, s[4:5]
	s_waitcnt lgkmcnt(0)
	v_cmp_neq_f16_e64 s[4:5], v14, v49
	s_branch .LBB894_75
.LBB894_69:
                                        ; implicit-def: $sgpr4_sgpr5
                                        ; implicit-def: $vgpr109
                                        ; implicit-def: $vgpr108
                                        ; implicit-def: $vgpr107
                                        ; implicit-def: $vgpr106
                                        ; implicit-def: $vgpr105
                                        ; implicit-def: $vgpr104
                                        ; implicit-def: $vgpr103
                                        ; implicit-def: $vgpr102
                                        ; implicit-def: $vgpr101
                                        ; implicit-def: $vgpr100
                                        ; implicit-def: $vgpr99
                                        ; implicit-def: $vgpr98
                                        ; implicit-def: $vgpr97
                                        ; implicit-def: $vgpr96
                                        ; implicit-def: $vgpr95
                                        ; implicit-def: $vgpr94
                                        ; implicit-def: $vgpr93
                                        ; implicit-def: $vgpr92
                                        ; implicit-def: $vgpr91
                                        ; implicit-def: $vgpr90
                                        ; implicit-def: $vgpr89
                                        ; implicit-def: $vgpr88
                                        ; implicit-def: $vgpr87
                                        ; implicit-def: $vgpr86
                                        ; implicit-def: $vgpr85
                                        ; implicit-def: $vgpr84
                                        ; implicit-def: $vgpr83
                                        ; implicit-def: $vgpr82
                                        ; implicit-def: $vgpr81
	s_branch .LBB894_76
.LBB894_70:
                                        ; implicit-def: $sgpr12
	s_branch .LBB894_84
.LBB894_71:
                                        ; implicit-def: $sgpr4_sgpr5
                                        ; implicit-def: $vgpr109
                                        ; implicit-def: $vgpr108
                                        ; implicit-def: $vgpr107
                                        ; implicit-def: $vgpr106
                                        ; implicit-def: $vgpr105
                                        ; implicit-def: $vgpr104
                                        ; implicit-def: $vgpr103
                                        ; implicit-def: $vgpr102
                                        ; implicit-def: $vgpr101
                                        ; implicit-def: $vgpr100
                                        ; implicit-def: $vgpr99
                                        ; implicit-def: $vgpr98
                                        ; implicit-def: $vgpr97
                                        ; implicit-def: $vgpr96
                                        ; implicit-def: $vgpr95
                                        ; implicit-def: $vgpr94
                                        ; implicit-def: $vgpr93
                                        ; implicit-def: $vgpr92
                                        ; implicit-def: $vgpr91
                                        ; implicit-def: $vgpr90
                                        ; implicit-def: $vgpr89
                                        ; implicit-def: $vgpr88
                                        ; implicit-def: $vgpr87
                                        ; implicit-def: $vgpr86
                                        ; implicit-def: $vgpr85
                                        ; implicit-def: $vgpr84
                                        ; implicit-def: $vgpr83
                                        ; implicit-def: $vgpr82
                                        ; implicit-def: $vgpr81
	s_cbranch_execz .LBB894_75
; %bb.72:
	v_cmp_ne_u32_e32 vcc, 0, v0
	s_waitcnt lgkmcnt(0)
	s_barrier
	s_and_saveexec_b64 s[4:5], vcc
	s_cbranch_execz .LBB894_74
; %bb.73:
	s_waitcnt vmcnt(0)
	v_add_u32_e32 v47, -2, v48
	ds_read_u16 v47, v47
.LBB894_74:
	s_or_b64 exec, exec, s[4:5]
	v_cmp_gt_u32_e32 vcc, s3, v16
	v_cmp_neq_f16_e64 s[4:5], v80, v1
	s_and_b64 s[4:5], vcc, s[4:5]
	v_cmp_gt_u32_e32 vcc, s3, v17
	v_cndmask_b32_e64 v81, 0, 1, s[4:5]
	v_cmp_neq_f16_sdwa s[4:5], v3, v80 src0_sel:WORD_1 src1_sel:DWORD
	s_and_b64 s[4:5], vcc, s[4:5]
	v_cmp_gt_u32_e32 vcc, s3, v18
	v_cndmask_b32_e64 v82, 0, 1, s[4:5]
	v_cmp_neq_f16_sdwa s[4:5], v3, v3 src0_sel:DWORD src1_sel:WORD_1
	s_and_b64 s[4:5], vcc, s[4:5]
	v_cmp_gt_u32_e32 vcc, s3, v19
	v_cndmask_b32_e64 v83, 0, 1, s[4:5]
	v_cmp_neq_f16_sdwa s[4:5], v2, v3 src0_sel:WORD_1 src1_sel:DWORD
	s_and_b64 s[4:5], vcc, s[4:5]
	v_cmp_gt_u32_e32 vcc, s3, v20
	v_cndmask_b32_e64 v84, 0, 1, s[4:5]
	v_cmp_neq_f16_sdwa s[4:5], v2, v2 src0_sel:DWORD src1_sel:WORD_1
	;; [unrolled: 8-line block ×14, first 2 shown]
	s_and_b64 s[4:5], vcc, s[4:5]
	v_cmp_gt_u32_e32 vcc, s3, v24
	v_cndmask_b32_e64 v109, 0, 1, s[4:5]
	s_waitcnt vmcnt(0) lgkmcnt(0)
	v_cmp_neq_f16_e64 s[4:5], v14, v47
	s_and_b64 s[4:5], vcc, s[4:5]
.LBB894_75:
	s_mov_b64 s[10:11], -1
	s_cbranch_execnz .LBB894_70
.LBB894_76:
	s_movk_i32 s4, 0xffc6
	v_mad_i32_i24 v46, v0, s4, v46
	s_and_b64 vcc, exec, s[26:27]
	v_cmp_neq_f16_e64 s[4:5], v80, v1
	v_cmp_neq_f16_sdwa s[6:7], v3, v80 src0_sel:WORD_1 src1_sel:DWORD
	v_cmp_neq_f16_sdwa s[12:13], v3, v3 src0_sel:DWORD src1_sel:WORD_1
	v_cmp_neq_f16_sdwa s[14:15], v2, v3 src0_sel:WORD_1 src1_sel:DWORD
	v_cmp_neq_f16_sdwa s[18:19], v2, v2 src0_sel:DWORD src1_sel:WORD_1
	;; [unrolled: 2-line block ×14, first 2 shown]
	ds_write_b16 v46, v1
	s_cbranch_vccz .LBB894_80
; %bb.77:
	v_cndmask_b32_e64 v81, 0, 1, s[4:5]
	v_cndmask_b32_e64 v82, 0, 1, s[6:7]
	;; [unrolled: 1-line block ×29, first 2 shown]
	v_cmp_ne_u32_e32 vcc, 0, v0
	s_waitcnt lgkmcnt(0)
	s_barrier
	s_waitcnt lgkmcnt(0)
                                        ; implicit-def: $sgpr4_sgpr5
	s_and_saveexec_b64 s[6:7], vcc
	s_xor_b64 s[6:7], exec, s[6:7]
	s_cbranch_execz .LBB894_79
; %bb.78:
	s_waitcnt vmcnt(0)
	v_add_u32_e32 v47, -2, v46
	ds_read_u16 v47, v47
	s_or_b64 s[10:11], s[10:11], exec
	s_waitcnt lgkmcnt(0)
	v_cmp_neq_f16_e32 vcc, v47, v14
	s_and_b64 s[4:5], vcc, exec
.LBB894_79:
	s_or_b64 exec, exec, s[6:7]
	s_mov_b32 s12, 1
	s_branch .LBB894_84
.LBB894_80:
                                        ; implicit-def: $sgpr4_sgpr5
                                        ; implicit-def: $vgpr109
                                        ; implicit-def: $vgpr108
                                        ; implicit-def: $vgpr107
                                        ; implicit-def: $vgpr106
                                        ; implicit-def: $vgpr105
                                        ; implicit-def: $vgpr104
                                        ; implicit-def: $vgpr103
                                        ; implicit-def: $vgpr102
                                        ; implicit-def: $vgpr101
                                        ; implicit-def: $vgpr100
                                        ; implicit-def: $vgpr99
                                        ; implicit-def: $vgpr98
                                        ; implicit-def: $vgpr97
                                        ; implicit-def: $vgpr96
                                        ; implicit-def: $vgpr95
                                        ; implicit-def: $vgpr94
                                        ; implicit-def: $vgpr93
                                        ; implicit-def: $vgpr92
                                        ; implicit-def: $vgpr91
                                        ; implicit-def: $vgpr90
                                        ; implicit-def: $vgpr89
                                        ; implicit-def: $vgpr88
                                        ; implicit-def: $vgpr87
                                        ; implicit-def: $vgpr86
                                        ; implicit-def: $vgpr85
                                        ; implicit-def: $vgpr84
                                        ; implicit-def: $vgpr83
                                        ; implicit-def: $vgpr82
                                        ; implicit-def: $vgpr81
                                        ; implicit-def: $sgpr12
	s_cbranch_execz .LBB894_84
; %bb.81:
	v_cmp_gt_u32_e32 vcc, s3, v16
	v_cmp_neq_f16_e64 s[4:5], v80, v1
	s_and_b64 s[4:5], vcc, s[4:5]
	v_cmp_gt_u32_e32 vcc, s3, v17
	v_cndmask_b32_e64 v81, 0, 1, s[4:5]
	v_cmp_neq_f16_sdwa s[4:5], v3, v80 src0_sel:WORD_1 src1_sel:DWORD
	s_and_b64 s[4:5], vcc, s[4:5]
	v_cmp_gt_u32_e32 vcc, s3, v18
	v_cndmask_b32_e64 v82, 0, 1, s[4:5]
	v_cmp_neq_f16_sdwa s[4:5], v3, v3 src0_sel:DWORD src1_sel:WORD_1
	s_and_b64 s[4:5], vcc, s[4:5]
	v_cmp_gt_u32_e32 vcc, s3, v19
	v_cndmask_b32_e64 v83, 0, 1, s[4:5]
	v_cmp_neq_f16_sdwa s[4:5], v2, v3 src0_sel:WORD_1 src1_sel:DWORD
	s_and_b64 s[4:5], vcc, s[4:5]
	v_cmp_gt_u32_e32 vcc, s3, v20
	v_cndmask_b32_e64 v84, 0, 1, s[4:5]
	v_cmp_neq_f16_sdwa s[4:5], v2, v2 src0_sel:DWORD src1_sel:WORD_1
	;; [unrolled: 8-line block ×14, first 2 shown]
	s_and_b64 s[4:5], vcc, s[4:5]
	v_cmp_ne_u32_e32 vcc, 0, v0
	v_cndmask_b32_e64 v109, 0, 1, s[4:5]
	s_waitcnt lgkmcnt(0)
	s_barrier
	s_waitcnt lgkmcnt(0)
                                        ; implicit-def: $sgpr4_sgpr5
	s_and_saveexec_b64 s[6:7], vcc
	s_cbranch_execz .LBB894_83
; %bb.82:
	v_add_u32_e32 v46, -2, v46
	ds_read_u16 v46, v46
	v_cmp_gt_u32_e32 vcc, s3, v24
	s_or_b64 s[10:11], s[10:11], exec
	s_waitcnt lgkmcnt(0)
	v_cmp_neq_f16_e64 s[4:5], v46, v14
	s_and_b64 s[4:5], vcc, s[4:5]
	s_and_b64 s[4:5], s[4:5], exec
.LBB894_83:
	s_or_b64 exec, exec, s[6:7]
	s_mov_b32 s12, 1
.LBB894_84:
	v_mov_b32_e32 v110, s12
	s_and_saveexec_b64 s[6:7], s[10:11]
; %bb.85:
	v_cndmask_b32_e64 v110, 0, 1, s[4:5]
; %bb.86:
	s_or_b64 exec, exec, s[6:7]
	s_load_dwordx2 s[28:29], s[0:1], 0x60
	s_andn2_b64 vcc, exec, s[8:9]
	s_cbranch_vccnz .LBB894_88
; %bb.87:
	v_cmp_gt_u32_e32 vcc, s3, v24
	s_nop 1
	v_cndmask_b32_e32 v110, 0, v110, vcc
	v_cmp_gt_u32_e32 vcc, s3, v44
	s_nop 1
	v_cndmask_b32_e32 v109, 0, v109, vcc
	;; [unrolled: 3-line block ×30, first 2 shown]
.LBB894_88:
	v_and_b32_e32 v61, 0xff, v84
	v_and_b32_e32 v63, 0xff, v83
	v_add_u32_sdwa v16, v82, v81 dst_sel:DWORD dst_unused:UNUSED_PAD src0_sel:BYTE_0 src1_sel:BYTE_0
	v_and_b32_e32 v57, 0xff, v86
	v_and_b32_e32 v59, 0xff, v85
	v_add3_u32 v16, v16, v63, v61
	v_and_b32_e32 v53, 0xff, v88
	v_and_b32_e32 v55, 0xff, v87
	v_add3_u32 v16, v16, v59, v57
	;; [unrolled: 3-line block ×3, first 2 shown]
	v_and_b32_e32 v45, 0xff, v92
	s_waitcnt vmcnt(0)
	v_and_b32_e32 v47, 0xff, v91
	v_add3_u32 v16, v16, v51, v49
	v_and_b32_e32 v42, 0xff, v94
	v_and_b32_e32 v43, 0xff, v93
	v_add3_u32 v16, v16, v47, v45
	v_and_b32_e32 v40, 0xff, v96
	;; [unrolled: 3-line block ×9, first 2 shown]
	v_and_b32_e32 v27, 0xff, v109
	v_add3_u32 v16, v16, v29, v28
	v_add3_u32 v48, v16, v27, v26
	v_mbcnt_lo_u32_b32 v16, -1, 0
	v_mbcnt_hi_u32_b32 v44, -1, v16
	v_and_b32_e32 v16, 15, v44
	v_cmp_eq_u32_e64 s[14:15], 0, v16
	v_cmp_lt_u32_e64 s[12:13], 1, v16
	v_cmp_lt_u32_e64 s[10:11], 3, v16
	;; [unrolled: 1-line block ×3, first 2 shown]
	v_and_b32_e32 v16, 16, v44
	v_cmp_eq_u32_e64 s[6:7], 0, v16
	v_or_b32_e32 v16, 63, v0
	v_cmp_lt_u32_e64 s[18:19], 31, v44
	v_lshrrev_b32_e32 v46, 6, v0
	v_cmp_eq_u32_e64 s[4:5], v16, v0
	s_and_b64 vcc, exec, s[16:17]
	s_waitcnt lgkmcnt(0)
	s_barrier
	s_cbranch_vccz .LBB894_115
; %bb.89:
	v_mov_b32_dpp v16, v48 row_shr:1 row_mask:0xf bank_mask:0xf
	v_cndmask_b32_e64 v16, v16, 0, s[14:15]
	v_add_u32_e32 v16, v16, v48
	s_nop 1
	v_mov_b32_dpp v17, v16 row_shr:2 row_mask:0xf bank_mask:0xf
	v_cndmask_b32_e64 v17, 0, v17, s[12:13]
	v_add_u32_e32 v16, v16, v17
	s_nop 1
	;; [unrolled: 4-line block ×4, first 2 shown]
	v_mov_b32_dpp v17, v16 row_bcast:15 row_mask:0xf bank_mask:0xf
	v_cndmask_b32_e64 v17, v17, 0, s[6:7]
	v_add_u32_e32 v16, v16, v17
	s_nop 1
	v_mov_b32_dpp v17, v16 row_bcast:31 row_mask:0xf bank_mask:0xf
	v_cndmask_b32_e64 v17, 0, v17, s[18:19]
	v_add_u32_e32 v16, v16, v17
	s_and_saveexec_b64 s[16:17], s[4:5]
	s_cbranch_execz .LBB894_91
; %bb.90:
	v_lshlrev_b32_e32 v17, 2, v46
	ds_write_b32 v17, v16
.LBB894_91:
	s_or_b64 exec, exec, s[16:17]
	v_cmp_gt_u32_e32 vcc, 8, v0
	s_waitcnt lgkmcnt(0)
	s_barrier
	s_and_saveexec_b64 s[16:17], vcc
	s_cbranch_execz .LBB894_93
; %bb.92:
	v_lshlrev_b32_e32 v17, 2, v0
	ds_read_b32 v18, v17
	v_and_b32_e32 v19, 7, v44
	v_cmp_ne_u32_e32 vcc, 0, v19
	s_waitcnt lgkmcnt(0)
	v_mov_b32_dpp v20, v18 row_shr:1 row_mask:0xf bank_mask:0xf
	v_cndmask_b32_e32 v20, 0, v20, vcc
	v_add_u32_e32 v18, v20, v18
	v_cmp_lt_u32_e32 vcc, 1, v19
	s_nop 0
	v_mov_b32_dpp v20, v18 row_shr:2 row_mask:0xf bank_mask:0xf
	v_cndmask_b32_e32 v20, 0, v20, vcc
	v_add_u32_e32 v18, v18, v20
	v_cmp_lt_u32_e32 vcc, 3, v19
	s_nop 0
	v_mov_b32_dpp v20, v18 row_shr:4 row_mask:0xf bank_mask:0xf
	v_cndmask_b32_e32 v19, 0, v20, vcc
	v_add_u32_e32 v18, v18, v19
	ds_write_b32 v17, v18
.LBB894_93:
	s_or_b64 exec, exec, s[16:17]
	v_cmp_gt_u32_e32 vcc, 64, v0
	v_cmp_lt_u32_e64 s[16:17], 63, v0
	s_waitcnt lgkmcnt(0)
	s_barrier
	s_waitcnt lgkmcnt(0)
                                        ; implicit-def: $vgpr50
	s_and_saveexec_b64 s[30:31], s[16:17]
	s_cbranch_execz .LBB894_95
; %bb.94:
	v_lshl_add_u32 v17, v46, 2, -4
	ds_read_b32 v50, v17
	s_waitcnt lgkmcnt(0)
	v_add_u32_e32 v16, v50, v16
.LBB894_95:
	s_or_b64 exec, exec, s[30:31]
	v_add_u32_e32 v17, -1, v44
	v_and_b32_e32 v18, 64, v44
	v_cmp_lt_i32_e64 s[16:17], v17, v18
	s_nop 1
	v_cndmask_b32_e64 v17, v17, v44, s[16:17]
	v_lshlrev_b32_e32 v17, 2, v17
	ds_bpermute_b32 v52, v17, v16
	v_cmp_eq_u32_e64 s[16:17], 0, v44
	s_and_saveexec_b64 s[30:31], vcc
	s_cbranch_execz .LBB894_114
; %bb.96:
	v_mov_b32_e32 v23, 0
	ds_read_b32 v16, v23 offset:28
	s_and_saveexec_b64 s[34:35], s[16:17]
	s_cbranch_execz .LBB894_98
; %bb.97:
	s_add_i32 s36, s2, 64
	s_mov_b32 s37, 0
	s_lshl_b64 s[36:37], s[36:37], 3
	s_add_u32 s36, s28, s36
	v_mov_b32_e32 v17, 1
	s_addc_u32 s37, s29, s37
	s_waitcnt lgkmcnt(0)
	global_store_dwordx2 v23, v[16:17], s[36:37] sc1
.LBB894_98:
	s_or_b64 exec, exec, s[34:35]
	v_xad_u32 v18, v44, -1, s2
	v_add_u32_e32 v22, 64, v18
	v_lshl_add_u64 v[24:25], v[22:23], 3, s[28:29]
	global_load_dwordx2 v[20:21], v[24:25], off sc1
	s_waitcnt vmcnt(0)
	v_cmp_eq_u16_sdwa s[36:37], v21, v23 src0_sel:BYTE_0 src1_sel:DWORD
	s_and_saveexec_b64 s[34:35], s[36:37]
	s_cbranch_execz .LBB894_102
; %bb.99:
	s_mov_b64 s[36:37], 0
	v_mov_b32_e32 v17, 0
.LBB894_100:                            ; =>This Inner Loop Header: Depth=1
	global_load_dwordx2 v[20:21], v[24:25], off sc1
	s_waitcnt vmcnt(0)
	v_cmp_ne_u16_sdwa s[38:39], v21, v17 src0_sel:BYTE_0 src1_sel:DWORD
	s_or_b64 s[36:37], s[38:39], s[36:37]
	s_andn2_b64 exec, exec, s[36:37]
	s_cbranch_execnz .LBB894_100
; %bb.101:
	s_or_b64 exec, exec, s[36:37]
.LBB894_102:
	s_or_b64 exec, exec, s[34:35]
	v_and_b32_e32 v56, 63, v44
	v_mov_b32_e32 v54, 2
	v_cmp_ne_u32_e32 vcc, 63, v56
	v_cmp_eq_u16_sdwa s[34:35], v21, v54 src0_sel:BYTE_0 src1_sel:DWORD
	v_lshlrev_b64 v[22:23], v44, -1
	v_addc_co_u32_e32 v24, vcc, 0, v44, vcc
	v_and_b32_e32 v17, s35, v23
	v_lshlrev_b32_e32 v58, 2, v24
	v_or_b32_e32 v17, 0x80000000, v17
	ds_bpermute_b32 v24, v58, v20
	v_and_b32_e32 v19, s34, v22
	v_ffbl_b32_e32 v17, v17
	v_add_u32_e32 v17, 32, v17
	v_ffbl_b32_e32 v19, v19
	v_min_u32_e32 v17, v19, v17
	v_cmp_lt_u32_e32 vcc, v56, v17
	v_add_u32_e32 v62, 2, v56
	v_add_u32_e32 v65, 4, v56
	s_waitcnt lgkmcnt(0)
	v_cndmask_b32_e32 v19, 0, v24, vcc
	v_cmp_gt_u32_e32 vcc, 62, v56
	v_add_u32_e32 v19, v19, v20
	v_add_u32_e32 v67, 8, v56
	v_cndmask_b32_e64 v20, 0, 1, vcc
	v_lshlrev_b32_e32 v20, 1, v20
	v_add_lshl_u32 v60, v20, v44, 2
	ds_bpermute_b32 v20, v60, v19
	v_cmp_le_u32_e32 vcc, v62, v17
	v_add_u32_e32 v69, 16, v56
	v_add_u32_e32 v71, 32, v56
	s_waitcnt lgkmcnt(0)
	v_cndmask_b32_e32 v20, 0, v20, vcc
	v_cmp_gt_u32_e32 vcc, 60, v56
	v_add_u32_e32 v19, v19, v20
	s_nop 0
	v_cndmask_b32_e64 v20, 0, 1, vcc
	v_lshlrev_b32_e32 v20, 2, v20
	v_add_lshl_u32 v64, v20, v44, 2
	ds_bpermute_b32 v20, v64, v19
	v_cmp_le_u32_e32 vcc, v65, v17
	s_waitcnt lgkmcnt(0)
	s_nop 0
	v_cndmask_b32_e32 v20, 0, v20, vcc
	v_cmp_gt_u32_e32 vcc, 56, v56
	v_add_u32_e32 v19, v19, v20
	s_nop 0
	v_cndmask_b32_e64 v20, 0, 1, vcc
	v_lshlrev_b32_e32 v20, 3, v20
	v_add_lshl_u32 v66, v20, v44, 2
	ds_bpermute_b32 v20, v66, v19
	v_cmp_le_u32_e32 vcc, v67, v17
	s_waitcnt lgkmcnt(0)
	s_nop 0
	;; [unrolled: 11-line block ×4, first 2 shown]
	v_cndmask_b32_e32 v17, 0, v20, vcc
	v_add_u32_e32 v20, v19, v17
	v_mov_b32_e32 v19, 0
	s_branch .LBB894_104
.LBB894_103:                            ;   in Loop: Header=BB894_104 Depth=1
	s_or_b64 exec, exec, s[34:35]
	v_cmp_eq_u16_sdwa s[34:35], v21, v54 src0_sel:BYTE_0 src1_sel:DWORD
	ds_bpermute_b32 v72, v58, v20
	v_subrev_u32_e32 v18, 64, v18
	v_and_b32_e32 v24, s35, v23
	v_or_b32_e32 v24, 0x80000000, v24
	v_and_b32_e32 v25, s34, v22
	v_ffbl_b32_e32 v24, v24
	v_add_u32_e32 v24, 32, v24
	v_ffbl_b32_e32 v25, v25
	v_min_u32_e32 v24, v25, v24
	v_cmp_lt_u32_e32 vcc, v56, v24
	s_waitcnt lgkmcnt(0)
	s_nop 0
	v_cndmask_b32_e32 v25, 0, v72, vcc
	v_add_u32_e32 v20, v25, v20
	ds_bpermute_b32 v25, v60, v20
	v_cmp_le_u32_e32 vcc, v62, v24
	s_waitcnt lgkmcnt(0)
	s_nop 0
	v_cndmask_b32_e32 v25, 0, v25, vcc
	v_add_u32_e32 v20, v20, v25
	ds_bpermute_b32 v25, v64, v20
	v_cmp_le_u32_e32 vcc, v65, v24
	s_waitcnt lgkmcnt(0)
	s_nop 0
	v_cndmask_b32_e32 v25, 0, v25, vcc
	v_add_u32_e32 v20, v20, v25
	ds_bpermute_b32 v25, v66, v20
	v_cmp_le_u32_e32 vcc, v67, v24
	s_waitcnt lgkmcnt(0)
	s_nop 0
	v_cndmask_b32_e32 v25, 0, v25, vcc
	v_add_u32_e32 v20, v20, v25
	ds_bpermute_b32 v25, v68, v20
	v_cmp_le_u32_e32 vcc, v69, v24
	s_waitcnt lgkmcnt(0)
	s_nop 0
	v_cndmask_b32_e32 v25, 0, v25, vcc
	v_add_u32_e32 v20, v20, v25
	ds_bpermute_b32 v25, v70, v20
	v_cmp_le_u32_e32 vcc, v71, v24
	s_waitcnt lgkmcnt(0)
	s_nop 0
	v_cndmask_b32_e32 v24, 0, v25, vcc
	v_add3_u32 v20, v24, v17, v20
.LBB894_104:                            ; =>This Loop Header: Depth=1
                                        ;     Child Loop BB894_107 Depth 2
	v_cmp_ne_u16_sdwa s[34:35], v21, v54 src0_sel:BYTE_0 src1_sel:DWORD
	s_nop 1
	v_cndmask_b32_e64 v17, 0, 1, s[34:35]
	;;#ASMSTART
	;;#ASMEND
	s_nop 0
	v_cmp_ne_u32_e32 vcc, 0, v17
	s_cmp_lg_u64 vcc, exec
	v_mov_b32_e32 v17, v20
	s_cbranch_scc1 .LBB894_109
; %bb.105:                              ;   in Loop: Header=BB894_104 Depth=1
	v_lshl_add_u64 v[24:25], v[18:19], 3, s[28:29]
	global_load_dwordx2 v[20:21], v[24:25], off sc1
	s_waitcnt vmcnt(0)
	v_cmp_eq_u16_sdwa s[36:37], v21, v19 src0_sel:BYTE_0 src1_sel:DWORD
	s_and_saveexec_b64 s[34:35], s[36:37]
	s_cbranch_execz .LBB894_103
; %bb.106:                              ;   in Loop: Header=BB894_104 Depth=1
	s_mov_b64 s[36:37], 0
.LBB894_107:                            ;   Parent Loop BB894_104 Depth=1
                                        ; =>  This Inner Loop Header: Depth=2
	global_load_dwordx2 v[20:21], v[24:25], off sc1
	s_waitcnt vmcnt(0)
	v_cmp_ne_u16_sdwa s[38:39], v21, v19 src0_sel:BYTE_0 src1_sel:DWORD
	s_or_b64 s[36:37], s[38:39], s[36:37]
	s_andn2_b64 exec, exec, s[36:37]
	s_cbranch_execnz .LBB894_107
; %bb.108:                              ;   in Loop: Header=BB894_104 Depth=1
	s_or_b64 exec, exec, s[36:37]
	s_branch .LBB894_103
.LBB894_109:                            ;   in Loop: Header=BB894_104 Depth=1
                                        ; implicit-def: $vgpr20
                                        ; implicit-def: $vgpr21
	s_cbranch_execz .LBB894_104
; %bb.110:
	s_and_saveexec_b64 s[34:35], s[16:17]
	s_cbranch_execz .LBB894_112
; %bb.111:
	s_add_i32 s2, s2, 64
	s_mov_b32 s3, 0
	s_lshl_b64 s[2:3], s[2:3], 3
	s_add_u32 s2, s28, s2
	v_add_u32_e32 v18, v17, v16
	v_mov_b32_e32 v19, 2
	s_addc_u32 s3, s29, s3
	v_mov_b32_e32 v20, 0
	global_store_dwordx2 v20, v[18:19], s[2:3] sc1
	ds_write_b64 v20, v[16:17] offset:30720
.LBB894_112:
	s_or_b64 exec, exec, s[34:35]
	v_cmp_eq_u32_e32 vcc, 0, v0
	s_and_b64 exec, exec, vcc
	s_cbranch_execz .LBB894_114
; %bb.113:
	v_mov_b32_e32 v16, 0
	ds_write_b32 v16, v17 offset:28
.LBB894_114:
	s_or_b64 exec, exec, s[30:31]
	v_mov_b32_e32 v16, 0
	s_waitcnt lgkmcnt(0)
	s_barrier
	ds_read_b32 v19, v16 offset:28
	s_waitcnt lgkmcnt(0)
	s_barrier
	ds_read_b64 v[16:17], v16 offset:30720
	v_cndmask_b32_e64 v18, v52, v50, s[16:17]
	v_cmp_ne_u32_e32 vcc, 0, v0
	s_nop 1
	v_cndmask_b32_e32 v18, 0, v18, vcc
	v_add_u32_e32 v72, v19, v18
	s_waitcnt lgkmcnt(0)
	v_mov_b32_e32 v18, v17
	s_load_dwordx2 s[2:3], s[0:1], 0x28
	s_branch .LBB894_125
.LBB894_115:
                                        ; implicit-def: $vgpr18
                                        ; implicit-def: $vgpr16
                                        ; implicit-def: $vgpr72
	s_load_dwordx2 s[2:3], s[0:1], 0x28
	s_cbranch_execz .LBB894_125
; %bb.116:
	v_mov_b32_dpp v16, v48 row_shr:1 row_mask:0xf bank_mask:0xf
	v_cndmask_b32_e64 v16, v16, 0, s[14:15]
	v_add_u32_e32 v16, v16, v48
	s_nop 1
	v_mov_b32_dpp v17, v16 row_shr:2 row_mask:0xf bank_mask:0xf
	v_cndmask_b32_e64 v17, 0, v17, s[12:13]
	v_add_u32_e32 v16, v16, v17
	s_nop 1
	;; [unrolled: 4-line block ×4, first 2 shown]
	v_mov_b32_dpp v17, v16 row_bcast:15 row_mask:0xf bank_mask:0xf
	v_cndmask_b32_e64 v17, v17, 0, s[6:7]
	v_add_u32_e32 v16, v16, v17
	s_nop 1
	v_mov_b32_dpp v17, v16 row_bcast:31 row_mask:0xf bank_mask:0xf
	v_cndmask_b32_e64 v17, 0, v17, s[18:19]
	v_add_u32_e32 v16, v16, v17
	s_and_saveexec_b64 s[0:1], s[4:5]
	s_cbranch_execz .LBB894_118
; %bb.117:
	v_lshlrev_b32_e32 v17, 2, v46
	ds_write_b32 v17, v16
.LBB894_118:
	s_or_b64 exec, exec, s[0:1]
	v_cmp_gt_u32_e32 vcc, 8, v0
	s_waitcnt lgkmcnt(0)
	s_barrier
	s_and_saveexec_b64 s[0:1], vcc
	s_cbranch_execz .LBB894_120
; %bb.119:
	v_lshlrev_b32_e32 v17, 2, v0
	ds_read_b32 v18, v17
	v_and_b32_e32 v19, 7, v44
	v_cmp_ne_u32_e32 vcc, 0, v19
	s_waitcnt lgkmcnt(0)
	v_mov_b32_dpp v20, v18 row_shr:1 row_mask:0xf bank_mask:0xf
	v_cndmask_b32_e32 v20, 0, v20, vcc
	v_add_u32_e32 v18, v20, v18
	v_cmp_lt_u32_e32 vcc, 1, v19
	s_nop 0
	v_mov_b32_dpp v20, v18 row_shr:2 row_mask:0xf bank_mask:0xf
	v_cndmask_b32_e32 v20, 0, v20, vcc
	v_add_u32_e32 v18, v18, v20
	v_cmp_lt_u32_e32 vcc, 3, v19
	s_nop 0
	v_mov_b32_dpp v20, v18 row_shr:4 row_mask:0xf bank_mask:0xf
	v_cndmask_b32_e32 v19, 0, v20, vcc
	v_add_u32_e32 v18, v18, v19
	ds_write_b32 v17, v18
.LBB894_120:
	s_or_b64 exec, exec, s[0:1]
	v_cmp_lt_u32_e32 vcc, 63, v0
	v_mov_b32_e32 v17, 0
	v_mov_b32_e32 v18, 0
	s_waitcnt lgkmcnt(0)
	s_barrier
	s_and_saveexec_b64 s[0:1], vcc
	s_cbranch_execz .LBB894_122
; %bb.121:
	v_lshl_add_u32 v18, v46, 2, -4
	ds_read_b32 v18, v18
.LBB894_122:
	s_or_b64 exec, exec, s[0:1]
	v_add_u32_e32 v19, -1, v44
	v_and_b32_e32 v20, 64, v44
	v_cmp_lt_i32_e32 vcc, v19, v20
	s_waitcnt lgkmcnt(0)
	v_add_u32_e32 v16, v18, v16
	v_cndmask_b32_e32 v19, v19, v44, vcc
	v_lshlrev_b32_e32 v19, 2, v19
	ds_bpermute_b32 v19, v19, v16
	ds_read_b32 v16, v17 offset:28
	v_cmp_eq_u32_e32 vcc, 0, v0
	s_and_saveexec_b64 s[0:1], vcc
	s_cbranch_execz .LBB894_124
; %bb.123:
	v_mov_b32_e32 v20, 0
	v_mov_b32_e32 v17, 2
	s_waitcnt lgkmcnt(0)
	global_store_dwordx2 v20, v[16:17], s[28:29] offset:512 sc1
.LBB894_124:
	s_or_b64 exec, exec, s[0:1]
	v_cmp_eq_u32_e64 s[0:1], 0, v44
	s_waitcnt lgkmcnt(0)
	s_barrier
	v_cndmask_b32_e64 v17, v19, v18, s[0:1]
	v_mov_b32_e32 v18, 0
	v_cndmask_b32_e64 v72, v17, 0, vcc
.LBB894_125:
	v_add_u32_e32 v78, v72, v26
	v_add_u32_e32 v76, v78, v27
	;; [unrolled: 1-line block ×27, first 2 shown]
	s_movk_i32 s0, 0x201
	v_add_u32_e32 v22, v24, v63
	v_cmp_gt_u32_e32 vcc, s0, v16
	v_add_u32_sdwa v20, v22, v82 dst_sel:DWORD dst_unused:UNUSED_PAD src0_sel:DWORD src1_sel:BYTE_0
	s_mov_b64 s[0:1], -1
	s_cbranch_vccnz .LBB894_129
; %bb.126:
	s_and_b64 vcc, exec, s[0:1]
	s_cbranch_vccnz .LBB894_220
.LBB894_127:
	v_cmp_eq_u32_e32 vcc, 0, v0
	s_and_b64 s[0:1], vcc, s[24:25]
	s_waitcnt lgkmcnt(0)
	s_and_saveexec_b64 s[2:3], s[0:1]
	s_cbranch_execnz .LBB894_294
.LBB894_128:
	s_endpgm
.LBB894_129:
	v_add_u32_e32 v17, v18, v16
	s_lshl_b64 s[0:1], s[22:23], 1
	s_waitcnt lgkmcnt(0)
	s_add_u32 s0, s2, s0
	v_cmp_lt_u32_e32 vcc, v72, v17
	s_addc_u32 s1, s3, s1
	s_or_b64 s[6:7], s[26:27], vcc
	s_and_saveexec_b64 s[4:5], s[6:7]
	s_cbranch_execz .LBB894_132
; %bb.130:
	v_and_b32_e32 v19, 1, v110
	v_cmp_eq_u32_e32 vcc, 1, v19
	s_and_b64 exec, exec, vcc
	s_cbranch_execz .LBB894_132
; %bb.131:
	v_mov_b32_e32 v73, 0
	v_lshl_add_u64 v[112:113], v[72:73], 1, s[0:1]
	global_store_short v[112:113], v14, off
.LBB894_132:
	s_or_b64 exec, exec, s[4:5]
	v_cmp_lt_u32_e32 vcc, v78, v17
	s_or_b64 s[6:7], s[26:27], vcc
	s_and_saveexec_b64 s[4:5], s[6:7]
	s_cbranch_execz .LBB894_135
; %bb.133:
	v_and_b32_e32 v19, 1, v109
	v_cmp_eq_u32_e32 vcc, 1, v19
	s_and_b64 exec, exec, vcc
	s_cbranch_execz .LBB894_135
; %bb.134:
	v_mov_b32_e32 v79, 0
	v_lshl_add_u64 v[112:113], v[78:79], 1, s[0:1]
	global_store_short_d16_hi v[112:113], v14, off
.LBB894_135:
	s_or_b64 exec, exec, s[4:5]
	v_cmp_lt_u32_e32 vcc, v76, v17
	s_or_b64 s[6:7], s[26:27], vcc
	s_and_saveexec_b64 s[4:5], s[6:7]
	s_cbranch_execz .LBB894_138
; %bb.136:
	v_and_b32_e32 v19, 1, v108
	v_cmp_eq_u32_e32 vcc, 1, v19
	s_and_b64 exec, exec, vcc
	s_cbranch_execz .LBB894_138
; %bb.137:
	v_mov_b32_e32 v77, 0
	v_lshl_add_u64 v[112:113], v[76:77], 1, s[0:1]
	global_store_short v[112:113], v15, off
.LBB894_138:
	s_or_b64 exec, exec, s[4:5]
	v_cmp_lt_u32_e32 vcc, v74, v17
	s_or_b64 s[6:7], s[26:27], vcc
	s_and_saveexec_b64 s[4:5], s[6:7]
	s_cbranch_execz .LBB894_141
; %bb.139:
	v_and_b32_e32 v19, 1, v107
	v_cmp_eq_u32_e32 vcc, 1, v19
	s_and_b64 exec, exec, vcc
	s_cbranch_execz .LBB894_141
; %bb.140:
	v_mov_b32_e32 v75, 0
	v_lshl_add_u64 v[112:113], v[74:75], 1, s[0:1]
	global_store_short_d16_hi v[112:113], v15, off
.LBB894_141:
	s_or_b64 exec, exec, s[4:5]
	v_cmp_lt_u32_e32 vcc, v70, v17
	;; [unrolled: 30-line block ×14, first 2 shown]
	s_or_b64 s[6:7], s[26:27], vcc
	s_and_saveexec_b64 s[4:5], s[6:7]
	s_cbranch_execz .LBB894_216
; %bb.214:
	v_and_b32_e32 v19, 1, v82
	v_cmp_eq_u32_e32 vcc, 1, v19
	s_and_b64 exec, exec, vcc
	s_cbranch_execz .LBB894_216
; %bb.215:
	v_mov_b32_e32 v23, 0
	v_lshl_add_u64 v[112:113], v[22:23], 1, s[0:1]
	global_store_short v[112:113], v80, off
.LBB894_216:
	s_or_b64 exec, exec, s[4:5]
	v_cmp_lt_u32_e32 vcc, v20, v17
	s_or_b64 s[6:7], s[26:27], vcc
	s_and_saveexec_b64 s[4:5], s[6:7]
	s_cbranch_execz .LBB894_219
; %bb.217:
	v_and_b32_e32 v17, 1, v81
	v_cmp_eq_u32_e32 vcc, 1, v17
	s_and_b64 exec, exec, vcc
	s_cbranch_execz .LBB894_219
; %bb.218:
	v_mov_b32_e32 v21, 0
	v_lshl_add_u64 v[112:113], v[20:21], 1, s[0:1]
	global_store_short v[112:113], v1, off
.LBB894_219:
	s_or_b64 exec, exec, s[4:5]
	s_branch .LBB894_127
.LBB894_220:
	v_and_b32_e32 v17, 1, v110
	v_cmp_eq_u32_e32 vcc, 1, v17
	s_and_saveexec_b64 s[0:1], vcc
	s_cbranch_execz .LBB894_222
; %bb.221:
	v_sub_u32_e32 v17, v72, v18
	v_lshlrev_b32_e32 v17, 1, v17
	ds_write_b16 v17, v14
.LBB894_222:
	s_or_b64 exec, exec, s[0:1]
	v_and_b32_e32 v17, 1, v109
	v_cmp_eq_u32_e32 vcc, 1, v17
	s_and_saveexec_b64 s[0:1], vcc
	s_cbranch_execz .LBB894_224
; %bb.223:
	v_sub_u32_e32 v17, v78, v18
	v_lshlrev_b32_e32 v17, 1, v17
	ds_write_b16_d16_hi v17, v14
.LBB894_224:
	s_or_b64 exec, exec, s[0:1]
	v_and_b32_e32 v14, 1, v108
	v_cmp_eq_u32_e32 vcc, 1, v14
	s_and_saveexec_b64 s[0:1], vcc
	s_cbranch_execz .LBB894_226
; %bb.225:
	v_sub_u32_e32 v14, v76, v18
	v_lshlrev_b32_e32 v14, 1, v14
	ds_write_b16 v14, v15
.LBB894_226:
	s_or_b64 exec, exec, s[0:1]
	v_and_b32_e32 v14, 1, v107
	v_cmp_eq_u32_e32 vcc, 1, v14
	s_and_saveexec_b64 s[0:1], vcc
	s_cbranch_execz .LBB894_228
; %bb.227:
	v_sub_u32_e32 v14, v74, v18
	v_lshlrev_b32_e32 v14, 1, v14
	ds_write_b16_d16_hi v14, v15
.LBB894_228:
	s_or_b64 exec, exec, s[0:1]
	v_and_b32_e32 v14, 1, v106
	v_cmp_eq_u32_e32 vcc, 1, v14
	s_and_saveexec_b64 s[0:1], vcc
	s_cbranch_execz .LBB894_230
; %bb.229:
	v_sub_u32_e32 v14, v70, v18
	v_lshlrev_b32_e32 v14, 1, v14
	ds_write_b16 v14, v12
.LBB894_230:
	s_or_b64 exec, exec, s[0:1]
	v_and_b32_e32 v14, 1, v105
	v_cmp_eq_u32_e32 vcc, 1, v14
	s_and_saveexec_b64 s[0:1], vcc
	s_cbranch_execz .LBB894_232
; %bb.231:
	v_sub_u32_e32 v14, v68, v18
	v_lshlrev_b32_e32 v14, 1, v14
	ds_write_b16_d16_hi v14, v12
.LBB894_232:
	s_or_b64 exec, exec, s[0:1]
	v_and_b32_e32 v12, 1, v104
	v_cmp_eq_u32_e32 vcc, 1, v12
	s_and_saveexec_b64 s[0:1], vcc
	s_cbranch_execz .LBB894_234
; %bb.233:
	v_sub_u32_e32 v12, v66, v18
	v_lshlrev_b32_e32 v12, 1, v12
	ds_write_b16 v12, v13
.LBB894_234:
	s_or_b64 exec, exec, s[0:1]
	v_and_b32_e32 v12, 1, v103
	v_cmp_eq_u32_e32 vcc, 1, v12
	s_and_saveexec_b64 s[0:1], vcc
	s_cbranch_execz .LBB894_236
; %bb.235:
	v_sub_u32_e32 v12, v64, v18
	v_lshlrev_b32_e32 v12, 1, v12
	ds_write_b16_d16_hi v12, v13
.LBB894_236:
	s_or_b64 exec, exec, s[0:1]
	v_and_b32_e32 v12, 1, v102
	v_cmp_eq_u32_e32 vcc, 1, v12
	s_and_saveexec_b64 s[0:1], vcc
	s_cbranch_execz .LBB894_238
; %bb.237:
	v_sub_u32_e32 v12, v62, v18
	v_lshlrev_b32_e32 v12, 1, v12
	ds_write_b16 v12, v10
.LBB894_238:
	s_or_b64 exec, exec, s[0:1]
	v_and_b32_e32 v12, 1, v101
	v_cmp_eq_u32_e32 vcc, 1, v12
	s_and_saveexec_b64 s[0:1], vcc
	s_cbranch_execz .LBB894_240
; %bb.239:
	v_sub_u32_e32 v12, v60, v18
	v_lshlrev_b32_e32 v12, 1, v12
	ds_write_b16_d16_hi v12, v10
.LBB894_240:
	s_or_b64 exec, exec, s[0:1]
	v_and_b32_e32 v10, 1, v100
	v_cmp_eq_u32_e32 vcc, 1, v10
	s_and_saveexec_b64 s[0:1], vcc
	s_cbranch_execz .LBB894_242
; %bb.241:
	v_sub_u32_e32 v10, v58, v18
	v_lshlrev_b32_e32 v10, 1, v10
	ds_write_b16 v10, v11
.LBB894_242:
	s_or_b64 exec, exec, s[0:1]
	v_and_b32_e32 v10, 1, v99
	v_cmp_eq_u32_e32 vcc, 1, v10
	s_and_saveexec_b64 s[0:1], vcc
	s_cbranch_execz .LBB894_244
; %bb.243:
	v_sub_u32_e32 v10, v56, v18
	v_lshlrev_b32_e32 v10, 1, v10
	ds_write_b16_d16_hi v10, v11
.LBB894_244:
	s_or_b64 exec, exec, s[0:1]
	v_and_b32_e32 v10, 1, v98
	v_cmp_eq_u32_e32 vcc, 1, v10
	s_and_saveexec_b64 s[0:1], vcc
	s_cbranch_execz .LBB894_246
; %bb.245:
	v_sub_u32_e32 v10, v54, v18
	v_lshlrev_b32_e32 v10, 1, v10
	ds_write_b16 v10, v8
.LBB894_246:
	s_or_b64 exec, exec, s[0:1]
	v_and_b32_e32 v10, 1, v97
	v_cmp_eq_u32_e32 vcc, 1, v10
	s_and_saveexec_b64 s[0:1], vcc
	s_cbranch_execz .LBB894_248
; %bb.247:
	v_sub_u32_e32 v10, v52, v18
	v_lshlrev_b32_e32 v10, 1, v10
	ds_write_b16_d16_hi v10, v8
.LBB894_248:
	s_or_b64 exec, exec, s[0:1]
	v_and_b32_e32 v8, 1, v96
	v_cmp_eq_u32_e32 vcc, 1, v8
	s_and_saveexec_b64 s[0:1], vcc
	s_cbranch_execz .LBB894_250
; %bb.249:
	v_sub_u32_e32 v8, v50, v18
	v_lshlrev_b32_e32 v8, 1, v8
	ds_write_b16 v8, v9
.LBB894_250:
	s_or_b64 exec, exec, s[0:1]
	v_and_b32_e32 v8, 1, v95
	v_cmp_eq_u32_e32 vcc, 1, v8
	s_and_saveexec_b64 s[0:1], vcc
	s_cbranch_execz .LBB894_252
; %bb.251:
	v_sub_u32_e32 v8, v48, v18
	v_lshlrev_b32_e32 v8, 1, v8
	ds_write_b16_d16_hi v8, v9
.LBB894_252:
	s_or_b64 exec, exec, s[0:1]
	v_and_b32_e32 v8, 1, v94
	v_cmp_eq_u32_e32 vcc, 1, v8
	s_and_saveexec_b64 s[0:1], vcc
	s_cbranch_execz .LBB894_254
; %bb.253:
	v_sub_u32_e32 v8, v46, v18
	v_lshlrev_b32_e32 v8, 1, v8
	ds_write_b16 v8, v6
.LBB894_254:
	s_or_b64 exec, exec, s[0:1]
	v_and_b32_e32 v8, 1, v93
	v_cmp_eq_u32_e32 vcc, 1, v8
	s_and_saveexec_b64 s[0:1], vcc
	s_cbranch_execz .LBB894_256
; %bb.255:
	v_sub_u32_e32 v8, v44, v18
	v_lshlrev_b32_e32 v8, 1, v8
	ds_write_b16_d16_hi v8, v6
.LBB894_256:
	s_or_b64 exec, exec, s[0:1]
	v_and_b32_e32 v6, 1, v92
	v_cmp_eq_u32_e32 vcc, 1, v6
	s_and_saveexec_b64 s[0:1], vcc
	s_cbranch_execz .LBB894_258
; %bb.257:
	v_sub_u32_e32 v6, v42, v18
	v_lshlrev_b32_e32 v6, 1, v6
	ds_write_b16 v6, v7
.LBB894_258:
	s_or_b64 exec, exec, s[0:1]
	v_and_b32_e32 v6, 1, v91
	v_cmp_eq_u32_e32 vcc, 1, v6
	s_and_saveexec_b64 s[0:1], vcc
	s_cbranch_execz .LBB894_260
; %bb.259:
	v_sub_u32_e32 v6, v40, v18
	v_lshlrev_b32_e32 v6, 1, v6
	ds_write_b16_d16_hi v6, v7
.LBB894_260:
	s_or_b64 exec, exec, s[0:1]
	v_and_b32_e32 v6, 1, v90
	v_cmp_eq_u32_e32 vcc, 1, v6
	s_and_saveexec_b64 s[0:1], vcc
	s_cbranch_execz .LBB894_262
; %bb.261:
	v_sub_u32_e32 v6, v38, v18
	v_lshlrev_b32_e32 v6, 1, v6
	ds_write_b16 v6, v4
.LBB894_262:
	s_or_b64 exec, exec, s[0:1]
	v_and_b32_e32 v6, 1, v89
	v_cmp_eq_u32_e32 vcc, 1, v6
	s_and_saveexec_b64 s[0:1], vcc
	s_cbranch_execz .LBB894_264
; %bb.263:
	v_sub_u32_e32 v6, v36, v18
	v_lshlrev_b32_e32 v6, 1, v6
	ds_write_b16_d16_hi v6, v4
.LBB894_264:
	s_or_b64 exec, exec, s[0:1]
	v_and_b32_e32 v4, 1, v88
	v_cmp_eq_u32_e32 vcc, 1, v4
	s_and_saveexec_b64 s[0:1], vcc
	s_cbranch_execz .LBB894_266
; %bb.265:
	v_sub_u32_e32 v4, v34, v18
	v_lshlrev_b32_e32 v4, 1, v4
	ds_write_b16 v4, v5
.LBB894_266:
	s_or_b64 exec, exec, s[0:1]
	v_and_b32_e32 v4, 1, v87
	v_cmp_eq_u32_e32 vcc, 1, v4
	s_and_saveexec_b64 s[0:1], vcc
	s_cbranch_execz .LBB894_268
; %bb.267:
	v_sub_u32_e32 v4, v32, v18
	v_lshlrev_b32_e32 v4, 1, v4
	ds_write_b16_d16_hi v4, v5
.LBB894_268:
	s_or_b64 exec, exec, s[0:1]
	v_and_b32_e32 v4, 1, v86
	v_cmp_eq_u32_e32 vcc, 1, v4
	s_and_saveexec_b64 s[0:1], vcc
	s_cbranch_execz .LBB894_270
; %bb.269:
	v_sub_u32_e32 v4, v30, v18
	v_lshlrev_b32_e32 v4, 1, v4
	ds_write_b16 v4, v2
.LBB894_270:
	s_or_b64 exec, exec, s[0:1]
	v_and_b32_e32 v4, 1, v85
	v_cmp_eq_u32_e32 vcc, 1, v4
	s_and_saveexec_b64 s[0:1], vcc
	s_cbranch_execz .LBB894_272
; %bb.271:
	v_sub_u32_e32 v4, v28, v18
	v_lshlrev_b32_e32 v4, 1, v4
	ds_write_b16_d16_hi v4, v2
.LBB894_272:
	s_or_b64 exec, exec, s[0:1]
	v_and_b32_e32 v2, 1, v84
	v_cmp_eq_u32_e32 vcc, 1, v2
	s_and_saveexec_b64 s[0:1], vcc
	s_cbranch_execz .LBB894_274
; %bb.273:
	v_sub_u32_e32 v2, v26, v18
	v_lshlrev_b32_e32 v2, 1, v2
	ds_write_b16 v2, v3
.LBB894_274:
	s_or_b64 exec, exec, s[0:1]
	v_and_b32_e32 v2, 1, v83
	v_cmp_eq_u32_e32 vcc, 1, v2
	s_and_saveexec_b64 s[0:1], vcc
	s_cbranch_execz .LBB894_276
; %bb.275:
	v_sub_u32_e32 v2, v24, v18
	v_lshlrev_b32_e32 v2, 1, v2
	ds_write_b16_d16_hi v2, v3
.LBB894_276:
	s_or_b64 exec, exec, s[0:1]
	v_and_b32_e32 v2, 1, v82
	v_cmp_eq_u32_e32 vcc, 1, v2
	s_and_saveexec_b64 s[0:1], vcc
	s_cbranch_execz .LBB894_278
; %bb.277:
	v_sub_u32_e32 v2, v22, v18
	v_lshlrev_b32_e32 v2, 1, v2
	ds_write_b16 v2, v80
.LBB894_278:
	s_or_b64 exec, exec, s[0:1]
	v_and_b32_e32 v2, 1, v81
	v_cmp_eq_u32_e32 vcc, 1, v2
	s_and_saveexec_b64 s[0:1], vcc
	s_cbranch_execz .LBB894_280
; %bb.279:
	v_sub_u32_e32 v2, v20, v18
	v_lshlrev_b32_e32 v2, 1, v2
	ds_write_b16 v2, v1
.LBB894_280:
	s_or_b64 exec, exec, s[0:1]
	v_cmp_lt_u32_e32 vcc, v0, v16
	s_waitcnt lgkmcnt(0)
	s_barrier
	s_and_saveexec_b64 s[0:1], vcc
	s_cbranch_execz .LBB894_293
; %bb.281:
	s_lshl_b64 s[4:5], s[22:23], 1
	v_mov_b32_e32 v19, 0
	s_add_u32 s2, s2, s4
	s_addc_u32 s3, s3, s5
	v_lshlrev_b64 v[2:3], 1, v[18:19]
	v_lshl_add_u64 v[8:9], s[2:3], 0, v[2:3]
	v_xad_u32 v1, v0, -1, v16
	s_movk_i32 s2, 0x5ff
	v_cmp_lt_u32_e32 vcc, s2, v1
	s_mov_b64 s[4:5], -1
	v_mov_b32_e32 v2, v0
	s_and_saveexec_b64 s[2:3], vcc
	s_cbranch_execz .LBB894_290
; %bb.282:
	v_lshrrev_b32_e32 v12, 9, v1
	v_add_u32_e32 v4, -3, v12
	v_or_b32_e32 v3, 0x600, v0
	v_or_b32_e32 v2, 0x400, v0
	v_lshrrev_b32_e32 v5, 2, v4
	v_or_b32_e32 v1, 0x200, v0
	v_add_u32_e32 v14, 1, v5
	v_cmp_lt_u32_e32 vcc, 11, v4
	v_mov_b64_e32 v[6:7], v[2:3]
	v_lshlrev_b32_e32 v13, 1, v0
	v_mov_b64_e32 v[4:5], v[0:1]
	s_and_saveexec_b64 s[4:5], vcc
	s_cbranch_execz .LBB894_286
; %bb.283:
	v_mov_b64_e32 v[6:7], v[2:3]
	v_and_b32_e32 v15, 0x7ffffffc, v14
	s_mov_b32 s8, 0
	s_mov_b64 s[6:7], 0
	v_mov_b32_e32 v11, 0
	v_mov_b32_e32 v17, v13
	v_mov_b64_e32 v[4:5], v[0:1]
.LBB894_284:                            ; =>This Inner Loop Header: Depth=1
	v_mov_b32_e32 v10, v4
	ds_read_u16 v1, v17
	ds_read_u16 v44, v17 offset:1024
	ds_read_u16 v45, v17 offset:2048
	;; [unrolled: 1-line block ×7, first 2 shown]
	v_lshl_add_u64 v[36:37], v[10:11], 1, v[8:9]
	v_mov_b32_e32 v10, v5
	v_lshl_add_u64 v[38:39], v[10:11], 1, v[8:9]
	v_mov_b32_e32 v10, v6
	ds_read_u16 v51, v17 offset:8192
	ds_read_u16 v52, v17 offset:9216
	;; [unrolled: 1-line block ×8, first 2 shown]
	v_lshl_add_u64 v[40:41], v[10:11], 1, v[8:9]
	v_mov_b32_e32 v10, v7
	v_add_u32_e32 v2, 0x800, v7
	v_mov_b32_e32 v3, v11
	v_lshl_add_u64 v[42:43], v[10:11], 1, v[8:9]
	v_add_u32_e32 v10, 0x800, v4
	v_add_u32_e32 v20, 0x800, v6
	;; [unrolled: 1-line block ×3, first 2 shown]
	v_mov_b32_e32 v23, v11
	v_mov_b32_e32 v21, v11
	v_add_u32_e32 v15, -4, v15
	v_lshl_add_u64 v[2:3], v[2:3], 1, v[8:9]
	s_waitcnt lgkmcnt(14)
	global_store_short v[36:37], v1, off
	global_store_short v[38:39], v44, off
	s_waitcnt lgkmcnt(13)
	global_store_short v[40:41], v45, off
	s_waitcnt lgkmcnt(12)
	global_store_short v[42:43], v46, off
	v_lshl_add_u64 v[36:37], v[10:11], 1, v[8:9]
	v_add_u32_e32 v10, 0x1000, v4
	v_add_u32_e32 v24, 0x1000, v7
	;; [unrolled: 1-line block ×4, first 2 shown]
	v_mov_b32_e32 v29, v11
	v_mov_b32_e32 v27, v11
	;; [unrolled: 1-line block ×3, first 2 shown]
	s_add_i32 s8, s8, 16
	v_lshl_add_u64 v[22:23], v[22:23], 1, v[8:9]
	v_lshl_add_u64 v[20:21], v[20:21], 1, v[8:9]
	v_cmp_eq_u32_e32 vcc, 0, v15
	s_waitcnt lgkmcnt(11)
	global_store_short v[36:37], v47, off
	s_waitcnt lgkmcnt(10)
	global_store_short v[22:23], v48, off
	;; [unrolled: 2-line block ×4, first 2 shown]
	v_lshl_add_u64 v[2:3], v[10:11], 1, v[8:9]
	v_add_u32_e32 v10, 0x1800, v4
	v_add_u32_e32 v30, 0x1800, v7
	;; [unrolled: 1-line block ×4, first 2 shown]
	v_mov_b32_e32 v35, v11
	v_mov_b32_e32 v33, v11
	;; [unrolled: 1-line block ×3, first 2 shown]
	v_add_u32_e32 v17, 0x4000, v17
	v_lshl_add_u64 v[28:29], v[28:29], 1, v[8:9]
	v_lshl_add_u64 v[26:27], v[26:27], 1, v[8:9]
	;; [unrolled: 1-line block ×3, first 2 shown]
	v_add_u32_e32 v5, 0x2000, v5
	v_mov_b32_e32 v19, s8
	v_add_u32_e32 v6, 0x2000, v6
	s_or_b64 s[6:7], vcc, s[6:7]
	v_add_u32_e32 v7, 0x2000, v7
	v_add_u32_e32 v4, 0x2000, v4
	s_waitcnt lgkmcnt(7)
	global_store_short v[2:3], v51, off
	s_waitcnt lgkmcnt(6)
	global_store_short v[28:29], v52, off
	;; [unrolled: 2-line block ×4, first 2 shown]
	v_lshl_add_u64 v[2:3], v[10:11], 1, v[8:9]
	v_lshl_add_u64 v[34:35], v[34:35], 1, v[8:9]
	;; [unrolled: 1-line block ×4, first 2 shown]
	s_waitcnt lgkmcnt(3)
	global_store_short v[2:3], v55, off
	s_waitcnt lgkmcnt(2)
	global_store_short v[34:35], v56, off
	s_waitcnt lgkmcnt(1)
	global_store_short v[32:33], v57, off
	s_waitcnt lgkmcnt(0)
	global_store_short v[30:31], v58, off
	s_andn2_b64 exec, exec, s[6:7]
	s_cbranch_execnz .LBB894_284
; %bb.285:
	s_or_b64 exec, exec, s[6:7]
.LBB894_286:
	s_or_b64 exec, exec, s[4:5]
	v_and_b32_e32 v1, 3, v14
	v_cmp_ne_u32_e32 vcc, 0, v1
	s_and_saveexec_b64 s[4:5], vcc
	s_cbranch_execz .LBB894_289
; %bb.287:
	v_lshl_or_b32 v10, v19, 10, v13
	s_mov_b64 s[6:7], 0
	v_mov_b32_e32 v3, 0
.LBB894_288:                            ; =>This Inner Loop Header: Depth=1
	ds_read_u16 v11, v10
	ds_read_u16 v13, v10 offset:1024
	ds_read_u16 v17, v10 offset:2048
	;; [unrolled: 1-line block ×3, first 2 shown]
	v_mov_b32_e32 v2, v4
	v_add_u32_e32 v1, -1, v1
	v_lshl_add_u64 v[14:15], v[2:3], 1, v[8:9]
	v_mov_b32_e32 v2, v5
	v_cmp_eq_u32_e32 vcc, 0, v1
	v_lshl_add_u64 v[20:21], v[2:3], 1, v[8:9]
	v_mov_b32_e32 v2, v6
	v_add_u32_e32 v4, 0x800, v4
	v_add_u32_e32 v10, 0x1000, v10
	v_add_u32_e32 v5, 0x800, v5
	v_add_u32_e32 v6, 0x800, v6
	s_or_b64 s[6:7], vcc, s[6:7]
	v_lshl_add_u64 v[22:23], v[2:3], 1, v[8:9]
	v_mov_b32_e32 v2, v7
	v_add_u32_e32 v7, 0x800, v7
	v_lshl_add_u64 v[24:25], v[2:3], 1, v[8:9]
	s_waitcnt lgkmcnt(3)
	global_store_short v[14:15], v11, off
	s_waitcnt lgkmcnt(2)
	global_store_short v[20:21], v13, off
	;; [unrolled: 2-line block ×4, first 2 shown]
	s_andn2_b64 exec, exec, s[6:7]
	s_cbranch_execnz .LBB894_288
.LBB894_289:
	s_or_b64 exec, exec, s[4:5]
	v_add_u32_e32 v1, 1, v12
	v_and_b32_e32 v3, 0xfffffc, v1
	v_cmp_ne_u32_e32 vcc, v1, v3
	v_lshl_or_b32 v2, v3, 9, v0
	s_orn2_b64 s[4:5], vcc, exec
.LBB894_290:
	s_or_b64 exec, exec, s[2:3]
	s_and_b64 exec, exec, s[4:5]
	s_cbranch_execz .LBB894_293
; %bb.291:
	v_lshlrev_b32_e32 v1, 1, v2
	s_mov_b64 s[2:3], 0
	v_mov_b32_e32 v3, 0
.LBB894_292:                            ; =>This Inner Loop Header: Depth=1
	ds_read_u16 v6, v1
	v_lshl_add_u64 v[4:5], v[2:3], 1, v[8:9]
	v_add_u32_e32 v2, 0x200, v2
	v_cmp_ge_u32_e32 vcc, v2, v16
	v_add_u32_e32 v1, 0x400, v1
	s_or_b64 s[2:3], vcc, s[2:3]
	s_waitcnt lgkmcnt(0)
	global_store_short v[4:5], v6, off
	s_andn2_b64 exec, exec, s[2:3]
	s_cbranch_execnz .LBB894_292
.LBB894_293:
	s_or_b64 exec, exec, s[0:1]
	v_cmp_eq_u32_e32 vcc, 0, v0
	s_and_b64 s[0:1], vcc, s[24:25]
	s_and_saveexec_b64 s[2:3], s[0:1]
	s_cbranch_execz .LBB894_128
.LBB894_294:
	v_mov_b32_e32 v17, 0
	v_lshl_add_u64 v[0:1], s[22:23], 0, v[16:17]
	v_mov_b32_e32 v19, v17
	v_lshl_add_u64 v[0:1], v[0:1], 0, v[18:19]
	global_store_dwordx2 v17, v[0:1], s[20:21]
	s_endpgm
	.section	.rodata,"a",@progbits
	.p2align	6, 0x0
	.amdhsa_kernel _ZN7rocprim17ROCPRIM_400000_NS6detail17trampoline_kernelINS0_14default_configENS1_25partition_config_selectorILNS1_17partition_subalgoE8EN3c104HalfENS0_10empty_typeEbEEZZNS1_14partition_implILS5_8ELb0ES3_jPKS7_PS8_PKS8_NS0_5tupleIJPS7_S8_EEENSG_IJSD_SD_EEENS0_18inequality_wrapperIN6hipcub16HIPCUB_304000_NS8EqualityEEEPlJS8_EEE10hipError_tPvRmT3_T4_T5_T6_T7_T9_mT8_P12ihipStream_tbDpT10_ENKUlT_T0_E_clISt17integral_constantIbLb0EES19_EEDaS14_S15_EUlS14_E_NS1_11comp_targetILNS1_3genE5ELNS1_11target_archE942ELNS1_3gpuE9ELNS1_3repE0EEENS1_30default_config_static_selectorELNS0_4arch9wavefront6targetE1EEEvT1_
		.amdhsa_group_segment_fixed_size 30728
		.amdhsa_private_segment_fixed_size 0
		.amdhsa_kernarg_size 112
		.amdhsa_user_sgpr_count 2
		.amdhsa_user_sgpr_dispatch_ptr 0
		.amdhsa_user_sgpr_queue_ptr 0
		.amdhsa_user_sgpr_kernarg_segment_ptr 1
		.amdhsa_user_sgpr_dispatch_id 0
		.amdhsa_user_sgpr_kernarg_preload_length 0
		.amdhsa_user_sgpr_kernarg_preload_offset 0
		.amdhsa_user_sgpr_private_segment_size 0
		.amdhsa_uses_dynamic_stack 0
		.amdhsa_enable_private_segment 0
		.amdhsa_system_sgpr_workgroup_id_x 1
		.amdhsa_system_sgpr_workgroup_id_y 0
		.amdhsa_system_sgpr_workgroup_id_z 0
		.amdhsa_system_sgpr_workgroup_info 0
		.amdhsa_system_vgpr_workitem_id 0
		.amdhsa_next_free_vgpr 114
		.amdhsa_next_free_sgpr 78
		.amdhsa_accum_offset 116
		.amdhsa_reserve_vcc 1
		.amdhsa_float_round_mode_32 0
		.amdhsa_float_round_mode_16_64 0
		.amdhsa_float_denorm_mode_32 3
		.amdhsa_float_denorm_mode_16_64 3
		.amdhsa_dx10_clamp 1
		.amdhsa_ieee_mode 1
		.amdhsa_fp16_overflow 0
		.amdhsa_tg_split 0
		.amdhsa_exception_fp_ieee_invalid_op 0
		.amdhsa_exception_fp_denorm_src 0
		.amdhsa_exception_fp_ieee_div_zero 0
		.amdhsa_exception_fp_ieee_overflow 0
		.amdhsa_exception_fp_ieee_underflow 0
		.amdhsa_exception_fp_ieee_inexact 0
		.amdhsa_exception_int_div_zero 0
	.end_amdhsa_kernel
	.section	.text._ZN7rocprim17ROCPRIM_400000_NS6detail17trampoline_kernelINS0_14default_configENS1_25partition_config_selectorILNS1_17partition_subalgoE8EN3c104HalfENS0_10empty_typeEbEEZZNS1_14partition_implILS5_8ELb0ES3_jPKS7_PS8_PKS8_NS0_5tupleIJPS7_S8_EEENSG_IJSD_SD_EEENS0_18inequality_wrapperIN6hipcub16HIPCUB_304000_NS8EqualityEEEPlJS8_EEE10hipError_tPvRmT3_T4_T5_T6_T7_T9_mT8_P12ihipStream_tbDpT10_ENKUlT_T0_E_clISt17integral_constantIbLb0EES19_EEDaS14_S15_EUlS14_E_NS1_11comp_targetILNS1_3genE5ELNS1_11target_archE942ELNS1_3gpuE9ELNS1_3repE0EEENS1_30default_config_static_selectorELNS0_4arch9wavefront6targetE1EEEvT1_,"axG",@progbits,_ZN7rocprim17ROCPRIM_400000_NS6detail17trampoline_kernelINS0_14default_configENS1_25partition_config_selectorILNS1_17partition_subalgoE8EN3c104HalfENS0_10empty_typeEbEEZZNS1_14partition_implILS5_8ELb0ES3_jPKS7_PS8_PKS8_NS0_5tupleIJPS7_S8_EEENSG_IJSD_SD_EEENS0_18inequality_wrapperIN6hipcub16HIPCUB_304000_NS8EqualityEEEPlJS8_EEE10hipError_tPvRmT3_T4_T5_T6_T7_T9_mT8_P12ihipStream_tbDpT10_ENKUlT_T0_E_clISt17integral_constantIbLb0EES19_EEDaS14_S15_EUlS14_E_NS1_11comp_targetILNS1_3genE5ELNS1_11target_archE942ELNS1_3gpuE9ELNS1_3repE0EEENS1_30default_config_static_selectorELNS0_4arch9wavefront6targetE1EEEvT1_,comdat
.Lfunc_end894:
	.size	_ZN7rocprim17ROCPRIM_400000_NS6detail17trampoline_kernelINS0_14default_configENS1_25partition_config_selectorILNS1_17partition_subalgoE8EN3c104HalfENS0_10empty_typeEbEEZZNS1_14partition_implILS5_8ELb0ES3_jPKS7_PS8_PKS8_NS0_5tupleIJPS7_S8_EEENSG_IJSD_SD_EEENS0_18inequality_wrapperIN6hipcub16HIPCUB_304000_NS8EqualityEEEPlJS8_EEE10hipError_tPvRmT3_T4_T5_T6_T7_T9_mT8_P12ihipStream_tbDpT10_ENKUlT_T0_E_clISt17integral_constantIbLb0EES19_EEDaS14_S15_EUlS14_E_NS1_11comp_targetILNS1_3genE5ELNS1_11target_archE942ELNS1_3gpuE9ELNS1_3repE0EEENS1_30default_config_static_selectorELNS0_4arch9wavefront6targetE1EEEvT1_, .Lfunc_end894-_ZN7rocprim17ROCPRIM_400000_NS6detail17trampoline_kernelINS0_14default_configENS1_25partition_config_selectorILNS1_17partition_subalgoE8EN3c104HalfENS0_10empty_typeEbEEZZNS1_14partition_implILS5_8ELb0ES3_jPKS7_PS8_PKS8_NS0_5tupleIJPS7_S8_EEENSG_IJSD_SD_EEENS0_18inequality_wrapperIN6hipcub16HIPCUB_304000_NS8EqualityEEEPlJS8_EEE10hipError_tPvRmT3_T4_T5_T6_T7_T9_mT8_P12ihipStream_tbDpT10_ENKUlT_T0_E_clISt17integral_constantIbLb0EES19_EEDaS14_S15_EUlS14_E_NS1_11comp_targetILNS1_3genE5ELNS1_11target_archE942ELNS1_3gpuE9ELNS1_3repE0EEENS1_30default_config_static_selectorELNS0_4arch9wavefront6targetE1EEEvT1_
                                        ; -- End function
	.section	.AMDGPU.csdata,"",@progbits
; Kernel info:
; codeLenInByte = 12308
; NumSgprs: 84
; NumVgprs: 114
; NumAgprs: 0
; TotalNumVgprs: 114
; ScratchSize: 0
; MemoryBound: 0
; FloatMode: 240
; IeeeMode: 1
; LDSByteSize: 30728 bytes/workgroup (compile time only)
; SGPRBlocks: 10
; VGPRBlocks: 14
; NumSGPRsForWavesPerEU: 84
; NumVGPRsForWavesPerEU: 114
; AccumOffset: 116
; Occupancy: 4
; WaveLimiterHint : 1
; COMPUTE_PGM_RSRC2:SCRATCH_EN: 0
; COMPUTE_PGM_RSRC2:USER_SGPR: 2
; COMPUTE_PGM_RSRC2:TRAP_HANDLER: 0
; COMPUTE_PGM_RSRC2:TGID_X_EN: 1
; COMPUTE_PGM_RSRC2:TGID_Y_EN: 0
; COMPUTE_PGM_RSRC2:TGID_Z_EN: 0
; COMPUTE_PGM_RSRC2:TIDIG_COMP_CNT: 0
; COMPUTE_PGM_RSRC3_GFX90A:ACCUM_OFFSET: 28
; COMPUTE_PGM_RSRC3_GFX90A:TG_SPLIT: 0
	.section	.text._ZN7rocprim17ROCPRIM_400000_NS6detail17trampoline_kernelINS0_14default_configENS1_25partition_config_selectorILNS1_17partition_subalgoE8EN3c104HalfENS0_10empty_typeEbEEZZNS1_14partition_implILS5_8ELb0ES3_jPKS7_PS8_PKS8_NS0_5tupleIJPS7_S8_EEENSG_IJSD_SD_EEENS0_18inequality_wrapperIN6hipcub16HIPCUB_304000_NS8EqualityEEEPlJS8_EEE10hipError_tPvRmT3_T4_T5_T6_T7_T9_mT8_P12ihipStream_tbDpT10_ENKUlT_T0_E_clISt17integral_constantIbLb0EES19_EEDaS14_S15_EUlS14_E_NS1_11comp_targetILNS1_3genE4ELNS1_11target_archE910ELNS1_3gpuE8ELNS1_3repE0EEENS1_30default_config_static_selectorELNS0_4arch9wavefront6targetE1EEEvT1_,"axG",@progbits,_ZN7rocprim17ROCPRIM_400000_NS6detail17trampoline_kernelINS0_14default_configENS1_25partition_config_selectorILNS1_17partition_subalgoE8EN3c104HalfENS0_10empty_typeEbEEZZNS1_14partition_implILS5_8ELb0ES3_jPKS7_PS8_PKS8_NS0_5tupleIJPS7_S8_EEENSG_IJSD_SD_EEENS0_18inequality_wrapperIN6hipcub16HIPCUB_304000_NS8EqualityEEEPlJS8_EEE10hipError_tPvRmT3_T4_T5_T6_T7_T9_mT8_P12ihipStream_tbDpT10_ENKUlT_T0_E_clISt17integral_constantIbLb0EES19_EEDaS14_S15_EUlS14_E_NS1_11comp_targetILNS1_3genE4ELNS1_11target_archE910ELNS1_3gpuE8ELNS1_3repE0EEENS1_30default_config_static_selectorELNS0_4arch9wavefront6targetE1EEEvT1_,comdat
	.protected	_ZN7rocprim17ROCPRIM_400000_NS6detail17trampoline_kernelINS0_14default_configENS1_25partition_config_selectorILNS1_17partition_subalgoE8EN3c104HalfENS0_10empty_typeEbEEZZNS1_14partition_implILS5_8ELb0ES3_jPKS7_PS8_PKS8_NS0_5tupleIJPS7_S8_EEENSG_IJSD_SD_EEENS0_18inequality_wrapperIN6hipcub16HIPCUB_304000_NS8EqualityEEEPlJS8_EEE10hipError_tPvRmT3_T4_T5_T6_T7_T9_mT8_P12ihipStream_tbDpT10_ENKUlT_T0_E_clISt17integral_constantIbLb0EES19_EEDaS14_S15_EUlS14_E_NS1_11comp_targetILNS1_3genE4ELNS1_11target_archE910ELNS1_3gpuE8ELNS1_3repE0EEENS1_30default_config_static_selectorELNS0_4arch9wavefront6targetE1EEEvT1_ ; -- Begin function _ZN7rocprim17ROCPRIM_400000_NS6detail17trampoline_kernelINS0_14default_configENS1_25partition_config_selectorILNS1_17partition_subalgoE8EN3c104HalfENS0_10empty_typeEbEEZZNS1_14partition_implILS5_8ELb0ES3_jPKS7_PS8_PKS8_NS0_5tupleIJPS7_S8_EEENSG_IJSD_SD_EEENS0_18inequality_wrapperIN6hipcub16HIPCUB_304000_NS8EqualityEEEPlJS8_EEE10hipError_tPvRmT3_T4_T5_T6_T7_T9_mT8_P12ihipStream_tbDpT10_ENKUlT_T0_E_clISt17integral_constantIbLb0EES19_EEDaS14_S15_EUlS14_E_NS1_11comp_targetILNS1_3genE4ELNS1_11target_archE910ELNS1_3gpuE8ELNS1_3repE0EEENS1_30default_config_static_selectorELNS0_4arch9wavefront6targetE1EEEvT1_
	.globl	_ZN7rocprim17ROCPRIM_400000_NS6detail17trampoline_kernelINS0_14default_configENS1_25partition_config_selectorILNS1_17partition_subalgoE8EN3c104HalfENS0_10empty_typeEbEEZZNS1_14partition_implILS5_8ELb0ES3_jPKS7_PS8_PKS8_NS0_5tupleIJPS7_S8_EEENSG_IJSD_SD_EEENS0_18inequality_wrapperIN6hipcub16HIPCUB_304000_NS8EqualityEEEPlJS8_EEE10hipError_tPvRmT3_T4_T5_T6_T7_T9_mT8_P12ihipStream_tbDpT10_ENKUlT_T0_E_clISt17integral_constantIbLb0EES19_EEDaS14_S15_EUlS14_E_NS1_11comp_targetILNS1_3genE4ELNS1_11target_archE910ELNS1_3gpuE8ELNS1_3repE0EEENS1_30default_config_static_selectorELNS0_4arch9wavefront6targetE1EEEvT1_
	.p2align	8
	.type	_ZN7rocprim17ROCPRIM_400000_NS6detail17trampoline_kernelINS0_14default_configENS1_25partition_config_selectorILNS1_17partition_subalgoE8EN3c104HalfENS0_10empty_typeEbEEZZNS1_14partition_implILS5_8ELb0ES3_jPKS7_PS8_PKS8_NS0_5tupleIJPS7_S8_EEENSG_IJSD_SD_EEENS0_18inequality_wrapperIN6hipcub16HIPCUB_304000_NS8EqualityEEEPlJS8_EEE10hipError_tPvRmT3_T4_T5_T6_T7_T9_mT8_P12ihipStream_tbDpT10_ENKUlT_T0_E_clISt17integral_constantIbLb0EES19_EEDaS14_S15_EUlS14_E_NS1_11comp_targetILNS1_3genE4ELNS1_11target_archE910ELNS1_3gpuE8ELNS1_3repE0EEENS1_30default_config_static_selectorELNS0_4arch9wavefront6targetE1EEEvT1_,@function
_ZN7rocprim17ROCPRIM_400000_NS6detail17trampoline_kernelINS0_14default_configENS1_25partition_config_selectorILNS1_17partition_subalgoE8EN3c104HalfENS0_10empty_typeEbEEZZNS1_14partition_implILS5_8ELb0ES3_jPKS7_PS8_PKS8_NS0_5tupleIJPS7_S8_EEENSG_IJSD_SD_EEENS0_18inequality_wrapperIN6hipcub16HIPCUB_304000_NS8EqualityEEEPlJS8_EEE10hipError_tPvRmT3_T4_T5_T6_T7_T9_mT8_P12ihipStream_tbDpT10_ENKUlT_T0_E_clISt17integral_constantIbLb0EES19_EEDaS14_S15_EUlS14_E_NS1_11comp_targetILNS1_3genE4ELNS1_11target_archE910ELNS1_3gpuE8ELNS1_3repE0EEENS1_30default_config_static_selectorELNS0_4arch9wavefront6targetE1EEEvT1_: ; @_ZN7rocprim17ROCPRIM_400000_NS6detail17trampoline_kernelINS0_14default_configENS1_25partition_config_selectorILNS1_17partition_subalgoE8EN3c104HalfENS0_10empty_typeEbEEZZNS1_14partition_implILS5_8ELb0ES3_jPKS7_PS8_PKS8_NS0_5tupleIJPS7_S8_EEENSG_IJSD_SD_EEENS0_18inequality_wrapperIN6hipcub16HIPCUB_304000_NS8EqualityEEEPlJS8_EEE10hipError_tPvRmT3_T4_T5_T6_T7_T9_mT8_P12ihipStream_tbDpT10_ENKUlT_T0_E_clISt17integral_constantIbLb0EES19_EEDaS14_S15_EUlS14_E_NS1_11comp_targetILNS1_3genE4ELNS1_11target_archE910ELNS1_3gpuE8ELNS1_3repE0EEENS1_30default_config_static_selectorELNS0_4arch9wavefront6targetE1EEEvT1_
; %bb.0:
	.section	.rodata,"a",@progbits
	.p2align	6, 0x0
	.amdhsa_kernel _ZN7rocprim17ROCPRIM_400000_NS6detail17trampoline_kernelINS0_14default_configENS1_25partition_config_selectorILNS1_17partition_subalgoE8EN3c104HalfENS0_10empty_typeEbEEZZNS1_14partition_implILS5_8ELb0ES3_jPKS7_PS8_PKS8_NS0_5tupleIJPS7_S8_EEENSG_IJSD_SD_EEENS0_18inequality_wrapperIN6hipcub16HIPCUB_304000_NS8EqualityEEEPlJS8_EEE10hipError_tPvRmT3_T4_T5_T6_T7_T9_mT8_P12ihipStream_tbDpT10_ENKUlT_T0_E_clISt17integral_constantIbLb0EES19_EEDaS14_S15_EUlS14_E_NS1_11comp_targetILNS1_3genE4ELNS1_11target_archE910ELNS1_3gpuE8ELNS1_3repE0EEENS1_30default_config_static_selectorELNS0_4arch9wavefront6targetE1EEEvT1_
		.amdhsa_group_segment_fixed_size 0
		.amdhsa_private_segment_fixed_size 0
		.amdhsa_kernarg_size 112
		.amdhsa_user_sgpr_count 2
		.amdhsa_user_sgpr_dispatch_ptr 0
		.amdhsa_user_sgpr_queue_ptr 0
		.amdhsa_user_sgpr_kernarg_segment_ptr 1
		.amdhsa_user_sgpr_dispatch_id 0
		.amdhsa_user_sgpr_kernarg_preload_length 0
		.amdhsa_user_sgpr_kernarg_preload_offset 0
		.amdhsa_user_sgpr_private_segment_size 0
		.amdhsa_uses_dynamic_stack 0
		.amdhsa_enable_private_segment 0
		.amdhsa_system_sgpr_workgroup_id_x 1
		.amdhsa_system_sgpr_workgroup_id_y 0
		.amdhsa_system_sgpr_workgroup_id_z 0
		.amdhsa_system_sgpr_workgroup_info 0
		.amdhsa_system_vgpr_workitem_id 0
		.amdhsa_next_free_vgpr 1
		.amdhsa_next_free_sgpr 0
		.amdhsa_accum_offset 4
		.amdhsa_reserve_vcc 0
		.amdhsa_float_round_mode_32 0
		.amdhsa_float_round_mode_16_64 0
		.amdhsa_float_denorm_mode_32 3
		.amdhsa_float_denorm_mode_16_64 3
		.amdhsa_dx10_clamp 1
		.amdhsa_ieee_mode 1
		.amdhsa_fp16_overflow 0
		.amdhsa_tg_split 0
		.amdhsa_exception_fp_ieee_invalid_op 0
		.amdhsa_exception_fp_denorm_src 0
		.amdhsa_exception_fp_ieee_div_zero 0
		.amdhsa_exception_fp_ieee_overflow 0
		.amdhsa_exception_fp_ieee_underflow 0
		.amdhsa_exception_fp_ieee_inexact 0
		.amdhsa_exception_int_div_zero 0
	.end_amdhsa_kernel
	.section	.text._ZN7rocprim17ROCPRIM_400000_NS6detail17trampoline_kernelINS0_14default_configENS1_25partition_config_selectorILNS1_17partition_subalgoE8EN3c104HalfENS0_10empty_typeEbEEZZNS1_14partition_implILS5_8ELb0ES3_jPKS7_PS8_PKS8_NS0_5tupleIJPS7_S8_EEENSG_IJSD_SD_EEENS0_18inequality_wrapperIN6hipcub16HIPCUB_304000_NS8EqualityEEEPlJS8_EEE10hipError_tPvRmT3_T4_T5_T6_T7_T9_mT8_P12ihipStream_tbDpT10_ENKUlT_T0_E_clISt17integral_constantIbLb0EES19_EEDaS14_S15_EUlS14_E_NS1_11comp_targetILNS1_3genE4ELNS1_11target_archE910ELNS1_3gpuE8ELNS1_3repE0EEENS1_30default_config_static_selectorELNS0_4arch9wavefront6targetE1EEEvT1_,"axG",@progbits,_ZN7rocprim17ROCPRIM_400000_NS6detail17trampoline_kernelINS0_14default_configENS1_25partition_config_selectorILNS1_17partition_subalgoE8EN3c104HalfENS0_10empty_typeEbEEZZNS1_14partition_implILS5_8ELb0ES3_jPKS7_PS8_PKS8_NS0_5tupleIJPS7_S8_EEENSG_IJSD_SD_EEENS0_18inequality_wrapperIN6hipcub16HIPCUB_304000_NS8EqualityEEEPlJS8_EEE10hipError_tPvRmT3_T4_T5_T6_T7_T9_mT8_P12ihipStream_tbDpT10_ENKUlT_T0_E_clISt17integral_constantIbLb0EES19_EEDaS14_S15_EUlS14_E_NS1_11comp_targetILNS1_3genE4ELNS1_11target_archE910ELNS1_3gpuE8ELNS1_3repE0EEENS1_30default_config_static_selectorELNS0_4arch9wavefront6targetE1EEEvT1_,comdat
.Lfunc_end895:
	.size	_ZN7rocprim17ROCPRIM_400000_NS6detail17trampoline_kernelINS0_14default_configENS1_25partition_config_selectorILNS1_17partition_subalgoE8EN3c104HalfENS0_10empty_typeEbEEZZNS1_14partition_implILS5_8ELb0ES3_jPKS7_PS8_PKS8_NS0_5tupleIJPS7_S8_EEENSG_IJSD_SD_EEENS0_18inequality_wrapperIN6hipcub16HIPCUB_304000_NS8EqualityEEEPlJS8_EEE10hipError_tPvRmT3_T4_T5_T6_T7_T9_mT8_P12ihipStream_tbDpT10_ENKUlT_T0_E_clISt17integral_constantIbLb0EES19_EEDaS14_S15_EUlS14_E_NS1_11comp_targetILNS1_3genE4ELNS1_11target_archE910ELNS1_3gpuE8ELNS1_3repE0EEENS1_30default_config_static_selectorELNS0_4arch9wavefront6targetE1EEEvT1_, .Lfunc_end895-_ZN7rocprim17ROCPRIM_400000_NS6detail17trampoline_kernelINS0_14default_configENS1_25partition_config_selectorILNS1_17partition_subalgoE8EN3c104HalfENS0_10empty_typeEbEEZZNS1_14partition_implILS5_8ELb0ES3_jPKS7_PS8_PKS8_NS0_5tupleIJPS7_S8_EEENSG_IJSD_SD_EEENS0_18inequality_wrapperIN6hipcub16HIPCUB_304000_NS8EqualityEEEPlJS8_EEE10hipError_tPvRmT3_T4_T5_T6_T7_T9_mT8_P12ihipStream_tbDpT10_ENKUlT_T0_E_clISt17integral_constantIbLb0EES19_EEDaS14_S15_EUlS14_E_NS1_11comp_targetILNS1_3genE4ELNS1_11target_archE910ELNS1_3gpuE8ELNS1_3repE0EEENS1_30default_config_static_selectorELNS0_4arch9wavefront6targetE1EEEvT1_
                                        ; -- End function
	.section	.AMDGPU.csdata,"",@progbits
; Kernel info:
; codeLenInByte = 0
; NumSgprs: 6
; NumVgprs: 0
; NumAgprs: 0
; TotalNumVgprs: 0
; ScratchSize: 0
; MemoryBound: 0
; FloatMode: 240
; IeeeMode: 1
; LDSByteSize: 0 bytes/workgroup (compile time only)
; SGPRBlocks: 0
; VGPRBlocks: 0
; NumSGPRsForWavesPerEU: 6
; NumVGPRsForWavesPerEU: 1
; AccumOffset: 4
; Occupancy: 8
; WaveLimiterHint : 0
; COMPUTE_PGM_RSRC2:SCRATCH_EN: 0
; COMPUTE_PGM_RSRC2:USER_SGPR: 2
; COMPUTE_PGM_RSRC2:TRAP_HANDLER: 0
; COMPUTE_PGM_RSRC2:TGID_X_EN: 1
; COMPUTE_PGM_RSRC2:TGID_Y_EN: 0
; COMPUTE_PGM_RSRC2:TGID_Z_EN: 0
; COMPUTE_PGM_RSRC2:TIDIG_COMP_CNT: 0
; COMPUTE_PGM_RSRC3_GFX90A:ACCUM_OFFSET: 0
; COMPUTE_PGM_RSRC3_GFX90A:TG_SPLIT: 0
	.section	.text._ZN7rocprim17ROCPRIM_400000_NS6detail17trampoline_kernelINS0_14default_configENS1_25partition_config_selectorILNS1_17partition_subalgoE8EN3c104HalfENS0_10empty_typeEbEEZZNS1_14partition_implILS5_8ELb0ES3_jPKS7_PS8_PKS8_NS0_5tupleIJPS7_S8_EEENSG_IJSD_SD_EEENS0_18inequality_wrapperIN6hipcub16HIPCUB_304000_NS8EqualityEEEPlJS8_EEE10hipError_tPvRmT3_T4_T5_T6_T7_T9_mT8_P12ihipStream_tbDpT10_ENKUlT_T0_E_clISt17integral_constantIbLb0EES19_EEDaS14_S15_EUlS14_E_NS1_11comp_targetILNS1_3genE3ELNS1_11target_archE908ELNS1_3gpuE7ELNS1_3repE0EEENS1_30default_config_static_selectorELNS0_4arch9wavefront6targetE1EEEvT1_,"axG",@progbits,_ZN7rocprim17ROCPRIM_400000_NS6detail17trampoline_kernelINS0_14default_configENS1_25partition_config_selectorILNS1_17partition_subalgoE8EN3c104HalfENS0_10empty_typeEbEEZZNS1_14partition_implILS5_8ELb0ES3_jPKS7_PS8_PKS8_NS0_5tupleIJPS7_S8_EEENSG_IJSD_SD_EEENS0_18inequality_wrapperIN6hipcub16HIPCUB_304000_NS8EqualityEEEPlJS8_EEE10hipError_tPvRmT3_T4_T5_T6_T7_T9_mT8_P12ihipStream_tbDpT10_ENKUlT_T0_E_clISt17integral_constantIbLb0EES19_EEDaS14_S15_EUlS14_E_NS1_11comp_targetILNS1_3genE3ELNS1_11target_archE908ELNS1_3gpuE7ELNS1_3repE0EEENS1_30default_config_static_selectorELNS0_4arch9wavefront6targetE1EEEvT1_,comdat
	.protected	_ZN7rocprim17ROCPRIM_400000_NS6detail17trampoline_kernelINS0_14default_configENS1_25partition_config_selectorILNS1_17partition_subalgoE8EN3c104HalfENS0_10empty_typeEbEEZZNS1_14partition_implILS5_8ELb0ES3_jPKS7_PS8_PKS8_NS0_5tupleIJPS7_S8_EEENSG_IJSD_SD_EEENS0_18inequality_wrapperIN6hipcub16HIPCUB_304000_NS8EqualityEEEPlJS8_EEE10hipError_tPvRmT3_T4_T5_T6_T7_T9_mT8_P12ihipStream_tbDpT10_ENKUlT_T0_E_clISt17integral_constantIbLb0EES19_EEDaS14_S15_EUlS14_E_NS1_11comp_targetILNS1_3genE3ELNS1_11target_archE908ELNS1_3gpuE7ELNS1_3repE0EEENS1_30default_config_static_selectorELNS0_4arch9wavefront6targetE1EEEvT1_ ; -- Begin function _ZN7rocprim17ROCPRIM_400000_NS6detail17trampoline_kernelINS0_14default_configENS1_25partition_config_selectorILNS1_17partition_subalgoE8EN3c104HalfENS0_10empty_typeEbEEZZNS1_14partition_implILS5_8ELb0ES3_jPKS7_PS8_PKS8_NS0_5tupleIJPS7_S8_EEENSG_IJSD_SD_EEENS0_18inequality_wrapperIN6hipcub16HIPCUB_304000_NS8EqualityEEEPlJS8_EEE10hipError_tPvRmT3_T4_T5_T6_T7_T9_mT8_P12ihipStream_tbDpT10_ENKUlT_T0_E_clISt17integral_constantIbLb0EES19_EEDaS14_S15_EUlS14_E_NS1_11comp_targetILNS1_3genE3ELNS1_11target_archE908ELNS1_3gpuE7ELNS1_3repE0EEENS1_30default_config_static_selectorELNS0_4arch9wavefront6targetE1EEEvT1_
	.globl	_ZN7rocprim17ROCPRIM_400000_NS6detail17trampoline_kernelINS0_14default_configENS1_25partition_config_selectorILNS1_17partition_subalgoE8EN3c104HalfENS0_10empty_typeEbEEZZNS1_14partition_implILS5_8ELb0ES3_jPKS7_PS8_PKS8_NS0_5tupleIJPS7_S8_EEENSG_IJSD_SD_EEENS0_18inequality_wrapperIN6hipcub16HIPCUB_304000_NS8EqualityEEEPlJS8_EEE10hipError_tPvRmT3_T4_T5_T6_T7_T9_mT8_P12ihipStream_tbDpT10_ENKUlT_T0_E_clISt17integral_constantIbLb0EES19_EEDaS14_S15_EUlS14_E_NS1_11comp_targetILNS1_3genE3ELNS1_11target_archE908ELNS1_3gpuE7ELNS1_3repE0EEENS1_30default_config_static_selectorELNS0_4arch9wavefront6targetE1EEEvT1_
	.p2align	8
	.type	_ZN7rocprim17ROCPRIM_400000_NS6detail17trampoline_kernelINS0_14default_configENS1_25partition_config_selectorILNS1_17partition_subalgoE8EN3c104HalfENS0_10empty_typeEbEEZZNS1_14partition_implILS5_8ELb0ES3_jPKS7_PS8_PKS8_NS0_5tupleIJPS7_S8_EEENSG_IJSD_SD_EEENS0_18inequality_wrapperIN6hipcub16HIPCUB_304000_NS8EqualityEEEPlJS8_EEE10hipError_tPvRmT3_T4_T5_T6_T7_T9_mT8_P12ihipStream_tbDpT10_ENKUlT_T0_E_clISt17integral_constantIbLb0EES19_EEDaS14_S15_EUlS14_E_NS1_11comp_targetILNS1_3genE3ELNS1_11target_archE908ELNS1_3gpuE7ELNS1_3repE0EEENS1_30default_config_static_selectorELNS0_4arch9wavefront6targetE1EEEvT1_,@function
_ZN7rocprim17ROCPRIM_400000_NS6detail17trampoline_kernelINS0_14default_configENS1_25partition_config_selectorILNS1_17partition_subalgoE8EN3c104HalfENS0_10empty_typeEbEEZZNS1_14partition_implILS5_8ELb0ES3_jPKS7_PS8_PKS8_NS0_5tupleIJPS7_S8_EEENSG_IJSD_SD_EEENS0_18inequality_wrapperIN6hipcub16HIPCUB_304000_NS8EqualityEEEPlJS8_EEE10hipError_tPvRmT3_T4_T5_T6_T7_T9_mT8_P12ihipStream_tbDpT10_ENKUlT_T0_E_clISt17integral_constantIbLb0EES19_EEDaS14_S15_EUlS14_E_NS1_11comp_targetILNS1_3genE3ELNS1_11target_archE908ELNS1_3gpuE7ELNS1_3repE0EEENS1_30default_config_static_selectorELNS0_4arch9wavefront6targetE1EEEvT1_: ; @_ZN7rocprim17ROCPRIM_400000_NS6detail17trampoline_kernelINS0_14default_configENS1_25partition_config_selectorILNS1_17partition_subalgoE8EN3c104HalfENS0_10empty_typeEbEEZZNS1_14partition_implILS5_8ELb0ES3_jPKS7_PS8_PKS8_NS0_5tupleIJPS7_S8_EEENSG_IJSD_SD_EEENS0_18inequality_wrapperIN6hipcub16HIPCUB_304000_NS8EqualityEEEPlJS8_EEE10hipError_tPvRmT3_T4_T5_T6_T7_T9_mT8_P12ihipStream_tbDpT10_ENKUlT_T0_E_clISt17integral_constantIbLb0EES19_EEDaS14_S15_EUlS14_E_NS1_11comp_targetILNS1_3genE3ELNS1_11target_archE908ELNS1_3gpuE7ELNS1_3repE0EEENS1_30default_config_static_selectorELNS0_4arch9wavefront6targetE1EEEvT1_
; %bb.0:
	.section	.rodata,"a",@progbits
	.p2align	6, 0x0
	.amdhsa_kernel _ZN7rocprim17ROCPRIM_400000_NS6detail17trampoline_kernelINS0_14default_configENS1_25partition_config_selectorILNS1_17partition_subalgoE8EN3c104HalfENS0_10empty_typeEbEEZZNS1_14partition_implILS5_8ELb0ES3_jPKS7_PS8_PKS8_NS0_5tupleIJPS7_S8_EEENSG_IJSD_SD_EEENS0_18inequality_wrapperIN6hipcub16HIPCUB_304000_NS8EqualityEEEPlJS8_EEE10hipError_tPvRmT3_T4_T5_T6_T7_T9_mT8_P12ihipStream_tbDpT10_ENKUlT_T0_E_clISt17integral_constantIbLb0EES19_EEDaS14_S15_EUlS14_E_NS1_11comp_targetILNS1_3genE3ELNS1_11target_archE908ELNS1_3gpuE7ELNS1_3repE0EEENS1_30default_config_static_selectorELNS0_4arch9wavefront6targetE1EEEvT1_
		.amdhsa_group_segment_fixed_size 0
		.amdhsa_private_segment_fixed_size 0
		.amdhsa_kernarg_size 112
		.amdhsa_user_sgpr_count 2
		.amdhsa_user_sgpr_dispatch_ptr 0
		.amdhsa_user_sgpr_queue_ptr 0
		.amdhsa_user_sgpr_kernarg_segment_ptr 1
		.amdhsa_user_sgpr_dispatch_id 0
		.amdhsa_user_sgpr_kernarg_preload_length 0
		.amdhsa_user_sgpr_kernarg_preload_offset 0
		.amdhsa_user_sgpr_private_segment_size 0
		.amdhsa_uses_dynamic_stack 0
		.amdhsa_enable_private_segment 0
		.amdhsa_system_sgpr_workgroup_id_x 1
		.amdhsa_system_sgpr_workgroup_id_y 0
		.amdhsa_system_sgpr_workgroup_id_z 0
		.amdhsa_system_sgpr_workgroup_info 0
		.amdhsa_system_vgpr_workitem_id 0
		.amdhsa_next_free_vgpr 1
		.amdhsa_next_free_sgpr 0
		.amdhsa_accum_offset 4
		.amdhsa_reserve_vcc 0
		.amdhsa_float_round_mode_32 0
		.amdhsa_float_round_mode_16_64 0
		.amdhsa_float_denorm_mode_32 3
		.amdhsa_float_denorm_mode_16_64 3
		.amdhsa_dx10_clamp 1
		.amdhsa_ieee_mode 1
		.amdhsa_fp16_overflow 0
		.amdhsa_tg_split 0
		.amdhsa_exception_fp_ieee_invalid_op 0
		.amdhsa_exception_fp_denorm_src 0
		.amdhsa_exception_fp_ieee_div_zero 0
		.amdhsa_exception_fp_ieee_overflow 0
		.amdhsa_exception_fp_ieee_underflow 0
		.amdhsa_exception_fp_ieee_inexact 0
		.amdhsa_exception_int_div_zero 0
	.end_amdhsa_kernel
	.section	.text._ZN7rocprim17ROCPRIM_400000_NS6detail17trampoline_kernelINS0_14default_configENS1_25partition_config_selectorILNS1_17partition_subalgoE8EN3c104HalfENS0_10empty_typeEbEEZZNS1_14partition_implILS5_8ELb0ES3_jPKS7_PS8_PKS8_NS0_5tupleIJPS7_S8_EEENSG_IJSD_SD_EEENS0_18inequality_wrapperIN6hipcub16HIPCUB_304000_NS8EqualityEEEPlJS8_EEE10hipError_tPvRmT3_T4_T5_T6_T7_T9_mT8_P12ihipStream_tbDpT10_ENKUlT_T0_E_clISt17integral_constantIbLb0EES19_EEDaS14_S15_EUlS14_E_NS1_11comp_targetILNS1_3genE3ELNS1_11target_archE908ELNS1_3gpuE7ELNS1_3repE0EEENS1_30default_config_static_selectorELNS0_4arch9wavefront6targetE1EEEvT1_,"axG",@progbits,_ZN7rocprim17ROCPRIM_400000_NS6detail17trampoline_kernelINS0_14default_configENS1_25partition_config_selectorILNS1_17partition_subalgoE8EN3c104HalfENS0_10empty_typeEbEEZZNS1_14partition_implILS5_8ELb0ES3_jPKS7_PS8_PKS8_NS0_5tupleIJPS7_S8_EEENSG_IJSD_SD_EEENS0_18inequality_wrapperIN6hipcub16HIPCUB_304000_NS8EqualityEEEPlJS8_EEE10hipError_tPvRmT3_T4_T5_T6_T7_T9_mT8_P12ihipStream_tbDpT10_ENKUlT_T0_E_clISt17integral_constantIbLb0EES19_EEDaS14_S15_EUlS14_E_NS1_11comp_targetILNS1_3genE3ELNS1_11target_archE908ELNS1_3gpuE7ELNS1_3repE0EEENS1_30default_config_static_selectorELNS0_4arch9wavefront6targetE1EEEvT1_,comdat
.Lfunc_end896:
	.size	_ZN7rocprim17ROCPRIM_400000_NS6detail17trampoline_kernelINS0_14default_configENS1_25partition_config_selectorILNS1_17partition_subalgoE8EN3c104HalfENS0_10empty_typeEbEEZZNS1_14partition_implILS5_8ELb0ES3_jPKS7_PS8_PKS8_NS0_5tupleIJPS7_S8_EEENSG_IJSD_SD_EEENS0_18inequality_wrapperIN6hipcub16HIPCUB_304000_NS8EqualityEEEPlJS8_EEE10hipError_tPvRmT3_T4_T5_T6_T7_T9_mT8_P12ihipStream_tbDpT10_ENKUlT_T0_E_clISt17integral_constantIbLb0EES19_EEDaS14_S15_EUlS14_E_NS1_11comp_targetILNS1_3genE3ELNS1_11target_archE908ELNS1_3gpuE7ELNS1_3repE0EEENS1_30default_config_static_selectorELNS0_4arch9wavefront6targetE1EEEvT1_, .Lfunc_end896-_ZN7rocprim17ROCPRIM_400000_NS6detail17trampoline_kernelINS0_14default_configENS1_25partition_config_selectorILNS1_17partition_subalgoE8EN3c104HalfENS0_10empty_typeEbEEZZNS1_14partition_implILS5_8ELb0ES3_jPKS7_PS8_PKS8_NS0_5tupleIJPS7_S8_EEENSG_IJSD_SD_EEENS0_18inequality_wrapperIN6hipcub16HIPCUB_304000_NS8EqualityEEEPlJS8_EEE10hipError_tPvRmT3_T4_T5_T6_T7_T9_mT8_P12ihipStream_tbDpT10_ENKUlT_T0_E_clISt17integral_constantIbLb0EES19_EEDaS14_S15_EUlS14_E_NS1_11comp_targetILNS1_3genE3ELNS1_11target_archE908ELNS1_3gpuE7ELNS1_3repE0EEENS1_30default_config_static_selectorELNS0_4arch9wavefront6targetE1EEEvT1_
                                        ; -- End function
	.section	.AMDGPU.csdata,"",@progbits
; Kernel info:
; codeLenInByte = 0
; NumSgprs: 6
; NumVgprs: 0
; NumAgprs: 0
; TotalNumVgprs: 0
; ScratchSize: 0
; MemoryBound: 0
; FloatMode: 240
; IeeeMode: 1
; LDSByteSize: 0 bytes/workgroup (compile time only)
; SGPRBlocks: 0
; VGPRBlocks: 0
; NumSGPRsForWavesPerEU: 6
; NumVGPRsForWavesPerEU: 1
; AccumOffset: 4
; Occupancy: 8
; WaveLimiterHint : 0
; COMPUTE_PGM_RSRC2:SCRATCH_EN: 0
; COMPUTE_PGM_RSRC2:USER_SGPR: 2
; COMPUTE_PGM_RSRC2:TRAP_HANDLER: 0
; COMPUTE_PGM_RSRC2:TGID_X_EN: 1
; COMPUTE_PGM_RSRC2:TGID_Y_EN: 0
; COMPUTE_PGM_RSRC2:TGID_Z_EN: 0
; COMPUTE_PGM_RSRC2:TIDIG_COMP_CNT: 0
; COMPUTE_PGM_RSRC3_GFX90A:ACCUM_OFFSET: 0
; COMPUTE_PGM_RSRC3_GFX90A:TG_SPLIT: 0
	.section	.text._ZN7rocprim17ROCPRIM_400000_NS6detail17trampoline_kernelINS0_14default_configENS1_25partition_config_selectorILNS1_17partition_subalgoE8EN3c104HalfENS0_10empty_typeEbEEZZNS1_14partition_implILS5_8ELb0ES3_jPKS7_PS8_PKS8_NS0_5tupleIJPS7_S8_EEENSG_IJSD_SD_EEENS0_18inequality_wrapperIN6hipcub16HIPCUB_304000_NS8EqualityEEEPlJS8_EEE10hipError_tPvRmT3_T4_T5_T6_T7_T9_mT8_P12ihipStream_tbDpT10_ENKUlT_T0_E_clISt17integral_constantIbLb0EES19_EEDaS14_S15_EUlS14_E_NS1_11comp_targetILNS1_3genE2ELNS1_11target_archE906ELNS1_3gpuE6ELNS1_3repE0EEENS1_30default_config_static_selectorELNS0_4arch9wavefront6targetE1EEEvT1_,"axG",@progbits,_ZN7rocprim17ROCPRIM_400000_NS6detail17trampoline_kernelINS0_14default_configENS1_25partition_config_selectorILNS1_17partition_subalgoE8EN3c104HalfENS0_10empty_typeEbEEZZNS1_14partition_implILS5_8ELb0ES3_jPKS7_PS8_PKS8_NS0_5tupleIJPS7_S8_EEENSG_IJSD_SD_EEENS0_18inequality_wrapperIN6hipcub16HIPCUB_304000_NS8EqualityEEEPlJS8_EEE10hipError_tPvRmT3_T4_T5_T6_T7_T9_mT8_P12ihipStream_tbDpT10_ENKUlT_T0_E_clISt17integral_constantIbLb0EES19_EEDaS14_S15_EUlS14_E_NS1_11comp_targetILNS1_3genE2ELNS1_11target_archE906ELNS1_3gpuE6ELNS1_3repE0EEENS1_30default_config_static_selectorELNS0_4arch9wavefront6targetE1EEEvT1_,comdat
	.protected	_ZN7rocprim17ROCPRIM_400000_NS6detail17trampoline_kernelINS0_14default_configENS1_25partition_config_selectorILNS1_17partition_subalgoE8EN3c104HalfENS0_10empty_typeEbEEZZNS1_14partition_implILS5_8ELb0ES3_jPKS7_PS8_PKS8_NS0_5tupleIJPS7_S8_EEENSG_IJSD_SD_EEENS0_18inequality_wrapperIN6hipcub16HIPCUB_304000_NS8EqualityEEEPlJS8_EEE10hipError_tPvRmT3_T4_T5_T6_T7_T9_mT8_P12ihipStream_tbDpT10_ENKUlT_T0_E_clISt17integral_constantIbLb0EES19_EEDaS14_S15_EUlS14_E_NS1_11comp_targetILNS1_3genE2ELNS1_11target_archE906ELNS1_3gpuE6ELNS1_3repE0EEENS1_30default_config_static_selectorELNS0_4arch9wavefront6targetE1EEEvT1_ ; -- Begin function _ZN7rocprim17ROCPRIM_400000_NS6detail17trampoline_kernelINS0_14default_configENS1_25partition_config_selectorILNS1_17partition_subalgoE8EN3c104HalfENS0_10empty_typeEbEEZZNS1_14partition_implILS5_8ELb0ES3_jPKS7_PS8_PKS8_NS0_5tupleIJPS7_S8_EEENSG_IJSD_SD_EEENS0_18inequality_wrapperIN6hipcub16HIPCUB_304000_NS8EqualityEEEPlJS8_EEE10hipError_tPvRmT3_T4_T5_T6_T7_T9_mT8_P12ihipStream_tbDpT10_ENKUlT_T0_E_clISt17integral_constantIbLb0EES19_EEDaS14_S15_EUlS14_E_NS1_11comp_targetILNS1_3genE2ELNS1_11target_archE906ELNS1_3gpuE6ELNS1_3repE0EEENS1_30default_config_static_selectorELNS0_4arch9wavefront6targetE1EEEvT1_
	.globl	_ZN7rocprim17ROCPRIM_400000_NS6detail17trampoline_kernelINS0_14default_configENS1_25partition_config_selectorILNS1_17partition_subalgoE8EN3c104HalfENS0_10empty_typeEbEEZZNS1_14partition_implILS5_8ELb0ES3_jPKS7_PS8_PKS8_NS0_5tupleIJPS7_S8_EEENSG_IJSD_SD_EEENS0_18inequality_wrapperIN6hipcub16HIPCUB_304000_NS8EqualityEEEPlJS8_EEE10hipError_tPvRmT3_T4_T5_T6_T7_T9_mT8_P12ihipStream_tbDpT10_ENKUlT_T0_E_clISt17integral_constantIbLb0EES19_EEDaS14_S15_EUlS14_E_NS1_11comp_targetILNS1_3genE2ELNS1_11target_archE906ELNS1_3gpuE6ELNS1_3repE0EEENS1_30default_config_static_selectorELNS0_4arch9wavefront6targetE1EEEvT1_
	.p2align	8
	.type	_ZN7rocprim17ROCPRIM_400000_NS6detail17trampoline_kernelINS0_14default_configENS1_25partition_config_selectorILNS1_17partition_subalgoE8EN3c104HalfENS0_10empty_typeEbEEZZNS1_14partition_implILS5_8ELb0ES3_jPKS7_PS8_PKS8_NS0_5tupleIJPS7_S8_EEENSG_IJSD_SD_EEENS0_18inequality_wrapperIN6hipcub16HIPCUB_304000_NS8EqualityEEEPlJS8_EEE10hipError_tPvRmT3_T4_T5_T6_T7_T9_mT8_P12ihipStream_tbDpT10_ENKUlT_T0_E_clISt17integral_constantIbLb0EES19_EEDaS14_S15_EUlS14_E_NS1_11comp_targetILNS1_3genE2ELNS1_11target_archE906ELNS1_3gpuE6ELNS1_3repE0EEENS1_30default_config_static_selectorELNS0_4arch9wavefront6targetE1EEEvT1_,@function
_ZN7rocprim17ROCPRIM_400000_NS6detail17trampoline_kernelINS0_14default_configENS1_25partition_config_selectorILNS1_17partition_subalgoE8EN3c104HalfENS0_10empty_typeEbEEZZNS1_14partition_implILS5_8ELb0ES3_jPKS7_PS8_PKS8_NS0_5tupleIJPS7_S8_EEENSG_IJSD_SD_EEENS0_18inequality_wrapperIN6hipcub16HIPCUB_304000_NS8EqualityEEEPlJS8_EEE10hipError_tPvRmT3_T4_T5_T6_T7_T9_mT8_P12ihipStream_tbDpT10_ENKUlT_T0_E_clISt17integral_constantIbLb0EES19_EEDaS14_S15_EUlS14_E_NS1_11comp_targetILNS1_3genE2ELNS1_11target_archE906ELNS1_3gpuE6ELNS1_3repE0EEENS1_30default_config_static_selectorELNS0_4arch9wavefront6targetE1EEEvT1_: ; @_ZN7rocprim17ROCPRIM_400000_NS6detail17trampoline_kernelINS0_14default_configENS1_25partition_config_selectorILNS1_17partition_subalgoE8EN3c104HalfENS0_10empty_typeEbEEZZNS1_14partition_implILS5_8ELb0ES3_jPKS7_PS8_PKS8_NS0_5tupleIJPS7_S8_EEENSG_IJSD_SD_EEENS0_18inequality_wrapperIN6hipcub16HIPCUB_304000_NS8EqualityEEEPlJS8_EEE10hipError_tPvRmT3_T4_T5_T6_T7_T9_mT8_P12ihipStream_tbDpT10_ENKUlT_T0_E_clISt17integral_constantIbLb0EES19_EEDaS14_S15_EUlS14_E_NS1_11comp_targetILNS1_3genE2ELNS1_11target_archE906ELNS1_3gpuE6ELNS1_3repE0EEENS1_30default_config_static_selectorELNS0_4arch9wavefront6targetE1EEEvT1_
; %bb.0:
	.section	.rodata,"a",@progbits
	.p2align	6, 0x0
	.amdhsa_kernel _ZN7rocprim17ROCPRIM_400000_NS6detail17trampoline_kernelINS0_14default_configENS1_25partition_config_selectorILNS1_17partition_subalgoE8EN3c104HalfENS0_10empty_typeEbEEZZNS1_14partition_implILS5_8ELb0ES3_jPKS7_PS8_PKS8_NS0_5tupleIJPS7_S8_EEENSG_IJSD_SD_EEENS0_18inequality_wrapperIN6hipcub16HIPCUB_304000_NS8EqualityEEEPlJS8_EEE10hipError_tPvRmT3_T4_T5_T6_T7_T9_mT8_P12ihipStream_tbDpT10_ENKUlT_T0_E_clISt17integral_constantIbLb0EES19_EEDaS14_S15_EUlS14_E_NS1_11comp_targetILNS1_3genE2ELNS1_11target_archE906ELNS1_3gpuE6ELNS1_3repE0EEENS1_30default_config_static_selectorELNS0_4arch9wavefront6targetE1EEEvT1_
		.amdhsa_group_segment_fixed_size 0
		.amdhsa_private_segment_fixed_size 0
		.amdhsa_kernarg_size 112
		.amdhsa_user_sgpr_count 2
		.amdhsa_user_sgpr_dispatch_ptr 0
		.amdhsa_user_sgpr_queue_ptr 0
		.amdhsa_user_sgpr_kernarg_segment_ptr 1
		.amdhsa_user_sgpr_dispatch_id 0
		.amdhsa_user_sgpr_kernarg_preload_length 0
		.amdhsa_user_sgpr_kernarg_preload_offset 0
		.amdhsa_user_sgpr_private_segment_size 0
		.amdhsa_uses_dynamic_stack 0
		.amdhsa_enable_private_segment 0
		.amdhsa_system_sgpr_workgroup_id_x 1
		.amdhsa_system_sgpr_workgroup_id_y 0
		.amdhsa_system_sgpr_workgroup_id_z 0
		.amdhsa_system_sgpr_workgroup_info 0
		.amdhsa_system_vgpr_workitem_id 0
		.amdhsa_next_free_vgpr 1
		.amdhsa_next_free_sgpr 0
		.amdhsa_accum_offset 4
		.amdhsa_reserve_vcc 0
		.amdhsa_float_round_mode_32 0
		.amdhsa_float_round_mode_16_64 0
		.amdhsa_float_denorm_mode_32 3
		.amdhsa_float_denorm_mode_16_64 3
		.amdhsa_dx10_clamp 1
		.amdhsa_ieee_mode 1
		.amdhsa_fp16_overflow 0
		.amdhsa_tg_split 0
		.amdhsa_exception_fp_ieee_invalid_op 0
		.amdhsa_exception_fp_denorm_src 0
		.amdhsa_exception_fp_ieee_div_zero 0
		.amdhsa_exception_fp_ieee_overflow 0
		.amdhsa_exception_fp_ieee_underflow 0
		.amdhsa_exception_fp_ieee_inexact 0
		.amdhsa_exception_int_div_zero 0
	.end_amdhsa_kernel
	.section	.text._ZN7rocprim17ROCPRIM_400000_NS6detail17trampoline_kernelINS0_14default_configENS1_25partition_config_selectorILNS1_17partition_subalgoE8EN3c104HalfENS0_10empty_typeEbEEZZNS1_14partition_implILS5_8ELb0ES3_jPKS7_PS8_PKS8_NS0_5tupleIJPS7_S8_EEENSG_IJSD_SD_EEENS0_18inequality_wrapperIN6hipcub16HIPCUB_304000_NS8EqualityEEEPlJS8_EEE10hipError_tPvRmT3_T4_T5_T6_T7_T9_mT8_P12ihipStream_tbDpT10_ENKUlT_T0_E_clISt17integral_constantIbLb0EES19_EEDaS14_S15_EUlS14_E_NS1_11comp_targetILNS1_3genE2ELNS1_11target_archE906ELNS1_3gpuE6ELNS1_3repE0EEENS1_30default_config_static_selectorELNS0_4arch9wavefront6targetE1EEEvT1_,"axG",@progbits,_ZN7rocprim17ROCPRIM_400000_NS6detail17trampoline_kernelINS0_14default_configENS1_25partition_config_selectorILNS1_17partition_subalgoE8EN3c104HalfENS0_10empty_typeEbEEZZNS1_14partition_implILS5_8ELb0ES3_jPKS7_PS8_PKS8_NS0_5tupleIJPS7_S8_EEENSG_IJSD_SD_EEENS0_18inequality_wrapperIN6hipcub16HIPCUB_304000_NS8EqualityEEEPlJS8_EEE10hipError_tPvRmT3_T4_T5_T6_T7_T9_mT8_P12ihipStream_tbDpT10_ENKUlT_T0_E_clISt17integral_constantIbLb0EES19_EEDaS14_S15_EUlS14_E_NS1_11comp_targetILNS1_3genE2ELNS1_11target_archE906ELNS1_3gpuE6ELNS1_3repE0EEENS1_30default_config_static_selectorELNS0_4arch9wavefront6targetE1EEEvT1_,comdat
.Lfunc_end897:
	.size	_ZN7rocprim17ROCPRIM_400000_NS6detail17trampoline_kernelINS0_14default_configENS1_25partition_config_selectorILNS1_17partition_subalgoE8EN3c104HalfENS0_10empty_typeEbEEZZNS1_14partition_implILS5_8ELb0ES3_jPKS7_PS8_PKS8_NS0_5tupleIJPS7_S8_EEENSG_IJSD_SD_EEENS0_18inequality_wrapperIN6hipcub16HIPCUB_304000_NS8EqualityEEEPlJS8_EEE10hipError_tPvRmT3_T4_T5_T6_T7_T9_mT8_P12ihipStream_tbDpT10_ENKUlT_T0_E_clISt17integral_constantIbLb0EES19_EEDaS14_S15_EUlS14_E_NS1_11comp_targetILNS1_3genE2ELNS1_11target_archE906ELNS1_3gpuE6ELNS1_3repE0EEENS1_30default_config_static_selectorELNS0_4arch9wavefront6targetE1EEEvT1_, .Lfunc_end897-_ZN7rocprim17ROCPRIM_400000_NS6detail17trampoline_kernelINS0_14default_configENS1_25partition_config_selectorILNS1_17partition_subalgoE8EN3c104HalfENS0_10empty_typeEbEEZZNS1_14partition_implILS5_8ELb0ES3_jPKS7_PS8_PKS8_NS0_5tupleIJPS7_S8_EEENSG_IJSD_SD_EEENS0_18inequality_wrapperIN6hipcub16HIPCUB_304000_NS8EqualityEEEPlJS8_EEE10hipError_tPvRmT3_T4_T5_T6_T7_T9_mT8_P12ihipStream_tbDpT10_ENKUlT_T0_E_clISt17integral_constantIbLb0EES19_EEDaS14_S15_EUlS14_E_NS1_11comp_targetILNS1_3genE2ELNS1_11target_archE906ELNS1_3gpuE6ELNS1_3repE0EEENS1_30default_config_static_selectorELNS0_4arch9wavefront6targetE1EEEvT1_
                                        ; -- End function
	.section	.AMDGPU.csdata,"",@progbits
; Kernel info:
; codeLenInByte = 0
; NumSgprs: 6
; NumVgprs: 0
; NumAgprs: 0
; TotalNumVgprs: 0
; ScratchSize: 0
; MemoryBound: 0
; FloatMode: 240
; IeeeMode: 1
; LDSByteSize: 0 bytes/workgroup (compile time only)
; SGPRBlocks: 0
; VGPRBlocks: 0
; NumSGPRsForWavesPerEU: 6
; NumVGPRsForWavesPerEU: 1
; AccumOffset: 4
; Occupancy: 8
; WaveLimiterHint : 0
; COMPUTE_PGM_RSRC2:SCRATCH_EN: 0
; COMPUTE_PGM_RSRC2:USER_SGPR: 2
; COMPUTE_PGM_RSRC2:TRAP_HANDLER: 0
; COMPUTE_PGM_RSRC2:TGID_X_EN: 1
; COMPUTE_PGM_RSRC2:TGID_Y_EN: 0
; COMPUTE_PGM_RSRC2:TGID_Z_EN: 0
; COMPUTE_PGM_RSRC2:TIDIG_COMP_CNT: 0
; COMPUTE_PGM_RSRC3_GFX90A:ACCUM_OFFSET: 0
; COMPUTE_PGM_RSRC3_GFX90A:TG_SPLIT: 0
	.section	.text._ZN7rocprim17ROCPRIM_400000_NS6detail17trampoline_kernelINS0_14default_configENS1_25partition_config_selectorILNS1_17partition_subalgoE8EN3c104HalfENS0_10empty_typeEbEEZZNS1_14partition_implILS5_8ELb0ES3_jPKS7_PS8_PKS8_NS0_5tupleIJPS7_S8_EEENSG_IJSD_SD_EEENS0_18inequality_wrapperIN6hipcub16HIPCUB_304000_NS8EqualityEEEPlJS8_EEE10hipError_tPvRmT3_T4_T5_T6_T7_T9_mT8_P12ihipStream_tbDpT10_ENKUlT_T0_E_clISt17integral_constantIbLb0EES19_EEDaS14_S15_EUlS14_E_NS1_11comp_targetILNS1_3genE10ELNS1_11target_archE1200ELNS1_3gpuE4ELNS1_3repE0EEENS1_30default_config_static_selectorELNS0_4arch9wavefront6targetE1EEEvT1_,"axG",@progbits,_ZN7rocprim17ROCPRIM_400000_NS6detail17trampoline_kernelINS0_14default_configENS1_25partition_config_selectorILNS1_17partition_subalgoE8EN3c104HalfENS0_10empty_typeEbEEZZNS1_14partition_implILS5_8ELb0ES3_jPKS7_PS8_PKS8_NS0_5tupleIJPS7_S8_EEENSG_IJSD_SD_EEENS0_18inequality_wrapperIN6hipcub16HIPCUB_304000_NS8EqualityEEEPlJS8_EEE10hipError_tPvRmT3_T4_T5_T6_T7_T9_mT8_P12ihipStream_tbDpT10_ENKUlT_T0_E_clISt17integral_constantIbLb0EES19_EEDaS14_S15_EUlS14_E_NS1_11comp_targetILNS1_3genE10ELNS1_11target_archE1200ELNS1_3gpuE4ELNS1_3repE0EEENS1_30default_config_static_selectorELNS0_4arch9wavefront6targetE1EEEvT1_,comdat
	.protected	_ZN7rocprim17ROCPRIM_400000_NS6detail17trampoline_kernelINS0_14default_configENS1_25partition_config_selectorILNS1_17partition_subalgoE8EN3c104HalfENS0_10empty_typeEbEEZZNS1_14partition_implILS5_8ELb0ES3_jPKS7_PS8_PKS8_NS0_5tupleIJPS7_S8_EEENSG_IJSD_SD_EEENS0_18inequality_wrapperIN6hipcub16HIPCUB_304000_NS8EqualityEEEPlJS8_EEE10hipError_tPvRmT3_T4_T5_T6_T7_T9_mT8_P12ihipStream_tbDpT10_ENKUlT_T0_E_clISt17integral_constantIbLb0EES19_EEDaS14_S15_EUlS14_E_NS1_11comp_targetILNS1_3genE10ELNS1_11target_archE1200ELNS1_3gpuE4ELNS1_3repE0EEENS1_30default_config_static_selectorELNS0_4arch9wavefront6targetE1EEEvT1_ ; -- Begin function _ZN7rocprim17ROCPRIM_400000_NS6detail17trampoline_kernelINS0_14default_configENS1_25partition_config_selectorILNS1_17partition_subalgoE8EN3c104HalfENS0_10empty_typeEbEEZZNS1_14partition_implILS5_8ELb0ES3_jPKS7_PS8_PKS8_NS0_5tupleIJPS7_S8_EEENSG_IJSD_SD_EEENS0_18inequality_wrapperIN6hipcub16HIPCUB_304000_NS8EqualityEEEPlJS8_EEE10hipError_tPvRmT3_T4_T5_T6_T7_T9_mT8_P12ihipStream_tbDpT10_ENKUlT_T0_E_clISt17integral_constantIbLb0EES19_EEDaS14_S15_EUlS14_E_NS1_11comp_targetILNS1_3genE10ELNS1_11target_archE1200ELNS1_3gpuE4ELNS1_3repE0EEENS1_30default_config_static_selectorELNS0_4arch9wavefront6targetE1EEEvT1_
	.globl	_ZN7rocprim17ROCPRIM_400000_NS6detail17trampoline_kernelINS0_14default_configENS1_25partition_config_selectorILNS1_17partition_subalgoE8EN3c104HalfENS0_10empty_typeEbEEZZNS1_14partition_implILS5_8ELb0ES3_jPKS7_PS8_PKS8_NS0_5tupleIJPS7_S8_EEENSG_IJSD_SD_EEENS0_18inequality_wrapperIN6hipcub16HIPCUB_304000_NS8EqualityEEEPlJS8_EEE10hipError_tPvRmT3_T4_T5_T6_T7_T9_mT8_P12ihipStream_tbDpT10_ENKUlT_T0_E_clISt17integral_constantIbLb0EES19_EEDaS14_S15_EUlS14_E_NS1_11comp_targetILNS1_3genE10ELNS1_11target_archE1200ELNS1_3gpuE4ELNS1_3repE0EEENS1_30default_config_static_selectorELNS0_4arch9wavefront6targetE1EEEvT1_
	.p2align	8
	.type	_ZN7rocprim17ROCPRIM_400000_NS6detail17trampoline_kernelINS0_14default_configENS1_25partition_config_selectorILNS1_17partition_subalgoE8EN3c104HalfENS0_10empty_typeEbEEZZNS1_14partition_implILS5_8ELb0ES3_jPKS7_PS8_PKS8_NS0_5tupleIJPS7_S8_EEENSG_IJSD_SD_EEENS0_18inequality_wrapperIN6hipcub16HIPCUB_304000_NS8EqualityEEEPlJS8_EEE10hipError_tPvRmT3_T4_T5_T6_T7_T9_mT8_P12ihipStream_tbDpT10_ENKUlT_T0_E_clISt17integral_constantIbLb0EES19_EEDaS14_S15_EUlS14_E_NS1_11comp_targetILNS1_3genE10ELNS1_11target_archE1200ELNS1_3gpuE4ELNS1_3repE0EEENS1_30default_config_static_selectorELNS0_4arch9wavefront6targetE1EEEvT1_,@function
_ZN7rocprim17ROCPRIM_400000_NS6detail17trampoline_kernelINS0_14default_configENS1_25partition_config_selectorILNS1_17partition_subalgoE8EN3c104HalfENS0_10empty_typeEbEEZZNS1_14partition_implILS5_8ELb0ES3_jPKS7_PS8_PKS8_NS0_5tupleIJPS7_S8_EEENSG_IJSD_SD_EEENS0_18inequality_wrapperIN6hipcub16HIPCUB_304000_NS8EqualityEEEPlJS8_EEE10hipError_tPvRmT3_T4_T5_T6_T7_T9_mT8_P12ihipStream_tbDpT10_ENKUlT_T0_E_clISt17integral_constantIbLb0EES19_EEDaS14_S15_EUlS14_E_NS1_11comp_targetILNS1_3genE10ELNS1_11target_archE1200ELNS1_3gpuE4ELNS1_3repE0EEENS1_30default_config_static_selectorELNS0_4arch9wavefront6targetE1EEEvT1_: ; @_ZN7rocprim17ROCPRIM_400000_NS6detail17trampoline_kernelINS0_14default_configENS1_25partition_config_selectorILNS1_17partition_subalgoE8EN3c104HalfENS0_10empty_typeEbEEZZNS1_14partition_implILS5_8ELb0ES3_jPKS7_PS8_PKS8_NS0_5tupleIJPS7_S8_EEENSG_IJSD_SD_EEENS0_18inequality_wrapperIN6hipcub16HIPCUB_304000_NS8EqualityEEEPlJS8_EEE10hipError_tPvRmT3_T4_T5_T6_T7_T9_mT8_P12ihipStream_tbDpT10_ENKUlT_T0_E_clISt17integral_constantIbLb0EES19_EEDaS14_S15_EUlS14_E_NS1_11comp_targetILNS1_3genE10ELNS1_11target_archE1200ELNS1_3gpuE4ELNS1_3repE0EEENS1_30default_config_static_selectorELNS0_4arch9wavefront6targetE1EEEvT1_
; %bb.0:
	.section	.rodata,"a",@progbits
	.p2align	6, 0x0
	.amdhsa_kernel _ZN7rocprim17ROCPRIM_400000_NS6detail17trampoline_kernelINS0_14default_configENS1_25partition_config_selectorILNS1_17partition_subalgoE8EN3c104HalfENS0_10empty_typeEbEEZZNS1_14partition_implILS5_8ELb0ES3_jPKS7_PS8_PKS8_NS0_5tupleIJPS7_S8_EEENSG_IJSD_SD_EEENS0_18inequality_wrapperIN6hipcub16HIPCUB_304000_NS8EqualityEEEPlJS8_EEE10hipError_tPvRmT3_T4_T5_T6_T7_T9_mT8_P12ihipStream_tbDpT10_ENKUlT_T0_E_clISt17integral_constantIbLb0EES19_EEDaS14_S15_EUlS14_E_NS1_11comp_targetILNS1_3genE10ELNS1_11target_archE1200ELNS1_3gpuE4ELNS1_3repE0EEENS1_30default_config_static_selectorELNS0_4arch9wavefront6targetE1EEEvT1_
		.amdhsa_group_segment_fixed_size 0
		.amdhsa_private_segment_fixed_size 0
		.amdhsa_kernarg_size 112
		.amdhsa_user_sgpr_count 2
		.amdhsa_user_sgpr_dispatch_ptr 0
		.amdhsa_user_sgpr_queue_ptr 0
		.amdhsa_user_sgpr_kernarg_segment_ptr 1
		.amdhsa_user_sgpr_dispatch_id 0
		.amdhsa_user_sgpr_kernarg_preload_length 0
		.amdhsa_user_sgpr_kernarg_preload_offset 0
		.amdhsa_user_sgpr_private_segment_size 0
		.amdhsa_uses_dynamic_stack 0
		.amdhsa_enable_private_segment 0
		.amdhsa_system_sgpr_workgroup_id_x 1
		.amdhsa_system_sgpr_workgroup_id_y 0
		.amdhsa_system_sgpr_workgroup_id_z 0
		.amdhsa_system_sgpr_workgroup_info 0
		.amdhsa_system_vgpr_workitem_id 0
		.amdhsa_next_free_vgpr 1
		.amdhsa_next_free_sgpr 0
		.amdhsa_accum_offset 4
		.amdhsa_reserve_vcc 0
		.amdhsa_float_round_mode_32 0
		.amdhsa_float_round_mode_16_64 0
		.amdhsa_float_denorm_mode_32 3
		.amdhsa_float_denorm_mode_16_64 3
		.amdhsa_dx10_clamp 1
		.amdhsa_ieee_mode 1
		.amdhsa_fp16_overflow 0
		.amdhsa_tg_split 0
		.amdhsa_exception_fp_ieee_invalid_op 0
		.amdhsa_exception_fp_denorm_src 0
		.amdhsa_exception_fp_ieee_div_zero 0
		.amdhsa_exception_fp_ieee_overflow 0
		.amdhsa_exception_fp_ieee_underflow 0
		.amdhsa_exception_fp_ieee_inexact 0
		.amdhsa_exception_int_div_zero 0
	.end_amdhsa_kernel
	.section	.text._ZN7rocprim17ROCPRIM_400000_NS6detail17trampoline_kernelINS0_14default_configENS1_25partition_config_selectorILNS1_17partition_subalgoE8EN3c104HalfENS0_10empty_typeEbEEZZNS1_14partition_implILS5_8ELb0ES3_jPKS7_PS8_PKS8_NS0_5tupleIJPS7_S8_EEENSG_IJSD_SD_EEENS0_18inequality_wrapperIN6hipcub16HIPCUB_304000_NS8EqualityEEEPlJS8_EEE10hipError_tPvRmT3_T4_T5_T6_T7_T9_mT8_P12ihipStream_tbDpT10_ENKUlT_T0_E_clISt17integral_constantIbLb0EES19_EEDaS14_S15_EUlS14_E_NS1_11comp_targetILNS1_3genE10ELNS1_11target_archE1200ELNS1_3gpuE4ELNS1_3repE0EEENS1_30default_config_static_selectorELNS0_4arch9wavefront6targetE1EEEvT1_,"axG",@progbits,_ZN7rocprim17ROCPRIM_400000_NS6detail17trampoline_kernelINS0_14default_configENS1_25partition_config_selectorILNS1_17partition_subalgoE8EN3c104HalfENS0_10empty_typeEbEEZZNS1_14partition_implILS5_8ELb0ES3_jPKS7_PS8_PKS8_NS0_5tupleIJPS7_S8_EEENSG_IJSD_SD_EEENS0_18inequality_wrapperIN6hipcub16HIPCUB_304000_NS8EqualityEEEPlJS8_EEE10hipError_tPvRmT3_T4_T5_T6_T7_T9_mT8_P12ihipStream_tbDpT10_ENKUlT_T0_E_clISt17integral_constantIbLb0EES19_EEDaS14_S15_EUlS14_E_NS1_11comp_targetILNS1_3genE10ELNS1_11target_archE1200ELNS1_3gpuE4ELNS1_3repE0EEENS1_30default_config_static_selectorELNS0_4arch9wavefront6targetE1EEEvT1_,comdat
.Lfunc_end898:
	.size	_ZN7rocprim17ROCPRIM_400000_NS6detail17trampoline_kernelINS0_14default_configENS1_25partition_config_selectorILNS1_17partition_subalgoE8EN3c104HalfENS0_10empty_typeEbEEZZNS1_14partition_implILS5_8ELb0ES3_jPKS7_PS8_PKS8_NS0_5tupleIJPS7_S8_EEENSG_IJSD_SD_EEENS0_18inequality_wrapperIN6hipcub16HIPCUB_304000_NS8EqualityEEEPlJS8_EEE10hipError_tPvRmT3_T4_T5_T6_T7_T9_mT8_P12ihipStream_tbDpT10_ENKUlT_T0_E_clISt17integral_constantIbLb0EES19_EEDaS14_S15_EUlS14_E_NS1_11comp_targetILNS1_3genE10ELNS1_11target_archE1200ELNS1_3gpuE4ELNS1_3repE0EEENS1_30default_config_static_selectorELNS0_4arch9wavefront6targetE1EEEvT1_, .Lfunc_end898-_ZN7rocprim17ROCPRIM_400000_NS6detail17trampoline_kernelINS0_14default_configENS1_25partition_config_selectorILNS1_17partition_subalgoE8EN3c104HalfENS0_10empty_typeEbEEZZNS1_14partition_implILS5_8ELb0ES3_jPKS7_PS8_PKS8_NS0_5tupleIJPS7_S8_EEENSG_IJSD_SD_EEENS0_18inequality_wrapperIN6hipcub16HIPCUB_304000_NS8EqualityEEEPlJS8_EEE10hipError_tPvRmT3_T4_T5_T6_T7_T9_mT8_P12ihipStream_tbDpT10_ENKUlT_T0_E_clISt17integral_constantIbLb0EES19_EEDaS14_S15_EUlS14_E_NS1_11comp_targetILNS1_3genE10ELNS1_11target_archE1200ELNS1_3gpuE4ELNS1_3repE0EEENS1_30default_config_static_selectorELNS0_4arch9wavefront6targetE1EEEvT1_
                                        ; -- End function
	.section	.AMDGPU.csdata,"",@progbits
; Kernel info:
; codeLenInByte = 0
; NumSgprs: 6
; NumVgprs: 0
; NumAgprs: 0
; TotalNumVgprs: 0
; ScratchSize: 0
; MemoryBound: 0
; FloatMode: 240
; IeeeMode: 1
; LDSByteSize: 0 bytes/workgroup (compile time only)
; SGPRBlocks: 0
; VGPRBlocks: 0
; NumSGPRsForWavesPerEU: 6
; NumVGPRsForWavesPerEU: 1
; AccumOffset: 4
; Occupancy: 8
; WaveLimiterHint : 0
; COMPUTE_PGM_RSRC2:SCRATCH_EN: 0
; COMPUTE_PGM_RSRC2:USER_SGPR: 2
; COMPUTE_PGM_RSRC2:TRAP_HANDLER: 0
; COMPUTE_PGM_RSRC2:TGID_X_EN: 1
; COMPUTE_PGM_RSRC2:TGID_Y_EN: 0
; COMPUTE_PGM_RSRC2:TGID_Z_EN: 0
; COMPUTE_PGM_RSRC2:TIDIG_COMP_CNT: 0
; COMPUTE_PGM_RSRC3_GFX90A:ACCUM_OFFSET: 0
; COMPUTE_PGM_RSRC3_GFX90A:TG_SPLIT: 0
	.section	.text._ZN7rocprim17ROCPRIM_400000_NS6detail17trampoline_kernelINS0_14default_configENS1_25partition_config_selectorILNS1_17partition_subalgoE8EN3c104HalfENS0_10empty_typeEbEEZZNS1_14partition_implILS5_8ELb0ES3_jPKS7_PS8_PKS8_NS0_5tupleIJPS7_S8_EEENSG_IJSD_SD_EEENS0_18inequality_wrapperIN6hipcub16HIPCUB_304000_NS8EqualityEEEPlJS8_EEE10hipError_tPvRmT3_T4_T5_T6_T7_T9_mT8_P12ihipStream_tbDpT10_ENKUlT_T0_E_clISt17integral_constantIbLb0EES19_EEDaS14_S15_EUlS14_E_NS1_11comp_targetILNS1_3genE9ELNS1_11target_archE1100ELNS1_3gpuE3ELNS1_3repE0EEENS1_30default_config_static_selectorELNS0_4arch9wavefront6targetE1EEEvT1_,"axG",@progbits,_ZN7rocprim17ROCPRIM_400000_NS6detail17trampoline_kernelINS0_14default_configENS1_25partition_config_selectorILNS1_17partition_subalgoE8EN3c104HalfENS0_10empty_typeEbEEZZNS1_14partition_implILS5_8ELb0ES3_jPKS7_PS8_PKS8_NS0_5tupleIJPS7_S8_EEENSG_IJSD_SD_EEENS0_18inequality_wrapperIN6hipcub16HIPCUB_304000_NS8EqualityEEEPlJS8_EEE10hipError_tPvRmT3_T4_T5_T6_T7_T9_mT8_P12ihipStream_tbDpT10_ENKUlT_T0_E_clISt17integral_constantIbLb0EES19_EEDaS14_S15_EUlS14_E_NS1_11comp_targetILNS1_3genE9ELNS1_11target_archE1100ELNS1_3gpuE3ELNS1_3repE0EEENS1_30default_config_static_selectorELNS0_4arch9wavefront6targetE1EEEvT1_,comdat
	.protected	_ZN7rocprim17ROCPRIM_400000_NS6detail17trampoline_kernelINS0_14default_configENS1_25partition_config_selectorILNS1_17partition_subalgoE8EN3c104HalfENS0_10empty_typeEbEEZZNS1_14partition_implILS5_8ELb0ES3_jPKS7_PS8_PKS8_NS0_5tupleIJPS7_S8_EEENSG_IJSD_SD_EEENS0_18inequality_wrapperIN6hipcub16HIPCUB_304000_NS8EqualityEEEPlJS8_EEE10hipError_tPvRmT3_T4_T5_T6_T7_T9_mT8_P12ihipStream_tbDpT10_ENKUlT_T0_E_clISt17integral_constantIbLb0EES19_EEDaS14_S15_EUlS14_E_NS1_11comp_targetILNS1_3genE9ELNS1_11target_archE1100ELNS1_3gpuE3ELNS1_3repE0EEENS1_30default_config_static_selectorELNS0_4arch9wavefront6targetE1EEEvT1_ ; -- Begin function _ZN7rocprim17ROCPRIM_400000_NS6detail17trampoline_kernelINS0_14default_configENS1_25partition_config_selectorILNS1_17partition_subalgoE8EN3c104HalfENS0_10empty_typeEbEEZZNS1_14partition_implILS5_8ELb0ES3_jPKS7_PS8_PKS8_NS0_5tupleIJPS7_S8_EEENSG_IJSD_SD_EEENS0_18inequality_wrapperIN6hipcub16HIPCUB_304000_NS8EqualityEEEPlJS8_EEE10hipError_tPvRmT3_T4_T5_T6_T7_T9_mT8_P12ihipStream_tbDpT10_ENKUlT_T0_E_clISt17integral_constantIbLb0EES19_EEDaS14_S15_EUlS14_E_NS1_11comp_targetILNS1_3genE9ELNS1_11target_archE1100ELNS1_3gpuE3ELNS1_3repE0EEENS1_30default_config_static_selectorELNS0_4arch9wavefront6targetE1EEEvT1_
	.globl	_ZN7rocprim17ROCPRIM_400000_NS6detail17trampoline_kernelINS0_14default_configENS1_25partition_config_selectorILNS1_17partition_subalgoE8EN3c104HalfENS0_10empty_typeEbEEZZNS1_14partition_implILS5_8ELb0ES3_jPKS7_PS8_PKS8_NS0_5tupleIJPS7_S8_EEENSG_IJSD_SD_EEENS0_18inequality_wrapperIN6hipcub16HIPCUB_304000_NS8EqualityEEEPlJS8_EEE10hipError_tPvRmT3_T4_T5_T6_T7_T9_mT8_P12ihipStream_tbDpT10_ENKUlT_T0_E_clISt17integral_constantIbLb0EES19_EEDaS14_S15_EUlS14_E_NS1_11comp_targetILNS1_3genE9ELNS1_11target_archE1100ELNS1_3gpuE3ELNS1_3repE0EEENS1_30default_config_static_selectorELNS0_4arch9wavefront6targetE1EEEvT1_
	.p2align	8
	.type	_ZN7rocprim17ROCPRIM_400000_NS6detail17trampoline_kernelINS0_14default_configENS1_25partition_config_selectorILNS1_17partition_subalgoE8EN3c104HalfENS0_10empty_typeEbEEZZNS1_14partition_implILS5_8ELb0ES3_jPKS7_PS8_PKS8_NS0_5tupleIJPS7_S8_EEENSG_IJSD_SD_EEENS0_18inequality_wrapperIN6hipcub16HIPCUB_304000_NS8EqualityEEEPlJS8_EEE10hipError_tPvRmT3_T4_T5_T6_T7_T9_mT8_P12ihipStream_tbDpT10_ENKUlT_T0_E_clISt17integral_constantIbLb0EES19_EEDaS14_S15_EUlS14_E_NS1_11comp_targetILNS1_3genE9ELNS1_11target_archE1100ELNS1_3gpuE3ELNS1_3repE0EEENS1_30default_config_static_selectorELNS0_4arch9wavefront6targetE1EEEvT1_,@function
_ZN7rocprim17ROCPRIM_400000_NS6detail17trampoline_kernelINS0_14default_configENS1_25partition_config_selectorILNS1_17partition_subalgoE8EN3c104HalfENS0_10empty_typeEbEEZZNS1_14partition_implILS5_8ELb0ES3_jPKS7_PS8_PKS8_NS0_5tupleIJPS7_S8_EEENSG_IJSD_SD_EEENS0_18inequality_wrapperIN6hipcub16HIPCUB_304000_NS8EqualityEEEPlJS8_EEE10hipError_tPvRmT3_T4_T5_T6_T7_T9_mT8_P12ihipStream_tbDpT10_ENKUlT_T0_E_clISt17integral_constantIbLb0EES19_EEDaS14_S15_EUlS14_E_NS1_11comp_targetILNS1_3genE9ELNS1_11target_archE1100ELNS1_3gpuE3ELNS1_3repE0EEENS1_30default_config_static_selectorELNS0_4arch9wavefront6targetE1EEEvT1_: ; @_ZN7rocprim17ROCPRIM_400000_NS6detail17trampoline_kernelINS0_14default_configENS1_25partition_config_selectorILNS1_17partition_subalgoE8EN3c104HalfENS0_10empty_typeEbEEZZNS1_14partition_implILS5_8ELb0ES3_jPKS7_PS8_PKS8_NS0_5tupleIJPS7_S8_EEENSG_IJSD_SD_EEENS0_18inequality_wrapperIN6hipcub16HIPCUB_304000_NS8EqualityEEEPlJS8_EEE10hipError_tPvRmT3_T4_T5_T6_T7_T9_mT8_P12ihipStream_tbDpT10_ENKUlT_T0_E_clISt17integral_constantIbLb0EES19_EEDaS14_S15_EUlS14_E_NS1_11comp_targetILNS1_3genE9ELNS1_11target_archE1100ELNS1_3gpuE3ELNS1_3repE0EEENS1_30default_config_static_selectorELNS0_4arch9wavefront6targetE1EEEvT1_
; %bb.0:
	.section	.rodata,"a",@progbits
	.p2align	6, 0x0
	.amdhsa_kernel _ZN7rocprim17ROCPRIM_400000_NS6detail17trampoline_kernelINS0_14default_configENS1_25partition_config_selectorILNS1_17partition_subalgoE8EN3c104HalfENS0_10empty_typeEbEEZZNS1_14partition_implILS5_8ELb0ES3_jPKS7_PS8_PKS8_NS0_5tupleIJPS7_S8_EEENSG_IJSD_SD_EEENS0_18inequality_wrapperIN6hipcub16HIPCUB_304000_NS8EqualityEEEPlJS8_EEE10hipError_tPvRmT3_T4_T5_T6_T7_T9_mT8_P12ihipStream_tbDpT10_ENKUlT_T0_E_clISt17integral_constantIbLb0EES19_EEDaS14_S15_EUlS14_E_NS1_11comp_targetILNS1_3genE9ELNS1_11target_archE1100ELNS1_3gpuE3ELNS1_3repE0EEENS1_30default_config_static_selectorELNS0_4arch9wavefront6targetE1EEEvT1_
		.amdhsa_group_segment_fixed_size 0
		.amdhsa_private_segment_fixed_size 0
		.amdhsa_kernarg_size 112
		.amdhsa_user_sgpr_count 2
		.amdhsa_user_sgpr_dispatch_ptr 0
		.amdhsa_user_sgpr_queue_ptr 0
		.amdhsa_user_sgpr_kernarg_segment_ptr 1
		.amdhsa_user_sgpr_dispatch_id 0
		.amdhsa_user_sgpr_kernarg_preload_length 0
		.amdhsa_user_sgpr_kernarg_preload_offset 0
		.amdhsa_user_sgpr_private_segment_size 0
		.amdhsa_uses_dynamic_stack 0
		.amdhsa_enable_private_segment 0
		.amdhsa_system_sgpr_workgroup_id_x 1
		.amdhsa_system_sgpr_workgroup_id_y 0
		.amdhsa_system_sgpr_workgroup_id_z 0
		.amdhsa_system_sgpr_workgroup_info 0
		.amdhsa_system_vgpr_workitem_id 0
		.amdhsa_next_free_vgpr 1
		.amdhsa_next_free_sgpr 0
		.amdhsa_accum_offset 4
		.amdhsa_reserve_vcc 0
		.amdhsa_float_round_mode_32 0
		.amdhsa_float_round_mode_16_64 0
		.amdhsa_float_denorm_mode_32 3
		.amdhsa_float_denorm_mode_16_64 3
		.amdhsa_dx10_clamp 1
		.amdhsa_ieee_mode 1
		.amdhsa_fp16_overflow 0
		.amdhsa_tg_split 0
		.amdhsa_exception_fp_ieee_invalid_op 0
		.amdhsa_exception_fp_denorm_src 0
		.amdhsa_exception_fp_ieee_div_zero 0
		.amdhsa_exception_fp_ieee_overflow 0
		.amdhsa_exception_fp_ieee_underflow 0
		.amdhsa_exception_fp_ieee_inexact 0
		.amdhsa_exception_int_div_zero 0
	.end_amdhsa_kernel
	.section	.text._ZN7rocprim17ROCPRIM_400000_NS6detail17trampoline_kernelINS0_14default_configENS1_25partition_config_selectorILNS1_17partition_subalgoE8EN3c104HalfENS0_10empty_typeEbEEZZNS1_14partition_implILS5_8ELb0ES3_jPKS7_PS8_PKS8_NS0_5tupleIJPS7_S8_EEENSG_IJSD_SD_EEENS0_18inequality_wrapperIN6hipcub16HIPCUB_304000_NS8EqualityEEEPlJS8_EEE10hipError_tPvRmT3_T4_T5_T6_T7_T9_mT8_P12ihipStream_tbDpT10_ENKUlT_T0_E_clISt17integral_constantIbLb0EES19_EEDaS14_S15_EUlS14_E_NS1_11comp_targetILNS1_3genE9ELNS1_11target_archE1100ELNS1_3gpuE3ELNS1_3repE0EEENS1_30default_config_static_selectorELNS0_4arch9wavefront6targetE1EEEvT1_,"axG",@progbits,_ZN7rocprim17ROCPRIM_400000_NS6detail17trampoline_kernelINS0_14default_configENS1_25partition_config_selectorILNS1_17partition_subalgoE8EN3c104HalfENS0_10empty_typeEbEEZZNS1_14partition_implILS5_8ELb0ES3_jPKS7_PS8_PKS8_NS0_5tupleIJPS7_S8_EEENSG_IJSD_SD_EEENS0_18inequality_wrapperIN6hipcub16HIPCUB_304000_NS8EqualityEEEPlJS8_EEE10hipError_tPvRmT3_T4_T5_T6_T7_T9_mT8_P12ihipStream_tbDpT10_ENKUlT_T0_E_clISt17integral_constantIbLb0EES19_EEDaS14_S15_EUlS14_E_NS1_11comp_targetILNS1_3genE9ELNS1_11target_archE1100ELNS1_3gpuE3ELNS1_3repE0EEENS1_30default_config_static_selectorELNS0_4arch9wavefront6targetE1EEEvT1_,comdat
.Lfunc_end899:
	.size	_ZN7rocprim17ROCPRIM_400000_NS6detail17trampoline_kernelINS0_14default_configENS1_25partition_config_selectorILNS1_17partition_subalgoE8EN3c104HalfENS0_10empty_typeEbEEZZNS1_14partition_implILS5_8ELb0ES3_jPKS7_PS8_PKS8_NS0_5tupleIJPS7_S8_EEENSG_IJSD_SD_EEENS0_18inequality_wrapperIN6hipcub16HIPCUB_304000_NS8EqualityEEEPlJS8_EEE10hipError_tPvRmT3_T4_T5_T6_T7_T9_mT8_P12ihipStream_tbDpT10_ENKUlT_T0_E_clISt17integral_constantIbLb0EES19_EEDaS14_S15_EUlS14_E_NS1_11comp_targetILNS1_3genE9ELNS1_11target_archE1100ELNS1_3gpuE3ELNS1_3repE0EEENS1_30default_config_static_selectorELNS0_4arch9wavefront6targetE1EEEvT1_, .Lfunc_end899-_ZN7rocprim17ROCPRIM_400000_NS6detail17trampoline_kernelINS0_14default_configENS1_25partition_config_selectorILNS1_17partition_subalgoE8EN3c104HalfENS0_10empty_typeEbEEZZNS1_14partition_implILS5_8ELb0ES3_jPKS7_PS8_PKS8_NS0_5tupleIJPS7_S8_EEENSG_IJSD_SD_EEENS0_18inequality_wrapperIN6hipcub16HIPCUB_304000_NS8EqualityEEEPlJS8_EEE10hipError_tPvRmT3_T4_T5_T6_T7_T9_mT8_P12ihipStream_tbDpT10_ENKUlT_T0_E_clISt17integral_constantIbLb0EES19_EEDaS14_S15_EUlS14_E_NS1_11comp_targetILNS1_3genE9ELNS1_11target_archE1100ELNS1_3gpuE3ELNS1_3repE0EEENS1_30default_config_static_selectorELNS0_4arch9wavefront6targetE1EEEvT1_
                                        ; -- End function
	.section	.AMDGPU.csdata,"",@progbits
; Kernel info:
; codeLenInByte = 0
; NumSgprs: 6
; NumVgprs: 0
; NumAgprs: 0
; TotalNumVgprs: 0
; ScratchSize: 0
; MemoryBound: 0
; FloatMode: 240
; IeeeMode: 1
; LDSByteSize: 0 bytes/workgroup (compile time only)
; SGPRBlocks: 0
; VGPRBlocks: 0
; NumSGPRsForWavesPerEU: 6
; NumVGPRsForWavesPerEU: 1
; AccumOffset: 4
; Occupancy: 8
; WaveLimiterHint : 0
; COMPUTE_PGM_RSRC2:SCRATCH_EN: 0
; COMPUTE_PGM_RSRC2:USER_SGPR: 2
; COMPUTE_PGM_RSRC2:TRAP_HANDLER: 0
; COMPUTE_PGM_RSRC2:TGID_X_EN: 1
; COMPUTE_PGM_RSRC2:TGID_Y_EN: 0
; COMPUTE_PGM_RSRC2:TGID_Z_EN: 0
; COMPUTE_PGM_RSRC2:TIDIG_COMP_CNT: 0
; COMPUTE_PGM_RSRC3_GFX90A:ACCUM_OFFSET: 0
; COMPUTE_PGM_RSRC3_GFX90A:TG_SPLIT: 0
	.section	.text._ZN7rocprim17ROCPRIM_400000_NS6detail17trampoline_kernelINS0_14default_configENS1_25partition_config_selectorILNS1_17partition_subalgoE8EN3c104HalfENS0_10empty_typeEbEEZZNS1_14partition_implILS5_8ELb0ES3_jPKS7_PS8_PKS8_NS0_5tupleIJPS7_S8_EEENSG_IJSD_SD_EEENS0_18inequality_wrapperIN6hipcub16HIPCUB_304000_NS8EqualityEEEPlJS8_EEE10hipError_tPvRmT3_T4_T5_T6_T7_T9_mT8_P12ihipStream_tbDpT10_ENKUlT_T0_E_clISt17integral_constantIbLb0EES19_EEDaS14_S15_EUlS14_E_NS1_11comp_targetILNS1_3genE8ELNS1_11target_archE1030ELNS1_3gpuE2ELNS1_3repE0EEENS1_30default_config_static_selectorELNS0_4arch9wavefront6targetE1EEEvT1_,"axG",@progbits,_ZN7rocprim17ROCPRIM_400000_NS6detail17trampoline_kernelINS0_14default_configENS1_25partition_config_selectorILNS1_17partition_subalgoE8EN3c104HalfENS0_10empty_typeEbEEZZNS1_14partition_implILS5_8ELb0ES3_jPKS7_PS8_PKS8_NS0_5tupleIJPS7_S8_EEENSG_IJSD_SD_EEENS0_18inequality_wrapperIN6hipcub16HIPCUB_304000_NS8EqualityEEEPlJS8_EEE10hipError_tPvRmT3_T4_T5_T6_T7_T9_mT8_P12ihipStream_tbDpT10_ENKUlT_T0_E_clISt17integral_constantIbLb0EES19_EEDaS14_S15_EUlS14_E_NS1_11comp_targetILNS1_3genE8ELNS1_11target_archE1030ELNS1_3gpuE2ELNS1_3repE0EEENS1_30default_config_static_selectorELNS0_4arch9wavefront6targetE1EEEvT1_,comdat
	.protected	_ZN7rocprim17ROCPRIM_400000_NS6detail17trampoline_kernelINS0_14default_configENS1_25partition_config_selectorILNS1_17partition_subalgoE8EN3c104HalfENS0_10empty_typeEbEEZZNS1_14partition_implILS5_8ELb0ES3_jPKS7_PS8_PKS8_NS0_5tupleIJPS7_S8_EEENSG_IJSD_SD_EEENS0_18inequality_wrapperIN6hipcub16HIPCUB_304000_NS8EqualityEEEPlJS8_EEE10hipError_tPvRmT3_T4_T5_T6_T7_T9_mT8_P12ihipStream_tbDpT10_ENKUlT_T0_E_clISt17integral_constantIbLb0EES19_EEDaS14_S15_EUlS14_E_NS1_11comp_targetILNS1_3genE8ELNS1_11target_archE1030ELNS1_3gpuE2ELNS1_3repE0EEENS1_30default_config_static_selectorELNS0_4arch9wavefront6targetE1EEEvT1_ ; -- Begin function _ZN7rocprim17ROCPRIM_400000_NS6detail17trampoline_kernelINS0_14default_configENS1_25partition_config_selectorILNS1_17partition_subalgoE8EN3c104HalfENS0_10empty_typeEbEEZZNS1_14partition_implILS5_8ELb0ES3_jPKS7_PS8_PKS8_NS0_5tupleIJPS7_S8_EEENSG_IJSD_SD_EEENS0_18inequality_wrapperIN6hipcub16HIPCUB_304000_NS8EqualityEEEPlJS8_EEE10hipError_tPvRmT3_T4_T5_T6_T7_T9_mT8_P12ihipStream_tbDpT10_ENKUlT_T0_E_clISt17integral_constantIbLb0EES19_EEDaS14_S15_EUlS14_E_NS1_11comp_targetILNS1_3genE8ELNS1_11target_archE1030ELNS1_3gpuE2ELNS1_3repE0EEENS1_30default_config_static_selectorELNS0_4arch9wavefront6targetE1EEEvT1_
	.globl	_ZN7rocprim17ROCPRIM_400000_NS6detail17trampoline_kernelINS0_14default_configENS1_25partition_config_selectorILNS1_17partition_subalgoE8EN3c104HalfENS0_10empty_typeEbEEZZNS1_14partition_implILS5_8ELb0ES3_jPKS7_PS8_PKS8_NS0_5tupleIJPS7_S8_EEENSG_IJSD_SD_EEENS0_18inequality_wrapperIN6hipcub16HIPCUB_304000_NS8EqualityEEEPlJS8_EEE10hipError_tPvRmT3_T4_T5_T6_T7_T9_mT8_P12ihipStream_tbDpT10_ENKUlT_T0_E_clISt17integral_constantIbLb0EES19_EEDaS14_S15_EUlS14_E_NS1_11comp_targetILNS1_3genE8ELNS1_11target_archE1030ELNS1_3gpuE2ELNS1_3repE0EEENS1_30default_config_static_selectorELNS0_4arch9wavefront6targetE1EEEvT1_
	.p2align	8
	.type	_ZN7rocprim17ROCPRIM_400000_NS6detail17trampoline_kernelINS0_14default_configENS1_25partition_config_selectorILNS1_17partition_subalgoE8EN3c104HalfENS0_10empty_typeEbEEZZNS1_14partition_implILS5_8ELb0ES3_jPKS7_PS8_PKS8_NS0_5tupleIJPS7_S8_EEENSG_IJSD_SD_EEENS0_18inequality_wrapperIN6hipcub16HIPCUB_304000_NS8EqualityEEEPlJS8_EEE10hipError_tPvRmT3_T4_T5_T6_T7_T9_mT8_P12ihipStream_tbDpT10_ENKUlT_T0_E_clISt17integral_constantIbLb0EES19_EEDaS14_S15_EUlS14_E_NS1_11comp_targetILNS1_3genE8ELNS1_11target_archE1030ELNS1_3gpuE2ELNS1_3repE0EEENS1_30default_config_static_selectorELNS0_4arch9wavefront6targetE1EEEvT1_,@function
_ZN7rocprim17ROCPRIM_400000_NS6detail17trampoline_kernelINS0_14default_configENS1_25partition_config_selectorILNS1_17partition_subalgoE8EN3c104HalfENS0_10empty_typeEbEEZZNS1_14partition_implILS5_8ELb0ES3_jPKS7_PS8_PKS8_NS0_5tupleIJPS7_S8_EEENSG_IJSD_SD_EEENS0_18inequality_wrapperIN6hipcub16HIPCUB_304000_NS8EqualityEEEPlJS8_EEE10hipError_tPvRmT3_T4_T5_T6_T7_T9_mT8_P12ihipStream_tbDpT10_ENKUlT_T0_E_clISt17integral_constantIbLb0EES19_EEDaS14_S15_EUlS14_E_NS1_11comp_targetILNS1_3genE8ELNS1_11target_archE1030ELNS1_3gpuE2ELNS1_3repE0EEENS1_30default_config_static_selectorELNS0_4arch9wavefront6targetE1EEEvT1_: ; @_ZN7rocprim17ROCPRIM_400000_NS6detail17trampoline_kernelINS0_14default_configENS1_25partition_config_selectorILNS1_17partition_subalgoE8EN3c104HalfENS0_10empty_typeEbEEZZNS1_14partition_implILS5_8ELb0ES3_jPKS7_PS8_PKS8_NS0_5tupleIJPS7_S8_EEENSG_IJSD_SD_EEENS0_18inequality_wrapperIN6hipcub16HIPCUB_304000_NS8EqualityEEEPlJS8_EEE10hipError_tPvRmT3_T4_T5_T6_T7_T9_mT8_P12ihipStream_tbDpT10_ENKUlT_T0_E_clISt17integral_constantIbLb0EES19_EEDaS14_S15_EUlS14_E_NS1_11comp_targetILNS1_3genE8ELNS1_11target_archE1030ELNS1_3gpuE2ELNS1_3repE0EEENS1_30default_config_static_selectorELNS0_4arch9wavefront6targetE1EEEvT1_
; %bb.0:
	.section	.rodata,"a",@progbits
	.p2align	6, 0x0
	.amdhsa_kernel _ZN7rocprim17ROCPRIM_400000_NS6detail17trampoline_kernelINS0_14default_configENS1_25partition_config_selectorILNS1_17partition_subalgoE8EN3c104HalfENS0_10empty_typeEbEEZZNS1_14partition_implILS5_8ELb0ES3_jPKS7_PS8_PKS8_NS0_5tupleIJPS7_S8_EEENSG_IJSD_SD_EEENS0_18inequality_wrapperIN6hipcub16HIPCUB_304000_NS8EqualityEEEPlJS8_EEE10hipError_tPvRmT3_T4_T5_T6_T7_T9_mT8_P12ihipStream_tbDpT10_ENKUlT_T0_E_clISt17integral_constantIbLb0EES19_EEDaS14_S15_EUlS14_E_NS1_11comp_targetILNS1_3genE8ELNS1_11target_archE1030ELNS1_3gpuE2ELNS1_3repE0EEENS1_30default_config_static_selectorELNS0_4arch9wavefront6targetE1EEEvT1_
		.amdhsa_group_segment_fixed_size 0
		.amdhsa_private_segment_fixed_size 0
		.amdhsa_kernarg_size 112
		.amdhsa_user_sgpr_count 2
		.amdhsa_user_sgpr_dispatch_ptr 0
		.amdhsa_user_sgpr_queue_ptr 0
		.amdhsa_user_sgpr_kernarg_segment_ptr 1
		.amdhsa_user_sgpr_dispatch_id 0
		.amdhsa_user_sgpr_kernarg_preload_length 0
		.amdhsa_user_sgpr_kernarg_preload_offset 0
		.amdhsa_user_sgpr_private_segment_size 0
		.amdhsa_uses_dynamic_stack 0
		.amdhsa_enable_private_segment 0
		.amdhsa_system_sgpr_workgroup_id_x 1
		.amdhsa_system_sgpr_workgroup_id_y 0
		.amdhsa_system_sgpr_workgroup_id_z 0
		.amdhsa_system_sgpr_workgroup_info 0
		.amdhsa_system_vgpr_workitem_id 0
		.amdhsa_next_free_vgpr 1
		.amdhsa_next_free_sgpr 0
		.amdhsa_accum_offset 4
		.amdhsa_reserve_vcc 0
		.amdhsa_float_round_mode_32 0
		.amdhsa_float_round_mode_16_64 0
		.amdhsa_float_denorm_mode_32 3
		.amdhsa_float_denorm_mode_16_64 3
		.amdhsa_dx10_clamp 1
		.amdhsa_ieee_mode 1
		.amdhsa_fp16_overflow 0
		.amdhsa_tg_split 0
		.amdhsa_exception_fp_ieee_invalid_op 0
		.amdhsa_exception_fp_denorm_src 0
		.amdhsa_exception_fp_ieee_div_zero 0
		.amdhsa_exception_fp_ieee_overflow 0
		.amdhsa_exception_fp_ieee_underflow 0
		.amdhsa_exception_fp_ieee_inexact 0
		.amdhsa_exception_int_div_zero 0
	.end_amdhsa_kernel
	.section	.text._ZN7rocprim17ROCPRIM_400000_NS6detail17trampoline_kernelINS0_14default_configENS1_25partition_config_selectorILNS1_17partition_subalgoE8EN3c104HalfENS0_10empty_typeEbEEZZNS1_14partition_implILS5_8ELb0ES3_jPKS7_PS8_PKS8_NS0_5tupleIJPS7_S8_EEENSG_IJSD_SD_EEENS0_18inequality_wrapperIN6hipcub16HIPCUB_304000_NS8EqualityEEEPlJS8_EEE10hipError_tPvRmT3_T4_T5_T6_T7_T9_mT8_P12ihipStream_tbDpT10_ENKUlT_T0_E_clISt17integral_constantIbLb0EES19_EEDaS14_S15_EUlS14_E_NS1_11comp_targetILNS1_3genE8ELNS1_11target_archE1030ELNS1_3gpuE2ELNS1_3repE0EEENS1_30default_config_static_selectorELNS0_4arch9wavefront6targetE1EEEvT1_,"axG",@progbits,_ZN7rocprim17ROCPRIM_400000_NS6detail17trampoline_kernelINS0_14default_configENS1_25partition_config_selectorILNS1_17partition_subalgoE8EN3c104HalfENS0_10empty_typeEbEEZZNS1_14partition_implILS5_8ELb0ES3_jPKS7_PS8_PKS8_NS0_5tupleIJPS7_S8_EEENSG_IJSD_SD_EEENS0_18inequality_wrapperIN6hipcub16HIPCUB_304000_NS8EqualityEEEPlJS8_EEE10hipError_tPvRmT3_T4_T5_T6_T7_T9_mT8_P12ihipStream_tbDpT10_ENKUlT_T0_E_clISt17integral_constantIbLb0EES19_EEDaS14_S15_EUlS14_E_NS1_11comp_targetILNS1_3genE8ELNS1_11target_archE1030ELNS1_3gpuE2ELNS1_3repE0EEENS1_30default_config_static_selectorELNS0_4arch9wavefront6targetE1EEEvT1_,comdat
.Lfunc_end900:
	.size	_ZN7rocprim17ROCPRIM_400000_NS6detail17trampoline_kernelINS0_14default_configENS1_25partition_config_selectorILNS1_17partition_subalgoE8EN3c104HalfENS0_10empty_typeEbEEZZNS1_14partition_implILS5_8ELb0ES3_jPKS7_PS8_PKS8_NS0_5tupleIJPS7_S8_EEENSG_IJSD_SD_EEENS0_18inequality_wrapperIN6hipcub16HIPCUB_304000_NS8EqualityEEEPlJS8_EEE10hipError_tPvRmT3_T4_T5_T6_T7_T9_mT8_P12ihipStream_tbDpT10_ENKUlT_T0_E_clISt17integral_constantIbLb0EES19_EEDaS14_S15_EUlS14_E_NS1_11comp_targetILNS1_3genE8ELNS1_11target_archE1030ELNS1_3gpuE2ELNS1_3repE0EEENS1_30default_config_static_selectorELNS0_4arch9wavefront6targetE1EEEvT1_, .Lfunc_end900-_ZN7rocprim17ROCPRIM_400000_NS6detail17trampoline_kernelINS0_14default_configENS1_25partition_config_selectorILNS1_17partition_subalgoE8EN3c104HalfENS0_10empty_typeEbEEZZNS1_14partition_implILS5_8ELb0ES3_jPKS7_PS8_PKS8_NS0_5tupleIJPS7_S8_EEENSG_IJSD_SD_EEENS0_18inequality_wrapperIN6hipcub16HIPCUB_304000_NS8EqualityEEEPlJS8_EEE10hipError_tPvRmT3_T4_T5_T6_T7_T9_mT8_P12ihipStream_tbDpT10_ENKUlT_T0_E_clISt17integral_constantIbLb0EES19_EEDaS14_S15_EUlS14_E_NS1_11comp_targetILNS1_3genE8ELNS1_11target_archE1030ELNS1_3gpuE2ELNS1_3repE0EEENS1_30default_config_static_selectorELNS0_4arch9wavefront6targetE1EEEvT1_
                                        ; -- End function
	.section	.AMDGPU.csdata,"",@progbits
; Kernel info:
; codeLenInByte = 0
; NumSgprs: 6
; NumVgprs: 0
; NumAgprs: 0
; TotalNumVgprs: 0
; ScratchSize: 0
; MemoryBound: 0
; FloatMode: 240
; IeeeMode: 1
; LDSByteSize: 0 bytes/workgroup (compile time only)
; SGPRBlocks: 0
; VGPRBlocks: 0
; NumSGPRsForWavesPerEU: 6
; NumVGPRsForWavesPerEU: 1
; AccumOffset: 4
; Occupancy: 8
; WaveLimiterHint : 0
; COMPUTE_PGM_RSRC2:SCRATCH_EN: 0
; COMPUTE_PGM_RSRC2:USER_SGPR: 2
; COMPUTE_PGM_RSRC2:TRAP_HANDLER: 0
; COMPUTE_PGM_RSRC2:TGID_X_EN: 1
; COMPUTE_PGM_RSRC2:TGID_Y_EN: 0
; COMPUTE_PGM_RSRC2:TGID_Z_EN: 0
; COMPUTE_PGM_RSRC2:TIDIG_COMP_CNT: 0
; COMPUTE_PGM_RSRC3_GFX90A:ACCUM_OFFSET: 0
; COMPUTE_PGM_RSRC3_GFX90A:TG_SPLIT: 0
	.section	.text._ZN7rocprim17ROCPRIM_400000_NS6detail17trampoline_kernelINS0_14default_configENS1_25partition_config_selectorILNS1_17partition_subalgoE8EN3c104HalfENS0_10empty_typeEbEEZZNS1_14partition_implILS5_8ELb0ES3_jPKS7_PS8_PKS8_NS0_5tupleIJPS7_S8_EEENSG_IJSD_SD_EEENS0_18inequality_wrapperIN6hipcub16HIPCUB_304000_NS8EqualityEEEPlJS8_EEE10hipError_tPvRmT3_T4_T5_T6_T7_T9_mT8_P12ihipStream_tbDpT10_ENKUlT_T0_E_clISt17integral_constantIbLb1EES19_EEDaS14_S15_EUlS14_E_NS1_11comp_targetILNS1_3genE0ELNS1_11target_archE4294967295ELNS1_3gpuE0ELNS1_3repE0EEENS1_30default_config_static_selectorELNS0_4arch9wavefront6targetE1EEEvT1_,"axG",@progbits,_ZN7rocprim17ROCPRIM_400000_NS6detail17trampoline_kernelINS0_14default_configENS1_25partition_config_selectorILNS1_17partition_subalgoE8EN3c104HalfENS0_10empty_typeEbEEZZNS1_14partition_implILS5_8ELb0ES3_jPKS7_PS8_PKS8_NS0_5tupleIJPS7_S8_EEENSG_IJSD_SD_EEENS0_18inequality_wrapperIN6hipcub16HIPCUB_304000_NS8EqualityEEEPlJS8_EEE10hipError_tPvRmT3_T4_T5_T6_T7_T9_mT8_P12ihipStream_tbDpT10_ENKUlT_T0_E_clISt17integral_constantIbLb1EES19_EEDaS14_S15_EUlS14_E_NS1_11comp_targetILNS1_3genE0ELNS1_11target_archE4294967295ELNS1_3gpuE0ELNS1_3repE0EEENS1_30default_config_static_selectorELNS0_4arch9wavefront6targetE1EEEvT1_,comdat
	.protected	_ZN7rocprim17ROCPRIM_400000_NS6detail17trampoline_kernelINS0_14default_configENS1_25partition_config_selectorILNS1_17partition_subalgoE8EN3c104HalfENS0_10empty_typeEbEEZZNS1_14partition_implILS5_8ELb0ES3_jPKS7_PS8_PKS8_NS0_5tupleIJPS7_S8_EEENSG_IJSD_SD_EEENS0_18inequality_wrapperIN6hipcub16HIPCUB_304000_NS8EqualityEEEPlJS8_EEE10hipError_tPvRmT3_T4_T5_T6_T7_T9_mT8_P12ihipStream_tbDpT10_ENKUlT_T0_E_clISt17integral_constantIbLb1EES19_EEDaS14_S15_EUlS14_E_NS1_11comp_targetILNS1_3genE0ELNS1_11target_archE4294967295ELNS1_3gpuE0ELNS1_3repE0EEENS1_30default_config_static_selectorELNS0_4arch9wavefront6targetE1EEEvT1_ ; -- Begin function _ZN7rocprim17ROCPRIM_400000_NS6detail17trampoline_kernelINS0_14default_configENS1_25partition_config_selectorILNS1_17partition_subalgoE8EN3c104HalfENS0_10empty_typeEbEEZZNS1_14partition_implILS5_8ELb0ES3_jPKS7_PS8_PKS8_NS0_5tupleIJPS7_S8_EEENSG_IJSD_SD_EEENS0_18inequality_wrapperIN6hipcub16HIPCUB_304000_NS8EqualityEEEPlJS8_EEE10hipError_tPvRmT3_T4_T5_T6_T7_T9_mT8_P12ihipStream_tbDpT10_ENKUlT_T0_E_clISt17integral_constantIbLb1EES19_EEDaS14_S15_EUlS14_E_NS1_11comp_targetILNS1_3genE0ELNS1_11target_archE4294967295ELNS1_3gpuE0ELNS1_3repE0EEENS1_30default_config_static_selectorELNS0_4arch9wavefront6targetE1EEEvT1_
	.globl	_ZN7rocprim17ROCPRIM_400000_NS6detail17trampoline_kernelINS0_14default_configENS1_25partition_config_selectorILNS1_17partition_subalgoE8EN3c104HalfENS0_10empty_typeEbEEZZNS1_14partition_implILS5_8ELb0ES3_jPKS7_PS8_PKS8_NS0_5tupleIJPS7_S8_EEENSG_IJSD_SD_EEENS0_18inequality_wrapperIN6hipcub16HIPCUB_304000_NS8EqualityEEEPlJS8_EEE10hipError_tPvRmT3_T4_T5_T6_T7_T9_mT8_P12ihipStream_tbDpT10_ENKUlT_T0_E_clISt17integral_constantIbLb1EES19_EEDaS14_S15_EUlS14_E_NS1_11comp_targetILNS1_3genE0ELNS1_11target_archE4294967295ELNS1_3gpuE0ELNS1_3repE0EEENS1_30default_config_static_selectorELNS0_4arch9wavefront6targetE1EEEvT1_
	.p2align	8
	.type	_ZN7rocprim17ROCPRIM_400000_NS6detail17trampoline_kernelINS0_14default_configENS1_25partition_config_selectorILNS1_17partition_subalgoE8EN3c104HalfENS0_10empty_typeEbEEZZNS1_14partition_implILS5_8ELb0ES3_jPKS7_PS8_PKS8_NS0_5tupleIJPS7_S8_EEENSG_IJSD_SD_EEENS0_18inequality_wrapperIN6hipcub16HIPCUB_304000_NS8EqualityEEEPlJS8_EEE10hipError_tPvRmT3_T4_T5_T6_T7_T9_mT8_P12ihipStream_tbDpT10_ENKUlT_T0_E_clISt17integral_constantIbLb1EES19_EEDaS14_S15_EUlS14_E_NS1_11comp_targetILNS1_3genE0ELNS1_11target_archE4294967295ELNS1_3gpuE0ELNS1_3repE0EEENS1_30default_config_static_selectorELNS0_4arch9wavefront6targetE1EEEvT1_,@function
_ZN7rocprim17ROCPRIM_400000_NS6detail17trampoline_kernelINS0_14default_configENS1_25partition_config_selectorILNS1_17partition_subalgoE8EN3c104HalfENS0_10empty_typeEbEEZZNS1_14partition_implILS5_8ELb0ES3_jPKS7_PS8_PKS8_NS0_5tupleIJPS7_S8_EEENSG_IJSD_SD_EEENS0_18inequality_wrapperIN6hipcub16HIPCUB_304000_NS8EqualityEEEPlJS8_EEE10hipError_tPvRmT3_T4_T5_T6_T7_T9_mT8_P12ihipStream_tbDpT10_ENKUlT_T0_E_clISt17integral_constantIbLb1EES19_EEDaS14_S15_EUlS14_E_NS1_11comp_targetILNS1_3genE0ELNS1_11target_archE4294967295ELNS1_3gpuE0ELNS1_3repE0EEENS1_30default_config_static_selectorELNS0_4arch9wavefront6targetE1EEEvT1_: ; @_ZN7rocprim17ROCPRIM_400000_NS6detail17trampoline_kernelINS0_14default_configENS1_25partition_config_selectorILNS1_17partition_subalgoE8EN3c104HalfENS0_10empty_typeEbEEZZNS1_14partition_implILS5_8ELb0ES3_jPKS7_PS8_PKS8_NS0_5tupleIJPS7_S8_EEENSG_IJSD_SD_EEENS0_18inequality_wrapperIN6hipcub16HIPCUB_304000_NS8EqualityEEEPlJS8_EEE10hipError_tPvRmT3_T4_T5_T6_T7_T9_mT8_P12ihipStream_tbDpT10_ENKUlT_T0_E_clISt17integral_constantIbLb1EES19_EEDaS14_S15_EUlS14_E_NS1_11comp_targetILNS1_3genE0ELNS1_11target_archE4294967295ELNS1_3gpuE0ELNS1_3repE0EEENS1_30default_config_static_selectorELNS0_4arch9wavefront6targetE1EEEvT1_
; %bb.0:
	.section	.rodata,"a",@progbits
	.p2align	6, 0x0
	.amdhsa_kernel _ZN7rocprim17ROCPRIM_400000_NS6detail17trampoline_kernelINS0_14default_configENS1_25partition_config_selectorILNS1_17partition_subalgoE8EN3c104HalfENS0_10empty_typeEbEEZZNS1_14partition_implILS5_8ELb0ES3_jPKS7_PS8_PKS8_NS0_5tupleIJPS7_S8_EEENSG_IJSD_SD_EEENS0_18inequality_wrapperIN6hipcub16HIPCUB_304000_NS8EqualityEEEPlJS8_EEE10hipError_tPvRmT3_T4_T5_T6_T7_T9_mT8_P12ihipStream_tbDpT10_ENKUlT_T0_E_clISt17integral_constantIbLb1EES19_EEDaS14_S15_EUlS14_E_NS1_11comp_targetILNS1_3genE0ELNS1_11target_archE4294967295ELNS1_3gpuE0ELNS1_3repE0EEENS1_30default_config_static_selectorELNS0_4arch9wavefront6targetE1EEEvT1_
		.amdhsa_group_segment_fixed_size 0
		.amdhsa_private_segment_fixed_size 0
		.amdhsa_kernarg_size 128
		.amdhsa_user_sgpr_count 2
		.amdhsa_user_sgpr_dispatch_ptr 0
		.amdhsa_user_sgpr_queue_ptr 0
		.amdhsa_user_sgpr_kernarg_segment_ptr 1
		.amdhsa_user_sgpr_dispatch_id 0
		.amdhsa_user_sgpr_kernarg_preload_length 0
		.amdhsa_user_sgpr_kernarg_preload_offset 0
		.amdhsa_user_sgpr_private_segment_size 0
		.amdhsa_uses_dynamic_stack 0
		.amdhsa_enable_private_segment 0
		.amdhsa_system_sgpr_workgroup_id_x 1
		.amdhsa_system_sgpr_workgroup_id_y 0
		.amdhsa_system_sgpr_workgroup_id_z 0
		.amdhsa_system_sgpr_workgroup_info 0
		.amdhsa_system_vgpr_workitem_id 0
		.amdhsa_next_free_vgpr 1
		.amdhsa_next_free_sgpr 0
		.amdhsa_accum_offset 4
		.amdhsa_reserve_vcc 0
		.amdhsa_float_round_mode_32 0
		.amdhsa_float_round_mode_16_64 0
		.amdhsa_float_denorm_mode_32 3
		.amdhsa_float_denorm_mode_16_64 3
		.amdhsa_dx10_clamp 1
		.amdhsa_ieee_mode 1
		.amdhsa_fp16_overflow 0
		.amdhsa_tg_split 0
		.amdhsa_exception_fp_ieee_invalid_op 0
		.amdhsa_exception_fp_denorm_src 0
		.amdhsa_exception_fp_ieee_div_zero 0
		.amdhsa_exception_fp_ieee_overflow 0
		.amdhsa_exception_fp_ieee_underflow 0
		.amdhsa_exception_fp_ieee_inexact 0
		.amdhsa_exception_int_div_zero 0
	.end_amdhsa_kernel
	.section	.text._ZN7rocprim17ROCPRIM_400000_NS6detail17trampoline_kernelINS0_14default_configENS1_25partition_config_selectorILNS1_17partition_subalgoE8EN3c104HalfENS0_10empty_typeEbEEZZNS1_14partition_implILS5_8ELb0ES3_jPKS7_PS8_PKS8_NS0_5tupleIJPS7_S8_EEENSG_IJSD_SD_EEENS0_18inequality_wrapperIN6hipcub16HIPCUB_304000_NS8EqualityEEEPlJS8_EEE10hipError_tPvRmT3_T4_T5_T6_T7_T9_mT8_P12ihipStream_tbDpT10_ENKUlT_T0_E_clISt17integral_constantIbLb1EES19_EEDaS14_S15_EUlS14_E_NS1_11comp_targetILNS1_3genE0ELNS1_11target_archE4294967295ELNS1_3gpuE0ELNS1_3repE0EEENS1_30default_config_static_selectorELNS0_4arch9wavefront6targetE1EEEvT1_,"axG",@progbits,_ZN7rocprim17ROCPRIM_400000_NS6detail17trampoline_kernelINS0_14default_configENS1_25partition_config_selectorILNS1_17partition_subalgoE8EN3c104HalfENS0_10empty_typeEbEEZZNS1_14partition_implILS5_8ELb0ES3_jPKS7_PS8_PKS8_NS0_5tupleIJPS7_S8_EEENSG_IJSD_SD_EEENS0_18inequality_wrapperIN6hipcub16HIPCUB_304000_NS8EqualityEEEPlJS8_EEE10hipError_tPvRmT3_T4_T5_T6_T7_T9_mT8_P12ihipStream_tbDpT10_ENKUlT_T0_E_clISt17integral_constantIbLb1EES19_EEDaS14_S15_EUlS14_E_NS1_11comp_targetILNS1_3genE0ELNS1_11target_archE4294967295ELNS1_3gpuE0ELNS1_3repE0EEENS1_30default_config_static_selectorELNS0_4arch9wavefront6targetE1EEEvT1_,comdat
.Lfunc_end901:
	.size	_ZN7rocprim17ROCPRIM_400000_NS6detail17trampoline_kernelINS0_14default_configENS1_25partition_config_selectorILNS1_17partition_subalgoE8EN3c104HalfENS0_10empty_typeEbEEZZNS1_14partition_implILS5_8ELb0ES3_jPKS7_PS8_PKS8_NS0_5tupleIJPS7_S8_EEENSG_IJSD_SD_EEENS0_18inequality_wrapperIN6hipcub16HIPCUB_304000_NS8EqualityEEEPlJS8_EEE10hipError_tPvRmT3_T4_T5_T6_T7_T9_mT8_P12ihipStream_tbDpT10_ENKUlT_T0_E_clISt17integral_constantIbLb1EES19_EEDaS14_S15_EUlS14_E_NS1_11comp_targetILNS1_3genE0ELNS1_11target_archE4294967295ELNS1_3gpuE0ELNS1_3repE0EEENS1_30default_config_static_selectorELNS0_4arch9wavefront6targetE1EEEvT1_, .Lfunc_end901-_ZN7rocprim17ROCPRIM_400000_NS6detail17trampoline_kernelINS0_14default_configENS1_25partition_config_selectorILNS1_17partition_subalgoE8EN3c104HalfENS0_10empty_typeEbEEZZNS1_14partition_implILS5_8ELb0ES3_jPKS7_PS8_PKS8_NS0_5tupleIJPS7_S8_EEENSG_IJSD_SD_EEENS0_18inequality_wrapperIN6hipcub16HIPCUB_304000_NS8EqualityEEEPlJS8_EEE10hipError_tPvRmT3_T4_T5_T6_T7_T9_mT8_P12ihipStream_tbDpT10_ENKUlT_T0_E_clISt17integral_constantIbLb1EES19_EEDaS14_S15_EUlS14_E_NS1_11comp_targetILNS1_3genE0ELNS1_11target_archE4294967295ELNS1_3gpuE0ELNS1_3repE0EEENS1_30default_config_static_selectorELNS0_4arch9wavefront6targetE1EEEvT1_
                                        ; -- End function
	.section	.AMDGPU.csdata,"",@progbits
; Kernel info:
; codeLenInByte = 0
; NumSgprs: 6
; NumVgprs: 0
; NumAgprs: 0
; TotalNumVgprs: 0
; ScratchSize: 0
; MemoryBound: 0
; FloatMode: 240
; IeeeMode: 1
; LDSByteSize: 0 bytes/workgroup (compile time only)
; SGPRBlocks: 0
; VGPRBlocks: 0
; NumSGPRsForWavesPerEU: 6
; NumVGPRsForWavesPerEU: 1
; AccumOffset: 4
; Occupancy: 8
; WaveLimiterHint : 0
; COMPUTE_PGM_RSRC2:SCRATCH_EN: 0
; COMPUTE_PGM_RSRC2:USER_SGPR: 2
; COMPUTE_PGM_RSRC2:TRAP_HANDLER: 0
; COMPUTE_PGM_RSRC2:TGID_X_EN: 1
; COMPUTE_PGM_RSRC2:TGID_Y_EN: 0
; COMPUTE_PGM_RSRC2:TGID_Z_EN: 0
; COMPUTE_PGM_RSRC2:TIDIG_COMP_CNT: 0
; COMPUTE_PGM_RSRC3_GFX90A:ACCUM_OFFSET: 0
; COMPUTE_PGM_RSRC3_GFX90A:TG_SPLIT: 0
	.section	.text._ZN7rocprim17ROCPRIM_400000_NS6detail17trampoline_kernelINS0_14default_configENS1_25partition_config_selectorILNS1_17partition_subalgoE8EN3c104HalfENS0_10empty_typeEbEEZZNS1_14partition_implILS5_8ELb0ES3_jPKS7_PS8_PKS8_NS0_5tupleIJPS7_S8_EEENSG_IJSD_SD_EEENS0_18inequality_wrapperIN6hipcub16HIPCUB_304000_NS8EqualityEEEPlJS8_EEE10hipError_tPvRmT3_T4_T5_T6_T7_T9_mT8_P12ihipStream_tbDpT10_ENKUlT_T0_E_clISt17integral_constantIbLb1EES19_EEDaS14_S15_EUlS14_E_NS1_11comp_targetILNS1_3genE5ELNS1_11target_archE942ELNS1_3gpuE9ELNS1_3repE0EEENS1_30default_config_static_selectorELNS0_4arch9wavefront6targetE1EEEvT1_,"axG",@progbits,_ZN7rocprim17ROCPRIM_400000_NS6detail17trampoline_kernelINS0_14default_configENS1_25partition_config_selectorILNS1_17partition_subalgoE8EN3c104HalfENS0_10empty_typeEbEEZZNS1_14partition_implILS5_8ELb0ES3_jPKS7_PS8_PKS8_NS0_5tupleIJPS7_S8_EEENSG_IJSD_SD_EEENS0_18inequality_wrapperIN6hipcub16HIPCUB_304000_NS8EqualityEEEPlJS8_EEE10hipError_tPvRmT3_T4_T5_T6_T7_T9_mT8_P12ihipStream_tbDpT10_ENKUlT_T0_E_clISt17integral_constantIbLb1EES19_EEDaS14_S15_EUlS14_E_NS1_11comp_targetILNS1_3genE5ELNS1_11target_archE942ELNS1_3gpuE9ELNS1_3repE0EEENS1_30default_config_static_selectorELNS0_4arch9wavefront6targetE1EEEvT1_,comdat
	.protected	_ZN7rocprim17ROCPRIM_400000_NS6detail17trampoline_kernelINS0_14default_configENS1_25partition_config_selectorILNS1_17partition_subalgoE8EN3c104HalfENS0_10empty_typeEbEEZZNS1_14partition_implILS5_8ELb0ES3_jPKS7_PS8_PKS8_NS0_5tupleIJPS7_S8_EEENSG_IJSD_SD_EEENS0_18inequality_wrapperIN6hipcub16HIPCUB_304000_NS8EqualityEEEPlJS8_EEE10hipError_tPvRmT3_T4_T5_T6_T7_T9_mT8_P12ihipStream_tbDpT10_ENKUlT_T0_E_clISt17integral_constantIbLb1EES19_EEDaS14_S15_EUlS14_E_NS1_11comp_targetILNS1_3genE5ELNS1_11target_archE942ELNS1_3gpuE9ELNS1_3repE0EEENS1_30default_config_static_selectorELNS0_4arch9wavefront6targetE1EEEvT1_ ; -- Begin function _ZN7rocprim17ROCPRIM_400000_NS6detail17trampoline_kernelINS0_14default_configENS1_25partition_config_selectorILNS1_17partition_subalgoE8EN3c104HalfENS0_10empty_typeEbEEZZNS1_14partition_implILS5_8ELb0ES3_jPKS7_PS8_PKS8_NS0_5tupleIJPS7_S8_EEENSG_IJSD_SD_EEENS0_18inequality_wrapperIN6hipcub16HIPCUB_304000_NS8EqualityEEEPlJS8_EEE10hipError_tPvRmT3_T4_T5_T6_T7_T9_mT8_P12ihipStream_tbDpT10_ENKUlT_T0_E_clISt17integral_constantIbLb1EES19_EEDaS14_S15_EUlS14_E_NS1_11comp_targetILNS1_3genE5ELNS1_11target_archE942ELNS1_3gpuE9ELNS1_3repE0EEENS1_30default_config_static_selectorELNS0_4arch9wavefront6targetE1EEEvT1_
	.globl	_ZN7rocprim17ROCPRIM_400000_NS6detail17trampoline_kernelINS0_14default_configENS1_25partition_config_selectorILNS1_17partition_subalgoE8EN3c104HalfENS0_10empty_typeEbEEZZNS1_14partition_implILS5_8ELb0ES3_jPKS7_PS8_PKS8_NS0_5tupleIJPS7_S8_EEENSG_IJSD_SD_EEENS0_18inequality_wrapperIN6hipcub16HIPCUB_304000_NS8EqualityEEEPlJS8_EEE10hipError_tPvRmT3_T4_T5_T6_T7_T9_mT8_P12ihipStream_tbDpT10_ENKUlT_T0_E_clISt17integral_constantIbLb1EES19_EEDaS14_S15_EUlS14_E_NS1_11comp_targetILNS1_3genE5ELNS1_11target_archE942ELNS1_3gpuE9ELNS1_3repE0EEENS1_30default_config_static_selectorELNS0_4arch9wavefront6targetE1EEEvT1_
	.p2align	8
	.type	_ZN7rocprim17ROCPRIM_400000_NS6detail17trampoline_kernelINS0_14default_configENS1_25partition_config_selectorILNS1_17partition_subalgoE8EN3c104HalfENS0_10empty_typeEbEEZZNS1_14partition_implILS5_8ELb0ES3_jPKS7_PS8_PKS8_NS0_5tupleIJPS7_S8_EEENSG_IJSD_SD_EEENS0_18inequality_wrapperIN6hipcub16HIPCUB_304000_NS8EqualityEEEPlJS8_EEE10hipError_tPvRmT3_T4_T5_T6_T7_T9_mT8_P12ihipStream_tbDpT10_ENKUlT_T0_E_clISt17integral_constantIbLb1EES19_EEDaS14_S15_EUlS14_E_NS1_11comp_targetILNS1_3genE5ELNS1_11target_archE942ELNS1_3gpuE9ELNS1_3repE0EEENS1_30default_config_static_selectorELNS0_4arch9wavefront6targetE1EEEvT1_,@function
_ZN7rocprim17ROCPRIM_400000_NS6detail17trampoline_kernelINS0_14default_configENS1_25partition_config_selectorILNS1_17partition_subalgoE8EN3c104HalfENS0_10empty_typeEbEEZZNS1_14partition_implILS5_8ELb0ES3_jPKS7_PS8_PKS8_NS0_5tupleIJPS7_S8_EEENSG_IJSD_SD_EEENS0_18inequality_wrapperIN6hipcub16HIPCUB_304000_NS8EqualityEEEPlJS8_EEE10hipError_tPvRmT3_T4_T5_T6_T7_T9_mT8_P12ihipStream_tbDpT10_ENKUlT_T0_E_clISt17integral_constantIbLb1EES19_EEDaS14_S15_EUlS14_E_NS1_11comp_targetILNS1_3genE5ELNS1_11target_archE942ELNS1_3gpuE9ELNS1_3repE0EEENS1_30default_config_static_selectorELNS0_4arch9wavefront6targetE1EEEvT1_: ; @_ZN7rocprim17ROCPRIM_400000_NS6detail17trampoline_kernelINS0_14default_configENS1_25partition_config_selectorILNS1_17partition_subalgoE8EN3c104HalfENS0_10empty_typeEbEEZZNS1_14partition_implILS5_8ELb0ES3_jPKS7_PS8_PKS8_NS0_5tupleIJPS7_S8_EEENSG_IJSD_SD_EEENS0_18inequality_wrapperIN6hipcub16HIPCUB_304000_NS8EqualityEEEPlJS8_EEE10hipError_tPvRmT3_T4_T5_T6_T7_T9_mT8_P12ihipStream_tbDpT10_ENKUlT_T0_E_clISt17integral_constantIbLb1EES19_EEDaS14_S15_EUlS14_E_NS1_11comp_targetILNS1_3genE5ELNS1_11target_archE942ELNS1_3gpuE9ELNS1_3repE0EEENS1_30default_config_static_selectorELNS0_4arch9wavefront6targetE1EEEvT1_
; %bb.0:
	s_load_dwordx4 s[20:23], s[0:1], 0x40
	s_load_dwordx2 s[8:9], s[0:1], 0x50
	s_load_dwordx2 s[28:29], s[0:1], 0x60
	v_cmp_ne_u32_e64 s[2:3], 0, v0
	v_cmp_eq_u32_e64 s[18:19], 0, v0
	s_and_saveexec_b64 s[4:5], s[18:19]
	s_cbranch_execz .LBB902_4
; %bb.1:
	s_mov_b64 s[10:11], exec
	v_mbcnt_lo_u32_b32 v1, s10, 0
	v_mbcnt_hi_u32_b32 v1, s11, v1
	v_cmp_eq_u32_e32 vcc, 0, v1
                                        ; implicit-def: $vgpr2
	s_and_saveexec_b64 s[6:7], vcc
	s_cbranch_execz .LBB902_3
; %bb.2:
	s_load_dwordx2 s[12:13], s[0:1], 0x70
	s_bcnt1_i32_b64 s10, s[10:11]
	v_mov_b32_e32 v2, 0
	v_mov_b32_e32 v3, s10
	s_waitcnt lgkmcnt(0)
	global_atomic_add v2, v2, v3, s[12:13] sc0
.LBB902_3:
	s_or_b64 exec, exec, s[6:7]
	s_waitcnt vmcnt(0)
	v_readfirstlane_b32 s6, v2
	v_mov_b32_e32 v2, 0
	s_nop 0
	v_add_u32_e32 v1, s6, v1
	ds_write_b32 v2, v1
.LBB902_4:
	s_or_b64 exec, exec, s[4:5]
	v_mov_b32_e32 v3, 0
	s_load_dwordx4 s[4:7], s[0:1], 0x8
	s_load_dwordx2 s[24:25], s[0:1], 0x28
	s_load_dword s10, s[0:1], 0x68
	s_waitcnt lgkmcnt(0)
	s_barrier
	ds_read_b32 v1, v3
	s_waitcnt lgkmcnt(0)
	s_barrier
	global_load_dwordx2 v[8:9], v3, s[22:23]
	s_lshl_b64 s[0:1], s[6:7], 1
	s_add_u32 s12, s4, s0
	s_movk_i32 s0, 0x3c00
	v_mul_lo_u32 v2, v1, s0
	s_mul_i32 s0, s10, 0x3c00
	s_addc_u32 s13, s5, s1
	s_add_i32 s1, s0, s6
	s_add_i32 s4, s10, -1
	s_sub_i32 s80, s8, s1
	s_add_u32 s0, s6, s0
	v_readfirstlane_b32 s33, v1
	s_addc_u32 s1, s7, 0
	v_mov_b32_e32 v4, s8
	v_mov_b32_e32 v5, s9
	s_cmp_eq_u32 s33, s4
	v_cmp_ge_u64_e32 vcc, s[0:1], v[4:5]
	s_cselect_b64 s[22:23], -1, 0
	s_and_b64 s[4:5], vcc, s[22:23]
	s_xor_b64 s[26:27], s[4:5], -1
	v_lshlrev_b64 v[4:5], 1, v[2:3]
	s_mov_b64 s[0:1], -1
	v_lshl_add_u64 v[18:19], s[12:13], 0, v[4:5]
	s_and_b64 vcc, exec, s[26:27]
	s_cbranch_vccz .LBB902_6
; %bb.5:
	v_lshlrev_b32_e32 v2, 1, v0
	v_lshl_add_u64 v[4:5], v[18:19], 0, v[2:3]
	v_add_co_u32_e32 v6, vcc, 0x1000, v4
	v_readfirstlane_b32 s0, v18
	s_nop 0
	v_addc_co_u32_e32 v7, vcc, 0, v5, vcc
	v_add_co_u32_e32 v10, vcc, 0x2000, v4
	v_readfirstlane_b32 s1, v19
	s_nop 0
	v_addc_co_u32_e32 v11, vcc, 0, v5, vcc
	s_nop 2
	global_load_ushort v1, v2, s[0:1]
	global_load_ushort v3, v2, s[0:1] offset:1024
	global_load_ushort v12, v2, s[0:1] offset:2048
	;; [unrolled: 1-line block ×3, first 2 shown]
	global_load_ushort v14, v[6:7], off
	global_load_ushort v15, v[6:7], off offset:1024
	global_load_ushort v16, v[6:7], off offset:2048
	;; [unrolled: 1-line block ×3, first 2 shown]
	global_load_ushort v20, v[10:11], off
	global_load_ushort v21, v[10:11], off offset:1024
	global_load_ushort v22, v[10:11], off offset:2048
	;; [unrolled: 1-line block ×3, first 2 shown]
	v_add_co_u32_e32 v6, vcc, 0x3000, v4
	s_mov_b64 s[0:1], 0
	s_nop 0
	v_addc_co_u32_e32 v7, vcc, 0, v5, vcc
	v_add_co_u32_e32 v10, vcc, 0x4000, v4
	s_nop 1
	v_addc_co_u32_e32 v11, vcc, 0, v5, vcc
	global_load_ushort v24, v[6:7], off
	global_load_ushort v25, v[6:7], off offset:1024
	global_load_ushort v26, v[6:7], off offset:2048
	;; [unrolled: 1-line block ×3, first 2 shown]
	global_load_ushort v28, v[10:11], off
	global_load_ushort v29, v[10:11], off offset:1024
	global_load_ushort v30, v[10:11], off offset:2048
	;; [unrolled: 1-line block ×3, first 2 shown]
	v_add_co_u32_e32 v6, vcc, 0x5000, v4
	s_nop 1
	v_addc_co_u32_e32 v7, vcc, 0, v5, vcc
	v_add_co_u32_e32 v10, vcc, 0x6000, v4
	s_nop 1
	v_addc_co_u32_e32 v11, vcc, 0, v5, vcc
	v_add_co_u32_e32 v4, vcc, 0x7000, v4
	global_load_ushort v32, v[6:7], off
	global_load_ushort v33, v[6:7], off offset:1024
	global_load_ushort v34, v[6:7], off offset:2048
	;; [unrolled: 1-line block ×3, first 2 shown]
	global_load_ushort v36, v[10:11], off
	global_load_ushort v37, v[10:11], off offset:1024
	global_load_ushort v38, v[10:11], off offset:2048
	;; [unrolled: 1-line block ×3, first 2 shown]
	v_addc_co_u32_e32 v5, vcc, 0, v5, vcc
	global_load_ushort v6, v[4:5], off
	global_load_ushort v7, v[4:5], off offset:1024
	s_waitcnt vmcnt(29)
	ds_write_b16 v2, v1
	s_waitcnt vmcnt(28)
	ds_write_b16 v2, v3 offset:1024
	s_waitcnt vmcnt(27)
	ds_write_b16 v2, v12 offset:2048
	;; [unrolled: 2-line block ×29, first 2 shown]
	s_waitcnt lgkmcnt(0)
	s_barrier
.LBB902_6:
	s_andn2_b64 vcc, exec, s[0:1]
	s_addk_i32 s80, 0x3c00
	s_cbranch_vccnz .LBB902_68
; %bb.7:
	v_cmp_gt_u32_e32 vcc, s80, v0
                                        ; implicit-def: $vgpr1
	s_and_saveexec_b64 s[0:1], vcc
	s_cbranch_execz .LBB902_9
; %bb.8:
	v_lshlrev_b32_e32 v1, 1, v0
	v_readfirstlane_b32 s8, v18
	v_readfirstlane_b32 s9, v19
	s_nop 4
	global_load_ushort v1, v1, s[8:9]
.LBB902_9:
	s_or_b64 exec, exec, s[0:1]
	v_or_b32_e32 v2, 0x200, v0
	v_cmp_gt_u32_e32 vcc, s80, v2
                                        ; implicit-def: $vgpr2
	s_and_saveexec_b64 s[0:1], vcc
	s_cbranch_execz .LBB902_11
; %bb.10:
	v_lshlrev_b32_e32 v2, 1, v0
	v_readfirstlane_b32 s8, v18
	v_readfirstlane_b32 s9, v19
	s_nop 4
	global_load_ushort v2, v2, s[8:9] offset:1024
.LBB902_11:
	s_or_b64 exec, exec, s[0:1]
	v_or_b32_e32 v3, 0x400, v0
	v_cmp_gt_u32_e32 vcc, s80, v3
                                        ; implicit-def: $vgpr3
	s_and_saveexec_b64 s[0:1], vcc
	s_cbranch_execz .LBB902_13
; %bb.12:
	v_lshlrev_b32_e32 v3, 1, v0
	v_readfirstlane_b32 s8, v18
	v_readfirstlane_b32 s9, v19
	s_nop 4
	global_load_ushort v3, v3, s[8:9] offset:2048
.LBB902_13:
	s_or_b64 exec, exec, s[0:1]
	v_or_b32_e32 v4, 0x600, v0
	v_cmp_gt_u32_e32 vcc, s80, v4
                                        ; implicit-def: $vgpr4
	s_and_saveexec_b64 s[0:1], vcc
	s_cbranch_execz .LBB902_15
; %bb.14:
	v_lshlrev_b32_e32 v4, 1, v0
	v_readfirstlane_b32 s8, v18
	v_readfirstlane_b32 s9, v19
	s_nop 4
	global_load_ushort v4, v4, s[8:9] offset:3072
.LBB902_15:
	s_or_b64 exec, exec, s[0:1]
	v_or_b32_e32 v6, 0x800, v0
	v_cmp_gt_u32_e32 vcc, s80, v6
                                        ; implicit-def: $vgpr5
	s_and_saveexec_b64 s[0:1], vcc
	s_cbranch_execz .LBB902_17
; %bb.16:
	v_lshlrev_b32_e32 v5, 1, v6
	v_readfirstlane_b32 s8, v18
	v_readfirstlane_b32 s9, v19
	s_nop 4
	global_load_ushort v5, v5, s[8:9]
.LBB902_17:
	s_or_b64 exec, exec, s[0:1]
	v_or_b32_e32 v7, 0xa00, v0
	v_cmp_gt_u32_e32 vcc, s80, v7
                                        ; implicit-def: $vgpr6
	s_and_saveexec_b64 s[0:1], vcc
	s_cbranch_execz .LBB902_19
; %bb.18:
	v_lshlrev_b32_e32 v6, 1, v7
	v_readfirstlane_b32 s8, v18
	v_readfirstlane_b32 s9, v19
	s_nop 4
	global_load_ushort v6, v6, s[8:9]
.LBB902_19:
	s_or_b64 exec, exec, s[0:1]
	v_or_b32_e32 v10, 0xc00, v0
	v_cmp_gt_u32_e32 vcc, s80, v10
                                        ; implicit-def: $vgpr7
	s_and_saveexec_b64 s[0:1], vcc
	s_cbranch_execz .LBB902_21
; %bb.20:
	v_lshlrev_b32_e32 v7, 1, v10
	v_readfirstlane_b32 s8, v18
	v_readfirstlane_b32 s9, v19
	s_nop 4
	global_load_ushort v7, v7, s[8:9]
.LBB902_21:
	s_or_b64 exec, exec, s[0:1]
	v_or_b32_e32 v11, 0xe00, v0
	v_cmp_gt_u32_e32 vcc, s80, v11
                                        ; implicit-def: $vgpr10
	s_and_saveexec_b64 s[0:1], vcc
	s_cbranch_execz .LBB902_23
; %bb.22:
	v_lshlrev_b32_e32 v10, 1, v11
	v_readfirstlane_b32 s8, v18
	v_readfirstlane_b32 s9, v19
	s_nop 4
	global_load_ushort v10, v10, s[8:9]
.LBB902_23:
	s_or_b64 exec, exec, s[0:1]
	v_or_b32_e32 v12, 0x1000, v0
	v_cmp_gt_u32_e32 vcc, s80, v12
                                        ; implicit-def: $vgpr11
	s_and_saveexec_b64 s[0:1], vcc
	s_cbranch_execz .LBB902_25
; %bb.24:
	v_lshlrev_b32_e32 v11, 1, v12
	v_readfirstlane_b32 s8, v18
	v_readfirstlane_b32 s9, v19
	s_nop 4
	global_load_ushort v11, v11, s[8:9]
.LBB902_25:
	s_or_b64 exec, exec, s[0:1]
	v_or_b32_e32 v13, 0x1200, v0
	v_cmp_gt_u32_e32 vcc, s80, v13
                                        ; implicit-def: $vgpr12
	s_and_saveexec_b64 s[0:1], vcc
	s_cbranch_execz .LBB902_27
; %bb.26:
	v_lshlrev_b32_e32 v12, 1, v13
	v_readfirstlane_b32 s8, v18
	v_readfirstlane_b32 s9, v19
	s_nop 4
	global_load_ushort v12, v12, s[8:9]
.LBB902_27:
	s_or_b64 exec, exec, s[0:1]
	v_or_b32_e32 v14, 0x1400, v0
	v_cmp_gt_u32_e32 vcc, s80, v14
                                        ; implicit-def: $vgpr13
	s_and_saveexec_b64 s[0:1], vcc
	s_cbranch_execz .LBB902_29
; %bb.28:
	v_lshlrev_b32_e32 v13, 1, v14
	v_readfirstlane_b32 s8, v18
	v_readfirstlane_b32 s9, v19
	s_nop 4
	global_load_ushort v13, v13, s[8:9]
.LBB902_29:
	s_or_b64 exec, exec, s[0:1]
	v_or_b32_e32 v15, 0x1600, v0
	v_cmp_gt_u32_e32 vcc, s80, v15
                                        ; implicit-def: $vgpr14
	s_and_saveexec_b64 s[0:1], vcc
	s_cbranch_execz .LBB902_31
; %bb.30:
	v_lshlrev_b32_e32 v14, 1, v15
	v_readfirstlane_b32 s8, v18
	v_readfirstlane_b32 s9, v19
	s_nop 4
	global_load_ushort v14, v14, s[8:9]
.LBB902_31:
	s_or_b64 exec, exec, s[0:1]
	v_or_b32_e32 v16, 0x1800, v0
	v_cmp_gt_u32_e32 vcc, s80, v16
                                        ; implicit-def: $vgpr15
	s_and_saveexec_b64 s[0:1], vcc
	s_cbranch_execz .LBB902_33
; %bb.32:
	v_lshlrev_b32_e32 v15, 1, v16
	v_readfirstlane_b32 s8, v18
	v_readfirstlane_b32 s9, v19
	s_nop 4
	global_load_ushort v15, v15, s[8:9]
.LBB902_33:
	s_or_b64 exec, exec, s[0:1]
	v_or_b32_e32 v17, 0x1a00, v0
	v_cmp_gt_u32_e32 vcc, s80, v17
                                        ; implicit-def: $vgpr16
	s_and_saveexec_b64 s[0:1], vcc
	s_cbranch_execz .LBB902_35
; %bb.34:
	v_lshlrev_b32_e32 v16, 1, v17
	v_readfirstlane_b32 s8, v18
	v_readfirstlane_b32 s9, v19
	s_nop 4
	global_load_ushort v16, v16, s[8:9]
.LBB902_35:
	s_or_b64 exec, exec, s[0:1]
	v_or_b32_e32 v20, 0x1c00, v0
	v_cmp_gt_u32_e32 vcc, s80, v20
                                        ; implicit-def: $vgpr17
	s_and_saveexec_b64 s[0:1], vcc
	s_cbranch_execz .LBB902_37
; %bb.36:
	v_lshlrev_b32_e32 v17, 1, v20
	v_readfirstlane_b32 s8, v18
	v_readfirstlane_b32 s9, v19
	s_nop 4
	global_load_ushort v17, v17, s[8:9]
.LBB902_37:
	s_or_b64 exec, exec, s[0:1]
	v_or_b32_e32 v21, 0x1e00, v0
	v_cmp_gt_u32_e32 vcc, s80, v21
                                        ; implicit-def: $vgpr20
	s_and_saveexec_b64 s[0:1], vcc
	s_cbranch_execz .LBB902_39
; %bb.38:
	v_lshlrev_b32_e32 v20, 1, v21
	v_readfirstlane_b32 s8, v18
	v_readfirstlane_b32 s9, v19
	s_nop 4
	global_load_ushort v20, v20, s[8:9]
.LBB902_39:
	s_or_b64 exec, exec, s[0:1]
	v_or_b32_e32 v22, 0x2000, v0
	v_cmp_gt_u32_e32 vcc, s80, v22
                                        ; implicit-def: $vgpr21
	s_and_saveexec_b64 s[0:1], vcc
	s_cbranch_execz .LBB902_41
; %bb.40:
	v_lshlrev_b32_e32 v21, 1, v22
	v_readfirstlane_b32 s8, v18
	v_readfirstlane_b32 s9, v19
	s_nop 4
	global_load_ushort v21, v21, s[8:9]
.LBB902_41:
	s_or_b64 exec, exec, s[0:1]
	v_or_b32_e32 v23, 0x2200, v0
	v_cmp_gt_u32_e32 vcc, s80, v23
                                        ; implicit-def: $vgpr22
	s_and_saveexec_b64 s[0:1], vcc
	s_cbranch_execz .LBB902_43
; %bb.42:
	v_lshlrev_b32_e32 v22, 1, v23
	v_readfirstlane_b32 s8, v18
	v_readfirstlane_b32 s9, v19
	s_nop 4
	global_load_ushort v22, v22, s[8:9]
.LBB902_43:
	s_or_b64 exec, exec, s[0:1]
	v_or_b32_e32 v24, 0x2400, v0
	v_cmp_gt_u32_e32 vcc, s80, v24
                                        ; implicit-def: $vgpr23
	s_and_saveexec_b64 s[0:1], vcc
	s_cbranch_execz .LBB902_45
; %bb.44:
	v_lshlrev_b32_e32 v23, 1, v24
	v_readfirstlane_b32 s8, v18
	v_readfirstlane_b32 s9, v19
	s_nop 4
	global_load_ushort v23, v23, s[8:9]
.LBB902_45:
	s_or_b64 exec, exec, s[0:1]
	v_or_b32_e32 v25, 0x2600, v0
	v_cmp_gt_u32_e32 vcc, s80, v25
                                        ; implicit-def: $vgpr24
	s_and_saveexec_b64 s[0:1], vcc
	s_cbranch_execz .LBB902_47
; %bb.46:
	v_lshlrev_b32_e32 v24, 1, v25
	v_readfirstlane_b32 s8, v18
	v_readfirstlane_b32 s9, v19
	s_nop 4
	global_load_ushort v24, v24, s[8:9]
.LBB902_47:
	s_or_b64 exec, exec, s[0:1]
	v_or_b32_e32 v26, 0x2800, v0
	v_cmp_gt_u32_e32 vcc, s80, v26
                                        ; implicit-def: $vgpr25
	s_and_saveexec_b64 s[0:1], vcc
	s_cbranch_execz .LBB902_49
; %bb.48:
	v_lshlrev_b32_e32 v25, 1, v26
	v_readfirstlane_b32 s8, v18
	v_readfirstlane_b32 s9, v19
	s_nop 4
	global_load_ushort v25, v25, s[8:9]
.LBB902_49:
	s_or_b64 exec, exec, s[0:1]
	v_or_b32_e32 v27, 0x2a00, v0
	v_cmp_gt_u32_e32 vcc, s80, v27
                                        ; implicit-def: $vgpr26
	s_and_saveexec_b64 s[0:1], vcc
	s_cbranch_execz .LBB902_51
; %bb.50:
	v_lshlrev_b32_e32 v26, 1, v27
	v_readfirstlane_b32 s8, v18
	v_readfirstlane_b32 s9, v19
	s_nop 4
	global_load_ushort v26, v26, s[8:9]
.LBB902_51:
	s_or_b64 exec, exec, s[0:1]
	v_or_b32_e32 v28, 0x2c00, v0
	v_cmp_gt_u32_e32 vcc, s80, v28
                                        ; implicit-def: $vgpr27
	s_and_saveexec_b64 s[0:1], vcc
	s_cbranch_execz .LBB902_53
; %bb.52:
	v_lshlrev_b32_e32 v27, 1, v28
	v_readfirstlane_b32 s8, v18
	v_readfirstlane_b32 s9, v19
	s_nop 4
	global_load_ushort v27, v27, s[8:9]
.LBB902_53:
	s_or_b64 exec, exec, s[0:1]
	v_or_b32_e32 v29, 0x2e00, v0
	v_cmp_gt_u32_e32 vcc, s80, v29
                                        ; implicit-def: $vgpr28
	s_and_saveexec_b64 s[0:1], vcc
	s_cbranch_execz .LBB902_55
; %bb.54:
	v_lshlrev_b32_e32 v28, 1, v29
	v_readfirstlane_b32 s8, v18
	v_readfirstlane_b32 s9, v19
	s_nop 4
	global_load_ushort v28, v28, s[8:9]
.LBB902_55:
	s_or_b64 exec, exec, s[0:1]
	v_or_b32_e32 v30, 0x3000, v0
	v_cmp_gt_u32_e32 vcc, s80, v30
                                        ; implicit-def: $vgpr29
	s_and_saveexec_b64 s[0:1], vcc
	s_cbranch_execz .LBB902_57
; %bb.56:
	v_lshlrev_b32_e32 v29, 1, v30
	v_readfirstlane_b32 s8, v18
	v_readfirstlane_b32 s9, v19
	s_nop 4
	global_load_ushort v29, v29, s[8:9]
.LBB902_57:
	s_or_b64 exec, exec, s[0:1]
	v_or_b32_e32 v31, 0x3200, v0
	v_cmp_gt_u32_e32 vcc, s80, v31
                                        ; implicit-def: $vgpr30
	s_and_saveexec_b64 s[0:1], vcc
	s_cbranch_execz .LBB902_59
; %bb.58:
	v_lshlrev_b32_e32 v30, 1, v31
	v_readfirstlane_b32 s8, v18
	v_readfirstlane_b32 s9, v19
	s_nop 4
	global_load_ushort v30, v30, s[8:9]
.LBB902_59:
	s_or_b64 exec, exec, s[0:1]
	v_or_b32_e32 v32, 0x3400, v0
	v_cmp_gt_u32_e32 vcc, s80, v32
                                        ; implicit-def: $vgpr31
	s_and_saveexec_b64 s[0:1], vcc
	s_cbranch_execz .LBB902_61
; %bb.60:
	v_lshlrev_b32_e32 v31, 1, v32
	v_readfirstlane_b32 s8, v18
	v_readfirstlane_b32 s9, v19
	s_nop 4
	global_load_ushort v31, v31, s[8:9]
.LBB902_61:
	s_or_b64 exec, exec, s[0:1]
	v_or_b32_e32 v33, 0x3600, v0
	v_cmp_gt_u32_e32 vcc, s80, v33
                                        ; implicit-def: $vgpr32
	s_and_saveexec_b64 s[0:1], vcc
	s_cbranch_execz .LBB902_63
; %bb.62:
	v_lshlrev_b32_e32 v32, 1, v33
	v_readfirstlane_b32 s8, v18
	v_readfirstlane_b32 s9, v19
	s_nop 4
	global_load_ushort v32, v32, s[8:9]
.LBB902_63:
	s_or_b64 exec, exec, s[0:1]
	v_or_b32_e32 v34, 0x3800, v0
	v_cmp_gt_u32_e32 vcc, s80, v34
                                        ; implicit-def: $vgpr33
	s_and_saveexec_b64 s[0:1], vcc
	s_cbranch_execz .LBB902_65
; %bb.64:
	v_lshlrev_b32_e32 v33, 1, v34
	v_readfirstlane_b32 s8, v18
	v_readfirstlane_b32 s9, v19
	s_nop 4
	global_load_ushort v33, v33, s[8:9]
.LBB902_65:
	s_or_b64 exec, exec, s[0:1]
	v_or_b32_e32 v35, 0x3a00, v0
	v_cmp_gt_u32_e32 vcc, s80, v35
                                        ; implicit-def: $vgpr34
	s_and_saveexec_b64 s[0:1], vcc
	s_cbranch_execz .LBB902_67
; %bb.66:
	v_lshlrev_b32_e32 v34, 1, v35
	v_readfirstlane_b32 s8, v18
	v_readfirstlane_b32 s9, v19
	s_nop 4
	global_load_ushort v34, v34, s[8:9]
.LBB902_67:
	s_or_b64 exec, exec, s[0:1]
	v_lshlrev_b32_e32 v35, 1, v0
	s_waitcnt vmcnt(0)
	ds_write_b16 v35, v1
	ds_write_b16 v35, v2 offset:1024
	ds_write_b16 v35, v3 offset:2048
	;; [unrolled: 1-line block ×29, first 2 shown]
	s_waitcnt lgkmcnt(0)
	s_barrier
.LBB902_68:
	v_mul_u32_u24_e32 v28, 30, v0
	v_lshlrev_b32_e32 v50, 1, v28
	ds_read_b32 v84, v50 offset:56
	ds_read2_b32 v[2:3], v50 offset0:12 offset1:13
	ds_read2_b32 v[16:17], v50 offset1:1
	ds_read2_b32 v[14:15], v50 offset0:2 offset1:3
	ds_read2_b32 v[12:13], v50 offset0:4 offset1:5
	;; [unrolled: 1-line block ×5, first 2 shown]
	s_cmp_lg_u32 s33, 0
	s_cselect_b64 s[16:17], -1, 0
	s_cmp_lg_u64 s[6:7], 0
	s_cselect_b64 s[0:1], -1, 0
	s_or_b64 s[0:1], s[0:1], s[16:17]
	v_mad_u32_u24 v20, v0, 30, 29
	v_mad_u32_u24 v21, v0, 30, 28
	s_waitcnt lgkmcnt(7)
	v_lshrrev_b32_e32 v1, 16, v84
	v_mad_u32_u24 v22, v0, 30, 27
	v_mad_u32_u24 v23, v0, 30, 26
	v_mad_u32_u24 v24, v0, 30, 25
	v_mad_u32_u24 v25, v0, 30, 24
	v_mad_u32_u24 v26, v0, 30, 23
	v_mad_u32_u24 v27, v0, 30, 22
	v_or_b32_e32 v48, 1, v28
	v_mad_u32_u24 v49, v0, 30, 2
	v_mad_u32_u24 v47, v0, 30, 3
	;; [unrolled: 1-line block ×20, first 2 shown]
	s_mov_b64 s[8:9], 0
	s_and_b64 vcc, exec, s[0:1]
	s_waitcnt lgkmcnt(0)
	s_barrier
	s_cbranch_vccz .LBB902_73
; %bb.69:
	global_load_ushort v18, v[18:19], off offset:-2
	v_lshlrev_b32_e32 v19, 1, v0
	s_and_b64 vcc, exec, s[26:27]
	ds_write_b16 v19, v1
	s_cbranch_vccz .LBB902_75
; %bb.70:
	s_waitcnt vmcnt(0)
	v_mov_b32_e32 v51, v18
	s_waitcnt lgkmcnt(0)
	s_barrier
	s_and_saveexec_b64 s[0:1], s[2:3]
	s_cbranch_execz .LBB902_72
; %bb.71:
	v_add_u32_e32 v51, -2, v19
	ds_read_u16 v51, v51
.LBB902_72:
	s_or_b64 exec, exec, s[0:1]
	v_cmp_neq_f16_sdwa s[0:1], v3, v84 src0_sel:WORD_1 src1_sel:DWORD
	v_cmp_neq_f16_e32 vcc, v84, v1
	s_nop 0
	v_cndmask_b32_e64 v86, 0, 1, s[0:1]
	v_cmp_neq_f16_sdwa s[0:1], v3, v3 src0_sel:DWORD src1_sel:WORD_1
	v_cndmask_b32_e64 v85, 0, 1, vcc
	s_nop 0
	v_cndmask_b32_e64 v87, 0, 1, s[0:1]
	v_cmp_neq_f16_sdwa s[0:1], v2, v3 src0_sel:WORD_1 src1_sel:DWORD
	s_nop 1
	v_cndmask_b32_e64 v88, 0, 1, s[0:1]
	v_cmp_neq_f16_sdwa s[0:1], v2, v2 src0_sel:DWORD src1_sel:WORD_1
	s_nop 1
	v_cndmask_b32_e64 v89, 0, 1, s[0:1]
	v_cmp_neq_f16_sdwa s[0:1], v5, v2 src0_sel:WORD_1 src1_sel:DWORD
	s_nop 1
	v_cndmask_b32_e64 v90, 0, 1, s[0:1]
	v_cmp_neq_f16_sdwa s[0:1], v5, v5 src0_sel:DWORD src1_sel:WORD_1
	;; [unrolled: 6-line block ×13, first 2 shown]
	s_nop 1
	v_cndmask_b32_e64 v113, 0, 1, s[0:1]
	s_waitcnt lgkmcnt(0)
	v_cmp_neq_f16_e64 s[0:1], v16, v51
	s_branch .LBB902_79
.LBB902_73:
                                        ; implicit-def: $sgpr0_sgpr1
                                        ; implicit-def: $vgpr113
                                        ; implicit-def: $vgpr112
                                        ; implicit-def: $vgpr111
                                        ; implicit-def: $vgpr110
                                        ; implicit-def: $vgpr109
                                        ; implicit-def: $vgpr108
                                        ; implicit-def: $vgpr107
                                        ; implicit-def: $vgpr106
                                        ; implicit-def: $vgpr105
                                        ; implicit-def: $vgpr104
                                        ; implicit-def: $vgpr103
                                        ; implicit-def: $vgpr102
                                        ; implicit-def: $vgpr101
                                        ; implicit-def: $vgpr100
                                        ; implicit-def: $vgpr99
                                        ; implicit-def: $vgpr98
                                        ; implicit-def: $vgpr97
                                        ; implicit-def: $vgpr96
                                        ; implicit-def: $vgpr95
                                        ; implicit-def: $vgpr94
                                        ; implicit-def: $vgpr93
                                        ; implicit-def: $vgpr92
                                        ; implicit-def: $vgpr91
                                        ; implicit-def: $vgpr90
                                        ; implicit-def: $vgpr89
                                        ; implicit-def: $vgpr88
                                        ; implicit-def: $vgpr87
                                        ; implicit-def: $vgpr86
                                        ; implicit-def: $vgpr85
	s_branch .LBB902_80
.LBB902_74:
                                        ; implicit-def: $sgpr10
	s_branch .LBB902_88
.LBB902_75:
                                        ; implicit-def: $sgpr0_sgpr1
                                        ; implicit-def: $vgpr113
                                        ; implicit-def: $vgpr112
                                        ; implicit-def: $vgpr111
                                        ; implicit-def: $vgpr110
                                        ; implicit-def: $vgpr109
                                        ; implicit-def: $vgpr108
                                        ; implicit-def: $vgpr107
                                        ; implicit-def: $vgpr106
                                        ; implicit-def: $vgpr105
                                        ; implicit-def: $vgpr104
                                        ; implicit-def: $vgpr103
                                        ; implicit-def: $vgpr102
                                        ; implicit-def: $vgpr101
                                        ; implicit-def: $vgpr100
                                        ; implicit-def: $vgpr99
                                        ; implicit-def: $vgpr98
                                        ; implicit-def: $vgpr97
                                        ; implicit-def: $vgpr96
                                        ; implicit-def: $vgpr95
                                        ; implicit-def: $vgpr94
                                        ; implicit-def: $vgpr93
                                        ; implicit-def: $vgpr92
                                        ; implicit-def: $vgpr91
                                        ; implicit-def: $vgpr90
                                        ; implicit-def: $vgpr89
                                        ; implicit-def: $vgpr88
                                        ; implicit-def: $vgpr87
                                        ; implicit-def: $vgpr86
                                        ; implicit-def: $vgpr85
	s_cbranch_execz .LBB902_79
; %bb.76:
	s_waitcnt lgkmcnt(0)
	s_barrier
	s_and_saveexec_b64 s[0:1], s[2:3]
	s_cbranch_execz .LBB902_78
; %bb.77:
	s_waitcnt vmcnt(0)
	v_add_u32_e32 v18, -2, v19
	ds_read_u16 v18, v18
.LBB902_78:
	s_or_b64 exec, exec, s[0:1]
	v_cmp_gt_u32_e32 vcc, s80, v20
	v_cmp_neq_f16_e64 s[0:1], v84, v1
	s_and_b64 s[0:1], vcc, s[0:1]
	v_cmp_gt_u32_e32 vcc, s80, v21
	v_cndmask_b32_e64 v85, 0, 1, s[0:1]
	v_cmp_neq_f16_sdwa s[0:1], v3, v84 src0_sel:WORD_1 src1_sel:DWORD
	s_and_b64 s[0:1], vcc, s[0:1]
	v_cmp_gt_u32_e32 vcc, s80, v22
	v_cndmask_b32_e64 v86, 0, 1, s[0:1]
	v_cmp_neq_f16_sdwa s[0:1], v3, v3 src0_sel:DWORD src1_sel:WORD_1
	s_and_b64 s[0:1], vcc, s[0:1]
	v_cmp_gt_u32_e32 vcc, s80, v23
	v_cndmask_b32_e64 v87, 0, 1, s[0:1]
	v_cmp_neq_f16_sdwa s[0:1], v2, v3 src0_sel:WORD_1 src1_sel:DWORD
	s_and_b64 s[0:1], vcc, s[0:1]
	v_cmp_gt_u32_e32 vcc, s80, v24
	v_cndmask_b32_e64 v88, 0, 1, s[0:1]
	v_cmp_neq_f16_sdwa s[0:1], v2, v2 src0_sel:DWORD src1_sel:WORD_1
	;; [unrolled: 8-line block ×14, first 2 shown]
	s_and_b64 s[0:1], vcc, s[0:1]
	v_cmp_gt_u32_e32 vcc, s80, v28
	v_cndmask_b32_e64 v113, 0, 1, s[0:1]
	s_waitcnt vmcnt(0) lgkmcnt(0)
	v_cmp_neq_f16_e64 s[0:1], v16, v18
	s_and_b64 s[0:1], vcc, s[0:1]
.LBB902_79:
	s_mov_b64 s[8:9], -1
	s_cbranch_execnz .LBB902_74
.LBB902_80:
	s_movk_i32 s0, 0xffc6
	s_waitcnt vmcnt(0)
	v_mad_i32_i24 v18, v0, s0, v50
	s_and_b64 vcc, exec, s[26:27]
	v_cmp_neq_f16_e64 s[0:1], v84, v1
	v_cmp_neq_f16_sdwa s[6:7], v3, v84 src0_sel:WORD_1 src1_sel:DWORD
	v_cmp_neq_f16_sdwa s[10:11], v3, v3 src0_sel:DWORD src1_sel:WORD_1
	v_cmp_neq_f16_sdwa s[12:13], v2, v3 src0_sel:WORD_1 src1_sel:DWORD
	v_cmp_neq_f16_sdwa s[14:15], v2, v2 src0_sel:DWORD src1_sel:WORD_1
	;; [unrolled: 2-line block ×14, first 2 shown]
	ds_write_b16 v18, v1
	s_cbranch_vccz .LBB902_84
; %bb.81:
	v_cndmask_b32_e64 v85, 0, 1, s[0:1]
	v_cndmask_b32_e64 v86, 0, 1, s[6:7]
	;; [unrolled: 1-line block ×29, first 2 shown]
	s_waitcnt lgkmcnt(0)
	s_barrier
	s_waitcnt lgkmcnt(0)
                                        ; implicit-def: $sgpr0_sgpr1
	s_and_saveexec_b64 s[6:7], s[2:3]
	s_xor_b64 s[6:7], exec, s[6:7]
	s_cbranch_execz .LBB902_83
; %bb.82:
	v_add_u32_e32 v19, -2, v18
	ds_read_u16 v19, v19
	s_or_b64 s[8:9], s[8:9], exec
	s_waitcnt lgkmcnt(0)
	v_cmp_neq_f16_e32 vcc, v19, v16
	s_and_b64 s[0:1], vcc, exec
.LBB902_83:
	s_or_b64 exec, exec, s[6:7]
	s_mov_b32 s10, 1
	s_branch .LBB902_88
.LBB902_84:
                                        ; implicit-def: $sgpr0_sgpr1
                                        ; implicit-def: $vgpr113
                                        ; implicit-def: $vgpr112
                                        ; implicit-def: $vgpr111
                                        ; implicit-def: $vgpr110
                                        ; implicit-def: $vgpr109
                                        ; implicit-def: $vgpr108
                                        ; implicit-def: $vgpr107
                                        ; implicit-def: $vgpr106
                                        ; implicit-def: $vgpr105
                                        ; implicit-def: $vgpr104
                                        ; implicit-def: $vgpr103
                                        ; implicit-def: $vgpr102
                                        ; implicit-def: $vgpr101
                                        ; implicit-def: $vgpr100
                                        ; implicit-def: $vgpr99
                                        ; implicit-def: $vgpr98
                                        ; implicit-def: $vgpr97
                                        ; implicit-def: $vgpr96
                                        ; implicit-def: $vgpr95
                                        ; implicit-def: $vgpr94
                                        ; implicit-def: $vgpr93
                                        ; implicit-def: $vgpr92
                                        ; implicit-def: $vgpr91
                                        ; implicit-def: $vgpr90
                                        ; implicit-def: $vgpr89
                                        ; implicit-def: $vgpr88
                                        ; implicit-def: $vgpr87
                                        ; implicit-def: $vgpr86
                                        ; implicit-def: $vgpr85
                                        ; implicit-def: $sgpr10
	s_cbranch_execz .LBB902_88
; %bb.85:
	v_cmp_gt_u32_e32 vcc, s80, v20
	v_cmp_neq_f16_e64 s[0:1], v84, v1
	s_and_b64 s[0:1], vcc, s[0:1]
	v_cmp_gt_u32_e32 vcc, s80, v21
	v_cndmask_b32_e64 v85, 0, 1, s[0:1]
	v_cmp_neq_f16_sdwa s[0:1], v3, v84 src0_sel:WORD_1 src1_sel:DWORD
	s_and_b64 s[0:1], vcc, s[0:1]
	v_cmp_gt_u32_e32 vcc, s80, v22
	v_cndmask_b32_e64 v86, 0, 1, s[0:1]
	v_cmp_neq_f16_sdwa s[0:1], v3, v3 src0_sel:DWORD src1_sel:WORD_1
	s_and_b64 s[0:1], vcc, s[0:1]
	v_cmp_gt_u32_e32 vcc, s80, v23
	v_cndmask_b32_e64 v87, 0, 1, s[0:1]
	v_cmp_neq_f16_sdwa s[0:1], v2, v3 src0_sel:WORD_1 src1_sel:DWORD
	s_and_b64 s[0:1], vcc, s[0:1]
	v_cmp_gt_u32_e32 vcc, s80, v24
	v_cndmask_b32_e64 v88, 0, 1, s[0:1]
	v_cmp_neq_f16_sdwa s[0:1], v2, v2 src0_sel:DWORD src1_sel:WORD_1
	;; [unrolled: 8-line block ×14, first 2 shown]
	s_and_b64 s[0:1], vcc, s[0:1]
	s_waitcnt lgkmcnt(0)
	v_cndmask_b32_e64 v113, 0, 1, s[0:1]
	s_barrier
	s_waitcnt lgkmcnt(0)
                                        ; implicit-def: $sgpr0_sgpr1
	s_and_saveexec_b64 s[6:7], s[2:3]
	s_cbranch_execz .LBB902_87
; %bb.86:
	v_add_u32_e32 v18, -2, v18
	ds_read_u16 v18, v18
	v_cmp_gt_u32_e32 vcc, s80, v28
	s_or_b64 s[8:9], s[8:9], exec
	s_waitcnt lgkmcnt(0)
	v_cmp_neq_f16_e64 s[0:1], v18, v16
	s_and_b64 s[0:1], vcc, s[0:1]
	s_and_b64 s[0:1], s[0:1], exec
.LBB902_87:
	s_or_b64 exec, exec, s[6:7]
	s_mov_b32 s10, 1
.LBB902_88:
	v_mov_b32_e32 v114, s10
	s_and_saveexec_b64 s[2:3], s[8:9]
; %bb.89:
	v_cndmask_b32_e64 v114, 0, 1, s[0:1]
; %bb.90:
	s_or_b64 exec, exec, s[2:3]
	s_andn2_b64 vcc, exec, s[4:5]
	s_cbranch_vccnz .LBB902_92
; %bb.91:
	v_cmp_gt_u32_e32 vcc, s80, v28
	s_nop 1
	v_cndmask_b32_e32 v114, 0, v114, vcc
	v_cmp_gt_u32_e32 vcc, s80, v48
	s_nop 1
	v_cndmask_b32_e32 v113, 0, v113, vcc
	;; [unrolled: 3-line block ×30, first 2 shown]
.LBB902_92:
	v_and_b32_e32 v63, 0xff, v88
	v_and_b32_e32 v65, 0xff, v87
	s_waitcnt vmcnt(0)
	v_add_u32_sdwa v18, v86, v85 dst_sel:DWORD dst_unused:UNUSED_PAD src0_sel:BYTE_0 src1_sel:BYTE_0
	v_and_b32_e32 v59, 0xff, v90
	v_and_b32_e32 v61, 0xff, v89
	v_add3_u32 v18, v18, v65, v63
	v_and_b32_e32 v55, 0xff, v92
	v_and_b32_e32 v57, 0xff, v91
	v_add3_u32 v18, v18, v61, v59
	;; [unrolled: 3-line block ×13, first 2 shown]
	v_add3_u32 v50, v18, v29, v28
	v_mbcnt_lo_u32_b32 v18, -1, 0
	v_mbcnt_hi_u32_b32 v46, -1, v18
	v_and_b32_e32 v18, 15, v46
	v_cmp_eq_u32_e64 s[14:15], 0, v18
	v_cmp_lt_u32_e64 s[12:13], 1, v18
	v_cmp_lt_u32_e64 s[10:11], 3, v18
	;; [unrolled: 1-line block ×3, first 2 shown]
	v_and_b32_e32 v18, 16, v46
	v_cmp_eq_u32_e64 s[6:7], 0, v18
	v_or_b32_e32 v18, 63, v0
	v_cmp_lt_u32_e64 s[2:3], 31, v46
	v_lshrrev_b32_e32 v48, 6, v0
	v_cmp_eq_u32_e64 s[4:5], v18, v0
	s_and_b64 vcc, exec, s[16:17]
	s_waitcnt lgkmcnt(0)
	s_barrier
	s_cbranch_vccz .LBB902_123
; %bb.93:
	v_mov_b32_dpp v18, v50 row_shr:1 row_mask:0xf bank_mask:0xf
	v_cndmask_b32_e64 v18, v18, 0, s[14:15]
	v_add_u32_e32 v18, v18, v50
	s_nop 1
	v_mov_b32_dpp v19, v18 row_shr:2 row_mask:0xf bank_mask:0xf
	v_cndmask_b32_e64 v19, 0, v19, s[12:13]
	v_add_u32_e32 v18, v18, v19
	s_nop 1
	;; [unrolled: 4-line block ×4, first 2 shown]
	v_mov_b32_dpp v19, v18 row_bcast:15 row_mask:0xf bank_mask:0xf
	v_cndmask_b32_e64 v19, v19, 0, s[6:7]
	v_add_u32_e32 v18, v18, v19
	s_nop 1
	v_mov_b32_dpp v19, v18 row_bcast:31 row_mask:0xf bank_mask:0xf
	v_cndmask_b32_e64 v19, 0, v19, s[2:3]
	v_add_u32_e32 v18, v18, v19
	s_and_saveexec_b64 s[0:1], s[4:5]
	s_cbranch_execz .LBB902_95
; %bb.94:
	v_lshlrev_b32_e32 v19, 2, v48
	ds_write_b32 v19, v18
.LBB902_95:
	s_or_b64 exec, exec, s[0:1]
	v_cmp_gt_u32_e32 vcc, 8, v0
	s_waitcnt lgkmcnt(0)
	s_barrier
	s_and_saveexec_b64 s[0:1], vcc
	s_cbranch_execz .LBB902_97
; %bb.96:
	v_lshlrev_b32_e32 v19, 2, v0
	ds_read_b32 v20, v19
	v_and_b32_e32 v21, 7, v46
	v_cmp_ne_u32_e32 vcc, 0, v21
	s_waitcnt lgkmcnt(0)
	v_mov_b32_dpp v22, v20 row_shr:1 row_mask:0xf bank_mask:0xf
	v_cndmask_b32_e32 v22, 0, v22, vcc
	v_add_u32_e32 v20, v22, v20
	v_cmp_lt_u32_e32 vcc, 1, v21
	s_nop 0
	v_mov_b32_dpp v22, v20 row_shr:2 row_mask:0xf bank_mask:0xf
	v_cndmask_b32_e32 v22, 0, v22, vcc
	v_add_u32_e32 v20, v20, v22
	v_cmp_lt_u32_e32 vcc, 3, v21
	s_nop 0
	v_mov_b32_dpp v22, v20 row_shr:4 row_mask:0xf bank_mask:0xf
	v_cndmask_b32_e32 v21, 0, v22, vcc
	v_add_u32_e32 v20, v20, v21
	ds_write_b32 v19, v20
.LBB902_97:
	s_or_b64 exec, exec, s[0:1]
	v_cmp_gt_u32_e32 vcc, 64, v0
	v_cmp_lt_u32_e64 s[0:1], 63, v0
	s_waitcnt lgkmcnt(0)
	s_barrier
	s_waitcnt lgkmcnt(0)
                                        ; implicit-def: $vgpr52
	s_and_saveexec_b64 s[16:17], s[0:1]
	s_cbranch_execz .LBB902_99
; %bb.98:
	v_lshl_add_u32 v19, v48, 2, -4
	ds_read_b32 v52, v19
	s_waitcnt lgkmcnt(0)
	v_add_u32_e32 v18, v52, v18
.LBB902_99:
	s_or_b64 exec, exec, s[16:17]
	v_add_u32_e32 v19, -1, v46
	v_and_b32_e32 v20, 64, v46
	v_cmp_lt_i32_e64 s[0:1], v19, v20
	v_cmp_eq_u32_e64 s[16:17], 0, v46
	s_nop 0
	v_cndmask_b32_e64 v19, v19, v46, s[0:1]
	v_lshlrev_b32_e32 v19, 2, v19
	ds_bpermute_b32 v54, v19, v18
	s_and_saveexec_b64 s[0:1], vcc
	s_cbranch_execz .LBB902_122
; %bb.100:
	v_mov_b32_e32 v27, 0
	ds_read_b32 v18, v27 offset:28
	s_and_saveexec_b64 s[30:31], s[16:17]
	s_cbranch_execz .LBB902_102
; %bb.101:
	s_add_i32 s34, s33, 64
	s_mov_b32 s35, 0
	s_lshl_b64 s[34:35], s[34:35], 3
	s_add_u32 s34, s28, s34
	v_mov_b32_e32 v19, 1
	s_addc_u32 s35, s29, s35
	s_waitcnt lgkmcnt(0)
	global_store_dwordx2 v27, v[18:19], s[34:35] sc1
.LBB902_102:
	s_or_b64 exec, exec, s[30:31]
	v_xad_u32 v20, v46, -1, s33
	v_add_u32_e32 v26, 64, v20
	v_lshl_add_u64 v[22:23], v[26:27], 3, s[28:29]
	global_load_dwordx2 v[24:25], v[22:23], off sc1
	s_waitcnt vmcnt(0)
	v_cmp_eq_u16_sdwa s[34:35], v25, v27 src0_sel:BYTE_0 src1_sel:DWORD
	s_and_saveexec_b64 s[30:31], s[34:35]
	s_cbranch_execz .LBB902_108
; %bb.103:
	s_mov_b32 s36, 1
	s_mov_b64 s[34:35], 0
	v_mov_b32_e32 v19, 0
.LBB902_104:                            ; =>This Loop Header: Depth=1
                                        ;     Child Loop BB902_105 Depth 2
	s_max_u32 s37, s36, 1
.LBB902_105:                            ;   Parent Loop BB902_104 Depth=1
                                        ; =>  This Inner Loop Header: Depth=2
	s_add_i32 s37, s37, -1
	s_cmp_eq_u32 s37, 0
	s_sleep 1
	s_cbranch_scc0 .LBB902_105
; %bb.106:                              ;   in Loop: Header=BB902_104 Depth=1
	global_load_dwordx2 v[24:25], v[22:23], off sc1
	s_cmp_lt_u32 s36, 32
	s_cselect_b64 s[38:39], -1, 0
	s_cmp_lg_u64 s[38:39], 0
	s_addc_u32 s36, s36, 0
	s_waitcnt vmcnt(0)
	v_cmp_ne_u16_sdwa s[38:39], v25, v19 src0_sel:BYTE_0 src1_sel:DWORD
	s_or_b64 s[34:35], s[38:39], s[34:35]
	s_andn2_b64 exec, exec, s[34:35]
	s_cbranch_execnz .LBB902_104
; %bb.107:
	s_or_b64 exec, exec, s[34:35]
.LBB902_108:
	s_or_b64 exec, exec, s[30:31]
	v_and_b32_e32 v58, 63, v46
	v_mov_b32_e32 v56, 2
	v_cmp_ne_u32_e32 vcc, 63, v58
	v_cmp_eq_u16_sdwa s[30:31], v25, v56 src0_sel:BYTE_0 src1_sel:DWORD
	v_lshlrev_b64 v[22:23], v46, -1
	v_addc_co_u32_e32 v26, vcc, 0, v46, vcc
	v_and_b32_e32 v19, s31, v23
	v_lshlrev_b32_e32 v60, 2, v26
	v_or_b32_e32 v19, 0x80000000, v19
	ds_bpermute_b32 v26, v60, v24
	v_and_b32_e32 v21, s30, v22
	v_ffbl_b32_e32 v19, v19
	v_add_u32_e32 v19, 32, v19
	v_ffbl_b32_e32 v21, v21
	v_min_u32_e32 v19, v21, v19
	v_cmp_lt_u32_e32 vcc, v58, v19
	v_add_u32_e32 v64, 2, v58
	v_add_u32_e32 v67, 4, v58
	s_waitcnt lgkmcnt(0)
	v_cndmask_b32_e32 v21, 0, v26, vcc
	v_cmp_gt_u32_e32 vcc, 62, v58
	v_add_u32_e32 v21, v21, v24
	v_add_u32_e32 v69, 8, v58
	v_cndmask_b32_e64 v24, 0, 1, vcc
	v_lshlrev_b32_e32 v24, 1, v24
	v_add_lshl_u32 v62, v24, v46, 2
	ds_bpermute_b32 v24, v62, v21
	v_cmp_le_u32_e32 vcc, v64, v19
	v_add_u32_e32 v71, 16, v58
	v_add_u32_e32 v73, 32, v58
	s_waitcnt lgkmcnt(0)
	v_cndmask_b32_e32 v24, 0, v24, vcc
	v_cmp_gt_u32_e32 vcc, 60, v58
	v_add_u32_e32 v21, v21, v24
	s_nop 0
	v_cndmask_b32_e64 v24, 0, 1, vcc
	v_lshlrev_b32_e32 v24, 2, v24
	v_add_lshl_u32 v66, v24, v46, 2
	ds_bpermute_b32 v24, v66, v21
	v_cmp_le_u32_e32 vcc, v67, v19
	s_waitcnt lgkmcnt(0)
	s_nop 0
	v_cndmask_b32_e32 v24, 0, v24, vcc
	v_cmp_gt_u32_e32 vcc, 56, v58
	v_add_u32_e32 v21, v21, v24
	s_nop 0
	v_cndmask_b32_e64 v24, 0, 1, vcc
	v_lshlrev_b32_e32 v24, 3, v24
	v_add_lshl_u32 v68, v24, v46, 2
	ds_bpermute_b32 v24, v68, v21
	v_cmp_le_u32_e32 vcc, v69, v19
	s_waitcnt lgkmcnt(0)
	s_nop 0
	;; [unrolled: 11-line block ×4, first 2 shown]
	v_cndmask_b32_e32 v19, 0, v24, vcc
	v_add_u32_e32 v24, v21, v19
	v_mov_b32_e32 v21, 0
	s_branch .LBB902_110
.LBB902_109:                            ;   in Loop: Header=BB902_110 Depth=1
	s_or_b64 exec, exec, s[30:31]
	v_cmp_eq_u16_sdwa s[30:31], v25, v56 src0_sel:BYTE_0 src1_sel:DWORD
	ds_bpermute_b32 v74, v60, v24
	v_subrev_u32_e32 v20, 64, v20
	v_and_b32_e32 v26, s31, v23
	v_or_b32_e32 v26, 0x80000000, v26
	v_and_b32_e32 v27, s30, v22
	v_ffbl_b32_e32 v26, v26
	v_add_u32_e32 v26, 32, v26
	v_ffbl_b32_e32 v27, v27
	v_min_u32_e32 v26, v27, v26
	v_cmp_lt_u32_e32 vcc, v58, v26
	s_waitcnt lgkmcnt(0)
	s_nop 0
	v_cndmask_b32_e32 v27, 0, v74, vcc
	v_add_u32_e32 v24, v27, v24
	ds_bpermute_b32 v27, v62, v24
	v_cmp_le_u32_e32 vcc, v64, v26
	s_waitcnt lgkmcnt(0)
	s_nop 0
	v_cndmask_b32_e32 v27, 0, v27, vcc
	v_add_u32_e32 v24, v24, v27
	ds_bpermute_b32 v27, v66, v24
	v_cmp_le_u32_e32 vcc, v67, v26
	;; [unrolled: 6-line block ×5, first 2 shown]
	s_waitcnt lgkmcnt(0)
	s_nop 0
	v_cndmask_b32_e32 v26, 0, v27, vcc
	v_add3_u32 v24, v26, v19, v24
.LBB902_110:                            ; =>This Loop Header: Depth=1
                                        ;     Child Loop BB902_113 Depth 2
                                        ;       Child Loop BB902_114 Depth 3
	v_cmp_ne_u16_sdwa s[30:31], v25, v56 src0_sel:BYTE_0 src1_sel:DWORD
	s_nop 1
	v_cndmask_b32_e64 v19, 0, 1, s[30:31]
	;;#ASMSTART
	;;#ASMEND
	s_nop 0
	v_cmp_ne_u32_e32 vcc, 0, v19
	s_cmp_lg_u64 vcc, exec
	v_mov_b32_e32 v19, v24
	s_cbranch_scc1 .LBB902_117
; %bb.111:                              ;   in Loop: Header=BB902_110 Depth=1
	v_lshl_add_u64 v[26:27], v[20:21], 3, s[28:29]
	global_load_dwordx2 v[24:25], v[26:27], off sc1
	s_waitcnt vmcnt(0)
	v_cmp_eq_u16_sdwa s[34:35], v25, v21 src0_sel:BYTE_0 src1_sel:DWORD
	s_and_saveexec_b64 s[30:31], s[34:35]
	s_cbranch_execz .LBB902_109
; %bb.112:                              ;   in Loop: Header=BB902_110 Depth=1
	s_mov_b32 s36, 1
	s_mov_b64 s[34:35], 0
.LBB902_113:                            ;   Parent Loop BB902_110 Depth=1
                                        ; =>  This Loop Header: Depth=2
                                        ;       Child Loop BB902_114 Depth 3
	s_max_u32 s37, s36, 1
.LBB902_114:                            ;   Parent Loop BB902_110 Depth=1
                                        ;     Parent Loop BB902_113 Depth=2
                                        ; =>    This Inner Loop Header: Depth=3
	s_add_i32 s37, s37, -1
	s_cmp_eq_u32 s37, 0
	s_sleep 1
	s_cbranch_scc0 .LBB902_114
; %bb.115:                              ;   in Loop: Header=BB902_113 Depth=2
	global_load_dwordx2 v[24:25], v[26:27], off sc1
	s_cmp_lt_u32 s36, 32
	s_cselect_b64 s[38:39], -1, 0
	s_cmp_lg_u64 s[38:39], 0
	s_addc_u32 s36, s36, 0
	s_waitcnt vmcnt(0)
	v_cmp_ne_u16_sdwa s[38:39], v25, v21 src0_sel:BYTE_0 src1_sel:DWORD
	s_or_b64 s[34:35], s[38:39], s[34:35]
	s_andn2_b64 exec, exec, s[34:35]
	s_cbranch_execnz .LBB902_113
; %bb.116:                              ;   in Loop: Header=BB902_110 Depth=1
	s_or_b64 exec, exec, s[34:35]
	s_branch .LBB902_109
.LBB902_117:                            ;   in Loop: Header=BB902_110 Depth=1
                                        ; implicit-def: $vgpr24
                                        ; implicit-def: $vgpr25
	s_cbranch_execz .LBB902_110
; %bb.118:
	s_and_saveexec_b64 s[30:31], s[16:17]
	s_cbranch_execz .LBB902_120
; %bb.119:
	s_add_i32 s34, s33, 64
	s_mov_b32 s35, 0
	s_lshl_b64 s[34:35], s[34:35], 3
	s_add_u32 s34, s28, s34
	v_add_u32_e32 v20, v19, v18
	v_mov_b32_e32 v21, 2
	s_addc_u32 s35, s29, s35
	v_mov_b32_e32 v22, 0
	global_store_dwordx2 v22, v[20:21], s[34:35] sc1
	ds_write_b64 v22, v[18:19] offset:30720
.LBB902_120:
	s_or_b64 exec, exec, s[30:31]
	s_and_b64 exec, exec, s[18:19]
	s_cbranch_execz .LBB902_122
; %bb.121:
	v_mov_b32_e32 v18, 0
	ds_write_b32 v18, v19 offset:28
.LBB902_122:
	s_or_b64 exec, exec, s[0:1]
	v_mov_b32_e32 v18, 0
	s_waitcnt lgkmcnt(0)
	s_barrier
	ds_read_b32 v20, v18 offset:28
	s_waitcnt lgkmcnt(0)
	s_barrier
	ds_read_b64 v[18:19], v18 offset:30720
	v_cndmask_b32_e64 v21, v54, v52, s[16:17]
	v_cndmask_b32_e64 v21, v21, 0, s[18:19]
	v_add_u32_e32 v76, v20, v21
	s_waitcnt lgkmcnt(0)
	v_mov_b32_e32 v20, v19
	s_branch .LBB902_133
.LBB902_123:
                                        ; implicit-def: $vgpr20
                                        ; implicit-def: $vgpr18
                                        ; implicit-def: $vgpr76
	s_cbranch_execz .LBB902_133
; %bb.124:
	s_nop 0
	v_mov_b32_dpp v18, v50 row_shr:1 row_mask:0xf bank_mask:0xf
	v_cndmask_b32_e64 v18, v18, 0, s[14:15]
	v_add_u32_e32 v18, v18, v50
	s_nop 1
	v_mov_b32_dpp v19, v18 row_shr:2 row_mask:0xf bank_mask:0xf
	v_cndmask_b32_e64 v19, 0, v19, s[12:13]
	v_add_u32_e32 v18, v18, v19
	;; [unrolled: 4-line block ×4, first 2 shown]
	s_nop 1
	v_mov_b32_dpp v19, v18 row_bcast:15 row_mask:0xf bank_mask:0xf
	v_cndmask_b32_e64 v19, v19, 0, s[6:7]
	v_add_u32_e32 v18, v18, v19
	s_nop 1
	v_mov_b32_dpp v19, v18 row_bcast:31 row_mask:0xf bank_mask:0xf
	v_cndmask_b32_e64 v19, 0, v19, s[2:3]
	v_add_u32_e32 v18, v18, v19
	s_and_saveexec_b64 s[0:1], s[4:5]
	s_cbranch_execz .LBB902_126
; %bb.125:
	v_lshlrev_b32_e32 v19, 2, v48
	ds_write_b32 v19, v18
.LBB902_126:
	s_or_b64 exec, exec, s[0:1]
	v_cmp_gt_u32_e32 vcc, 8, v0
	s_waitcnt lgkmcnt(0)
	s_barrier
	s_and_saveexec_b64 s[0:1], vcc
	s_cbranch_execz .LBB902_128
; %bb.127:
	v_lshlrev_b32_e32 v19, 2, v0
	ds_read_b32 v20, v19
	v_and_b32_e32 v21, 7, v46
	v_cmp_ne_u32_e32 vcc, 0, v21
	s_waitcnt lgkmcnt(0)
	v_mov_b32_dpp v22, v20 row_shr:1 row_mask:0xf bank_mask:0xf
	v_cndmask_b32_e32 v22, 0, v22, vcc
	v_add_u32_e32 v20, v22, v20
	v_cmp_lt_u32_e32 vcc, 1, v21
	s_nop 0
	v_mov_b32_dpp v22, v20 row_shr:2 row_mask:0xf bank_mask:0xf
	v_cndmask_b32_e32 v22, 0, v22, vcc
	v_add_u32_e32 v20, v20, v22
	v_cmp_lt_u32_e32 vcc, 3, v21
	s_nop 0
	v_mov_b32_dpp v22, v20 row_shr:4 row_mask:0xf bank_mask:0xf
	v_cndmask_b32_e32 v21, 0, v22, vcc
	v_add_u32_e32 v20, v20, v21
	ds_write_b32 v19, v20
.LBB902_128:
	s_or_b64 exec, exec, s[0:1]
	v_cmp_lt_u32_e32 vcc, 63, v0
	v_mov_b32_e32 v19, 0
	v_mov_b32_e32 v20, 0
	s_waitcnt lgkmcnt(0)
	s_barrier
	s_and_saveexec_b64 s[0:1], vcc
	s_cbranch_execz .LBB902_130
; %bb.129:
	v_lshl_add_u32 v20, v48, 2, -4
	ds_read_b32 v20, v20
.LBB902_130:
	s_or_b64 exec, exec, s[0:1]
	v_add_u32_e32 v21, -1, v46
	v_and_b32_e32 v22, 64, v46
	v_cmp_lt_i32_e32 vcc, v21, v22
	s_waitcnt lgkmcnt(0)
	v_add_u32_e32 v18, v20, v18
	v_cndmask_b32_e32 v21, v21, v46, vcc
	v_lshlrev_b32_e32 v21, 2, v21
	ds_bpermute_b32 v21, v21, v18
	ds_read_b32 v18, v19 offset:28
	s_and_saveexec_b64 s[0:1], s[18:19]
	s_cbranch_execz .LBB902_132
; %bb.131:
	v_mov_b32_e32 v22, 0
	v_mov_b32_e32 v19, 2
	s_waitcnt lgkmcnt(0)
	global_store_dwordx2 v22, v[18:19], s[28:29] offset:512 sc1
.LBB902_132:
	s_or_b64 exec, exec, s[0:1]
	v_cmp_eq_u32_e32 vcc, 0, v46
	s_waitcnt lgkmcnt(0)
	s_barrier
	v_cndmask_b32_e32 v19, v21, v20, vcc
	v_mov_b32_e32 v20, 0
	v_cndmask_b32_e64 v76, v19, 0, s[18:19]
.LBB902_133:
	v_add_u32_e32 v80, v76, v28
	v_add_u32_e32 v78, v80, v29
	;; [unrolled: 1-line block ×27, first 2 shown]
	s_movk_i32 s0, 0x201
	v_add_u32_e32 v24, v26, v65
	v_cmp_gt_u32_e32 vcc, s0, v18
	v_add_u32_sdwa v22, v24, v86 dst_sel:DWORD dst_unused:UNUSED_PAD src0_sel:DWORD src1_sel:BYTE_0
	s_mov_b64 s[0:1], -1
	s_cbranch_vccnz .LBB902_137
; %bb.134:
	s_and_b64 vcc, exec, s[0:1]
	s_cbranch_vccnz .LBB902_228
.LBB902_135:
	s_and_b64 s[0:1], s[18:19], s[22:23]
	s_and_saveexec_b64 s[2:3], s[0:1]
	s_cbranch_execnz .LBB902_302
.LBB902_136:
	s_endpgm
.LBB902_137:
	v_add_u32_e32 v19, v20, v18
	v_lshlrev_b64 v[82:83], 1, v[8:9]
	v_cmp_lt_u32_e32 vcc, v76, v19
	v_lshl_add_u64 v[82:83], s[24:25], 0, v[82:83]
	s_or_b64 s[2:3], s[26:27], vcc
	s_and_saveexec_b64 s[0:1], s[2:3]
	s_cbranch_execz .LBB902_140
; %bb.138:
	v_and_b32_e32 v21, 1, v114
	v_cmp_eq_u32_e32 vcc, 1, v21
	s_and_b64 exec, exec, vcc
	s_cbranch_execz .LBB902_140
; %bb.139:
	v_mov_b32_e32 v77, 0
	v_lshl_add_u64 v[116:117], v[76:77], 1, v[82:83]
	global_store_short v[116:117], v16, off
.LBB902_140:
	s_or_b64 exec, exec, s[0:1]
	v_cmp_lt_u32_e32 vcc, v80, v19
	s_or_b64 s[2:3], s[26:27], vcc
	s_and_saveexec_b64 s[0:1], s[2:3]
	s_cbranch_execz .LBB902_143
; %bb.141:
	v_and_b32_e32 v21, 1, v113
	v_cmp_eq_u32_e32 vcc, 1, v21
	s_and_b64 exec, exec, vcc
	s_cbranch_execz .LBB902_143
; %bb.142:
	v_mov_b32_e32 v81, 0
	v_lshl_add_u64 v[116:117], v[80:81], 1, v[82:83]
	global_store_short_d16_hi v[116:117], v16, off
.LBB902_143:
	s_or_b64 exec, exec, s[0:1]
	v_cmp_lt_u32_e32 vcc, v78, v19
	s_or_b64 s[2:3], s[26:27], vcc
	s_and_saveexec_b64 s[0:1], s[2:3]
	s_cbranch_execz .LBB902_146
; %bb.144:
	v_and_b32_e32 v21, 1, v112
	v_cmp_eq_u32_e32 vcc, 1, v21
	s_and_b64 exec, exec, vcc
	s_cbranch_execz .LBB902_146
; %bb.145:
	v_mov_b32_e32 v79, 0
	v_lshl_add_u64 v[116:117], v[78:79], 1, v[82:83]
	global_store_short v[116:117], v17, off
.LBB902_146:
	s_or_b64 exec, exec, s[0:1]
	v_cmp_lt_u32_e32 vcc, v74, v19
	s_or_b64 s[2:3], s[26:27], vcc
	s_and_saveexec_b64 s[0:1], s[2:3]
	s_cbranch_execz .LBB902_149
; %bb.147:
	v_and_b32_e32 v21, 1, v111
	v_cmp_eq_u32_e32 vcc, 1, v21
	s_and_b64 exec, exec, vcc
	s_cbranch_execz .LBB902_149
; %bb.148:
	v_mov_b32_e32 v75, 0
	v_lshl_add_u64 v[116:117], v[74:75], 1, v[82:83]
	global_store_short_d16_hi v[116:117], v17, off
.LBB902_149:
	s_or_b64 exec, exec, s[0:1]
	v_cmp_lt_u32_e32 vcc, v72, v19
	;; [unrolled: 30-line block ×14, first 2 shown]
	s_or_b64 s[2:3], s[26:27], vcc
	s_and_saveexec_b64 s[0:1], s[2:3]
	s_cbranch_execz .LBB902_224
; %bb.222:
	v_and_b32_e32 v21, 1, v86
	v_cmp_eq_u32_e32 vcc, 1, v21
	s_and_b64 exec, exec, vcc
	s_cbranch_execz .LBB902_224
; %bb.223:
	v_mov_b32_e32 v25, 0
	v_lshl_add_u64 v[116:117], v[24:25], 1, v[82:83]
	global_store_short v[116:117], v84, off
.LBB902_224:
	s_or_b64 exec, exec, s[0:1]
	v_cmp_lt_u32_e32 vcc, v22, v19
	s_or_b64 s[2:3], s[26:27], vcc
	s_and_saveexec_b64 s[0:1], s[2:3]
	s_cbranch_execz .LBB902_227
; %bb.225:
	v_and_b32_e32 v19, 1, v85
	v_cmp_eq_u32_e32 vcc, 1, v19
	s_and_b64 exec, exec, vcc
	s_cbranch_execz .LBB902_227
; %bb.226:
	v_mov_b32_e32 v23, 0
	v_lshl_add_u64 v[82:83], v[22:23], 1, v[82:83]
	global_store_short v[82:83], v1, off
.LBB902_227:
	s_or_b64 exec, exec, s[0:1]
	s_branch .LBB902_135
.LBB902_228:
	v_and_b32_e32 v19, 1, v114
	v_cmp_eq_u32_e32 vcc, 1, v19
	s_and_saveexec_b64 s[0:1], vcc
	s_cbranch_execz .LBB902_230
; %bb.229:
	v_sub_u32_e32 v19, v76, v20
	v_lshlrev_b32_e32 v19, 1, v19
	ds_write_b16 v19, v16
.LBB902_230:
	s_or_b64 exec, exec, s[0:1]
	v_and_b32_e32 v19, 1, v113
	v_cmp_eq_u32_e32 vcc, 1, v19
	s_and_saveexec_b64 s[0:1], vcc
	s_cbranch_execz .LBB902_232
; %bb.231:
	v_sub_u32_e32 v19, v80, v20
	v_lshlrev_b32_e32 v19, 1, v19
	ds_write_b16_d16_hi v19, v16
.LBB902_232:
	s_or_b64 exec, exec, s[0:1]
	v_and_b32_e32 v16, 1, v112
	v_cmp_eq_u32_e32 vcc, 1, v16
	s_and_saveexec_b64 s[0:1], vcc
	s_cbranch_execz .LBB902_234
; %bb.233:
	v_sub_u32_e32 v16, v78, v20
	v_lshlrev_b32_e32 v16, 1, v16
	ds_write_b16 v16, v17
.LBB902_234:
	s_or_b64 exec, exec, s[0:1]
	v_and_b32_e32 v16, 1, v111
	v_cmp_eq_u32_e32 vcc, 1, v16
	s_and_saveexec_b64 s[0:1], vcc
	s_cbranch_execz .LBB902_236
; %bb.235:
	v_sub_u32_e32 v16, v74, v20
	v_lshlrev_b32_e32 v16, 1, v16
	ds_write_b16_d16_hi v16, v17
.LBB902_236:
	s_or_b64 exec, exec, s[0:1]
	;; [unrolled: 20-line block ×14, first 2 shown]
	v_and_b32_e32 v2, 1, v86
	v_cmp_eq_u32_e32 vcc, 1, v2
	s_and_saveexec_b64 s[0:1], vcc
	s_cbranch_execz .LBB902_286
; %bb.285:
	v_sub_u32_e32 v2, v24, v20
	v_lshlrev_b32_e32 v2, 1, v2
	ds_write_b16 v2, v84
.LBB902_286:
	s_or_b64 exec, exec, s[0:1]
	v_and_b32_e32 v2, 1, v85
	v_cmp_eq_u32_e32 vcc, 1, v2
	s_and_saveexec_b64 s[0:1], vcc
	s_cbranch_execz .LBB902_288
; %bb.287:
	v_sub_u32_e32 v2, v22, v20
	v_lshlrev_b32_e32 v2, 1, v2
	ds_write_b16 v2, v1
.LBB902_288:
	s_or_b64 exec, exec, s[0:1]
	v_cmp_lt_u32_e32 vcc, v0, v18
	s_waitcnt lgkmcnt(0)
	s_barrier
	s_and_saveexec_b64 s[0:1], vcc
	s_cbranch_execz .LBB902_301
; %bb.289:
	v_mov_b32_e32 v21, 0
	v_lshlrev_b64 v[2:3], 1, v[8:9]
	v_lshl_add_u64 v[2:3], s[24:25], 0, v[2:3]
	v_lshlrev_b64 v[4:5], 1, v[20:21]
	v_xad_u32 v1, v0, -1, v18
	s_movk_i32 s2, 0x5ff
	v_lshl_add_u64 v[10:11], v[2:3], 0, v[4:5]
	v_cmp_lt_u32_e32 vcc, s2, v1
	s_mov_b64 s[4:5], -1
	s_and_saveexec_b64 s[2:3], vcc
	s_cbranch_execz .LBB902_298
; %bb.290:
	v_lshrrev_b32_e32 v14, 9, v1
	v_add_u32_e32 v4, -3, v14
	v_or_b32_e32 v3, 0x600, v0
	v_or_b32_e32 v2, 0x400, v0
	v_lshrrev_b32_e32 v5, 2, v4
	v_or_b32_e32 v1, 0x200, v0
	v_add_u32_e32 v16, 1, v5
	v_cmp_lt_u32_e32 vcc, 11, v4
	v_mov_b64_e32 v[6:7], v[2:3]
	v_lshlrev_b32_e32 v15, 1, v0
	v_mov_b64_e32 v[4:5], v[0:1]
	s_and_saveexec_b64 s[4:5], vcc
	s_cbranch_execz .LBB902_294
; %bb.291:
	v_mov_b64_e32 v[6:7], v[2:3]
	v_and_b32_e32 v17, 0x7ffffffc, v16
	s_mov_b32 s8, 0
	s_mov_b64 s[6:7], 0
	v_mov_b32_e32 v13, 0
	v_mov_b32_e32 v19, v15
	v_mov_b64_e32 v[4:5], v[0:1]
.LBB902_292:                            ; =>This Inner Loop Header: Depth=1
	v_mov_b32_e32 v12, v4
	ds_read_u16 v1, v19
	ds_read_u16 v46, v19 offset:1024
	ds_read_u16 v47, v19 offset:2048
	;; [unrolled: 1-line block ×7, first 2 shown]
	v_lshl_add_u64 v[38:39], v[12:13], 1, v[10:11]
	v_mov_b32_e32 v12, v5
	v_lshl_add_u64 v[40:41], v[12:13], 1, v[10:11]
	v_mov_b32_e32 v12, v6
	ds_read_u16 v53, v19 offset:8192
	ds_read_u16 v54, v19 offset:9216
	;; [unrolled: 1-line block ×8, first 2 shown]
	v_lshl_add_u64 v[42:43], v[12:13], 1, v[10:11]
	v_mov_b32_e32 v12, v7
	v_add_u32_e32 v2, 0x800, v7
	v_mov_b32_e32 v3, v13
	v_lshl_add_u64 v[44:45], v[12:13], 1, v[10:11]
	v_add_u32_e32 v12, 0x800, v4
	v_add_u32_e32 v22, 0x800, v6
	;; [unrolled: 1-line block ×3, first 2 shown]
	v_mov_b32_e32 v25, v13
	v_mov_b32_e32 v23, v13
	v_add_u32_e32 v17, -4, v17
	v_lshl_add_u64 v[2:3], v[2:3], 1, v[10:11]
	s_waitcnt lgkmcnt(14)
	global_store_short v[38:39], v1, off
	global_store_short v[40:41], v46, off
	s_waitcnt lgkmcnt(13)
	global_store_short v[42:43], v47, off
	s_waitcnt lgkmcnt(12)
	global_store_short v[44:45], v48, off
	v_lshl_add_u64 v[38:39], v[12:13], 1, v[10:11]
	v_add_u32_e32 v12, 0x1000, v4
	v_add_u32_e32 v26, 0x1000, v7
	;; [unrolled: 1-line block ×4, first 2 shown]
	v_mov_b32_e32 v31, v13
	v_mov_b32_e32 v29, v13
	;; [unrolled: 1-line block ×3, first 2 shown]
	s_add_i32 s8, s8, 16
	v_lshl_add_u64 v[24:25], v[24:25], 1, v[10:11]
	v_lshl_add_u64 v[22:23], v[22:23], 1, v[10:11]
	v_cmp_eq_u32_e32 vcc, 0, v17
	s_waitcnt lgkmcnt(11)
	global_store_short v[38:39], v49, off
	s_waitcnt lgkmcnt(10)
	global_store_short v[24:25], v50, off
	;; [unrolled: 2-line block ×4, first 2 shown]
	v_lshl_add_u64 v[2:3], v[12:13], 1, v[10:11]
	v_add_u32_e32 v12, 0x1800, v4
	v_add_u32_e32 v32, 0x1800, v7
	;; [unrolled: 1-line block ×4, first 2 shown]
	v_mov_b32_e32 v37, v13
	v_mov_b32_e32 v35, v13
	;; [unrolled: 1-line block ×3, first 2 shown]
	v_add_u32_e32 v19, 0x4000, v19
	v_lshl_add_u64 v[30:31], v[30:31], 1, v[10:11]
	v_lshl_add_u64 v[28:29], v[28:29], 1, v[10:11]
	;; [unrolled: 1-line block ×3, first 2 shown]
	v_add_u32_e32 v5, 0x2000, v5
	v_mov_b32_e32 v21, s8
	v_add_u32_e32 v6, 0x2000, v6
	s_or_b64 s[6:7], vcc, s[6:7]
	v_add_u32_e32 v7, 0x2000, v7
	v_add_u32_e32 v4, 0x2000, v4
	s_waitcnt lgkmcnt(7)
	global_store_short v[2:3], v53, off
	s_waitcnt lgkmcnt(6)
	global_store_short v[30:31], v54, off
	s_waitcnt lgkmcnt(5)
	global_store_short v[28:29], v55, off
	s_waitcnt lgkmcnt(4)
	global_store_short v[26:27], v56, off
	v_lshl_add_u64 v[2:3], v[12:13], 1, v[10:11]
	v_lshl_add_u64 v[36:37], v[36:37], 1, v[10:11]
	v_lshl_add_u64 v[34:35], v[34:35], 1, v[10:11]
	v_lshl_add_u64 v[32:33], v[32:33], 1, v[10:11]
	s_waitcnt lgkmcnt(3)
	global_store_short v[2:3], v57, off
	s_waitcnt lgkmcnt(2)
	global_store_short v[36:37], v58, off
	;; [unrolled: 2-line block ×4, first 2 shown]
	s_andn2_b64 exec, exec, s[6:7]
	s_cbranch_execnz .LBB902_292
; %bb.293:
	s_or_b64 exec, exec, s[6:7]
.LBB902_294:
	s_or_b64 exec, exec, s[4:5]
	v_and_b32_e32 v1, 3, v16
	v_cmp_ne_u32_e32 vcc, 0, v1
	s_and_saveexec_b64 s[4:5], vcc
	s_cbranch_execz .LBB902_297
; %bb.295:
	v_lshl_or_b32 v12, v21, 10, v15
	s_mov_b64 s[6:7], 0
	v_mov_b32_e32 v3, 0
.LBB902_296:                            ; =>This Inner Loop Header: Depth=1
	ds_read_u16 v13, v12
	ds_read_u16 v15, v12 offset:1024
	ds_read_u16 v19, v12 offset:2048
	;; [unrolled: 1-line block ×3, first 2 shown]
	v_mov_b32_e32 v2, v4
	v_add_u32_e32 v1, -1, v1
	v_lshl_add_u64 v[16:17], v[2:3], 1, v[10:11]
	v_mov_b32_e32 v2, v5
	v_cmp_eq_u32_e32 vcc, 0, v1
	v_lshl_add_u64 v[22:23], v[2:3], 1, v[10:11]
	v_mov_b32_e32 v2, v6
	v_add_u32_e32 v4, 0x800, v4
	v_add_u32_e32 v12, 0x1000, v12
	v_add_u32_e32 v5, 0x800, v5
	v_add_u32_e32 v6, 0x800, v6
	s_or_b64 s[6:7], vcc, s[6:7]
	v_lshl_add_u64 v[24:25], v[2:3], 1, v[10:11]
	v_mov_b32_e32 v2, v7
	v_add_u32_e32 v7, 0x800, v7
	v_lshl_add_u64 v[26:27], v[2:3], 1, v[10:11]
	s_waitcnt lgkmcnt(3)
	global_store_short v[16:17], v13, off
	s_waitcnt lgkmcnt(2)
	global_store_short v[22:23], v15, off
	;; [unrolled: 2-line block ×4, first 2 shown]
	s_andn2_b64 exec, exec, s[6:7]
	s_cbranch_execnz .LBB902_296
.LBB902_297:
	s_or_b64 exec, exec, s[4:5]
	v_add_u32_e32 v1, 1, v14
	v_and_b32_e32 v2, 0xfffffc, v1
	v_cmp_ne_u32_e32 vcc, v1, v2
	v_lshl_or_b32 v0, v2, 9, v0
	s_orn2_b64 s[4:5], vcc, exec
.LBB902_298:
	s_or_b64 exec, exec, s[2:3]
	s_and_b64 exec, exec, s[4:5]
	s_cbranch_execz .LBB902_301
; %bb.299:
	v_lshlrev_b32_e32 v2, 1, v0
	s_mov_b64 s[2:3], 0
	v_mov_b32_e32 v1, 0
.LBB902_300:                            ; =>This Inner Loop Header: Depth=1
	ds_read_u16 v3, v2
	v_lshl_add_u64 v[4:5], v[0:1], 1, v[10:11]
	v_add_u32_e32 v0, 0x200, v0
	v_cmp_ge_u32_e32 vcc, v0, v18
	v_add_u32_e32 v2, 0x400, v2
	s_or_b64 s[2:3], vcc, s[2:3]
	s_waitcnt lgkmcnt(0)
	global_store_short v[4:5], v3, off
	s_andn2_b64 exec, exec, s[2:3]
	s_cbranch_execnz .LBB902_300
.LBB902_301:
	s_or_b64 exec, exec, s[0:1]
	s_and_b64 s[0:1], s[18:19], s[22:23]
	s_and_saveexec_b64 s[2:3], s[0:1]
	s_cbranch_execz .LBB902_136
.LBB902_302:
	v_mov_b32_e32 v19, 0
	v_lshl_add_u64 v[0:1], v[8:9], 0, v[18:19]
	v_mov_b32_e32 v21, v19
	v_lshl_add_u64 v[0:1], v[0:1], 0, v[20:21]
	global_store_dwordx2 v19, v[0:1], s[20:21]
	s_endpgm
	.section	.rodata,"a",@progbits
	.p2align	6, 0x0
	.amdhsa_kernel _ZN7rocprim17ROCPRIM_400000_NS6detail17trampoline_kernelINS0_14default_configENS1_25partition_config_selectorILNS1_17partition_subalgoE8EN3c104HalfENS0_10empty_typeEbEEZZNS1_14partition_implILS5_8ELb0ES3_jPKS7_PS8_PKS8_NS0_5tupleIJPS7_S8_EEENSG_IJSD_SD_EEENS0_18inequality_wrapperIN6hipcub16HIPCUB_304000_NS8EqualityEEEPlJS8_EEE10hipError_tPvRmT3_T4_T5_T6_T7_T9_mT8_P12ihipStream_tbDpT10_ENKUlT_T0_E_clISt17integral_constantIbLb1EES19_EEDaS14_S15_EUlS14_E_NS1_11comp_targetILNS1_3genE5ELNS1_11target_archE942ELNS1_3gpuE9ELNS1_3repE0EEENS1_30default_config_static_selectorELNS0_4arch9wavefront6targetE1EEEvT1_
		.amdhsa_group_segment_fixed_size 30728
		.amdhsa_private_segment_fixed_size 0
		.amdhsa_kernarg_size 128
		.amdhsa_user_sgpr_count 2
		.amdhsa_user_sgpr_dispatch_ptr 0
		.amdhsa_user_sgpr_queue_ptr 0
		.amdhsa_user_sgpr_kernarg_segment_ptr 1
		.amdhsa_user_sgpr_dispatch_id 0
		.amdhsa_user_sgpr_kernarg_preload_length 0
		.amdhsa_user_sgpr_kernarg_preload_offset 0
		.amdhsa_user_sgpr_private_segment_size 0
		.amdhsa_uses_dynamic_stack 0
		.amdhsa_enable_private_segment 0
		.amdhsa_system_sgpr_workgroup_id_x 1
		.amdhsa_system_sgpr_workgroup_id_y 0
		.amdhsa_system_sgpr_workgroup_id_z 0
		.amdhsa_system_sgpr_workgroup_info 0
		.amdhsa_system_vgpr_workitem_id 0
		.amdhsa_next_free_vgpr 118
		.amdhsa_next_free_sgpr 81
		.amdhsa_accum_offset 120
		.amdhsa_reserve_vcc 1
		.amdhsa_float_round_mode_32 0
		.amdhsa_float_round_mode_16_64 0
		.amdhsa_float_denorm_mode_32 3
		.amdhsa_float_denorm_mode_16_64 3
		.amdhsa_dx10_clamp 1
		.amdhsa_ieee_mode 1
		.amdhsa_fp16_overflow 0
		.amdhsa_tg_split 0
		.amdhsa_exception_fp_ieee_invalid_op 0
		.amdhsa_exception_fp_denorm_src 0
		.amdhsa_exception_fp_ieee_div_zero 0
		.amdhsa_exception_fp_ieee_overflow 0
		.amdhsa_exception_fp_ieee_underflow 0
		.amdhsa_exception_fp_ieee_inexact 0
		.amdhsa_exception_int_div_zero 0
	.end_amdhsa_kernel
	.section	.text._ZN7rocprim17ROCPRIM_400000_NS6detail17trampoline_kernelINS0_14default_configENS1_25partition_config_selectorILNS1_17partition_subalgoE8EN3c104HalfENS0_10empty_typeEbEEZZNS1_14partition_implILS5_8ELb0ES3_jPKS7_PS8_PKS8_NS0_5tupleIJPS7_S8_EEENSG_IJSD_SD_EEENS0_18inequality_wrapperIN6hipcub16HIPCUB_304000_NS8EqualityEEEPlJS8_EEE10hipError_tPvRmT3_T4_T5_T6_T7_T9_mT8_P12ihipStream_tbDpT10_ENKUlT_T0_E_clISt17integral_constantIbLb1EES19_EEDaS14_S15_EUlS14_E_NS1_11comp_targetILNS1_3genE5ELNS1_11target_archE942ELNS1_3gpuE9ELNS1_3repE0EEENS1_30default_config_static_selectorELNS0_4arch9wavefront6targetE1EEEvT1_,"axG",@progbits,_ZN7rocprim17ROCPRIM_400000_NS6detail17trampoline_kernelINS0_14default_configENS1_25partition_config_selectorILNS1_17partition_subalgoE8EN3c104HalfENS0_10empty_typeEbEEZZNS1_14partition_implILS5_8ELb0ES3_jPKS7_PS8_PKS8_NS0_5tupleIJPS7_S8_EEENSG_IJSD_SD_EEENS0_18inequality_wrapperIN6hipcub16HIPCUB_304000_NS8EqualityEEEPlJS8_EEE10hipError_tPvRmT3_T4_T5_T6_T7_T9_mT8_P12ihipStream_tbDpT10_ENKUlT_T0_E_clISt17integral_constantIbLb1EES19_EEDaS14_S15_EUlS14_E_NS1_11comp_targetILNS1_3genE5ELNS1_11target_archE942ELNS1_3gpuE9ELNS1_3repE0EEENS1_30default_config_static_selectorELNS0_4arch9wavefront6targetE1EEEvT1_,comdat
.Lfunc_end902:
	.size	_ZN7rocprim17ROCPRIM_400000_NS6detail17trampoline_kernelINS0_14default_configENS1_25partition_config_selectorILNS1_17partition_subalgoE8EN3c104HalfENS0_10empty_typeEbEEZZNS1_14partition_implILS5_8ELb0ES3_jPKS7_PS8_PKS8_NS0_5tupleIJPS7_S8_EEENSG_IJSD_SD_EEENS0_18inequality_wrapperIN6hipcub16HIPCUB_304000_NS8EqualityEEEPlJS8_EEE10hipError_tPvRmT3_T4_T5_T6_T7_T9_mT8_P12ihipStream_tbDpT10_ENKUlT_T0_E_clISt17integral_constantIbLb1EES19_EEDaS14_S15_EUlS14_E_NS1_11comp_targetILNS1_3genE5ELNS1_11target_archE942ELNS1_3gpuE9ELNS1_3repE0EEENS1_30default_config_static_selectorELNS0_4arch9wavefront6targetE1EEEvT1_, .Lfunc_end902-_ZN7rocprim17ROCPRIM_400000_NS6detail17trampoline_kernelINS0_14default_configENS1_25partition_config_selectorILNS1_17partition_subalgoE8EN3c104HalfENS0_10empty_typeEbEEZZNS1_14partition_implILS5_8ELb0ES3_jPKS7_PS8_PKS8_NS0_5tupleIJPS7_S8_EEENSG_IJSD_SD_EEENS0_18inequality_wrapperIN6hipcub16HIPCUB_304000_NS8EqualityEEEPlJS8_EEE10hipError_tPvRmT3_T4_T5_T6_T7_T9_mT8_P12ihipStream_tbDpT10_ENKUlT_T0_E_clISt17integral_constantIbLb1EES19_EEDaS14_S15_EUlS14_E_NS1_11comp_targetILNS1_3genE5ELNS1_11target_archE942ELNS1_3gpuE9ELNS1_3repE0EEENS1_30default_config_static_selectorELNS0_4arch9wavefront6targetE1EEEvT1_
                                        ; -- End function
	.section	.AMDGPU.csdata,"",@progbits
; Kernel info:
; codeLenInByte = 12856
; NumSgprs: 87
; NumVgprs: 118
; NumAgprs: 0
; TotalNumVgprs: 118
; ScratchSize: 0
; MemoryBound: 0
; FloatMode: 240
; IeeeMode: 1
; LDSByteSize: 30728 bytes/workgroup (compile time only)
; SGPRBlocks: 10
; VGPRBlocks: 14
; NumSGPRsForWavesPerEU: 87
; NumVGPRsForWavesPerEU: 118
; AccumOffset: 120
; Occupancy: 4
; WaveLimiterHint : 1
; COMPUTE_PGM_RSRC2:SCRATCH_EN: 0
; COMPUTE_PGM_RSRC2:USER_SGPR: 2
; COMPUTE_PGM_RSRC2:TRAP_HANDLER: 0
; COMPUTE_PGM_RSRC2:TGID_X_EN: 1
; COMPUTE_PGM_RSRC2:TGID_Y_EN: 0
; COMPUTE_PGM_RSRC2:TGID_Z_EN: 0
; COMPUTE_PGM_RSRC2:TIDIG_COMP_CNT: 0
; COMPUTE_PGM_RSRC3_GFX90A:ACCUM_OFFSET: 29
; COMPUTE_PGM_RSRC3_GFX90A:TG_SPLIT: 0
	.section	.text._ZN7rocprim17ROCPRIM_400000_NS6detail17trampoline_kernelINS0_14default_configENS1_25partition_config_selectorILNS1_17partition_subalgoE8EN3c104HalfENS0_10empty_typeEbEEZZNS1_14partition_implILS5_8ELb0ES3_jPKS7_PS8_PKS8_NS0_5tupleIJPS7_S8_EEENSG_IJSD_SD_EEENS0_18inequality_wrapperIN6hipcub16HIPCUB_304000_NS8EqualityEEEPlJS8_EEE10hipError_tPvRmT3_T4_T5_T6_T7_T9_mT8_P12ihipStream_tbDpT10_ENKUlT_T0_E_clISt17integral_constantIbLb1EES19_EEDaS14_S15_EUlS14_E_NS1_11comp_targetILNS1_3genE4ELNS1_11target_archE910ELNS1_3gpuE8ELNS1_3repE0EEENS1_30default_config_static_selectorELNS0_4arch9wavefront6targetE1EEEvT1_,"axG",@progbits,_ZN7rocprim17ROCPRIM_400000_NS6detail17trampoline_kernelINS0_14default_configENS1_25partition_config_selectorILNS1_17partition_subalgoE8EN3c104HalfENS0_10empty_typeEbEEZZNS1_14partition_implILS5_8ELb0ES3_jPKS7_PS8_PKS8_NS0_5tupleIJPS7_S8_EEENSG_IJSD_SD_EEENS0_18inequality_wrapperIN6hipcub16HIPCUB_304000_NS8EqualityEEEPlJS8_EEE10hipError_tPvRmT3_T4_T5_T6_T7_T9_mT8_P12ihipStream_tbDpT10_ENKUlT_T0_E_clISt17integral_constantIbLb1EES19_EEDaS14_S15_EUlS14_E_NS1_11comp_targetILNS1_3genE4ELNS1_11target_archE910ELNS1_3gpuE8ELNS1_3repE0EEENS1_30default_config_static_selectorELNS0_4arch9wavefront6targetE1EEEvT1_,comdat
	.protected	_ZN7rocprim17ROCPRIM_400000_NS6detail17trampoline_kernelINS0_14default_configENS1_25partition_config_selectorILNS1_17partition_subalgoE8EN3c104HalfENS0_10empty_typeEbEEZZNS1_14partition_implILS5_8ELb0ES3_jPKS7_PS8_PKS8_NS0_5tupleIJPS7_S8_EEENSG_IJSD_SD_EEENS0_18inequality_wrapperIN6hipcub16HIPCUB_304000_NS8EqualityEEEPlJS8_EEE10hipError_tPvRmT3_T4_T5_T6_T7_T9_mT8_P12ihipStream_tbDpT10_ENKUlT_T0_E_clISt17integral_constantIbLb1EES19_EEDaS14_S15_EUlS14_E_NS1_11comp_targetILNS1_3genE4ELNS1_11target_archE910ELNS1_3gpuE8ELNS1_3repE0EEENS1_30default_config_static_selectorELNS0_4arch9wavefront6targetE1EEEvT1_ ; -- Begin function _ZN7rocprim17ROCPRIM_400000_NS6detail17trampoline_kernelINS0_14default_configENS1_25partition_config_selectorILNS1_17partition_subalgoE8EN3c104HalfENS0_10empty_typeEbEEZZNS1_14partition_implILS5_8ELb0ES3_jPKS7_PS8_PKS8_NS0_5tupleIJPS7_S8_EEENSG_IJSD_SD_EEENS0_18inequality_wrapperIN6hipcub16HIPCUB_304000_NS8EqualityEEEPlJS8_EEE10hipError_tPvRmT3_T4_T5_T6_T7_T9_mT8_P12ihipStream_tbDpT10_ENKUlT_T0_E_clISt17integral_constantIbLb1EES19_EEDaS14_S15_EUlS14_E_NS1_11comp_targetILNS1_3genE4ELNS1_11target_archE910ELNS1_3gpuE8ELNS1_3repE0EEENS1_30default_config_static_selectorELNS0_4arch9wavefront6targetE1EEEvT1_
	.globl	_ZN7rocprim17ROCPRIM_400000_NS6detail17trampoline_kernelINS0_14default_configENS1_25partition_config_selectorILNS1_17partition_subalgoE8EN3c104HalfENS0_10empty_typeEbEEZZNS1_14partition_implILS5_8ELb0ES3_jPKS7_PS8_PKS8_NS0_5tupleIJPS7_S8_EEENSG_IJSD_SD_EEENS0_18inequality_wrapperIN6hipcub16HIPCUB_304000_NS8EqualityEEEPlJS8_EEE10hipError_tPvRmT3_T4_T5_T6_T7_T9_mT8_P12ihipStream_tbDpT10_ENKUlT_T0_E_clISt17integral_constantIbLb1EES19_EEDaS14_S15_EUlS14_E_NS1_11comp_targetILNS1_3genE4ELNS1_11target_archE910ELNS1_3gpuE8ELNS1_3repE0EEENS1_30default_config_static_selectorELNS0_4arch9wavefront6targetE1EEEvT1_
	.p2align	8
	.type	_ZN7rocprim17ROCPRIM_400000_NS6detail17trampoline_kernelINS0_14default_configENS1_25partition_config_selectorILNS1_17partition_subalgoE8EN3c104HalfENS0_10empty_typeEbEEZZNS1_14partition_implILS5_8ELb0ES3_jPKS7_PS8_PKS8_NS0_5tupleIJPS7_S8_EEENSG_IJSD_SD_EEENS0_18inequality_wrapperIN6hipcub16HIPCUB_304000_NS8EqualityEEEPlJS8_EEE10hipError_tPvRmT3_T4_T5_T6_T7_T9_mT8_P12ihipStream_tbDpT10_ENKUlT_T0_E_clISt17integral_constantIbLb1EES19_EEDaS14_S15_EUlS14_E_NS1_11comp_targetILNS1_3genE4ELNS1_11target_archE910ELNS1_3gpuE8ELNS1_3repE0EEENS1_30default_config_static_selectorELNS0_4arch9wavefront6targetE1EEEvT1_,@function
_ZN7rocprim17ROCPRIM_400000_NS6detail17trampoline_kernelINS0_14default_configENS1_25partition_config_selectorILNS1_17partition_subalgoE8EN3c104HalfENS0_10empty_typeEbEEZZNS1_14partition_implILS5_8ELb0ES3_jPKS7_PS8_PKS8_NS0_5tupleIJPS7_S8_EEENSG_IJSD_SD_EEENS0_18inequality_wrapperIN6hipcub16HIPCUB_304000_NS8EqualityEEEPlJS8_EEE10hipError_tPvRmT3_T4_T5_T6_T7_T9_mT8_P12ihipStream_tbDpT10_ENKUlT_T0_E_clISt17integral_constantIbLb1EES19_EEDaS14_S15_EUlS14_E_NS1_11comp_targetILNS1_3genE4ELNS1_11target_archE910ELNS1_3gpuE8ELNS1_3repE0EEENS1_30default_config_static_selectorELNS0_4arch9wavefront6targetE1EEEvT1_: ; @_ZN7rocprim17ROCPRIM_400000_NS6detail17trampoline_kernelINS0_14default_configENS1_25partition_config_selectorILNS1_17partition_subalgoE8EN3c104HalfENS0_10empty_typeEbEEZZNS1_14partition_implILS5_8ELb0ES3_jPKS7_PS8_PKS8_NS0_5tupleIJPS7_S8_EEENSG_IJSD_SD_EEENS0_18inequality_wrapperIN6hipcub16HIPCUB_304000_NS8EqualityEEEPlJS8_EEE10hipError_tPvRmT3_T4_T5_T6_T7_T9_mT8_P12ihipStream_tbDpT10_ENKUlT_T0_E_clISt17integral_constantIbLb1EES19_EEDaS14_S15_EUlS14_E_NS1_11comp_targetILNS1_3genE4ELNS1_11target_archE910ELNS1_3gpuE8ELNS1_3repE0EEENS1_30default_config_static_selectorELNS0_4arch9wavefront6targetE1EEEvT1_
; %bb.0:
	.section	.rodata,"a",@progbits
	.p2align	6, 0x0
	.amdhsa_kernel _ZN7rocprim17ROCPRIM_400000_NS6detail17trampoline_kernelINS0_14default_configENS1_25partition_config_selectorILNS1_17partition_subalgoE8EN3c104HalfENS0_10empty_typeEbEEZZNS1_14partition_implILS5_8ELb0ES3_jPKS7_PS8_PKS8_NS0_5tupleIJPS7_S8_EEENSG_IJSD_SD_EEENS0_18inequality_wrapperIN6hipcub16HIPCUB_304000_NS8EqualityEEEPlJS8_EEE10hipError_tPvRmT3_T4_T5_T6_T7_T9_mT8_P12ihipStream_tbDpT10_ENKUlT_T0_E_clISt17integral_constantIbLb1EES19_EEDaS14_S15_EUlS14_E_NS1_11comp_targetILNS1_3genE4ELNS1_11target_archE910ELNS1_3gpuE8ELNS1_3repE0EEENS1_30default_config_static_selectorELNS0_4arch9wavefront6targetE1EEEvT1_
		.amdhsa_group_segment_fixed_size 0
		.amdhsa_private_segment_fixed_size 0
		.amdhsa_kernarg_size 128
		.amdhsa_user_sgpr_count 2
		.amdhsa_user_sgpr_dispatch_ptr 0
		.amdhsa_user_sgpr_queue_ptr 0
		.amdhsa_user_sgpr_kernarg_segment_ptr 1
		.amdhsa_user_sgpr_dispatch_id 0
		.amdhsa_user_sgpr_kernarg_preload_length 0
		.amdhsa_user_sgpr_kernarg_preload_offset 0
		.amdhsa_user_sgpr_private_segment_size 0
		.amdhsa_uses_dynamic_stack 0
		.amdhsa_enable_private_segment 0
		.amdhsa_system_sgpr_workgroup_id_x 1
		.amdhsa_system_sgpr_workgroup_id_y 0
		.amdhsa_system_sgpr_workgroup_id_z 0
		.amdhsa_system_sgpr_workgroup_info 0
		.amdhsa_system_vgpr_workitem_id 0
		.amdhsa_next_free_vgpr 1
		.amdhsa_next_free_sgpr 0
		.amdhsa_accum_offset 4
		.amdhsa_reserve_vcc 0
		.amdhsa_float_round_mode_32 0
		.amdhsa_float_round_mode_16_64 0
		.amdhsa_float_denorm_mode_32 3
		.amdhsa_float_denorm_mode_16_64 3
		.amdhsa_dx10_clamp 1
		.amdhsa_ieee_mode 1
		.amdhsa_fp16_overflow 0
		.amdhsa_tg_split 0
		.amdhsa_exception_fp_ieee_invalid_op 0
		.amdhsa_exception_fp_denorm_src 0
		.amdhsa_exception_fp_ieee_div_zero 0
		.amdhsa_exception_fp_ieee_overflow 0
		.amdhsa_exception_fp_ieee_underflow 0
		.amdhsa_exception_fp_ieee_inexact 0
		.amdhsa_exception_int_div_zero 0
	.end_amdhsa_kernel
	.section	.text._ZN7rocprim17ROCPRIM_400000_NS6detail17trampoline_kernelINS0_14default_configENS1_25partition_config_selectorILNS1_17partition_subalgoE8EN3c104HalfENS0_10empty_typeEbEEZZNS1_14partition_implILS5_8ELb0ES3_jPKS7_PS8_PKS8_NS0_5tupleIJPS7_S8_EEENSG_IJSD_SD_EEENS0_18inequality_wrapperIN6hipcub16HIPCUB_304000_NS8EqualityEEEPlJS8_EEE10hipError_tPvRmT3_T4_T5_T6_T7_T9_mT8_P12ihipStream_tbDpT10_ENKUlT_T0_E_clISt17integral_constantIbLb1EES19_EEDaS14_S15_EUlS14_E_NS1_11comp_targetILNS1_3genE4ELNS1_11target_archE910ELNS1_3gpuE8ELNS1_3repE0EEENS1_30default_config_static_selectorELNS0_4arch9wavefront6targetE1EEEvT1_,"axG",@progbits,_ZN7rocprim17ROCPRIM_400000_NS6detail17trampoline_kernelINS0_14default_configENS1_25partition_config_selectorILNS1_17partition_subalgoE8EN3c104HalfENS0_10empty_typeEbEEZZNS1_14partition_implILS5_8ELb0ES3_jPKS7_PS8_PKS8_NS0_5tupleIJPS7_S8_EEENSG_IJSD_SD_EEENS0_18inequality_wrapperIN6hipcub16HIPCUB_304000_NS8EqualityEEEPlJS8_EEE10hipError_tPvRmT3_T4_T5_T6_T7_T9_mT8_P12ihipStream_tbDpT10_ENKUlT_T0_E_clISt17integral_constantIbLb1EES19_EEDaS14_S15_EUlS14_E_NS1_11comp_targetILNS1_3genE4ELNS1_11target_archE910ELNS1_3gpuE8ELNS1_3repE0EEENS1_30default_config_static_selectorELNS0_4arch9wavefront6targetE1EEEvT1_,comdat
.Lfunc_end903:
	.size	_ZN7rocprim17ROCPRIM_400000_NS6detail17trampoline_kernelINS0_14default_configENS1_25partition_config_selectorILNS1_17partition_subalgoE8EN3c104HalfENS0_10empty_typeEbEEZZNS1_14partition_implILS5_8ELb0ES3_jPKS7_PS8_PKS8_NS0_5tupleIJPS7_S8_EEENSG_IJSD_SD_EEENS0_18inequality_wrapperIN6hipcub16HIPCUB_304000_NS8EqualityEEEPlJS8_EEE10hipError_tPvRmT3_T4_T5_T6_T7_T9_mT8_P12ihipStream_tbDpT10_ENKUlT_T0_E_clISt17integral_constantIbLb1EES19_EEDaS14_S15_EUlS14_E_NS1_11comp_targetILNS1_3genE4ELNS1_11target_archE910ELNS1_3gpuE8ELNS1_3repE0EEENS1_30default_config_static_selectorELNS0_4arch9wavefront6targetE1EEEvT1_, .Lfunc_end903-_ZN7rocprim17ROCPRIM_400000_NS6detail17trampoline_kernelINS0_14default_configENS1_25partition_config_selectorILNS1_17partition_subalgoE8EN3c104HalfENS0_10empty_typeEbEEZZNS1_14partition_implILS5_8ELb0ES3_jPKS7_PS8_PKS8_NS0_5tupleIJPS7_S8_EEENSG_IJSD_SD_EEENS0_18inequality_wrapperIN6hipcub16HIPCUB_304000_NS8EqualityEEEPlJS8_EEE10hipError_tPvRmT3_T4_T5_T6_T7_T9_mT8_P12ihipStream_tbDpT10_ENKUlT_T0_E_clISt17integral_constantIbLb1EES19_EEDaS14_S15_EUlS14_E_NS1_11comp_targetILNS1_3genE4ELNS1_11target_archE910ELNS1_3gpuE8ELNS1_3repE0EEENS1_30default_config_static_selectorELNS0_4arch9wavefront6targetE1EEEvT1_
                                        ; -- End function
	.section	.AMDGPU.csdata,"",@progbits
; Kernel info:
; codeLenInByte = 0
; NumSgprs: 6
; NumVgprs: 0
; NumAgprs: 0
; TotalNumVgprs: 0
; ScratchSize: 0
; MemoryBound: 0
; FloatMode: 240
; IeeeMode: 1
; LDSByteSize: 0 bytes/workgroup (compile time only)
; SGPRBlocks: 0
; VGPRBlocks: 0
; NumSGPRsForWavesPerEU: 6
; NumVGPRsForWavesPerEU: 1
; AccumOffset: 4
; Occupancy: 8
; WaveLimiterHint : 0
; COMPUTE_PGM_RSRC2:SCRATCH_EN: 0
; COMPUTE_PGM_RSRC2:USER_SGPR: 2
; COMPUTE_PGM_RSRC2:TRAP_HANDLER: 0
; COMPUTE_PGM_RSRC2:TGID_X_EN: 1
; COMPUTE_PGM_RSRC2:TGID_Y_EN: 0
; COMPUTE_PGM_RSRC2:TGID_Z_EN: 0
; COMPUTE_PGM_RSRC2:TIDIG_COMP_CNT: 0
; COMPUTE_PGM_RSRC3_GFX90A:ACCUM_OFFSET: 0
; COMPUTE_PGM_RSRC3_GFX90A:TG_SPLIT: 0
	.section	.text._ZN7rocprim17ROCPRIM_400000_NS6detail17trampoline_kernelINS0_14default_configENS1_25partition_config_selectorILNS1_17partition_subalgoE8EN3c104HalfENS0_10empty_typeEbEEZZNS1_14partition_implILS5_8ELb0ES3_jPKS7_PS8_PKS8_NS0_5tupleIJPS7_S8_EEENSG_IJSD_SD_EEENS0_18inequality_wrapperIN6hipcub16HIPCUB_304000_NS8EqualityEEEPlJS8_EEE10hipError_tPvRmT3_T4_T5_T6_T7_T9_mT8_P12ihipStream_tbDpT10_ENKUlT_T0_E_clISt17integral_constantIbLb1EES19_EEDaS14_S15_EUlS14_E_NS1_11comp_targetILNS1_3genE3ELNS1_11target_archE908ELNS1_3gpuE7ELNS1_3repE0EEENS1_30default_config_static_selectorELNS0_4arch9wavefront6targetE1EEEvT1_,"axG",@progbits,_ZN7rocprim17ROCPRIM_400000_NS6detail17trampoline_kernelINS0_14default_configENS1_25partition_config_selectorILNS1_17partition_subalgoE8EN3c104HalfENS0_10empty_typeEbEEZZNS1_14partition_implILS5_8ELb0ES3_jPKS7_PS8_PKS8_NS0_5tupleIJPS7_S8_EEENSG_IJSD_SD_EEENS0_18inequality_wrapperIN6hipcub16HIPCUB_304000_NS8EqualityEEEPlJS8_EEE10hipError_tPvRmT3_T4_T5_T6_T7_T9_mT8_P12ihipStream_tbDpT10_ENKUlT_T0_E_clISt17integral_constantIbLb1EES19_EEDaS14_S15_EUlS14_E_NS1_11comp_targetILNS1_3genE3ELNS1_11target_archE908ELNS1_3gpuE7ELNS1_3repE0EEENS1_30default_config_static_selectorELNS0_4arch9wavefront6targetE1EEEvT1_,comdat
	.protected	_ZN7rocprim17ROCPRIM_400000_NS6detail17trampoline_kernelINS0_14default_configENS1_25partition_config_selectorILNS1_17partition_subalgoE8EN3c104HalfENS0_10empty_typeEbEEZZNS1_14partition_implILS5_8ELb0ES3_jPKS7_PS8_PKS8_NS0_5tupleIJPS7_S8_EEENSG_IJSD_SD_EEENS0_18inequality_wrapperIN6hipcub16HIPCUB_304000_NS8EqualityEEEPlJS8_EEE10hipError_tPvRmT3_T4_T5_T6_T7_T9_mT8_P12ihipStream_tbDpT10_ENKUlT_T0_E_clISt17integral_constantIbLb1EES19_EEDaS14_S15_EUlS14_E_NS1_11comp_targetILNS1_3genE3ELNS1_11target_archE908ELNS1_3gpuE7ELNS1_3repE0EEENS1_30default_config_static_selectorELNS0_4arch9wavefront6targetE1EEEvT1_ ; -- Begin function _ZN7rocprim17ROCPRIM_400000_NS6detail17trampoline_kernelINS0_14default_configENS1_25partition_config_selectorILNS1_17partition_subalgoE8EN3c104HalfENS0_10empty_typeEbEEZZNS1_14partition_implILS5_8ELb0ES3_jPKS7_PS8_PKS8_NS0_5tupleIJPS7_S8_EEENSG_IJSD_SD_EEENS0_18inequality_wrapperIN6hipcub16HIPCUB_304000_NS8EqualityEEEPlJS8_EEE10hipError_tPvRmT3_T4_T5_T6_T7_T9_mT8_P12ihipStream_tbDpT10_ENKUlT_T0_E_clISt17integral_constantIbLb1EES19_EEDaS14_S15_EUlS14_E_NS1_11comp_targetILNS1_3genE3ELNS1_11target_archE908ELNS1_3gpuE7ELNS1_3repE0EEENS1_30default_config_static_selectorELNS0_4arch9wavefront6targetE1EEEvT1_
	.globl	_ZN7rocprim17ROCPRIM_400000_NS6detail17trampoline_kernelINS0_14default_configENS1_25partition_config_selectorILNS1_17partition_subalgoE8EN3c104HalfENS0_10empty_typeEbEEZZNS1_14partition_implILS5_8ELb0ES3_jPKS7_PS8_PKS8_NS0_5tupleIJPS7_S8_EEENSG_IJSD_SD_EEENS0_18inequality_wrapperIN6hipcub16HIPCUB_304000_NS8EqualityEEEPlJS8_EEE10hipError_tPvRmT3_T4_T5_T6_T7_T9_mT8_P12ihipStream_tbDpT10_ENKUlT_T0_E_clISt17integral_constantIbLb1EES19_EEDaS14_S15_EUlS14_E_NS1_11comp_targetILNS1_3genE3ELNS1_11target_archE908ELNS1_3gpuE7ELNS1_3repE0EEENS1_30default_config_static_selectorELNS0_4arch9wavefront6targetE1EEEvT1_
	.p2align	8
	.type	_ZN7rocprim17ROCPRIM_400000_NS6detail17trampoline_kernelINS0_14default_configENS1_25partition_config_selectorILNS1_17partition_subalgoE8EN3c104HalfENS0_10empty_typeEbEEZZNS1_14partition_implILS5_8ELb0ES3_jPKS7_PS8_PKS8_NS0_5tupleIJPS7_S8_EEENSG_IJSD_SD_EEENS0_18inequality_wrapperIN6hipcub16HIPCUB_304000_NS8EqualityEEEPlJS8_EEE10hipError_tPvRmT3_T4_T5_T6_T7_T9_mT8_P12ihipStream_tbDpT10_ENKUlT_T0_E_clISt17integral_constantIbLb1EES19_EEDaS14_S15_EUlS14_E_NS1_11comp_targetILNS1_3genE3ELNS1_11target_archE908ELNS1_3gpuE7ELNS1_3repE0EEENS1_30default_config_static_selectorELNS0_4arch9wavefront6targetE1EEEvT1_,@function
_ZN7rocprim17ROCPRIM_400000_NS6detail17trampoline_kernelINS0_14default_configENS1_25partition_config_selectorILNS1_17partition_subalgoE8EN3c104HalfENS0_10empty_typeEbEEZZNS1_14partition_implILS5_8ELb0ES3_jPKS7_PS8_PKS8_NS0_5tupleIJPS7_S8_EEENSG_IJSD_SD_EEENS0_18inequality_wrapperIN6hipcub16HIPCUB_304000_NS8EqualityEEEPlJS8_EEE10hipError_tPvRmT3_T4_T5_T6_T7_T9_mT8_P12ihipStream_tbDpT10_ENKUlT_T0_E_clISt17integral_constantIbLb1EES19_EEDaS14_S15_EUlS14_E_NS1_11comp_targetILNS1_3genE3ELNS1_11target_archE908ELNS1_3gpuE7ELNS1_3repE0EEENS1_30default_config_static_selectorELNS0_4arch9wavefront6targetE1EEEvT1_: ; @_ZN7rocprim17ROCPRIM_400000_NS6detail17trampoline_kernelINS0_14default_configENS1_25partition_config_selectorILNS1_17partition_subalgoE8EN3c104HalfENS0_10empty_typeEbEEZZNS1_14partition_implILS5_8ELb0ES3_jPKS7_PS8_PKS8_NS0_5tupleIJPS7_S8_EEENSG_IJSD_SD_EEENS0_18inequality_wrapperIN6hipcub16HIPCUB_304000_NS8EqualityEEEPlJS8_EEE10hipError_tPvRmT3_T4_T5_T6_T7_T9_mT8_P12ihipStream_tbDpT10_ENKUlT_T0_E_clISt17integral_constantIbLb1EES19_EEDaS14_S15_EUlS14_E_NS1_11comp_targetILNS1_3genE3ELNS1_11target_archE908ELNS1_3gpuE7ELNS1_3repE0EEENS1_30default_config_static_selectorELNS0_4arch9wavefront6targetE1EEEvT1_
; %bb.0:
	.section	.rodata,"a",@progbits
	.p2align	6, 0x0
	.amdhsa_kernel _ZN7rocprim17ROCPRIM_400000_NS6detail17trampoline_kernelINS0_14default_configENS1_25partition_config_selectorILNS1_17partition_subalgoE8EN3c104HalfENS0_10empty_typeEbEEZZNS1_14partition_implILS5_8ELb0ES3_jPKS7_PS8_PKS8_NS0_5tupleIJPS7_S8_EEENSG_IJSD_SD_EEENS0_18inequality_wrapperIN6hipcub16HIPCUB_304000_NS8EqualityEEEPlJS8_EEE10hipError_tPvRmT3_T4_T5_T6_T7_T9_mT8_P12ihipStream_tbDpT10_ENKUlT_T0_E_clISt17integral_constantIbLb1EES19_EEDaS14_S15_EUlS14_E_NS1_11comp_targetILNS1_3genE3ELNS1_11target_archE908ELNS1_3gpuE7ELNS1_3repE0EEENS1_30default_config_static_selectorELNS0_4arch9wavefront6targetE1EEEvT1_
		.amdhsa_group_segment_fixed_size 0
		.amdhsa_private_segment_fixed_size 0
		.amdhsa_kernarg_size 128
		.amdhsa_user_sgpr_count 2
		.amdhsa_user_sgpr_dispatch_ptr 0
		.amdhsa_user_sgpr_queue_ptr 0
		.amdhsa_user_sgpr_kernarg_segment_ptr 1
		.amdhsa_user_sgpr_dispatch_id 0
		.amdhsa_user_sgpr_kernarg_preload_length 0
		.amdhsa_user_sgpr_kernarg_preload_offset 0
		.amdhsa_user_sgpr_private_segment_size 0
		.amdhsa_uses_dynamic_stack 0
		.amdhsa_enable_private_segment 0
		.amdhsa_system_sgpr_workgroup_id_x 1
		.amdhsa_system_sgpr_workgroup_id_y 0
		.amdhsa_system_sgpr_workgroup_id_z 0
		.amdhsa_system_sgpr_workgroup_info 0
		.amdhsa_system_vgpr_workitem_id 0
		.amdhsa_next_free_vgpr 1
		.amdhsa_next_free_sgpr 0
		.amdhsa_accum_offset 4
		.amdhsa_reserve_vcc 0
		.amdhsa_float_round_mode_32 0
		.amdhsa_float_round_mode_16_64 0
		.amdhsa_float_denorm_mode_32 3
		.amdhsa_float_denorm_mode_16_64 3
		.amdhsa_dx10_clamp 1
		.amdhsa_ieee_mode 1
		.amdhsa_fp16_overflow 0
		.amdhsa_tg_split 0
		.amdhsa_exception_fp_ieee_invalid_op 0
		.amdhsa_exception_fp_denorm_src 0
		.amdhsa_exception_fp_ieee_div_zero 0
		.amdhsa_exception_fp_ieee_overflow 0
		.amdhsa_exception_fp_ieee_underflow 0
		.amdhsa_exception_fp_ieee_inexact 0
		.amdhsa_exception_int_div_zero 0
	.end_amdhsa_kernel
	.section	.text._ZN7rocprim17ROCPRIM_400000_NS6detail17trampoline_kernelINS0_14default_configENS1_25partition_config_selectorILNS1_17partition_subalgoE8EN3c104HalfENS0_10empty_typeEbEEZZNS1_14partition_implILS5_8ELb0ES3_jPKS7_PS8_PKS8_NS0_5tupleIJPS7_S8_EEENSG_IJSD_SD_EEENS0_18inequality_wrapperIN6hipcub16HIPCUB_304000_NS8EqualityEEEPlJS8_EEE10hipError_tPvRmT3_T4_T5_T6_T7_T9_mT8_P12ihipStream_tbDpT10_ENKUlT_T0_E_clISt17integral_constantIbLb1EES19_EEDaS14_S15_EUlS14_E_NS1_11comp_targetILNS1_3genE3ELNS1_11target_archE908ELNS1_3gpuE7ELNS1_3repE0EEENS1_30default_config_static_selectorELNS0_4arch9wavefront6targetE1EEEvT1_,"axG",@progbits,_ZN7rocprim17ROCPRIM_400000_NS6detail17trampoline_kernelINS0_14default_configENS1_25partition_config_selectorILNS1_17partition_subalgoE8EN3c104HalfENS0_10empty_typeEbEEZZNS1_14partition_implILS5_8ELb0ES3_jPKS7_PS8_PKS8_NS0_5tupleIJPS7_S8_EEENSG_IJSD_SD_EEENS0_18inequality_wrapperIN6hipcub16HIPCUB_304000_NS8EqualityEEEPlJS8_EEE10hipError_tPvRmT3_T4_T5_T6_T7_T9_mT8_P12ihipStream_tbDpT10_ENKUlT_T0_E_clISt17integral_constantIbLb1EES19_EEDaS14_S15_EUlS14_E_NS1_11comp_targetILNS1_3genE3ELNS1_11target_archE908ELNS1_3gpuE7ELNS1_3repE0EEENS1_30default_config_static_selectorELNS0_4arch9wavefront6targetE1EEEvT1_,comdat
.Lfunc_end904:
	.size	_ZN7rocprim17ROCPRIM_400000_NS6detail17trampoline_kernelINS0_14default_configENS1_25partition_config_selectorILNS1_17partition_subalgoE8EN3c104HalfENS0_10empty_typeEbEEZZNS1_14partition_implILS5_8ELb0ES3_jPKS7_PS8_PKS8_NS0_5tupleIJPS7_S8_EEENSG_IJSD_SD_EEENS0_18inequality_wrapperIN6hipcub16HIPCUB_304000_NS8EqualityEEEPlJS8_EEE10hipError_tPvRmT3_T4_T5_T6_T7_T9_mT8_P12ihipStream_tbDpT10_ENKUlT_T0_E_clISt17integral_constantIbLb1EES19_EEDaS14_S15_EUlS14_E_NS1_11comp_targetILNS1_3genE3ELNS1_11target_archE908ELNS1_3gpuE7ELNS1_3repE0EEENS1_30default_config_static_selectorELNS0_4arch9wavefront6targetE1EEEvT1_, .Lfunc_end904-_ZN7rocprim17ROCPRIM_400000_NS6detail17trampoline_kernelINS0_14default_configENS1_25partition_config_selectorILNS1_17partition_subalgoE8EN3c104HalfENS0_10empty_typeEbEEZZNS1_14partition_implILS5_8ELb0ES3_jPKS7_PS8_PKS8_NS0_5tupleIJPS7_S8_EEENSG_IJSD_SD_EEENS0_18inequality_wrapperIN6hipcub16HIPCUB_304000_NS8EqualityEEEPlJS8_EEE10hipError_tPvRmT3_T4_T5_T6_T7_T9_mT8_P12ihipStream_tbDpT10_ENKUlT_T0_E_clISt17integral_constantIbLb1EES19_EEDaS14_S15_EUlS14_E_NS1_11comp_targetILNS1_3genE3ELNS1_11target_archE908ELNS1_3gpuE7ELNS1_3repE0EEENS1_30default_config_static_selectorELNS0_4arch9wavefront6targetE1EEEvT1_
                                        ; -- End function
	.section	.AMDGPU.csdata,"",@progbits
; Kernel info:
; codeLenInByte = 0
; NumSgprs: 6
; NumVgprs: 0
; NumAgprs: 0
; TotalNumVgprs: 0
; ScratchSize: 0
; MemoryBound: 0
; FloatMode: 240
; IeeeMode: 1
; LDSByteSize: 0 bytes/workgroup (compile time only)
; SGPRBlocks: 0
; VGPRBlocks: 0
; NumSGPRsForWavesPerEU: 6
; NumVGPRsForWavesPerEU: 1
; AccumOffset: 4
; Occupancy: 8
; WaveLimiterHint : 0
; COMPUTE_PGM_RSRC2:SCRATCH_EN: 0
; COMPUTE_PGM_RSRC2:USER_SGPR: 2
; COMPUTE_PGM_RSRC2:TRAP_HANDLER: 0
; COMPUTE_PGM_RSRC2:TGID_X_EN: 1
; COMPUTE_PGM_RSRC2:TGID_Y_EN: 0
; COMPUTE_PGM_RSRC2:TGID_Z_EN: 0
; COMPUTE_PGM_RSRC2:TIDIG_COMP_CNT: 0
; COMPUTE_PGM_RSRC3_GFX90A:ACCUM_OFFSET: 0
; COMPUTE_PGM_RSRC3_GFX90A:TG_SPLIT: 0
	.section	.text._ZN7rocprim17ROCPRIM_400000_NS6detail17trampoline_kernelINS0_14default_configENS1_25partition_config_selectorILNS1_17partition_subalgoE8EN3c104HalfENS0_10empty_typeEbEEZZNS1_14partition_implILS5_8ELb0ES3_jPKS7_PS8_PKS8_NS0_5tupleIJPS7_S8_EEENSG_IJSD_SD_EEENS0_18inequality_wrapperIN6hipcub16HIPCUB_304000_NS8EqualityEEEPlJS8_EEE10hipError_tPvRmT3_T4_T5_T6_T7_T9_mT8_P12ihipStream_tbDpT10_ENKUlT_T0_E_clISt17integral_constantIbLb1EES19_EEDaS14_S15_EUlS14_E_NS1_11comp_targetILNS1_3genE2ELNS1_11target_archE906ELNS1_3gpuE6ELNS1_3repE0EEENS1_30default_config_static_selectorELNS0_4arch9wavefront6targetE1EEEvT1_,"axG",@progbits,_ZN7rocprim17ROCPRIM_400000_NS6detail17trampoline_kernelINS0_14default_configENS1_25partition_config_selectorILNS1_17partition_subalgoE8EN3c104HalfENS0_10empty_typeEbEEZZNS1_14partition_implILS5_8ELb0ES3_jPKS7_PS8_PKS8_NS0_5tupleIJPS7_S8_EEENSG_IJSD_SD_EEENS0_18inequality_wrapperIN6hipcub16HIPCUB_304000_NS8EqualityEEEPlJS8_EEE10hipError_tPvRmT3_T4_T5_T6_T7_T9_mT8_P12ihipStream_tbDpT10_ENKUlT_T0_E_clISt17integral_constantIbLb1EES19_EEDaS14_S15_EUlS14_E_NS1_11comp_targetILNS1_3genE2ELNS1_11target_archE906ELNS1_3gpuE6ELNS1_3repE0EEENS1_30default_config_static_selectorELNS0_4arch9wavefront6targetE1EEEvT1_,comdat
	.protected	_ZN7rocprim17ROCPRIM_400000_NS6detail17trampoline_kernelINS0_14default_configENS1_25partition_config_selectorILNS1_17partition_subalgoE8EN3c104HalfENS0_10empty_typeEbEEZZNS1_14partition_implILS5_8ELb0ES3_jPKS7_PS8_PKS8_NS0_5tupleIJPS7_S8_EEENSG_IJSD_SD_EEENS0_18inequality_wrapperIN6hipcub16HIPCUB_304000_NS8EqualityEEEPlJS8_EEE10hipError_tPvRmT3_T4_T5_T6_T7_T9_mT8_P12ihipStream_tbDpT10_ENKUlT_T0_E_clISt17integral_constantIbLb1EES19_EEDaS14_S15_EUlS14_E_NS1_11comp_targetILNS1_3genE2ELNS1_11target_archE906ELNS1_3gpuE6ELNS1_3repE0EEENS1_30default_config_static_selectorELNS0_4arch9wavefront6targetE1EEEvT1_ ; -- Begin function _ZN7rocprim17ROCPRIM_400000_NS6detail17trampoline_kernelINS0_14default_configENS1_25partition_config_selectorILNS1_17partition_subalgoE8EN3c104HalfENS0_10empty_typeEbEEZZNS1_14partition_implILS5_8ELb0ES3_jPKS7_PS8_PKS8_NS0_5tupleIJPS7_S8_EEENSG_IJSD_SD_EEENS0_18inequality_wrapperIN6hipcub16HIPCUB_304000_NS8EqualityEEEPlJS8_EEE10hipError_tPvRmT3_T4_T5_T6_T7_T9_mT8_P12ihipStream_tbDpT10_ENKUlT_T0_E_clISt17integral_constantIbLb1EES19_EEDaS14_S15_EUlS14_E_NS1_11comp_targetILNS1_3genE2ELNS1_11target_archE906ELNS1_3gpuE6ELNS1_3repE0EEENS1_30default_config_static_selectorELNS0_4arch9wavefront6targetE1EEEvT1_
	.globl	_ZN7rocprim17ROCPRIM_400000_NS6detail17trampoline_kernelINS0_14default_configENS1_25partition_config_selectorILNS1_17partition_subalgoE8EN3c104HalfENS0_10empty_typeEbEEZZNS1_14partition_implILS5_8ELb0ES3_jPKS7_PS8_PKS8_NS0_5tupleIJPS7_S8_EEENSG_IJSD_SD_EEENS0_18inequality_wrapperIN6hipcub16HIPCUB_304000_NS8EqualityEEEPlJS8_EEE10hipError_tPvRmT3_T4_T5_T6_T7_T9_mT8_P12ihipStream_tbDpT10_ENKUlT_T0_E_clISt17integral_constantIbLb1EES19_EEDaS14_S15_EUlS14_E_NS1_11comp_targetILNS1_3genE2ELNS1_11target_archE906ELNS1_3gpuE6ELNS1_3repE0EEENS1_30default_config_static_selectorELNS0_4arch9wavefront6targetE1EEEvT1_
	.p2align	8
	.type	_ZN7rocprim17ROCPRIM_400000_NS6detail17trampoline_kernelINS0_14default_configENS1_25partition_config_selectorILNS1_17partition_subalgoE8EN3c104HalfENS0_10empty_typeEbEEZZNS1_14partition_implILS5_8ELb0ES3_jPKS7_PS8_PKS8_NS0_5tupleIJPS7_S8_EEENSG_IJSD_SD_EEENS0_18inequality_wrapperIN6hipcub16HIPCUB_304000_NS8EqualityEEEPlJS8_EEE10hipError_tPvRmT3_T4_T5_T6_T7_T9_mT8_P12ihipStream_tbDpT10_ENKUlT_T0_E_clISt17integral_constantIbLb1EES19_EEDaS14_S15_EUlS14_E_NS1_11comp_targetILNS1_3genE2ELNS1_11target_archE906ELNS1_3gpuE6ELNS1_3repE0EEENS1_30default_config_static_selectorELNS0_4arch9wavefront6targetE1EEEvT1_,@function
_ZN7rocprim17ROCPRIM_400000_NS6detail17trampoline_kernelINS0_14default_configENS1_25partition_config_selectorILNS1_17partition_subalgoE8EN3c104HalfENS0_10empty_typeEbEEZZNS1_14partition_implILS5_8ELb0ES3_jPKS7_PS8_PKS8_NS0_5tupleIJPS7_S8_EEENSG_IJSD_SD_EEENS0_18inequality_wrapperIN6hipcub16HIPCUB_304000_NS8EqualityEEEPlJS8_EEE10hipError_tPvRmT3_T4_T5_T6_T7_T9_mT8_P12ihipStream_tbDpT10_ENKUlT_T0_E_clISt17integral_constantIbLb1EES19_EEDaS14_S15_EUlS14_E_NS1_11comp_targetILNS1_3genE2ELNS1_11target_archE906ELNS1_3gpuE6ELNS1_3repE0EEENS1_30default_config_static_selectorELNS0_4arch9wavefront6targetE1EEEvT1_: ; @_ZN7rocprim17ROCPRIM_400000_NS6detail17trampoline_kernelINS0_14default_configENS1_25partition_config_selectorILNS1_17partition_subalgoE8EN3c104HalfENS0_10empty_typeEbEEZZNS1_14partition_implILS5_8ELb0ES3_jPKS7_PS8_PKS8_NS0_5tupleIJPS7_S8_EEENSG_IJSD_SD_EEENS0_18inequality_wrapperIN6hipcub16HIPCUB_304000_NS8EqualityEEEPlJS8_EEE10hipError_tPvRmT3_T4_T5_T6_T7_T9_mT8_P12ihipStream_tbDpT10_ENKUlT_T0_E_clISt17integral_constantIbLb1EES19_EEDaS14_S15_EUlS14_E_NS1_11comp_targetILNS1_3genE2ELNS1_11target_archE906ELNS1_3gpuE6ELNS1_3repE0EEENS1_30default_config_static_selectorELNS0_4arch9wavefront6targetE1EEEvT1_
; %bb.0:
	.section	.rodata,"a",@progbits
	.p2align	6, 0x0
	.amdhsa_kernel _ZN7rocprim17ROCPRIM_400000_NS6detail17trampoline_kernelINS0_14default_configENS1_25partition_config_selectorILNS1_17partition_subalgoE8EN3c104HalfENS0_10empty_typeEbEEZZNS1_14partition_implILS5_8ELb0ES3_jPKS7_PS8_PKS8_NS0_5tupleIJPS7_S8_EEENSG_IJSD_SD_EEENS0_18inequality_wrapperIN6hipcub16HIPCUB_304000_NS8EqualityEEEPlJS8_EEE10hipError_tPvRmT3_T4_T5_T6_T7_T9_mT8_P12ihipStream_tbDpT10_ENKUlT_T0_E_clISt17integral_constantIbLb1EES19_EEDaS14_S15_EUlS14_E_NS1_11comp_targetILNS1_3genE2ELNS1_11target_archE906ELNS1_3gpuE6ELNS1_3repE0EEENS1_30default_config_static_selectorELNS0_4arch9wavefront6targetE1EEEvT1_
		.amdhsa_group_segment_fixed_size 0
		.amdhsa_private_segment_fixed_size 0
		.amdhsa_kernarg_size 128
		.amdhsa_user_sgpr_count 2
		.amdhsa_user_sgpr_dispatch_ptr 0
		.amdhsa_user_sgpr_queue_ptr 0
		.amdhsa_user_sgpr_kernarg_segment_ptr 1
		.amdhsa_user_sgpr_dispatch_id 0
		.amdhsa_user_sgpr_kernarg_preload_length 0
		.amdhsa_user_sgpr_kernarg_preload_offset 0
		.amdhsa_user_sgpr_private_segment_size 0
		.amdhsa_uses_dynamic_stack 0
		.amdhsa_enable_private_segment 0
		.amdhsa_system_sgpr_workgroup_id_x 1
		.amdhsa_system_sgpr_workgroup_id_y 0
		.amdhsa_system_sgpr_workgroup_id_z 0
		.amdhsa_system_sgpr_workgroup_info 0
		.amdhsa_system_vgpr_workitem_id 0
		.amdhsa_next_free_vgpr 1
		.amdhsa_next_free_sgpr 0
		.amdhsa_accum_offset 4
		.amdhsa_reserve_vcc 0
		.amdhsa_float_round_mode_32 0
		.amdhsa_float_round_mode_16_64 0
		.amdhsa_float_denorm_mode_32 3
		.amdhsa_float_denorm_mode_16_64 3
		.amdhsa_dx10_clamp 1
		.amdhsa_ieee_mode 1
		.amdhsa_fp16_overflow 0
		.amdhsa_tg_split 0
		.amdhsa_exception_fp_ieee_invalid_op 0
		.amdhsa_exception_fp_denorm_src 0
		.amdhsa_exception_fp_ieee_div_zero 0
		.amdhsa_exception_fp_ieee_overflow 0
		.amdhsa_exception_fp_ieee_underflow 0
		.amdhsa_exception_fp_ieee_inexact 0
		.amdhsa_exception_int_div_zero 0
	.end_amdhsa_kernel
	.section	.text._ZN7rocprim17ROCPRIM_400000_NS6detail17trampoline_kernelINS0_14default_configENS1_25partition_config_selectorILNS1_17partition_subalgoE8EN3c104HalfENS0_10empty_typeEbEEZZNS1_14partition_implILS5_8ELb0ES3_jPKS7_PS8_PKS8_NS0_5tupleIJPS7_S8_EEENSG_IJSD_SD_EEENS0_18inequality_wrapperIN6hipcub16HIPCUB_304000_NS8EqualityEEEPlJS8_EEE10hipError_tPvRmT3_T4_T5_T6_T7_T9_mT8_P12ihipStream_tbDpT10_ENKUlT_T0_E_clISt17integral_constantIbLb1EES19_EEDaS14_S15_EUlS14_E_NS1_11comp_targetILNS1_3genE2ELNS1_11target_archE906ELNS1_3gpuE6ELNS1_3repE0EEENS1_30default_config_static_selectorELNS0_4arch9wavefront6targetE1EEEvT1_,"axG",@progbits,_ZN7rocprim17ROCPRIM_400000_NS6detail17trampoline_kernelINS0_14default_configENS1_25partition_config_selectorILNS1_17partition_subalgoE8EN3c104HalfENS0_10empty_typeEbEEZZNS1_14partition_implILS5_8ELb0ES3_jPKS7_PS8_PKS8_NS0_5tupleIJPS7_S8_EEENSG_IJSD_SD_EEENS0_18inequality_wrapperIN6hipcub16HIPCUB_304000_NS8EqualityEEEPlJS8_EEE10hipError_tPvRmT3_T4_T5_T6_T7_T9_mT8_P12ihipStream_tbDpT10_ENKUlT_T0_E_clISt17integral_constantIbLb1EES19_EEDaS14_S15_EUlS14_E_NS1_11comp_targetILNS1_3genE2ELNS1_11target_archE906ELNS1_3gpuE6ELNS1_3repE0EEENS1_30default_config_static_selectorELNS0_4arch9wavefront6targetE1EEEvT1_,comdat
.Lfunc_end905:
	.size	_ZN7rocprim17ROCPRIM_400000_NS6detail17trampoline_kernelINS0_14default_configENS1_25partition_config_selectorILNS1_17partition_subalgoE8EN3c104HalfENS0_10empty_typeEbEEZZNS1_14partition_implILS5_8ELb0ES3_jPKS7_PS8_PKS8_NS0_5tupleIJPS7_S8_EEENSG_IJSD_SD_EEENS0_18inequality_wrapperIN6hipcub16HIPCUB_304000_NS8EqualityEEEPlJS8_EEE10hipError_tPvRmT3_T4_T5_T6_T7_T9_mT8_P12ihipStream_tbDpT10_ENKUlT_T0_E_clISt17integral_constantIbLb1EES19_EEDaS14_S15_EUlS14_E_NS1_11comp_targetILNS1_3genE2ELNS1_11target_archE906ELNS1_3gpuE6ELNS1_3repE0EEENS1_30default_config_static_selectorELNS0_4arch9wavefront6targetE1EEEvT1_, .Lfunc_end905-_ZN7rocprim17ROCPRIM_400000_NS6detail17trampoline_kernelINS0_14default_configENS1_25partition_config_selectorILNS1_17partition_subalgoE8EN3c104HalfENS0_10empty_typeEbEEZZNS1_14partition_implILS5_8ELb0ES3_jPKS7_PS8_PKS8_NS0_5tupleIJPS7_S8_EEENSG_IJSD_SD_EEENS0_18inequality_wrapperIN6hipcub16HIPCUB_304000_NS8EqualityEEEPlJS8_EEE10hipError_tPvRmT3_T4_T5_T6_T7_T9_mT8_P12ihipStream_tbDpT10_ENKUlT_T0_E_clISt17integral_constantIbLb1EES19_EEDaS14_S15_EUlS14_E_NS1_11comp_targetILNS1_3genE2ELNS1_11target_archE906ELNS1_3gpuE6ELNS1_3repE0EEENS1_30default_config_static_selectorELNS0_4arch9wavefront6targetE1EEEvT1_
                                        ; -- End function
	.section	.AMDGPU.csdata,"",@progbits
; Kernel info:
; codeLenInByte = 0
; NumSgprs: 6
; NumVgprs: 0
; NumAgprs: 0
; TotalNumVgprs: 0
; ScratchSize: 0
; MemoryBound: 0
; FloatMode: 240
; IeeeMode: 1
; LDSByteSize: 0 bytes/workgroup (compile time only)
; SGPRBlocks: 0
; VGPRBlocks: 0
; NumSGPRsForWavesPerEU: 6
; NumVGPRsForWavesPerEU: 1
; AccumOffset: 4
; Occupancy: 8
; WaveLimiterHint : 0
; COMPUTE_PGM_RSRC2:SCRATCH_EN: 0
; COMPUTE_PGM_RSRC2:USER_SGPR: 2
; COMPUTE_PGM_RSRC2:TRAP_HANDLER: 0
; COMPUTE_PGM_RSRC2:TGID_X_EN: 1
; COMPUTE_PGM_RSRC2:TGID_Y_EN: 0
; COMPUTE_PGM_RSRC2:TGID_Z_EN: 0
; COMPUTE_PGM_RSRC2:TIDIG_COMP_CNT: 0
; COMPUTE_PGM_RSRC3_GFX90A:ACCUM_OFFSET: 0
; COMPUTE_PGM_RSRC3_GFX90A:TG_SPLIT: 0
	.section	.text._ZN7rocprim17ROCPRIM_400000_NS6detail17trampoline_kernelINS0_14default_configENS1_25partition_config_selectorILNS1_17partition_subalgoE8EN3c104HalfENS0_10empty_typeEbEEZZNS1_14partition_implILS5_8ELb0ES3_jPKS7_PS8_PKS8_NS0_5tupleIJPS7_S8_EEENSG_IJSD_SD_EEENS0_18inequality_wrapperIN6hipcub16HIPCUB_304000_NS8EqualityEEEPlJS8_EEE10hipError_tPvRmT3_T4_T5_T6_T7_T9_mT8_P12ihipStream_tbDpT10_ENKUlT_T0_E_clISt17integral_constantIbLb1EES19_EEDaS14_S15_EUlS14_E_NS1_11comp_targetILNS1_3genE10ELNS1_11target_archE1200ELNS1_3gpuE4ELNS1_3repE0EEENS1_30default_config_static_selectorELNS0_4arch9wavefront6targetE1EEEvT1_,"axG",@progbits,_ZN7rocprim17ROCPRIM_400000_NS6detail17trampoline_kernelINS0_14default_configENS1_25partition_config_selectorILNS1_17partition_subalgoE8EN3c104HalfENS0_10empty_typeEbEEZZNS1_14partition_implILS5_8ELb0ES3_jPKS7_PS8_PKS8_NS0_5tupleIJPS7_S8_EEENSG_IJSD_SD_EEENS0_18inequality_wrapperIN6hipcub16HIPCUB_304000_NS8EqualityEEEPlJS8_EEE10hipError_tPvRmT3_T4_T5_T6_T7_T9_mT8_P12ihipStream_tbDpT10_ENKUlT_T0_E_clISt17integral_constantIbLb1EES19_EEDaS14_S15_EUlS14_E_NS1_11comp_targetILNS1_3genE10ELNS1_11target_archE1200ELNS1_3gpuE4ELNS1_3repE0EEENS1_30default_config_static_selectorELNS0_4arch9wavefront6targetE1EEEvT1_,comdat
	.protected	_ZN7rocprim17ROCPRIM_400000_NS6detail17trampoline_kernelINS0_14default_configENS1_25partition_config_selectorILNS1_17partition_subalgoE8EN3c104HalfENS0_10empty_typeEbEEZZNS1_14partition_implILS5_8ELb0ES3_jPKS7_PS8_PKS8_NS0_5tupleIJPS7_S8_EEENSG_IJSD_SD_EEENS0_18inequality_wrapperIN6hipcub16HIPCUB_304000_NS8EqualityEEEPlJS8_EEE10hipError_tPvRmT3_T4_T5_T6_T7_T9_mT8_P12ihipStream_tbDpT10_ENKUlT_T0_E_clISt17integral_constantIbLb1EES19_EEDaS14_S15_EUlS14_E_NS1_11comp_targetILNS1_3genE10ELNS1_11target_archE1200ELNS1_3gpuE4ELNS1_3repE0EEENS1_30default_config_static_selectorELNS0_4arch9wavefront6targetE1EEEvT1_ ; -- Begin function _ZN7rocprim17ROCPRIM_400000_NS6detail17trampoline_kernelINS0_14default_configENS1_25partition_config_selectorILNS1_17partition_subalgoE8EN3c104HalfENS0_10empty_typeEbEEZZNS1_14partition_implILS5_8ELb0ES3_jPKS7_PS8_PKS8_NS0_5tupleIJPS7_S8_EEENSG_IJSD_SD_EEENS0_18inequality_wrapperIN6hipcub16HIPCUB_304000_NS8EqualityEEEPlJS8_EEE10hipError_tPvRmT3_T4_T5_T6_T7_T9_mT8_P12ihipStream_tbDpT10_ENKUlT_T0_E_clISt17integral_constantIbLb1EES19_EEDaS14_S15_EUlS14_E_NS1_11comp_targetILNS1_3genE10ELNS1_11target_archE1200ELNS1_3gpuE4ELNS1_3repE0EEENS1_30default_config_static_selectorELNS0_4arch9wavefront6targetE1EEEvT1_
	.globl	_ZN7rocprim17ROCPRIM_400000_NS6detail17trampoline_kernelINS0_14default_configENS1_25partition_config_selectorILNS1_17partition_subalgoE8EN3c104HalfENS0_10empty_typeEbEEZZNS1_14partition_implILS5_8ELb0ES3_jPKS7_PS8_PKS8_NS0_5tupleIJPS7_S8_EEENSG_IJSD_SD_EEENS0_18inequality_wrapperIN6hipcub16HIPCUB_304000_NS8EqualityEEEPlJS8_EEE10hipError_tPvRmT3_T4_T5_T6_T7_T9_mT8_P12ihipStream_tbDpT10_ENKUlT_T0_E_clISt17integral_constantIbLb1EES19_EEDaS14_S15_EUlS14_E_NS1_11comp_targetILNS1_3genE10ELNS1_11target_archE1200ELNS1_3gpuE4ELNS1_3repE0EEENS1_30default_config_static_selectorELNS0_4arch9wavefront6targetE1EEEvT1_
	.p2align	8
	.type	_ZN7rocprim17ROCPRIM_400000_NS6detail17trampoline_kernelINS0_14default_configENS1_25partition_config_selectorILNS1_17partition_subalgoE8EN3c104HalfENS0_10empty_typeEbEEZZNS1_14partition_implILS5_8ELb0ES3_jPKS7_PS8_PKS8_NS0_5tupleIJPS7_S8_EEENSG_IJSD_SD_EEENS0_18inequality_wrapperIN6hipcub16HIPCUB_304000_NS8EqualityEEEPlJS8_EEE10hipError_tPvRmT3_T4_T5_T6_T7_T9_mT8_P12ihipStream_tbDpT10_ENKUlT_T0_E_clISt17integral_constantIbLb1EES19_EEDaS14_S15_EUlS14_E_NS1_11comp_targetILNS1_3genE10ELNS1_11target_archE1200ELNS1_3gpuE4ELNS1_3repE0EEENS1_30default_config_static_selectorELNS0_4arch9wavefront6targetE1EEEvT1_,@function
_ZN7rocprim17ROCPRIM_400000_NS6detail17trampoline_kernelINS0_14default_configENS1_25partition_config_selectorILNS1_17partition_subalgoE8EN3c104HalfENS0_10empty_typeEbEEZZNS1_14partition_implILS5_8ELb0ES3_jPKS7_PS8_PKS8_NS0_5tupleIJPS7_S8_EEENSG_IJSD_SD_EEENS0_18inequality_wrapperIN6hipcub16HIPCUB_304000_NS8EqualityEEEPlJS8_EEE10hipError_tPvRmT3_T4_T5_T6_T7_T9_mT8_P12ihipStream_tbDpT10_ENKUlT_T0_E_clISt17integral_constantIbLb1EES19_EEDaS14_S15_EUlS14_E_NS1_11comp_targetILNS1_3genE10ELNS1_11target_archE1200ELNS1_3gpuE4ELNS1_3repE0EEENS1_30default_config_static_selectorELNS0_4arch9wavefront6targetE1EEEvT1_: ; @_ZN7rocprim17ROCPRIM_400000_NS6detail17trampoline_kernelINS0_14default_configENS1_25partition_config_selectorILNS1_17partition_subalgoE8EN3c104HalfENS0_10empty_typeEbEEZZNS1_14partition_implILS5_8ELb0ES3_jPKS7_PS8_PKS8_NS0_5tupleIJPS7_S8_EEENSG_IJSD_SD_EEENS0_18inequality_wrapperIN6hipcub16HIPCUB_304000_NS8EqualityEEEPlJS8_EEE10hipError_tPvRmT3_T4_T5_T6_T7_T9_mT8_P12ihipStream_tbDpT10_ENKUlT_T0_E_clISt17integral_constantIbLb1EES19_EEDaS14_S15_EUlS14_E_NS1_11comp_targetILNS1_3genE10ELNS1_11target_archE1200ELNS1_3gpuE4ELNS1_3repE0EEENS1_30default_config_static_selectorELNS0_4arch9wavefront6targetE1EEEvT1_
; %bb.0:
	.section	.rodata,"a",@progbits
	.p2align	6, 0x0
	.amdhsa_kernel _ZN7rocprim17ROCPRIM_400000_NS6detail17trampoline_kernelINS0_14default_configENS1_25partition_config_selectorILNS1_17partition_subalgoE8EN3c104HalfENS0_10empty_typeEbEEZZNS1_14partition_implILS5_8ELb0ES3_jPKS7_PS8_PKS8_NS0_5tupleIJPS7_S8_EEENSG_IJSD_SD_EEENS0_18inequality_wrapperIN6hipcub16HIPCUB_304000_NS8EqualityEEEPlJS8_EEE10hipError_tPvRmT3_T4_T5_T6_T7_T9_mT8_P12ihipStream_tbDpT10_ENKUlT_T0_E_clISt17integral_constantIbLb1EES19_EEDaS14_S15_EUlS14_E_NS1_11comp_targetILNS1_3genE10ELNS1_11target_archE1200ELNS1_3gpuE4ELNS1_3repE0EEENS1_30default_config_static_selectorELNS0_4arch9wavefront6targetE1EEEvT1_
		.amdhsa_group_segment_fixed_size 0
		.amdhsa_private_segment_fixed_size 0
		.amdhsa_kernarg_size 128
		.amdhsa_user_sgpr_count 2
		.amdhsa_user_sgpr_dispatch_ptr 0
		.amdhsa_user_sgpr_queue_ptr 0
		.amdhsa_user_sgpr_kernarg_segment_ptr 1
		.amdhsa_user_sgpr_dispatch_id 0
		.amdhsa_user_sgpr_kernarg_preload_length 0
		.amdhsa_user_sgpr_kernarg_preload_offset 0
		.amdhsa_user_sgpr_private_segment_size 0
		.amdhsa_uses_dynamic_stack 0
		.amdhsa_enable_private_segment 0
		.amdhsa_system_sgpr_workgroup_id_x 1
		.amdhsa_system_sgpr_workgroup_id_y 0
		.amdhsa_system_sgpr_workgroup_id_z 0
		.amdhsa_system_sgpr_workgroup_info 0
		.amdhsa_system_vgpr_workitem_id 0
		.amdhsa_next_free_vgpr 1
		.amdhsa_next_free_sgpr 0
		.amdhsa_accum_offset 4
		.amdhsa_reserve_vcc 0
		.amdhsa_float_round_mode_32 0
		.amdhsa_float_round_mode_16_64 0
		.amdhsa_float_denorm_mode_32 3
		.amdhsa_float_denorm_mode_16_64 3
		.amdhsa_dx10_clamp 1
		.amdhsa_ieee_mode 1
		.amdhsa_fp16_overflow 0
		.amdhsa_tg_split 0
		.amdhsa_exception_fp_ieee_invalid_op 0
		.amdhsa_exception_fp_denorm_src 0
		.amdhsa_exception_fp_ieee_div_zero 0
		.amdhsa_exception_fp_ieee_overflow 0
		.amdhsa_exception_fp_ieee_underflow 0
		.amdhsa_exception_fp_ieee_inexact 0
		.amdhsa_exception_int_div_zero 0
	.end_amdhsa_kernel
	.section	.text._ZN7rocprim17ROCPRIM_400000_NS6detail17trampoline_kernelINS0_14default_configENS1_25partition_config_selectorILNS1_17partition_subalgoE8EN3c104HalfENS0_10empty_typeEbEEZZNS1_14partition_implILS5_8ELb0ES3_jPKS7_PS8_PKS8_NS0_5tupleIJPS7_S8_EEENSG_IJSD_SD_EEENS0_18inequality_wrapperIN6hipcub16HIPCUB_304000_NS8EqualityEEEPlJS8_EEE10hipError_tPvRmT3_T4_T5_T6_T7_T9_mT8_P12ihipStream_tbDpT10_ENKUlT_T0_E_clISt17integral_constantIbLb1EES19_EEDaS14_S15_EUlS14_E_NS1_11comp_targetILNS1_3genE10ELNS1_11target_archE1200ELNS1_3gpuE4ELNS1_3repE0EEENS1_30default_config_static_selectorELNS0_4arch9wavefront6targetE1EEEvT1_,"axG",@progbits,_ZN7rocprim17ROCPRIM_400000_NS6detail17trampoline_kernelINS0_14default_configENS1_25partition_config_selectorILNS1_17partition_subalgoE8EN3c104HalfENS0_10empty_typeEbEEZZNS1_14partition_implILS5_8ELb0ES3_jPKS7_PS8_PKS8_NS0_5tupleIJPS7_S8_EEENSG_IJSD_SD_EEENS0_18inequality_wrapperIN6hipcub16HIPCUB_304000_NS8EqualityEEEPlJS8_EEE10hipError_tPvRmT3_T4_T5_T6_T7_T9_mT8_P12ihipStream_tbDpT10_ENKUlT_T0_E_clISt17integral_constantIbLb1EES19_EEDaS14_S15_EUlS14_E_NS1_11comp_targetILNS1_3genE10ELNS1_11target_archE1200ELNS1_3gpuE4ELNS1_3repE0EEENS1_30default_config_static_selectorELNS0_4arch9wavefront6targetE1EEEvT1_,comdat
.Lfunc_end906:
	.size	_ZN7rocprim17ROCPRIM_400000_NS6detail17trampoline_kernelINS0_14default_configENS1_25partition_config_selectorILNS1_17partition_subalgoE8EN3c104HalfENS0_10empty_typeEbEEZZNS1_14partition_implILS5_8ELb0ES3_jPKS7_PS8_PKS8_NS0_5tupleIJPS7_S8_EEENSG_IJSD_SD_EEENS0_18inequality_wrapperIN6hipcub16HIPCUB_304000_NS8EqualityEEEPlJS8_EEE10hipError_tPvRmT3_T4_T5_T6_T7_T9_mT8_P12ihipStream_tbDpT10_ENKUlT_T0_E_clISt17integral_constantIbLb1EES19_EEDaS14_S15_EUlS14_E_NS1_11comp_targetILNS1_3genE10ELNS1_11target_archE1200ELNS1_3gpuE4ELNS1_3repE0EEENS1_30default_config_static_selectorELNS0_4arch9wavefront6targetE1EEEvT1_, .Lfunc_end906-_ZN7rocprim17ROCPRIM_400000_NS6detail17trampoline_kernelINS0_14default_configENS1_25partition_config_selectorILNS1_17partition_subalgoE8EN3c104HalfENS0_10empty_typeEbEEZZNS1_14partition_implILS5_8ELb0ES3_jPKS7_PS8_PKS8_NS0_5tupleIJPS7_S8_EEENSG_IJSD_SD_EEENS0_18inequality_wrapperIN6hipcub16HIPCUB_304000_NS8EqualityEEEPlJS8_EEE10hipError_tPvRmT3_T4_T5_T6_T7_T9_mT8_P12ihipStream_tbDpT10_ENKUlT_T0_E_clISt17integral_constantIbLb1EES19_EEDaS14_S15_EUlS14_E_NS1_11comp_targetILNS1_3genE10ELNS1_11target_archE1200ELNS1_3gpuE4ELNS1_3repE0EEENS1_30default_config_static_selectorELNS0_4arch9wavefront6targetE1EEEvT1_
                                        ; -- End function
	.section	.AMDGPU.csdata,"",@progbits
; Kernel info:
; codeLenInByte = 0
; NumSgprs: 6
; NumVgprs: 0
; NumAgprs: 0
; TotalNumVgprs: 0
; ScratchSize: 0
; MemoryBound: 0
; FloatMode: 240
; IeeeMode: 1
; LDSByteSize: 0 bytes/workgroup (compile time only)
; SGPRBlocks: 0
; VGPRBlocks: 0
; NumSGPRsForWavesPerEU: 6
; NumVGPRsForWavesPerEU: 1
; AccumOffset: 4
; Occupancy: 8
; WaveLimiterHint : 0
; COMPUTE_PGM_RSRC2:SCRATCH_EN: 0
; COMPUTE_PGM_RSRC2:USER_SGPR: 2
; COMPUTE_PGM_RSRC2:TRAP_HANDLER: 0
; COMPUTE_PGM_RSRC2:TGID_X_EN: 1
; COMPUTE_PGM_RSRC2:TGID_Y_EN: 0
; COMPUTE_PGM_RSRC2:TGID_Z_EN: 0
; COMPUTE_PGM_RSRC2:TIDIG_COMP_CNT: 0
; COMPUTE_PGM_RSRC3_GFX90A:ACCUM_OFFSET: 0
; COMPUTE_PGM_RSRC3_GFX90A:TG_SPLIT: 0
	.section	.text._ZN7rocprim17ROCPRIM_400000_NS6detail17trampoline_kernelINS0_14default_configENS1_25partition_config_selectorILNS1_17partition_subalgoE8EN3c104HalfENS0_10empty_typeEbEEZZNS1_14partition_implILS5_8ELb0ES3_jPKS7_PS8_PKS8_NS0_5tupleIJPS7_S8_EEENSG_IJSD_SD_EEENS0_18inequality_wrapperIN6hipcub16HIPCUB_304000_NS8EqualityEEEPlJS8_EEE10hipError_tPvRmT3_T4_T5_T6_T7_T9_mT8_P12ihipStream_tbDpT10_ENKUlT_T0_E_clISt17integral_constantIbLb1EES19_EEDaS14_S15_EUlS14_E_NS1_11comp_targetILNS1_3genE9ELNS1_11target_archE1100ELNS1_3gpuE3ELNS1_3repE0EEENS1_30default_config_static_selectorELNS0_4arch9wavefront6targetE1EEEvT1_,"axG",@progbits,_ZN7rocprim17ROCPRIM_400000_NS6detail17trampoline_kernelINS0_14default_configENS1_25partition_config_selectorILNS1_17partition_subalgoE8EN3c104HalfENS0_10empty_typeEbEEZZNS1_14partition_implILS5_8ELb0ES3_jPKS7_PS8_PKS8_NS0_5tupleIJPS7_S8_EEENSG_IJSD_SD_EEENS0_18inequality_wrapperIN6hipcub16HIPCUB_304000_NS8EqualityEEEPlJS8_EEE10hipError_tPvRmT3_T4_T5_T6_T7_T9_mT8_P12ihipStream_tbDpT10_ENKUlT_T0_E_clISt17integral_constantIbLb1EES19_EEDaS14_S15_EUlS14_E_NS1_11comp_targetILNS1_3genE9ELNS1_11target_archE1100ELNS1_3gpuE3ELNS1_3repE0EEENS1_30default_config_static_selectorELNS0_4arch9wavefront6targetE1EEEvT1_,comdat
	.protected	_ZN7rocprim17ROCPRIM_400000_NS6detail17trampoline_kernelINS0_14default_configENS1_25partition_config_selectorILNS1_17partition_subalgoE8EN3c104HalfENS0_10empty_typeEbEEZZNS1_14partition_implILS5_8ELb0ES3_jPKS7_PS8_PKS8_NS0_5tupleIJPS7_S8_EEENSG_IJSD_SD_EEENS0_18inequality_wrapperIN6hipcub16HIPCUB_304000_NS8EqualityEEEPlJS8_EEE10hipError_tPvRmT3_T4_T5_T6_T7_T9_mT8_P12ihipStream_tbDpT10_ENKUlT_T0_E_clISt17integral_constantIbLb1EES19_EEDaS14_S15_EUlS14_E_NS1_11comp_targetILNS1_3genE9ELNS1_11target_archE1100ELNS1_3gpuE3ELNS1_3repE0EEENS1_30default_config_static_selectorELNS0_4arch9wavefront6targetE1EEEvT1_ ; -- Begin function _ZN7rocprim17ROCPRIM_400000_NS6detail17trampoline_kernelINS0_14default_configENS1_25partition_config_selectorILNS1_17partition_subalgoE8EN3c104HalfENS0_10empty_typeEbEEZZNS1_14partition_implILS5_8ELb0ES3_jPKS7_PS8_PKS8_NS0_5tupleIJPS7_S8_EEENSG_IJSD_SD_EEENS0_18inequality_wrapperIN6hipcub16HIPCUB_304000_NS8EqualityEEEPlJS8_EEE10hipError_tPvRmT3_T4_T5_T6_T7_T9_mT8_P12ihipStream_tbDpT10_ENKUlT_T0_E_clISt17integral_constantIbLb1EES19_EEDaS14_S15_EUlS14_E_NS1_11comp_targetILNS1_3genE9ELNS1_11target_archE1100ELNS1_3gpuE3ELNS1_3repE0EEENS1_30default_config_static_selectorELNS0_4arch9wavefront6targetE1EEEvT1_
	.globl	_ZN7rocprim17ROCPRIM_400000_NS6detail17trampoline_kernelINS0_14default_configENS1_25partition_config_selectorILNS1_17partition_subalgoE8EN3c104HalfENS0_10empty_typeEbEEZZNS1_14partition_implILS5_8ELb0ES3_jPKS7_PS8_PKS8_NS0_5tupleIJPS7_S8_EEENSG_IJSD_SD_EEENS0_18inequality_wrapperIN6hipcub16HIPCUB_304000_NS8EqualityEEEPlJS8_EEE10hipError_tPvRmT3_T4_T5_T6_T7_T9_mT8_P12ihipStream_tbDpT10_ENKUlT_T0_E_clISt17integral_constantIbLb1EES19_EEDaS14_S15_EUlS14_E_NS1_11comp_targetILNS1_3genE9ELNS1_11target_archE1100ELNS1_3gpuE3ELNS1_3repE0EEENS1_30default_config_static_selectorELNS0_4arch9wavefront6targetE1EEEvT1_
	.p2align	8
	.type	_ZN7rocprim17ROCPRIM_400000_NS6detail17trampoline_kernelINS0_14default_configENS1_25partition_config_selectorILNS1_17partition_subalgoE8EN3c104HalfENS0_10empty_typeEbEEZZNS1_14partition_implILS5_8ELb0ES3_jPKS7_PS8_PKS8_NS0_5tupleIJPS7_S8_EEENSG_IJSD_SD_EEENS0_18inequality_wrapperIN6hipcub16HIPCUB_304000_NS8EqualityEEEPlJS8_EEE10hipError_tPvRmT3_T4_T5_T6_T7_T9_mT8_P12ihipStream_tbDpT10_ENKUlT_T0_E_clISt17integral_constantIbLb1EES19_EEDaS14_S15_EUlS14_E_NS1_11comp_targetILNS1_3genE9ELNS1_11target_archE1100ELNS1_3gpuE3ELNS1_3repE0EEENS1_30default_config_static_selectorELNS0_4arch9wavefront6targetE1EEEvT1_,@function
_ZN7rocprim17ROCPRIM_400000_NS6detail17trampoline_kernelINS0_14default_configENS1_25partition_config_selectorILNS1_17partition_subalgoE8EN3c104HalfENS0_10empty_typeEbEEZZNS1_14partition_implILS5_8ELb0ES3_jPKS7_PS8_PKS8_NS0_5tupleIJPS7_S8_EEENSG_IJSD_SD_EEENS0_18inequality_wrapperIN6hipcub16HIPCUB_304000_NS8EqualityEEEPlJS8_EEE10hipError_tPvRmT3_T4_T5_T6_T7_T9_mT8_P12ihipStream_tbDpT10_ENKUlT_T0_E_clISt17integral_constantIbLb1EES19_EEDaS14_S15_EUlS14_E_NS1_11comp_targetILNS1_3genE9ELNS1_11target_archE1100ELNS1_3gpuE3ELNS1_3repE0EEENS1_30default_config_static_selectorELNS0_4arch9wavefront6targetE1EEEvT1_: ; @_ZN7rocprim17ROCPRIM_400000_NS6detail17trampoline_kernelINS0_14default_configENS1_25partition_config_selectorILNS1_17partition_subalgoE8EN3c104HalfENS0_10empty_typeEbEEZZNS1_14partition_implILS5_8ELb0ES3_jPKS7_PS8_PKS8_NS0_5tupleIJPS7_S8_EEENSG_IJSD_SD_EEENS0_18inequality_wrapperIN6hipcub16HIPCUB_304000_NS8EqualityEEEPlJS8_EEE10hipError_tPvRmT3_T4_T5_T6_T7_T9_mT8_P12ihipStream_tbDpT10_ENKUlT_T0_E_clISt17integral_constantIbLb1EES19_EEDaS14_S15_EUlS14_E_NS1_11comp_targetILNS1_3genE9ELNS1_11target_archE1100ELNS1_3gpuE3ELNS1_3repE0EEENS1_30default_config_static_selectorELNS0_4arch9wavefront6targetE1EEEvT1_
; %bb.0:
	.section	.rodata,"a",@progbits
	.p2align	6, 0x0
	.amdhsa_kernel _ZN7rocprim17ROCPRIM_400000_NS6detail17trampoline_kernelINS0_14default_configENS1_25partition_config_selectorILNS1_17partition_subalgoE8EN3c104HalfENS0_10empty_typeEbEEZZNS1_14partition_implILS5_8ELb0ES3_jPKS7_PS8_PKS8_NS0_5tupleIJPS7_S8_EEENSG_IJSD_SD_EEENS0_18inequality_wrapperIN6hipcub16HIPCUB_304000_NS8EqualityEEEPlJS8_EEE10hipError_tPvRmT3_T4_T5_T6_T7_T9_mT8_P12ihipStream_tbDpT10_ENKUlT_T0_E_clISt17integral_constantIbLb1EES19_EEDaS14_S15_EUlS14_E_NS1_11comp_targetILNS1_3genE9ELNS1_11target_archE1100ELNS1_3gpuE3ELNS1_3repE0EEENS1_30default_config_static_selectorELNS0_4arch9wavefront6targetE1EEEvT1_
		.amdhsa_group_segment_fixed_size 0
		.amdhsa_private_segment_fixed_size 0
		.amdhsa_kernarg_size 128
		.amdhsa_user_sgpr_count 2
		.amdhsa_user_sgpr_dispatch_ptr 0
		.amdhsa_user_sgpr_queue_ptr 0
		.amdhsa_user_sgpr_kernarg_segment_ptr 1
		.amdhsa_user_sgpr_dispatch_id 0
		.amdhsa_user_sgpr_kernarg_preload_length 0
		.amdhsa_user_sgpr_kernarg_preload_offset 0
		.amdhsa_user_sgpr_private_segment_size 0
		.amdhsa_uses_dynamic_stack 0
		.amdhsa_enable_private_segment 0
		.amdhsa_system_sgpr_workgroup_id_x 1
		.amdhsa_system_sgpr_workgroup_id_y 0
		.amdhsa_system_sgpr_workgroup_id_z 0
		.amdhsa_system_sgpr_workgroup_info 0
		.amdhsa_system_vgpr_workitem_id 0
		.amdhsa_next_free_vgpr 1
		.amdhsa_next_free_sgpr 0
		.amdhsa_accum_offset 4
		.amdhsa_reserve_vcc 0
		.amdhsa_float_round_mode_32 0
		.amdhsa_float_round_mode_16_64 0
		.amdhsa_float_denorm_mode_32 3
		.amdhsa_float_denorm_mode_16_64 3
		.amdhsa_dx10_clamp 1
		.amdhsa_ieee_mode 1
		.amdhsa_fp16_overflow 0
		.amdhsa_tg_split 0
		.amdhsa_exception_fp_ieee_invalid_op 0
		.amdhsa_exception_fp_denorm_src 0
		.amdhsa_exception_fp_ieee_div_zero 0
		.amdhsa_exception_fp_ieee_overflow 0
		.amdhsa_exception_fp_ieee_underflow 0
		.amdhsa_exception_fp_ieee_inexact 0
		.amdhsa_exception_int_div_zero 0
	.end_amdhsa_kernel
	.section	.text._ZN7rocprim17ROCPRIM_400000_NS6detail17trampoline_kernelINS0_14default_configENS1_25partition_config_selectorILNS1_17partition_subalgoE8EN3c104HalfENS0_10empty_typeEbEEZZNS1_14partition_implILS5_8ELb0ES3_jPKS7_PS8_PKS8_NS0_5tupleIJPS7_S8_EEENSG_IJSD_SD_EEENS0_18inequality_wrapperIN6hipcub16HIPCUB_304000_NS8EqualityEEEPlJS8_EEE10hipError_tPvRmT3_T4_T5_T6_T7_T9_mT8_P12ihipStream_tbDpT10_ENKUlT_T0_E_clISt17integral_constantIbLb1EES19_EEDaS14_S15_EUlS14_E_NS1_11comp_targetILNS1_3genE9ELNS1_11target_archE1100ELNS1_3gpuE3ELNS1_3repE0EEENS1_30default_config_static_selectorELNS0_4arch9wavefront6targetE1EEEvT1_,"axG",@progbits,_ZN7rocprim17ROCPRIM_400000_NS6detail17trampoline_kernelINS0_14default_configENS1_25partition_config_selectorILNS1_17partition_subalgoE8EN3c104HalfENS0_10empty_typeEbEEZZNS1_14partition_implILS5_8ELb0ES3_jPKS7_PS8_PKS8_NS0_5tupleIJPS7_S8_EEENSG_IJSD_SD_EEENS0_18inequality_wrapperIN6hipcub16HIPCUB_304000_NS8EqualityEEEPlJS8_EEE10hipError_tPvRmT3_T4_T5_T6_T7_T9_mT8_P12ihipStream_tbDpT10_ENKUlT_T0_E_clISt17integral_constantIbLb1EES19_EEDaS14_S15_EUlS14_E_NS1_11comp_targetILNS1_3genE9ELNS1_11target_archE1100ELNS1_3gpuE3ELNS1_3repE0EEENS1_30default_config_static_selectorELNS0_4arch9wavefront6targetE1EEEvT1_,comdat
.Lfunc_end907:
	.size	_ZN7rocprim17ROCPRIM_400000_NS6detail17trampoline_kernelINS0_14default_configENS1_25partition_config_selectorILNS1_17partition_subalgoE8EN3c104HalfENS0_10empty_typeEbEEZZNS1_14partition_implILS5_8ELb0ES3_jPKS7_PS8_PKS8_NS0_5tupleIJPS7_S8_EEENSG_IJSD_SD_EEENS0_18inequality_wrapperIN6hipcub16HIPCUB_304000_NS8EqualityEEEPlJS8_EEE10hipError_tPvRmT3_T4_T5_T6_T7_T9_mT8_P12ihipStream_tbDpT10_ENKUlT_T0_E_clISt17integral_constantIbLb1EES19_EEDaS14_S15_EUlS14_E_NS1_11comp_targetILNS1_3genE9ELNS1_11target_archE1100ELNS1_3gpuE3ELNS1_3repE0EEENS1_30default_config_static_selectorELNS0_4arch9wavefront6targetE1EEEvT1_, .Lfunc_end907-_ZN7rocprim17ROCPRIM_400000_NS6detail17trampoline_kernelINS0_14default_configENS1_25partition_config_selectorILNS1_17partition_subalgoE8EN3c104HalfENS0_10empty_typeEbEEZZNS1_14partition_implILS5_8ELb0ES3_jPKS7_PS8_PKS8_NS0_5tupleIJPS7_S8_EEENSG_IJSD_SD_EEENS0_18inequality_wrapperIN6hipcub16HIPCUB_304000_NS8EqualityEEEPlJS8_EEE10hipError_tPvRmT3_T4_T5_T6_T7_T9_mT8_P12ihipStream_tbDpT10_ENKUlT_T0_E_clISt17integral_constantIbLb1EES19_EEDaS14_S15_EUlS14_E_NS1_11comp_targetILNS1_3genE9ELNS1_11target_archE1100ELNS1_3gpuE3ELNS1_3repE0EEENS1_30default_config_static_selectorELNS0_4arch9wavefront6targetE1EEEvT1_
                                        ; -- End function
	.section	.AMDGPU.csdata,"",@progbits
; Kernel info:
; codeLenInByte = 0
; NumSgprs: 6
; NumVgprs: 0
; NumAgprs: 0
; TotalNumVgprs: 0
; ScratchSize: 0
; MemoryBound: 0
; FloatMode: 240
; IeeeMode: 1
; LDSByteSize: 0 bytes/workgroup (compile time only)
; SGPRBlocks: 0
; VGPRBlocks: 0
; NumSGPRsForWavesPerEU: 6
; NumVGPRsForWavesPerEU: 1
; AccumOffset: 4
; Occupancy: 8
; WaveLimiterHint : 0
; COMPUTE_PGM_RSRC2:SCRATCH_EN: 0
; COMPUTE_PGM_RSRC2:USER_SGPR: 2
; COMPUTE_PGM_RSRC2:TRAP_HANDLER: 0
; COMPUTE_PGM_RSRC2:TGID_X_EN: 1
; COMPUTE_PGM_RSRC2:TGID_Y_EN: 0
; COMPUTE_PGM_RSRC2:TGID_Z_EN: 0
; COMPUTE_PGM_RSRC2:TIDIG_COMP_CNT: 0
; COMPUTE_PGM_RSRC3_GFX90A:ACCUM_OFFSET: 0
; COMPUTE_PGM_RSRC3_GFX90A:TG_SPLIT: 0
	.section	.text._ZN7rocprim17ROCPRIM_400000_NS6detail17trampoline_kernelINS0_14default_configENS1_25partition_config_selectorILNS1_17partition_subalgoE8EN3c104HalfENS0_10empty_typeEbEEZZNS1_14partition_implILS5_8ELb0ES3_jPKS7_PS8_PKS8_NS0_5tupleIJPS7_S8_EEENSG_IJSD_SD_EEENS0_18inequality_wrapperIN6hipcub16HIPCUB_304000_NS8EqualityEEEPlJS8_EEE10hipError_tPvRmT3_T4_T5_T6_T7_T9_mT8_P12ihipStream_tbDpT10_ENKUlT_T0_E_clISt17integral_constantIbLb1EES19_EEDaS14_S15_EUlS14_E_NS1_11comp_targetILNS1_3genE8ELNS1_11target_archE1030ELNS1_3gpuE2ELNS1_3repE0EEENS1_30default_config_static_selectorELNS0_4arch9wavefront6targetE1EEEvT1_,"axG",@progbits,_ZN7rocprim17ROCPRIM_400000_NS6detail17trampoline_kernelINS0_14default_configENS1_25partition_config_selectorILNS1_17partition_subalgoE8EN3c104HalfENS0_10empty_typeEbEEZZNS1_14partition_implILS5_8ELb0ES3_jPKS7_PS8_PKS8_NS0_5tupleIJPS7_S8_EEENSG_IJSD_SD_EEENS0_18inequality_wrapperIN6hipcub16HIPCUB_304000_NS8EqualityEEEPlJS8_EEE10hipError_tPvRmT3_T4_T5_T6_T7_T9_mT8_P12ihipStream_tbDpT10_ENKUlT_T0_E_clISt17integral_constantIbLb1EES19_EEDaS14_S15_EUlS14_E_NS1_11comp_targetILNS1_3genE8ELNS1_11target_archE1030ELNS1_3gpuE2ELNS1_3repE0EEENS1_30default_config_static_selectorELNS0_4arch9wavefront6targetE1EEEvT1_,comdat
	.protected	_ZN7rocprim17ROCPRIM_400000_NS6detail17trampoline_kernelINS0_14default_configENS1_25partition_config_selectorILNS1_17partition_subalgoE8EN3c104HalfENS0_10empty_typeEbEEZZNS1_14partition_implILS5_8ELb0ES3_jPKS7_PS8_PKS8_NS0_5tupleIJPS7_S8_EEENSG_IJSD_SD_EEENS0_18inequality_wrapperIN6hipcub16HIPCUB_304000_NS8EqualityEEEPlJS8_EEE10hipError_tPvRmT3_T4_T5_T6_T7_T9_mT8_P12ihipStream_tbDpT10_ENKUlT_T0_E_clISt17integral_constantIbLb1EES19_EEDaS14_S15_EUlS14_E_NS1_11comp_targetILNS1_3genE8ELNS1_11target_archE1030ELNS1_3gpuE2ELNS1_3repE0EEENS1_30default_config_static_selectorELNS0_4arch9wavefront6targetE1EEEvT1_ ; -- Begin function _ZN7rocprim17ROCPRIM_400000_NS6detail17trampoline_kernelINS0_14default_configENS1_25partition_config_selectorILNS1_17partition_subalgoE8EN3c104HalfENS0_10empty_typeEbEEZZNS1_14partition_implILS5_8ELb0ES3_jPKS7_PS8_PKS8_NS0_5tupleIJPS7_S8_EEENSG_IJSD_SD_EEENS0_18inequality_wrapperIN6hipcub16HIPCUB_304000_NS8EqualityEEEPlJS8_EEE10hipError_tPvRmT3_T4_T5_T6_T7_T9_mT8_P12ihipStream_tbDpT10_ENKUlT_T0_E_clISt17integral_constantIbLb1EES19_EEDaS14_S15_EUlS14_E_NS1_11comp_targetILNS1_3genE8ELNS1_11target_archE1030ELNS1_3gpuE2ELNS1_3repE0EEENS1_30default_config_static_selectorELNS0_4arch9wavefront6targetE1EEEvT1_
	.globl	_ZN7rocprim17ROCPRIM_400000_NS6detail17trampoline_kernelINS0_14default_configENS1_25partition_config_selectorILNS1_17partition_subalgoE8EN3c104HalfENS0_10empty_typeEbEEZZNS1_14partition_implILS5_8ELb0ES3_jPKS7_PS8_PKS8_NS0_5tupleIJPS7_S8_EEENSG_IJSD_SD_EEENS0_18inequality_wrapperIN6hipcub16HIPCUB_304000_NS8EqualityEEEPlJS8_EEE10hipError_tPvRmT3_T4_T5_T6_T7_T9_mT8_P12ihipStream_tbDpT10_ENKUlT_T0_E_clISt17integral_constantIbLb1EES19_EEDaS14_S15_EUlS14_E_NS1_11comp_targetILNS1_3genE8ELNS1_11target_archE1030ELNS1_3gpuE2ELNS1_3repE0EEENS1_30default_config_static_selectorELNS0_4arch9wavefront6targetE1EEEvT1_
	.p2align	8
	.type	_ZN7rocprim17ROCPRIM_400000_NS6detail17trampoline_kernelINS0_14default_configENS1_25partition_config_selectorILNS1_17partition_subalgoE8EN3c104HalfENS0_10empty_typeEbEEZZNS1_14partition_implILS5_8ELb0ES3_jPKS7_PS8_PKS8_NS0_5tupleIJPS7_S8_EEENSG_IJSD_SD_EEENS0_18inequality_wrapperIN6hipcub16HIPCUB_304000_NS8EqualityEEEPlJS8_EEE10hipError_tPvRmT3_T4_T5_T6_T7_T9_mT8_P12ihipStream_tbDpT10_ENKUlT_T0_E_clISt17integral_constantIbLb1EES19_EEDaS14_S15_EUlS14_E_NS1_11comp_targetILNS1_3genE8ELNS1_11target_archE1030ELNS1_3gpuE2ELNS1_3repE0EEENS1_30default_config_static_selectorELNS0_4arch9wavefront6targetE1EEEvT1_,@function
_ZN7rocprim17ROCPRIM_400000_NS6detail17trampoline_kernelINS0_14default_configENS1_25partition_config_selectorILNS1_17partition_subalgoE8EN3c104HalfENS0_10empty_typeEbEEZZNS1_14partition_implILS5_8ELb0ES3_jPKS7_PS8_PKS8_NS0_5tupleIJPS7_S8_EEENSG_IJSD_SD_EEENS0_18inequality_wrapperIN6hipcub16HIPCUB_304000_NS8EqualityEEEPlJS8_EEE10hipError_tPvRmT3_T4_T5_T6_T7_T9_mT8_P12ihipStream_tbDpT10_ENKUlT_T0_E_clISt17integral_constantIbLb1EES19_EEDaS14_S15_EUlS14_E_NS1_11comp_targetILNS1_3genE8ELNS1_11target_archE1030ELNS1_3gpuE2ELNS1_3repE0EEENS1_30default_config_static_selectorELNS0_4arch9wavefront6targetE1EEEvT1_: ; @_ZN7rocprim17ROCPRIM_400000_NS6detail17trampoline_kernelINS0_14default_configENS1_25partition_config_selectorILNS1_17partition_subalgoE8EN3c104HalfENS0_10empty_typeEbEEZZNS1_14partition_implILS5_8ELb0ES3_jPKS7_PS8_PKS8_NS0_5tupleIJPS7_S8_EEENSG_IJSD_SD_EEENS0_18inequality_wrapperIN6hipcub16HIPCUB_304000_NS8EqualityEEEPlJS8_EEE10hipError_tPvRmT3_T4_T5_T6_T7_T9_mT8_P12ihipStream_tbDpT10_ENKUlT_T0_E_clISt17integral_constantIbLb1EES19_EEDaS14_S15_EUlS14_E_NS1_11comp_targetILNS1_3genE8ELNS1_11target_archE1030ELNS1_3gpuE2ELNS1_3repE0EEENS1_30default_config_static_selectorELNS0_4arch9wavefront6targetE1EEEvT1_
; %bb.0:
	.section	.rodata,"a",@progbits
	.p2align	6, 0x0
	.amdhsa_kernel _ZN7rocprim17ROCPRIM_400000_NS6detail17trampoline_kernelINS0_14default_configENS1_25partition_config_selectorILNS1_17partition_subalgoE8EN3c104HalfENS0_10empty_typeEbEEZZNS1_14partition_implILS5_8ELb0ES3_jPKS7_PS8_PKS8_NS0_5tupleIJPS7_S8_EEENSG_IJSD_SD_EEENS0_18inequality_wrapperIN6hipcub16HIPCUB_304000_NS8EqualityEEEPlJS8_EEE10hipError_tPvRmT3_T4_T5_T6_T7_T9_mT8_P12ihipStream_tbDpT10_ENKUlT_T0_E_clISt17integral_constantIbLb1EES19_EEDaS14_S15_EUlS14_E_NS1_11comp_targetILNS1_3genE8ELNS1_11target_archE1030ELNS1_3gpuE2ELNS1_3repE0EEENS1_30default_config_static_selectorELNS0_4arch9wavefront6targetE1EEEvT1_
		.amdhsa_group_segment_fixed_size 0
		.amdhsa_private_segment_fixed_size 0
		.amdhsa_kernarg_size 128
		.amdhsa_user_sgpr_count 2
		.amdhsa_user_sgpr_dispatch_ptr 0
		.amdhsa_user_sgpr_queue_ptr 0
		.amdhsa_user_sgpr_kernarg_segment_ptr 1
		.amdhsa_user_sgpr_dispatch_id 0
		.amdhsa_user_sgpr_kernarg_preload_length 0
		.amdhsa_user_sgpr_kernarg_preload_offset 0
		.amdhsa_user_sgpr_private_segment_size 0
		.amdhsa_uses_dynamic_stack 0
		.amdhsa_enable_private_segment 0
		.amdhsa_system_sgpr_workgroup_id_x 1
		.amdhsa_system_sgpr_workgroup_id_y 0
		.amdhsa_system_sgpr_workgroup_id_z 0
		.amdhsa_system_sgpr_workgroup_info 0
		.amdhsa_system_vgpr_workitem_id 0
		.amdhsa_next_free_vgpr 1
		.amdhsa_next_free_sgpr 0
		.amdhsa_accum_offset 4
		.amdhsa_reserve_vcc 0
		.amdhsa_float_round_mode_32 0
		.amdhsa_float_round_mode_16_64 0
		.amdhsa_float_denorm_mode_32 3
		.amdhsa_float_denorm_mode_16_64 3
		.amdhsa_dx10_clamp 1
		.amdhsa_ieee_mode 1
		.amdhsa_fp16_overflow 0
		.amdhsa_tg_split 0
		.amdhsa_exception_fp_ieee_invalid_op 0
		.amdhsa_exception_fp_denorm_src 0
		.amdhsa_exception_fp_ieee_div_zero 0
		.amdhsa_exception_fp_ieee_overflow 0
		.amdhsa_exception_fp_ieee_underflow 0
		.amdhsa_exception_fp_ieee_inexact 0
		.amdhsa_exception_int_div_zero 0
	.end_amdhsa_kernel
	.section	.text._ZN7rocprim17ROCPRIM_400000_NS6detail17trampoline_kernelINS0_14default_configENS1_25partition_config_selectorILNS1_17partition_subalgoE8EN3c104HalfENS0_10empty_typeEbEEZZNS1_14partition_implILS5_8ELb0ES3_jPKS7_PS8_PKS8_NS0_5tupleIJPS7_S8_EEENSG_IJSD_SD_EEENS0_18inequality_wrapperIN6hipcub16HIPCUB_304000_NS8EqualityEEEPlJS8_EEE10hipError_tPvRmT3_T4_T5_T6_T7_T9_mT8_P12ihipStream_tbDpT10_ENKUlT_T0_E_clISt17integral_constantIbLb1EES19_EEDaS14_S15_EUlS14_E_NS1_11comp_targetILNS1_3genE8ELNS1_11target_archE1030ELNS1_3gpuE2ELNS1_3repE0EEENS1_30default_config_static_selectorELNS0_4arch9wavefront6targetE1EEEvT1_,"axG",@progbits,_ZN7rocprim17ROCPRIM_400000_NS6detail17trampoline_kernelINS0_14default_configENS1_25partition_config_selectorILNS1_17partition_subalgoE8EN3c104HalfENS0_10empty_typeEbEEZZNS1_14partition_implILS5_8ELb0ES3_jPKS7_PS8_PKS8_NS0_5tupleIJPS7_S8_EEENSG_IJSD_SD_EEENS0_18inequality_wrapperIN6hipcub16HIPCUB_304000_NS8EqualityEEEPlJS8_EEE10hipError_tPvRmT3_T4_T5_T6_T7_T9_mT8_P12ihipStream_tbDpT10_ENKUlT_T0_E_clISt17integral_constantIbLb1EES19_EEDaS14_S15_EUlS14_E_NS1_11comp_targetILNS1_3genE8ELNS1_11target_archE1030ELNS1_3gpuE2ELNS1_3repE0EEENS1_30default_config_static_selectorELNS0_4arch9wavefront6targetE1EEEvT1_,comdat
.Lfunc_end908:
	.size	_ZN7rocprim17ROCPRIM_400000_NS6detail17trampoline_kernelINS0_14default_configENS1_25partition_config_selectorILNS1_17partition_subalgoE8EN3c104HalfENS0_10empty_typeEbEEZZNS1_14partition_implILS5_8ELb0ES3_jPKS7_PS8_PKS8_NS0_5tupleIJPS7_S8_EEENSG_IJSD_SD_EEENS0_18inequality_wrapperIN6hipcub16HIPCUB_304000_NS8EqualityEEEPlJS8_EEE10hipError_tPvRmT3_T4_T5_T6_T7_T9_mT8_P12ihipStream_tbDpT10_ENKUlT_T0_E_clISt17integral_constantIbLb1EES19_EEDaS14_S15_EUlS14_E_NS1_11comp_targetILNS1_3genE8ELNS1_11target_archE1030ELNS1_3gpuE2ELNS1_3repE0EEENS1_30default_config_static_selectorELNS0_4arch9wavefront6targetE1EEEvT1_, .Lfunc_end908-_ZN7rocprim17ROCPRIM_400000_NS6detail17trampoline_kernelINS0_14default_configENS1_25partition_config_selectorILNS1_17partition_subalgoE8EN3c104HalfENS0_10empty_typeEbEEZZNS1_14partition_implILS5_8ELb0ES3_jPKS7_PS8_PKS8_NS0_5tupleIJPS7_S8_EEENSG_IJSD_SD_EEENS0_18inequality_wrapperIN6hipcub16HIPCUB_304000_NS8EqualityEEEPlJS8_EEE10hipError_tPvRmT3_T4_T5_T6_T7_T9_mT8_P12ihipStream_tbDpT10_ENKUlT_T0_E_clISt17integral_constantIbLb1EES19_EEDaS14_S15_EUlS14_E_NS1_11comp_targetILNS1_3genE8ELNS1_11target_archE1030ELNS1_3gpuE2ELNS1_3repE0EEENS1_30default_config_static_selectorELNS0_4arch9wavefront6targetE1EEEvT1_
                                        ; -- End function
	.section	.AMDGPU.csdata,"",@progbits
; Kernel info:
; codeLenInByte = 0
; NumSgprs: 6
; NumVgprs: 0
; NumAgprs: 0
; TotalNumVgprs: 0
; ScratchSize: 0
; MemoryBound: 0
; FloatMode: 240
; IeeeMode: 1
; LDSByteSize: 0 bytes/workgroup (compile time only)
; SGPRBlocks: 0
; VGPRBlocks: 0
; NumSGPRsForWavesPerEU: 6
; NumVGPRsForWavesPerEU: 1
; AccumOffset: 4
; Occupancy: 8
; WaveLimiterHint : 0
; COMPUTE_PGM_RSRC2:SCRATCH_EN: 0
; COMPUTE_PGM_RSRC2:USER_SGPR: 2
; COMPUTE_PGM_RSRC2:TRAP_HANDLER: 0
; COMPUTE_PGM_RSRC2:TGID_X_EN: 1
; COMPUTE_PGM_RSRC2:TGID_Y_EN: 0
; COMPUTE_PGM_RSRC2:TGID_Z_EN: 0
; COMPUTE_PGM_RSRC2:TIDIG_COMP_CNT: 0
; COMPUTE_PGM_RSRC3_GFX90A:ACCUM_OFFSET: 0
; COMPUTE_PGM_RSRC3_GFX90A:TG_SPLIT: 0
	.section	.text._ZN7rocprim17ROCPRIM_400000_NS6detail17trampoline_kernelINS0_14default_configENS1_25partition_config_selectorILNS1_17partition_subalgoE8EN3c104HalfENS0_10empty_typeEbEEZZNS1_14partition_implILS5_8ELb0ES3_jPKS7_PS8_PKS8_NS0_5tupleIJPS7_S8_EEENSG_IJSD_SD_EEENS0_18inequality_wrapperIN6hipcub16HIPCUB_304000_NS8EqualityEEEPlJS8_EEE10hipError_tPvRmT3_T4_T5_T6_T7_T9_mT8_P12ihipStream_tbDpT10_ENKUlT_T0_E_clISt17integral_constantIbLb1EES18_IbLb0EEEEDaS14_S15_EUlS14_E_NS1_11comp_targetILNS1_3genE0ELNS1_11target_archE4294967295ELNS1_3gpuE0ELNS1_3repE0EEENS1_30default_config_static_selectorELNS0_4arch9wavefront6targetE1EEEvT1_,"axG",@progbits,_ZN7rocprim17ROCPRIM_400000_NS6detail17trampoline_kernelINS0_14default_configENS1_25partition_config_selectorILNS1_17partition_subalgoE8EN3c104HalfENS0_10empty_typeEbEEZZNS1_14partition_implILS5_8ELb0ES3_jPKS7_PS8_PKS8_NS0_5tupleIJPS7_S8_EEENSG_IJSD_SD_EEENS0_18inequality_wrapperIN6hipcub16HIPCUB_304000_NS8EqualityEEEPlJS8_EEE10hipError_tPvRmT3_T4_T5_T6_T7_T9_mT8_P12ihipStream_tbDpT10_ENKUlT_T0_E_clISt17integral_constantIbLb1EES18_IbLb0EEEEDaS14_S15_EUlS14_E_NS1_11comp_targetILNS1_3genE0ELNS1_11target_archE4294967295ELNS1_3gpuE0ELNS1_3repE0EEENS1_30default_config_static_selectorELNS0_4arch9wavefront6targetE1EEEvT1_,comdat
	.protected	_ZN7rocprim17ROCPRIM_400000_NS6detail17trampoline_kernelINS0_14default_configENS1_25partition_config_selectorILNS1_17partition_subalgoE8EN3c104HalfENS0_10empty_typeEbEEZZNS1_14partition_implILS5_8ELb0ES3_jPKS7_PS8_PKS8_NS0_5tupleIJPS7_S8_EEENSG_IJSD_SD_EEENS0_18inequality_wrapperIN6hipcub16HIPCUB_304000_NS8EqualityEEEPlJS8_EEE10hipError_tPvRmT3_T4_T5_T6_T7_T9_mT8_P12ihipStream_tbDpT10_ENKUlT_T0_E_clISt17integral_constantIbLb1EES18_IbLb0EEEEDaS14_S15_EUlS14_E_NS1_11comp_targetILNS1_3genE0ELNS1_11target_archE4294967295ELNS1_3gpuE0ELNS1_3repE0EEENS1_30default_config_static_selectorELNS0_4arch9wavefront6targetE1EEEvT1_ ; -- Begin function _ZN7rocprim17ROCPRIM_400000_NS6detail17trampoline_kernelINS0_14default_configENS1_25partition_config_selectorILNS1_17partition_subalgoE8EN3c104HalfENS0_10empty_typeEbEEZZNS1_14partition_implILS5_8ELb0ES3_jPKS7_PS8_PKS8_NS0_5tupleIJPS7_S8_EEENSG_IJSD_SD_EEENS0_18inequality_wrapperIN6hipcub16HIPCUB_304000_NS8EqualityEEEPlJS8_EEE10hipError_tPvRmT3_T4_T5_T6_T7_T9_mT8_P12ihipStream_tbDpT10_ENKUlT_T0_E_clISt17integral_constantIbLb1EES18_IbLb0EEEEDaS14_S15_EUlS14_E_NS1_11comp_targetILNS1_3genE0ELNS1_11target_archE4294967295ELNS1_3gpuE0ELNS1_3repE0EEENS1_30default_config_static_selectorELNS0_4arch9wavefront6targetE1EEEvT1_
	.globl	_ZN7rocprim17ROCPRIM_400000_NS6detail17trampoline_kernelINS0_14default_configENS1_25partition_config_selectorILNS1_17partition_subalgoE8EN3c104HalfENS0_10empty_typeEbEEZZNS1_14partition_implILS5_8ELb0ES3_jPKS7_PS8_PKS8_NS0_5tupleIJPS7_S8_EEENSG_IJSD_SD_EEENS0_18inequality_wrapperIN6hipcub16HIPCUB_304000_NS8EqualityEEEPlJS8_EEE10hipError_tPvRmT3_T4_T5_T6_T7_T9_mT8_P12ihipStream_tbDpT10_ENKUlT_T0_E_clISt17integral_constantIbLb1EES18_IbLb0EEEEDaS14_S15_EUlS14_E_NS1_11comp_targetILNS1_3genE0ELNS1_11target_archE4294967295ELNS1_3gpuE0ELNS1_3repE0EEENS1_30default_config_static_selectorELNS0_4arch9wavefront6targetE1EEEvT1_
	.p2align	8
	.type	_ZN7rocprim17ROCPRIM_400000_NS6detail17trampoline_kernelINS0_14default_configENS1_25partition_config_selectorILNS1_17partition_subalgoE8EN3c104HalfENS0_10empty_typeEbEEZZNS1_14partition_implILS5_8ELb0ES3_jPKS7_PS8_PKS8_NS0_5tupleIJPS7_S8_EEENSG_IJSD_SD_EEENS0_18inequality_wrapperIN6hipcub16HIPCUB_304000_NS8EqualityEEEPlJS8_EEE10hipError_tPvRmT3_T4_T5_T6_T7_T9_mT8_P12ihipStream_tbDpT10_ENKUlT_T0_E_clISt17integral_constantIbLb1EES18_IbLb0EEEEDaS14_S15_EUlS14_E_NS1_11comp_targetILNS1_3genE0ELNS1_11target_archE4294967295ELNS1_3gpuE0ELNS1_3repE0EEENS1_30default_config_static_selectorELNS0_4arch9wavefront6targetE1EEEvT1_,@function
_ZN7rocprim17ROCPRIM_400000_NS6detail17trampoline_kernelINS0_14default_configENS1_25partition_config_selectorILNS1_17partition_subalgoE8EN3c104HalfENS0_10empty_typeEbEEZZNS1_14partition_implILS5_8ELb0ES3_jPKS7_PS8_PKS8_NS0_5tupleIJPS7_S8_EEENSG_IJSD_SD_EEENS0_18inequality_wrapperIN6hipcub16HIPCUB_304000_NS8EqualityEEEPlJS8_EEE10hipError_tPvRmT3_T4_T5_T6_T7_T9_mT8_P12ihipStream_tbDpT10_ENKUlT_T0_E_clISt17integral_constantIbLb1EES18_IbLb0EEEEDaS14_S15_EUlS14_E_NS1_11comp_targetILNS1_3genE0ELNS1_11target_archE4294967295ELNS1_3gpuE0ELNS1_3repE0EEENS1_30default_config_static_selectorELNS0_4arch9wavefront6targetE1EEEvT1_: ; @_ZN7rocprim17ROCPRIM_400000_NS6detail17trampoline_kernelINS0_14default_configENS1_25partition_config_selectorILNS1_17partition_subalgoE8EN3c104HalfENS0_10empty_typeEbEEZZNS1_14partition_implILS5_8ELb0ES3_jPKS7_PS8_PKS8_NS0_5tupleIJPS7_S8_EEENSG_IJSD_SD_EEENS0_18inequality_wrapperIN6hipcub16HIPCUB_304000_NS8EqualityEEEPlJS8_EEE10hipError_tPvRmT3_T4_T5_T6_T7_T9_mT8_P12ihipStream_tbDpT10_ENKUlT_T0_E_clISt17integral_constantIbLb1EES18_IbLb0EEEEDaS14_S15_EUlS14_E_NS1_11comp_targetILNS1_3genE0ELNS1_11target_archE4294967295ELNS1_3gpuE0ELNS1_3repE0EEENS1_30default_config_static_selectorELNS0_4arch9wavefront6targetE1EEEvT1_
; %bb.0:
	.section	.rodata,"a",@progbits
	.p2align	6, 0x0
	.amdhsa_kernel _ZN7rocprim17ROCPRIM_400000_NS6detail17trampoline_kernelINS0_14default_configENS1_25partition_config_selectorILNS1_17partition_subalgoE8EN3c104HalfENS0_10empty_typeEbEEZZNS1_14partition_implILS5_8ELb0ES3_jPKS7_PS8_PKS8_NS0_5tupleIJPS7_S8_EEENSG_IJSD_SD_EEENS0_18inequality_wrapperIN6hipcub16HIPCUB_304000_NS8EqualityEEEPlJS8_EEE10hipError_tPvRmT3_T4_T5_T6_T7_T9_mT8_P12ihipStream_tbDpT10_ENKUlT_T0_E_clISt17integral_constantIbLb1EES18_IbLb0EEEEDaS14_S15_EUlS14_E_NS1_11comp_targetILNS1_3genE0ELNS1_11target_archE4294967295ELNS1_3gpuE0ELNS1_3repE0EEENS1_30default_config_static_selectorELNS0_4arch9wavefront6targetE1EEEvT1_
		.amdhsa_group_segment_fixed_size 0
		.amdhsa_private_segment_fixed_size 0
		.amdhsa_kernarg_size 112
		.amdhsa_user_sgpr_count 2
		.amdhsa_user_sgpr_dispatch_ptr 0
		.amdhsa_user_sgpr_queue_ptr 0
		.amdhsa_user_sgpr_kernarg_segment_ptr 1
		.amdhsa_user_sgpr_dispatch_id 0
		.amdhsa_user_sgpr_kernarg_preload_length 0
		.amdhsa_user_sgpr_kernarg_preload_offset 0
		.amdhsa_user_sgpr_private_segment_size 0
		.amdhsa_uses_dynamic_stack 0
		.amdhsa_enable_private_segment 0
		.amdhsa_system_sgpr_workgroup_id_x 1
		.amdhsa_system_sgpr_workgroup_id_y 0
		.amdhsa_system_sgpr_workgroup_id_z 0
		.amdhsa_system_sgpr_workgroup_info 0
		.amdhsa_system_vgpr_workitem_id 0
		.amdhsa_next_free_vgpr 1
		.amdhsa_next_free_sgpr 0
		.amdhsa_accum_offset 4
		.amdhsa_reserve_vcc 0
		.amdhsa_float_round_mode_32 0
		.amdhsa_float_round_mode_16_64 0
		.amdhsa_float_denorm_mode_32 3
		.amdhsa_float_denorm_mode_16_64 3
		.amdhsa_dx10_clamp 1
		.amdhsa_ieee_mode 1
		.amdhsa_fp16_overflow 0
		.amdhsa_tg_split 0
		.amdhsa_exception_fp_ieee_invalid_op 0
		.amdhsa_exception_fp_denorm_src 0
		.amdhsa_exception_fp_ieee_div_zero 0
		.amdhsa_exception_fp_ieee_overflow 0
		.amdhsa_exception_fp_ieee_underflow 0
		.amdhsa_exception_fp_ieee_inexact 0
		.amdhsa_exception_int_div_zero 0
	.end_amdhsa_kernel
	.section	.text._ZN7rocprim17ROCPRIM_400000_NS6detail17trampoline_kernelINS0_14default_configENS1_25partition_config_selectorILNS1_17partition_subalgoE8EN3c104HalfENS0_10empty_typeEbEEZZNS1_14partition_implILS5_8ELb0ES3_jPKS7_PS8_PKS8_NS0_5tupleIJPS7_S8_EEENSG_IJSD_SD_EEENS0_18inequality_wrapperIN6hipcub16HIPCUB_304000_NS8EqualityEEEPlJS8_EEE10hipError_tPvRmT3_T4_T5_T6_T7_T9_mT8_P12ihipStream_tbDpT10_ENKUlT_T0_E_clISt17integral_constantIbLb1EES18_IbLb0EEEEDaS14_S15_EUlS14_E_NS1_11comp_targetILNS1_3genE0ELNS1_11target_archE4294967295ELNS1_3gpuE0ELNS1_3repE0EEENS1_30default_config_static_selectorELNS0_4arch9wavefront6targetE1EEEvT1_,"axG",@progbits,_ZN7rocprim17ROCPRIM_400000_NS6detail17trampoline_kernelINS0_14default_configENS1_25partition_config_selectorILNS1_17partition_subalgoE8EN3c104HalfENS0_10empty_typeEbEEZZNS1_14partition_implILS5_8ELb0ES3_jPKS7_PS8_PKS8_NS0_5tupleIJPS7_S8_EEENSG_IJSD_SD_EEENS0_18inequality_wrapperIN6hipcub16HIPCUB_304000_NS8EqualityEEEPlJS8_EEE10hipError_tPvRmT3_T4_T5_T6_T7_T9_mT8_P12ihipStream_tbDpT10_ENKUlT_T0_E_clISt17integral_constantIbLb1EES18_IbLb0EEEEDaS14_S15_EUlS14_E_NS1_11comp_targetILNS1_3genE0ELNS1_11target_archE4294967295ELNS1_3gpuE0ELNS1_3repE0EEENS1_30default_config_static_selectorELNS0_4arch9wavefront6targetE1EEEvT1_,comdat
.Lfunc_end909:
	.size	_ZN7rocprim17ROCPRIM_400000_NS6detail17trampoline_kernelINS0_14default_configENS1_25partition_config_selectorILNS1_17partition_subalgoE8EN3c104HalfENS0_10empty_typeEbEEZZNS1_14partition_implILS5_8ELb0ES3_jPKS7_PS8_PKS8_NS0_5tupleIJPS7_S8_EEENSG_IJSD_SD_EEENS0_18inequality_wrapperIN6hipcub16HIPCUB_304000_NS8EqualityEEEPlJS8_EEE10hipError_tPvRmT3_T4_T5_T6_T7_T9_mT8_P12ihipStream_tbDpT10_ENKUlT_T0_E_clISt17integral_constantIbLb1EES18_IbLb0EEEEDaS14_S15_EUlS14_E_NS1_11comp_targetILNS1_3genE0ELNS1_11target_archE4294967295ELNS1_3gpuE0ELNS1_3repE0EEENS1_30default_config_static_selectorELNS0_4arch9wavefront6targetE1EEEvT1_, .Lfunc_end909-_ZN7rocprim17ROCPRIM_400000_NS6detail17trampoline_kernelINS0_14default_configENS1_25partition_config_selectorILNS1_17partition_subalgoE8EN3c104HalfENS0_10empty_typeEbEEZZNS1_14partition_implILS5_8ELb0ES3_jPKS7_PS8_PKS8_NS0_5tupleIJPS7_S8_EEENSG_IJSD_SD_EEENS0_18inequality_wrapperIN6hipcub16HIPCUB_304000_NS8EqualityEEEPlJS8_EEE10hipError_tPvRmT3_T4_T5_T6_T7_T9_mT8_P12ihipStream_tbDpT10_ENKUlT_T0_E_clISt17integral_constantIbLb1EES18_IbLb0EEEEDaS14_S15_EUlS14_E_NS1_11comp_targetILNS1_3genE0ELNS1_11target_archE4294967295ELNS1_3gpuE0ELNS1_3repE0EEENS1_30default_config_static_selectorELNS0_4arch9wavefront6targetE1EEEvT1_
                                        ; -- End function
	.section	.AMDGPU.csdata,"",@progbits
; Kernel info:
; codeLenInByte = 0
; NumSgprs: 6
; NumVgprs: 0
; NumAgprs: 0
; TotalNumVgprs: 0
; ScratchSize: 0
; MemoryBound: 0
; FloatMode: 240
; IeeeMode: 1
; LDSByteSize: 0 bytes/workgroup (compile time only)
; SGPRBlocks: 0
; VGPRBlocks: 0
; NumSGPRsForWavesPerEU: 6
; NumVGPRsForWavesPerEU: 1
; AccumOffset: 4
; Occupancy: 8
; WaveLimiterHint : 0
; COMPUTE_PGM_RSRC2:SCRATCH_EN: 0
; COMPUTE_PGM_RSRC2:USER_SGPR: 2
; COMPUTE_PGM_RSRC2:TRAP_HANDLER: 0
; COMPUTE_PGM_RSRC2:TGID_X_EN: 1
; COMPUTE_PGM_RSRC2:TGID_Y_EN: 0
; COMPUTE_PGM_RSRC2:TGID_Z_EN: 0
; COMPUTE_PGM_RSRC2:TIDIG_COMP_CNT: 0
; COMPUTE_PGM_RSRC3_GFX90A:ACCUM_OFFSET: 0
; COMPUTE_PGM_RSRC3_GFX90A:TG_SPLIT: 0
	.section	.text._ZN7rocprim17ROCPRIM_400000_NS6detail17trampoline_kernelINS0_14default_configENS1_25partition_config_selectorILNS1_17partition_subalgoE8EN3c104HalfENS0_10empty_typeEbEEZZNS1_14partition_implILS5_8ELb0ES3_jPKS7_PS8_PKS8_NS0_5tupleIJPS7_S8_EEENSG_IJSD_SD_EEENS0_18inequality_wrapperIN6hipcub16HIPCUB_304000_NS8EqualityEEEPlJS8_EEE10hipError_tPvRmT3_T4_T5_T6_T7_T9_mT8_P12ihipStream_tbDpT10_ENKUlT_T0_E_clISt17integral_constantIbLb1EES18_IbLb0EEEEDaS14_S15_EUlS14_E_NS1_11comp_targetILNS1_3genE5ELNS1_11target_archE942ELNS1_3gpuE9ELNS1_3repE0EEENS1_30default_config_static_selectorELNS0_4arch9wavefront6targetE1EEEvT1_,"axG",@progbits,_ZN7rocprim17ROCPRIM_400000_NS6detail17trampoline_kernelINS0_14default_configENS1_25partition_config_selectorILNS1_17partition_subalgoE8EN3c104HalfENS0_10empty_typeEbEEZZNS1_14partition_implILS5_8ELb0ES3_jPKS7_PS8_PKS8_NS0_5tupleIJPS7_S8_EEENSG_IJSD_SD_EEENS0_18inequality_wrapperIN6hipcub16HIPCUB_304000_NS8EqualityEEEPlJS8_EEE10hipError_tPvRmT3_T4_T5_T6_T7_T9_mT8_P12ihipStream_tbDpT10_ENKUlT_T0_E_clISt17integral_constantIbLb1EES18_IbLb0EEEEDaS14_S15_EUlS14_E_NS1_11comp_targetILNS1_3genE5ELNS1_11target_archE942ELNS1_3gpuE9ELNS1_3repE0EEENS1_30default_config_static_selectorELNS0_4arch9wavefront6targetE1EEEvT1_,comdat
	.protected	_ZN7rocprim17ROCPRIM_400000_NS6detail17trampoline_kernelINS0_14default_configENS1_25partition_config_selectorILNS1_17partition_subalgoE8EN3c104HalfENS0_10empty_typeEbEEZZNS1_14partition_implILS5_8ELb0ES3_jPKS7_PS8_PKS8_NS0_5tupleIJPS7_S8_EEENSG_IJSD_SD_EEENS0_18inequality_wrapperIN6hipcub16HIPCUB_304000_NS8EqualityEEEPlJS8_EEE10hipError_tPvRmT3_T4_T5_T6_T7_T9_mT8_P12ihipStream_tbDpT10_ENKUlT_T0_E_clISt17integral_constantIbLb1EES18_IbLb0EEEEDaS14_S15_EUlS14_E_NS1_11comp_targetILNS1_3genE5ELNS1_11target_archE942ELNS1_3gpuE9ELNS1_3repE0EEENS1_30default_config_static_selectorELNS0_4arch9wavefront6targetE1EEEvT1_ ; -- Begin function _ZN7rocprim17ROCPRIM_400000_NS6detail17trampoline_kernelINS0_14default_configENS1_25partition_config_selectorILNS1_17partition_subalgoE8EN3c104HalfENS0_10empty_typeEbEEZZNS1_14partition_implILS5_8ELb0ES3_jPKS7_PS8_PKS8_NS0_5tupleIJPS7_S8_EEENSG_IJSD_SD_EEENS0_18inequality_wrapperIN6hipcub16HIPCUB_304000_NS8EqualityEEEPlJS8_EEE10hipError_tPvRmT3_T4_T5_T6_T7_T9_mT8_P12ihipStream_tbDpT10_ENKUlT_T0_E_clISt17integral_constantIbLb1EES18_IbLb0EEEEDaS14_S15_EUlS14_E_NS1_11comp_targetILNS1_3genE5ELNS1_11target_archE942ELNS1_3gpuE9ELNS1_3repE0EEENS1_30default_config_static_selectorELNS0_4arch9wavefront6targetE1EEEvT1_
	.globl	_ZN7rocprim17ROCPRIM_400000_NS6detail17trampoline_kernelINS0_14default_configENS1_25partition_config_selectorILNS1_17partition_subalgoE8EN3c104HalfENS0_10empty_typeEbEEZZNS1_14partition_implILS5_8ELb0ES3_jPKS7_PS8_PKS8_NS0_5tupleIJPS7_S8_EEENSG_IJSD_SD_EEENS0_18inequality_wrapperIN6hipcub16HIPCUB_304000_NS8EqualityEEEPlJS8_EEE10hipError_tPvRmT3_T4_T5_T6_T7_T9_mT8_P12ihipStream_tbDpT10_ENKUlT_T0_E_clISt17integral_constantIbLb1EES18_IbLb0EEEEDaS14_S15_EUlS14_E_NS1_11comp_targetILNS1_3genE5ELNS1_11target_archE942ELNS1_3gpuE9ELNS1_3repE0EEENS1_30default_config_static_selectorELNS0_4arch9wavefront6targetE1EEEvT1_
	.p2align	8
	.type	_ZN7rocprim17ROCPRIM_400000_NS6detail17trampoline_kernelINS0_14default_configENS1_25partition_config_selectorILNS1_17partition_subalgoE8EN3c104HalfENS0_10empty_typeEbEEZZNS1_14partition_implILS5_8ELb0ES3_jPKS7_PS8_PKS8_NS0_5tupleIJPS7_S8_EEENSG_IJSD_SD_EEENS0_18inequality_wrapperIN6hipcub16HIPCUB_304000_NS8EqualityEEEPlJS8_EEE10hipError_tPvRmT3_T4_T5_T6_T7_T9_mT8_P12ihipStream_tbDpT10_ENKUlT_T0_E_clISt17integral_constantIbLb1EES18_IbLb0EEEEDaS14_S15_EUlS14_E_NS1_11comp_targetILNS1_3genE5ELNS1_11target_archE942ELNS1_3gpuE9ELNS1_3repE0EEENS1_30default_config_static_selectorELNS0_4arch9wavefront6targetE1EEEvT1_,@function
_ZN7rocprim17ROCPRIM_400000_NS6detail17trampoline_kernelINS0_14default_configENS1_25partition_config_selectorILNS1_17partition_subalgoE8EN3c104HalfENS0_10empty_typeEbEEZZNS1_14partition_implILS5_8ELb0ES3_jPKS7_PS8_PKS8_NS0_5tupleIJPS7_S8_EEENSG_IJSD_SD_EEENS0_18inequality_wrapperIN6hipcub16HIPCUB_304000_NS8EqualityEEEPlJS8_EEE10hipError_tPvRmT3_T4_T5_T6_T7_T9_mT8_P12ihipStream_tbDpT10_ENKUlT_T0_E_clISt17integral_constantIbLb1EES18_IbLb0EEEEDaS14_S15_EUlS14_E_NS1_11comp_targetILNS1_3genE5ELNS1_11target_archE942ELNS1_3gpuE9ELNS1_3repE0EEENS1_30default_config_static_selectorELNS0_4arch9wavefront6targetE1EEEvT1_: ; @_ZN7rocprim17ROCPRIM_400000_NS6detail17trampoline_kernelINS0_14default_configENS1_25partition_config_selectorILNS1_17partition_subalgoE8EN3c104HalfENS0_10empty_typeEbEEZZNS1_14partition_implILS5_8ELb0ES3_jPKS7_PS8_PKS8_NS0_5tupleIJPS7_S8_EEENSG_IJSD_SD_EEENS0_18inequality_wrapperIN6hipcub16HIPCUB_304000_NS8EqualityEEEPlJS8_EEE10hipError_tPvRmT3_T4_T5_T6_T7_T9_mT8_P12ihipStream_tbDpT10_ENKUlT_T0_E_clISt17integral_constantIbLb1EES18_IbLb0EEEEDaS14_S15_EUlS14_E_NS1_11comp_targetILNS1_3genE5ELNS1_11target_archE942ELNS1_3gpuE9ELNS1_3repE0EEENS1_30default_config_static_selectorELNS0_4arch9wavefront6targetE1EEEvT1_
; %bb.0:
	s_load_dwordx2 s[8:9], s[0:1], 0x50
	s_load_dwordx4 s[4:7], s[0:1], 0x8
	s_load_dwordx4 s[20:23], s[0:1], 0x40
	s_load_dword s3, s[0:1], 0x68
	s_waitcnt lgkmcnt(0)
	v_mov_b32_e32 v3, s9
	s_lshl_b64 s[10:11], s[6:7], 1
	s_add_u32 s12, s4, s10
	s_mul_i32 s9, s3, 0x3c00
	s_addc_u32 s13, s5, s11
	s_add_i32 s10, s3, -1
	s_add_i32 s3, s9, s6
	s_sub_i32 s3, s8, s3
	v_mov_b32_e32 v2, s8
	s_add_u32 s8, s6, s9
	s_addc_u32 s9, s7, 0
	s_cmp_eq_u32 s2, s10
	s_load_dwordx2 s[22:23], s[22:23], 0x0
	v_cmp_ge_u64_e32 vcc, s[8:9], v[2:3]
	s_cselect_b64 s[24:25], -1, 0
	s_mul_i32 s4, s2, 0x3c00
	s_mov_b32 s5, 0
	s_and_b64 s[8:9], s[24:25], vcc
	s_xor_b64 s[26:27], s[8:9], -1
	s_lshl_b64 s[4:5], s[4:5], 1
	s_add_u32 s4, s12, s4
	s_mov_b64 s[10:11], -1
	s_addc_u32 s5, s13, s5
	s_and_b64 vcc, exec, s[26:27]
	s_cbranch_vccz .LBB910_2
; %bb.1:
	v_lshlrev_b32_e32 v2, 1, v0
	v_mov_b32_e32 v3, 0
	v_lshl_add_u64 v[4:5], s[4:5], 0, v[2:3]
	v_add_co_u32_e32 v6, vcc, 0x1000, v4
	global_load_ushort v1, v2, s[4:5]
	global_load_ushort v3, v2, s[4:5] offset:1024
	global_load_ushort v10, v2, s[4:5] offset:2048
	;; [unrolled: 1-line block ×3, first 2 shown]
	v_addc_co_u32_e32 v7, vcc, 0, v5, vcc
	v_add_co_u32_e32 v8, vcc, 0x2000, v4
	s_mov_b64 s[10:11], 0
	s_nop 0
	v_addc_co_u32_e32 v9, vcc, 0, v5, vcc
	global_load_ushort v12, v[6:7], off
	global_load_ushort v13, v[6:7], off offset:1024
	global_load_ushort v14, v[6:7], off offset:2048
	;; [unrolled: 1-line block ×3, first 2 shown]
	global_load_ushort v16, v[8:9], off
	global_load_ushort v17, v[8:9], off offset:1024
	global_load_ushort v18, v[8:9], off offset:2048
	;; [unrolled: 1-line block ×3, first 2 shown]
	v_add_co_u32_e32 v6, vcc, 0x3000, v4
	s_nop 1
	v_addc_co_u32_e32 v7, vcc, 0, v5, vcc
	v_add_co_u32_e32 v8, vcc, 0x4000, v4
	s_nop 1
	v_addc_co_u32_e32 v9, vcc, 0, v5, vcc
	global_load_ushort v20, v[6:7], off
	global_load_ushort v21, v[6:7], off offset:1024
	global_load_ushort v22, v[6:7], off offset:2048
	;; [unrolled: 1-line block ×3, first 2 shown]
	global_load_ushort v24, v[8:9], off
	global_load_ushort v25, v[8:9], off offset:1024
	global_load_ushort v26, v[8:9], off offset:2048
	;; [unrolled: 1-line block ×3, first 2 shown]
	v_add_co_u32_e32 v6, vcc, 0x5000, v4
	s_nop 1
	v_addc_co_u32_e32 v7, vcc, 0, v5, vcc
	v_add_co_u32_e32 v8, vcc, 0x6000, v4
	s_nop 1
	v_addc_co_u32_e32 v9, vcc, 0, v5, vcc
	v_add_co_u32_e32 v4, vcc, 0x7000, v4
	global_load_ushort v28, v[6:7], off
	global_load_ushort v29, v[6:7], off offset:1024
	global_load_ushort v30, v[6:7], off offset:2048
	;; [unrolled: 1-line block ×3, first 2 shown]
	global_load_ushort v32, v[8:9], off
	global_load_ushort v33, v[8:9], off offset:1024
	global_load_ushort v34, v[8:9], off offset:2048
	;; [unrolled: 1-line block ×3, first 2 shown]
	v_addc_co_u32_e32 v5, vcc, 0, v5, vcc
	global_load_ushort v6, v[4:5], off
	global_load_ushort v7, v[4:5], off offset:1024
	s_waitcnt vmcnt(29)
	ds_write_b16 v2, v1
	s_waitcnt vmcnt(28)
	ds_write_b16 v2, v3 offset:1024
	s_waitcnt vmcnt(27)
	ds_write_b16 v2, v10 offset:2048
	;; [unrolled: 2-line block ×29, first 2 shown]
	s_waitcnt lgkmcnt(0)
	s_barrier
.LBB910_2:
	s_andn2_b64 vcc, exec, s[10:11]
	s_addk_i32 s3, 0x3c00
	s_cbranch_vccnz .LBB910_64
; %bb.3:
	v_cmp_gt_u32_e32 vcc, s3, v0
                                        ; implicit-def: $vgpr1
	s_and_saveexec_b64 s[10:11], vcc
	s_cbranch_execz .LBB910_5
; %bb.4:
	v_lshlrev_b32_e32 v1, 1, v0
	global_load_ushort v1, v1, s[4:5]
.LBB910_5:
	s_or_b64 exec, exec, s[10:11]
	v_or_b32_e32 v2, 0x200, v0
	v_cmp_gt_u32_e32 vcc, s3, v2
                                        ; implicit-def: $vgpr2
	s_and_saveexec_b64 s[10:11], vcc
	s_cbranch_execz .LBB910_7
; %bb.6:
	v_lshlrev_b32_e32 v2, 1, v0
	global_load_ushort v2, v2, s[4:5] offset:1024
.LBB910_7:
	s_or_b64 exec, exec, s[10:11]
	v_or_b32_e32 v3, 0x400, v0
	v_cmp_gt_u32_e32 vcc, s3, v3
                                        ; implicit-def: $vgpr3
	s_and_saveexec_b64 s[10:11], vcc
	s_cbranch_execz .LBB910_9
; %bb.8:
	v_lshlrev_b32_e32 v3, 1, v0
	global_load_ushort v3, v3, s[4:5] offset:2048
.LBB910_9:
	s_or_b64 exec, exec, s[10:11]
	v_or_b32_e32 v4, 0x600, v0
	v_cmp_gt_u32_e32 vcc, s3, v4
                                        ; implicit-def: $vgpr4
	s_and_saveexec_b64 s[10:11], vcc
	s_cbranch_execz .LBB910_11
; %bb.10:
	v_lshlrev_b32_e32 v4, 1, v0
	global_load_ushort v4, v4, s[4:5] offset:3072
.LBB910_11:
	s_or_b64 exec, exec, s[10:11]
	v_or_b32_e32 v6, 0x800, v0
	v_cmp_gt_u32_e32 vcc, s3, v6
                                        ; implicit-def: $vgpr5
	s_and_saveexec_b64 s[10:11], vcc
	s_cbranch_execz .LBB910_13
; %bb.12:
	v_lshlrev_b32_e32 v5, 1, v6
	global_load_ushort v5, v5, s[4:5]
.LBB910_13:
	s_or_b64 exec, exec, s[10:11]
	v_or_b32_e32 v7, 0xa00, v0
	v_cmp_gt_u32_e32 vcc, s3, v7
                                        ; implicit-def: $vgpr6
	s_and_saveexec_b64 s[10:11], vcc
	s_cbranch_execz .LBB910_15
; %bb.14:
	v_lshlrev_b32_e32 v6, 1, v7
	global_load_ushort v6, v6, s[4:5]
.LBB910_15:
	s_or_b64 exec, exec, s[10:11]
	v_or_b32_e32 v8, 0xc00, v0
	v_cmp_gt_u32_e32 vcc, s3, v8
                                        ; implicit-def: $vgpr7
	s_and_saveexec_b64 s[10:11], vcc
	s_cbranch_execz .LBB910_17
; %bb.16:
	v_lshlrev_b32_e32 v7, 1, v8
	global_load_ushort v7, v7, s[4:5]
.LBB910_17:
	s_or_b64 exec, exec, s[10:11]
	v_or_b32_e32 v9, 0xe00, v0
	v_cmp_gt_u32_e32 vcc, s3, v9
                                        ; implicit-def: $vgpr8
	s_and_saveexec_b64 s[10:11], vcc
	s_cbranch_execz .LBB910_19
; %bb.18:
	v_lshlrev_b32_e32 v8, 1, v9
	global_load_ushort v8, v8, s[4:5]
.LBB910_19:
	s_or_b64 exec, exec, s[10:11]
	v_or_b32_e32 v10, 0x1000, v0
	v_cmp_gt_u32_e32 vcc, s3, v10
                                        ; implicit-def: $vgpr9
	s_and_saveexec_b64 s[10:11], vcc
	s_cbranch_execz .LBB910_21
; %bb.20:
	v_lshlrev_b32_e32 v9, 1, v10
	global_load_ushort v9, v9, s[4:5]
.LBB910_21:
	s_or_b64 exec, exec, s[10:11]
	v_or_b32_e32 v11, 0x1200, v0
	v_cmp_gt_u32_e32 vcc, s3, v11
                                        ; implicit-def: $vgpr10
	s_and_saveexec_b64 s[10:11], vcc
	s_cbranch_execz .LBB910_23
; %bb.22:
	v_lshlrev_b32_e32 v10, 1, v11
	global_load_ushort v10, v10, s[4:5]
.LBB910_23:
	s_or_b64 exec, exec, s[10:11]
	v_or_b32_e32 v12, 0x1400, v0
	v_cmp_gt_u32_e32 vcc, s3, v12
                                        ; implicit-def: $vgpr11
	s_and_saveexec_b64 s[10:11], vcc
	s_cbranch_execz .LBB910_25
; %bb.24:
	v_lshlrev_b32_e32 v11, 1, v12
	global_load_ushort v11, v11, s[4:5]
.LBB910_25:
	s_or_b64 exec, exec, s[10:11]
	v_or_b32_e32 v13, 0x1600, v0
	v_cmp_gt_u32_e32 vcc, s3, v13
                                        ; implicit-def: $vgpr12
	s_and_saveexec_b64 s[10:11], vcc
	s_cbranch_execz .LBB910_27
; %bb.26:
	v_lshlrev_b32_e32 v12, 1, v13
	global_load_ushort v12, v12, s[4:5]
.LBB910_27:
	s_or_b64 exec, exec, s[10:11]
	v_or_b32_e32 v14, 0x1800, v0
	v_cmp_gt_u32_e32 vcc, s3, v14
                                        ; implicit-def: $vgpr13
	s_and_saveexec_b64 s[10:11], vcc
	s_cbranch_execz .LBB910_29
; %bb.28:
	v_lshlrev_b32_e32 v13, 1, v14
	global_load_ushort v13, v13, s[4:5]
.LBB910_29:
	s_or_b64 exec, exec, s[10:11]
	v_or_b32_e32 v15, 0x1a00, v0
	v_cmp_gt_u32_e32 vcc, s3, v15
                                        ; implicit-def: $vgpr14
	s_and_saveexec_b64 s[10:11], vcc
	s_cbranch_execz .LBB910_31
; %bb.30:
	v_lshlrev_b32_e32 v14, 1, v15
	global_load_ushort v14, v14, s[4:5]
.LBB910_31:
	s_or_b64 exec, exec, s[10:11]
	v_or_b32_e32 v16, 0x1c00, v0
	v_cmp_gt_u32_e32 vcc, s3, v16
                                        ; implicit-def: $vgpr15
	s_and_saveexec_b64 s[10:11], vcc
	s_cbranch_execz .LBB910_33
; %bb.32:
	v_lshlrev_b32_e32 v15, 1, v16
	global_load_ushort v15, v15, s[4:5]
.LBB910_33:
	s_or_b64 exec, exec, s[10:11]
	v_or_b32_e32 v17, 0x1e00, v0
	v_cmp_gt_u32_e32 vcc, s3, v17
                                        ; implicit-def: $vgpr16
	s_and_saveexec_b64 s[10:11], vcc
	s_cbranch_execz .LBB910_35
; %bb.34:
	v_lshlrev_b32_e32 v16, 1, v17
	global_load_ushort v16, v16, s[4:5]
.LBB910_35:
	s_or_b64 exec, exec, s[10:11]
	v_or_b32_e32 v18, 0x2000, v0
	v_cmp_gt_u32_e32 vcc, s3, v18
                                        ; implicit-def: $vgpr17
	s_and_saveexec_b64 s[10:11], vcc
	s_cbranch_execz .LBB910_37
; %bb.36:
	v_lshlrev_b32_e32 v17, 1, v18
	global_load_ushort v17, v17, s[4:5]
.LBB910_37:
	s_or_b64 exec, exec, s[10:11]
	v_or_b32_e32 v19, 0x2200, v0
	v_cmp_gt_u32_e32 vcc, s3, v19
                                        ; implicit-def: $vgpr18
	s_and_saveexec_b64 s[10:11], vcc
	s_cbranch_execz .LBB910_39
; %bb.38:
	v_lshlrev_b32_e32 v18, 1, v19
	global_load_ushort v18, v18, s[4:5]
.LBB910_39:
	s_or_b64 exec, exec, s[10:11]
	v_or_b32_e32 v20, 0x2400, v0
	v_cmp_gt_u32_e32 vcc, s3, v20
                                        ; implicit-def: $vgpr19
	s_and_saveexec_b64 s[10:11], vcc
	s_cbranch_execz .LBB910_41
; %bb.40:
	v_lshlrev_b32_e32 v19, 1, v20
	global_load_ushort v19, v19, s[4:5]
.LBB910_41:
	s_or_b64 exec, exec, s[10:11]
	v_or_b32_e32 v21, 0x2600, v0
	v_cmp_gt_u32_e32 vcc, s3, v21
                                        ; implicit-def: $vgpr20
	s_and_saveexec_b64 s[10:11], vcc
	s_cbranch_execz .LBB910_43
; %bb.42:
	v_lshlrev_b32_e32 v20, 1, v21
	global_load_ushort v20, v20, s[4:5]
.LBB910_43:
	s_or_b64 exec, exec, s[10:11]
	v_or_b32_e32 v22, 0x2800, v0
	v_cmp_gt_u32_e32 vcc, s3, v22
                                        ; implicit-def: $vgpr21
	s_and_saveexec_b64 s[10:11], vcc
	s_cbranch_execz .LBB910_45
; %bb.44:
	v_lshlrev_b32_e32 v21, 1, v22
	global_load_ushort v21, v21, s[4:5]
.LBB910_45:
	s_or_b64 exec, exec, s[10:11]
	v_or_b32_e32 v23, 0x2a00, v0
	v_cmp_gt_u32_e32 vcc, s3, v23
                                        ; implicit-def: $vgpr22
	s_and_saveexec_b64 s[10:11], vcc
	s_cbranch_execz .LBB910_47
; %bb.46:
	v_lshlrev_b32_e32 v22, 1, v23
	global_load_ushort v22, v22, s[4:5]
.LBB910_47:
	s_or_b64 exec, exec, s[10:11]
	v_or_b32_e32 v24, 0x2c00, v0
	v_cmp_gt_u32_e32 vcc, s3, v24
                                        ; implicit-def: $vgpr23
	s_and_saveexec_b64 s[10:11], vcc
	s_cbranch_execz .LBB910_49
; %bb.48:
	v_lshlrev_b32_e32 v23, 1, v24
	global_load_ushort v23, v23, s[4:5]
.LBB910_49:
	s_or_b64 exec, exec, s[10:11]
	v_or_b32_e32 v25, 0x2e00, v0
	v_cmp_gt_u32_e32 vcc, s3, v25
                                        ; implicit-def: $vgpr24
	s_and_saveexec_b64 s[10:11], vcc
	s_cbranch_execz .LBB910_51
; %bb.50:
	v_lshlrev_b32_e32 v24, 1, v25
	global_load_ushort v24, v24, s[4:5]
.LBB910_51:
	s_or_b64 exec, exec, s[10:11]
	v_or_b32_e32 v26, 0x3000, v0
	v_cmp_gt_u32_e32 vcc, s3, v26
                                        ; implicit-def: $vgpr25
	s_and_saveexec_b64 s[10:11], vcc
	s_cbranch_execz .LBB910_53
; %bb.52:
	v_lshlrev_b32_e32 v25, 1, v26
	global_load_ushort v25, v25, s[4:5]
.LBB910_53:
	s_or_b64 exec, exec, s[10:11]
	v_or_b32_e32 v27, 0x3200, v0
	v_cmp_gt_u32_e32 vcc, s3, v27
                                        ; implicit-def: $vgpr26
	s_and_saveexec_b64 s[10:11], vcc
	s_cbranch_execz .LBB910_55
; %bb.54:
	v_lshlrev_b32_e32 v26, 1, v27
	global_load_ushort v26, v26, s[4:5]
.LBB910_55:
	s_or_b64 exec, exec, s[10:11]
	v_or_b32_e32 v28, 0x3400, v0
	v_cmp_gt_u32_e32 vcc, s3, v28
                                        ; implicit-def: $vgpr27
	s_and_saveexec_b64 s[10:11], vcc
	s_cbranch_execz .LBB910_57
; %bb.56:
	v_lshlrev_b32_e32 v27, 1, v28
	global_load_ushort v27, v27, s[4:5]
.LBB910_57:
	s_or_b64 exec, exec, s[10:11]
	v_or_b32_e32 v29, 0x3600, v0
	v_cmp_gt_u32_e32 vcc, s3, v29
                                        ; implicit-def: $vgpr28
	s_and_saveexec_b64 s[10:11], vcc
	s_cbranch_execz .LBB910_59
; %bb.58:
	v_lshlrev_b32_e32 v28, 1, v29
	global_load_ushort v28, v28, s[4:5]
.LBB910_59:
	s_or_b64 exec, exec, s[10:11]
	v_or_b32_e32 v30, 0x3800, v0
	v_cmp_gt_u32_e32 vcc, s3, v30
                                        ; implicit-def: $vgpr29
	s_and_saveexec_b64 s[10:11], vcc
	s_cbranch_execz .LBB910_61
; %bb.60:
	v_lshlrev_b32_e32 v29, 1, v30
	global_load_ushort v29, v29, s[4:5]
.LBB910_61:
	s_or_b64 exec, exec, s[10:11]
	v_or_b32_e32 v31, 0x3a00, v0
	v_cmp_gt_u32_e32 vcc, s3, v31
                                        ; implicit-def: $vgpr30
	s_and_saveexec_b64 s[10:11], vcc
	s_cbranch_execz .LBB910_63
; %bb.62:
	v_lshlrev_b32_e32 v30, 1, v31
	global_load_ushort v30, v30, s[4:5]
.LBB910_63:
	s_or_b64 exec, exec, s[10:11]
	v_lshlrev_b32_e32 v31, 1, v0
	s_waitcnt vmcnt(0)
	ds_write_b16 v31, v1
	ds_write_b16 v31, v2 offset:1024
	ds_write_b16 v31, v3 offset:2048
	;; [unrolled: 1-line block ×29, first 2 shown]
	s_waitcnt lgkmcnt(0)
	s_barrier
.LBB910_64:
	v_mul_u32_u24_e32 v24, 30, v0
	v_lshlrev_b32_e32 v46, 1, v24
	s_waitcnt lgkmcnt(0)
	ds_read_b32 v80, v46 offset:56
	ds_read2_b32 v[2:3], v46 offset0:12 offset1:13
	ds_read2_b32 v[14:15], v46 offset1:1
	ds_read2_b32 v[12:13], v46 offset0:2 offset1:3
	ds_read2_b32 v[10:11], v46 offset0:4 offset1:5
	;; [unrolled: 1-line block ×5, first 2 shown]
	s_cmp_lg_u32 s2, 0
	s_cselect_b64 s[16:17], -1, 0
	s_cmp_lg_u64 s[6:7], 0
	s_cselect_b64 s[6:7], -1, 0
	s_or_b64 s[6:7], s[16:17], s[6:7]
	v_mad_u32_u24 v16, v0, 30, 29
	v_mad_u32_u24 v17, v0, 30, 28
	s_waitcnt lgkmcnt(7)
	v_lshrrev_b32_e32 v1, 16, v80
	v_mad_u32_u24 v18, v0, 30, 27
	v_mad_u32_u24 v19, v0, 30, 26
	v_mad_u32_u24 v20, v0, 30, 25
	v_mad_u32_u24 v21, v0, 30, 24
	v_mad_u32_u24 v22, v0, 30, 23
	v_mad_u32_u24 v23, v0, 30, 22
	v_or_b32_e32 v44, 1, v24
	v_mad_u32_u24 v45, v0, 30, 2
	v_mad_u32_u24 v43, v0, 30, 3
	;; [unrolled: 1-line block ×20, first 2 shown]
	s_mov_b64 s[10:11], 0
	s_and_b64 vcc, exec, s[6:7]
	s_waitcnt lgkmcnt(0)
	s_barrier
	s_cbranch_vccz .LBB910_69
; %bb.65:
	v_mov_b32_e32 v47, 0
	global_load_ushort v47, v47, s[4:5] offset:-2
	v_lshlrev_b32_e32 v48, 1, v0
	s_and_b64 vcc, exec, s[26:27]
	ds_write_b16 v48, v1
	s_cbranch_vccz .LBB910_71
; %bb.66:
	v_cmp_ne_u32_e32 vcc, 0, v0
	s_waitcnt vmcnt(0)
	v_mov_b32_e32 v49, v47
	s_waitcnt lgkmcnt(0)
	s_barrier
	s_and_saveexec_b64 s[4:5], vcc
	s_cbranch_execz .LBB910_68
; %bb.67:
	v_add_u32_e32 v49, -2, v48
	ds_read_u16 v49, v49
.LBB910_68:
	s_or_b64 exec, exec, s[4:5]
	v_cmp_neq_f16_sdwa s[4:5], v3, v80 src0_sel:WORD_1 src1_sel:DWORD
	v_cmp_neq_f16_e32 vcc, v80, v1
	s_nop 0
	v_cndmask_b32_e64 v82, 0, 1, s[4:5]
	v_cmp_neq_f16_sdwa s[4:5], v3, v3 src0_sel:DWORD src1_sel:WORD_1
	v_cndmask_b32_e64 v81, 0, 1, vcc
	s_nop 0
	v_cndmask_b32_e64 v83, 0, 1, s[4:5]
	v_cmp_neq_f16_sdwa s[4:5], v2, v3 src0_sel:WORD_1 src1_sel:DWORD
	s_nop 1
	v_cndmask_b32_e64 v84, 0, 1, s[4:5]
	v_cmp_neq_f16_sdwa s[4:5], v2, v2 src0_sel:DWORD src1_sel:WORD_1
	s_nop 1
	v_cndmask_b32_e64 v85, 0, 1, s[4:5]
	v_cmp_neq_f16_sdwa s[4:5], v5, v2 src0_sel:WORD_1 src1_sel:DWORD
	s_nop 1
	v_cndmask_b32_e64 v86, 0, 1, s[4:5]
	v_cmp_neq_f16_sdwa s[4:5], v5, v5 src0_sel:DWORD src1_sel:WORD_1
	;; [unrolled: 6-line block ×13, first 2 shown]
	s_nop 1
	v_cndmask_b32_e64 v109, 0, 1, s[4:5]
	s_waitcnt lgkmcnt(0)
	v_cmp_neq_f16_e64 s[4:5], v14, v49
	s_branch .LBB910_75
.LBB910_69:
                                        ; implicit-def: $sgpr4_sgpr5
                                        ; implicit-def: $vgpr109
                                        ; implicit-def: $vgpr108
                                        ; implicit-def: $vgpr107
                                        ; implicit-def: $vgpr106
                                        ; implicit-def: $vgpr105
                                        ; implicit-def: $vgpr104
                                        ; implicit-def: $vgpr103
                                        ; implicit-def: $vgpr102
                                        ; implicit-def: $vgpr101
                                        ; implicit-def: $vgpr100
                                        ; implicit-def: $vgpr99
                                        ; implicit-def: $vgpr98
                                        ; implicit-def: $vgpr97
                                        ; implicit-def: $vgpr96
                                        ; implicit-def: $vgpr95
                                        ; implicit-def: $vgpr94
                                        ; implicit-def: $vgpr93
                                        ; implicit-def: $vgpr92
                                        ; implicit-def: $vgpr91
                                        ; implicit-def: $vgpr90
                                        ; implicit-def: $vgpr89
                                        ; implicit-def: $vgpr88
                                        ; implicit-def: $vgpr87
                                        ; implicit-def: $vgpr86
                                        ; implicit-def: $vgpr85
                                        ; implicit-def: $vgpr84
                                        ; implicit-def: $vgpr83
                                        ; implicit-def: $vgpr82
                                        ; implicit-def: $vgpr81
	s_branch .LBB910_76
.LBB910_70:
                                        ; implicit-def: $sgpr12
	s_branch .LBB910_84
.LBB910_71:
                                        ; implicit-def: $sgpr4_sgpr5
                                        ; implicit-def: $vgpr109
                                        ; implicit-def: $vgpr108
                                        ; implicit-def: $vgpr107
                                        ; implicit-def: $vgpr106
                                        ; implicit-def: $vgpr105
                                        ; implicit-def: $vgpr104
                                        ; implicit-def: $vgpr103
                                        ; implicit-def: $vgpr102
                                        ; implicit-def: $vgpr101
                                        ; implicit-def: $vgpr100
                                        ; implicit-def: $vgpr99
                                        ; implicit-def: $vgpr98
                                        ; implicit-def: $vgpr97
                                        ; implicit-def: $vgpr96
                                        ; implicit-def: $vgpr95
                                        ; implicit-def: $vgpr94
                                        ; implicit-def: $vgpr93
                                        ; implicit-def: $vgpr92
                                        ; implicit-def: $vgpr91
                                        ; implicit-def: $vgpr90
                                        ; implicit-def: $vgpr89
                                        ; implicit-def: $vgpr88
                                        ; implicit-def: $vgpr87
                                        ; implicit-def: $vgpr86
                                        ; implicit-def: $vgpr85
                                        ; implicit-def: $vgpr84
                                        ; implicit-def: $vgpr83
                                        ; implicit-def: $vgpr82
                                        ; implicit-def: $vgpr81
	s_cbranch_execz .LBB910_75
; %bb.72:
	v_cmp_ne_u32_e32 vcc, 0, v0
	s_waitcnt lgkmcnt(0)
	s_barrier
	s_and_saveexec_b64 s[4:5], vcc
	s_cbranch_execz .LBB910_74
; %bb.73:
	s_waitcnt vmcnt(0)
	v_add_u32_e32 v47, -2, v48
	ds_read_u16 v47, v47
.LBB910_74:
	s_or_b64 exec, exec, s[4:5]
	v_cmp_gt_u32_e32 vcc, s3, v16
	v_cmp_neq_f16_e64 s[4:5], v80, v1
	s_and_b64 s[4:5], vcc, s[4:5]
	v_cmp_gt_u32_e32 vcc, s3, v17
	v_cndmask_b32_e64 v81, 0, 1, s[4:5]
	v_cmp_neq_f16_sdwa s[4:5], v3, v80 src0_sel:WORD_1 src1_sel:DWORD
	s_and_b64 s[4:5], vcc, s[4:5]
	v_cmp_gt_u32_e32 vcc, s3, v18
	v_cndmask_b32_e64 v82, 0, 1, s[4:5]
	v_cmp_neq_f16_sdwa s[4:5], v3, v3 src0_sel:DWORD src1_sel:WORD_1
	s_and_b64 s[4:5], vcc, s[4:5]
	v_cmp_gt_u32_e32 vcc, s3, v19
	v_cndmask_b32_e64 v83, 0, 1, s[4:5]
	v_cmp_neq_f16_sdwa s[4:5], v2, v3 src0_sel:WORD_1 src1_sel:DWORD
	s_and_b64 s[4:5], vcc, s[4:5]
	v_cmp_gt_u32_e32 vcc, s3, v20
	v_cndmask_b32_e64 v84, 0, 1, s[4:5]
	v_cmp_neq_f16_sdwa s[4:5], v2, v2 src0_sel:DWORD src1_sel:WORD_1
	s_and_b64 s[4:5], vcc, s[4:5]
	v_cmp_gt_u32_e32 vcc, s3, v21
	v_cndmask_b32_e64 v85, 0, 1, s[4:5]
	v_cmp_neq_f16_sdwa s[4:5], v5, v2 src0_sel:WORD_1 src1_sel:DWORD
	s_and_b64 s[4:5], vcc, s[4:5]
	v_cmp_gt_u32_e32 vcc, s3, v22
	v_cndmask_b32_e64 v86, 0, 1, s[4:5]
	v_cmp_neq_f16_sdwa s[4:5], v5, v5 src0_sel:DWORD src1_sel:WORD_1
	s_and_b64 s[4:5], vcc, s[4:5]
	v_cmp_gt_u32_e32 vcc, s3, v23
	v_cndmask_b32_e64 v87, 0, 1, s[4:5]
	v_cmp_neq_f16_sdwa s[4:5], v4, v5 src0_sel:WORD_1 src1_sel:DWORD
	s_and_b64 s[4:5], vcc, s[4:5]
	v_cmp_gt_u32_e32 vcc, s3, v25
	v_cndmask_b32_e64 v88, 0, 1, s[4:5]
	v_cmp_neq_f16_sdwa s[4:5], v4, v4 src0_sel:DWORD src1_sel:WORD_1
	s_and_b64 s[4:5], vcc, s[4:5]
	v_cmp_gt_u32_e32 vcc, s3, v26
	v_cndmask_b32_e64 v89, 0, 1, s[4:5]
	v_cmp_neq_f16_sdwa s[4:5], v7, v4 src0_sel:WORD_1 src1_sel:DWORD
	s_and_b64 s[4:5], vcc, s[4:5]
	v_cmp_gt_u32_e32 vcc, s3, v29
	v_cndmask_b32_e64 v90, 0, 1, s[4:5]
	v_cmp_neq_f16_sdwa s[4:5], v7, v7 src0_sel:DWORD src1_sel:WORD_1
	s_and_b64 s[4:5], vcc, s[4:5]
	v_cmp_gt_u32_e32 vcc, s3, v32
	v_cndmask_b32_e64 v91, 0, 1, s[4:5]
	v_cmp_neq_f16_sdwa s[4:5], v6, v7 src0_sel:WORD_1 src1_sel:DWORD
	s_and_b64 s[4:5], vcc, s[4:5]
	v_cmp_gt_u32_e32 vcc, s3, v28
	v_cndmask_b32_e64 v92, 0, 1, s[4:5]
	v_cmp_neq_f16_sdwa s[4:5], v6, v6 src0_sel:DWORD src1_sel:WORD_1
	s_and_b64 s[4:5], vcc, s[4:5]
	v_cmp_gt_u32_e32 vcc, s3, v31
	v_cndmask_b32_e64 v93, 0, 1, s[4:5]
	v_cmp_neq_f16_sdwa s[4:5], v9, v6 src0_sel:WORD_1 src1_sel:DWORD
	s_and_b64 s[4:5], vcc, s[4:5]
	v_cmp_gt_u32_e32 vcc, s3, v34
	v_cndmask_b32_e64 v94, 0, 1, s[4:5]
	v_cmp_neq_f16_sdwa s[4:5], v9, v9 src0_sel:DWORD src1_sel:WORD_1
	s_and_b64 s[4:5], vcc, s[4:5]
	v_cmp_gt_u32_e32 vcc, s3, v37
	v_cndmask_b32_e64 v95, 0, 1, s[4:5]
	v_cmp_neq_f16_sdwa s[4:5], v8, v9 src0_sel:WORD_1 src1_sel:DWORD
	s_and_b64 s[4:5], vcc, s[4:5]
	v_cmp_gt_u32_e32 vcc, s3, v27
	v_cndmask_b32_e64 v96, 0, 1, s[4:5]
	v_cmp_neq_f16_sdwa s[4:5], v8, v8 src0_sel:DWORD src1_sel:WORD_1
	s_and_b64 s[4:5], vcc, s[4:5]
	v_cmp_gt_u32_e32 vcc, s3, v30
	v_cndmask_b32_e64 v97, 0, 1, s[4:5]
	v_cmp_neq_f16_sdwa s[4:5], v11, v8 src0_sel:WORD_1 src1_sel:DWORD
	s_and_b64 s[4:5], vcc, s[4:5]
	v_cmp_gt_u32_e32 vcc, s3, v33
	v_cndmask_b32_e64 v98, 0, 1, s[4:5]
	v_cmp_neq_f16_sdwa s[4:5], v11, v11 src0_sel:DWORD src1_sel:WORD_1
	s_and_b64 s[4:5], vcc, s[4:5]
	v_cmp_gt_u32_e32 vcc, s3, v36
	v_cndmask_b32_e64 v99, 0, 1, s[4:5]
	v_cmp_neq_f16_sdwa s[4:5], v10, v11 src0_sel:WORD_1 src1_sel:DWORD
	s_and_b64 s[4:5], vcc, s[4:5]
	v_cmp_gt_u32_e32 vcc, s3, v35
	v_cndmask_b32_e64 v100, 0, 1, s[4:5]
	v_cmp_neq_f16_sdwa s[4:5], v10, v10 src0_sel:DWORD src1_sel:WORD_1
	s_and_b64 s[4:5], vcc, s[4:5]
	v_cmp_gt_u32_e32 vcc, s3, v38
	v_cndmask_b32_e64 v101, 0, 1, s[4:5]
	v_cmp_neq_f16_sdwa s[4:5], v13, v10 src0_sel:WORD_1 src1_sel:DWORD
	s_and_b64 s[4:5], vcc, s[4:5]
	v_cmp_gt_u32_e32 vcc, s3, v39
	v_cndmask_b32_e64 v102, 0, 1, s[4:5]
	v_cmp_neq_f16_sdwa s[4:5], v13, v13 src0_sel:DWORD src1_sel:WORD_1
	s_and_b64 s[4:5], vcc, s[4:5]
	v_cmp_gt_u32_e32 vcc, s3, v41
	v_cndmask_b32_e64 v103, 0, 1, s[4:5]
	v_cmp_neq_f16_sdwa s[4:5], v12, v13 src0_sel:WORD_1 src1_sel:DWORD
	s_and_b64 s[4:5], vcc, s[4:5]
	v_cmp_gt_u32_e32 vcc, s3, v40
	v_cndmask_b32_e64 v104, 0, 1, s[4:5]
	v_cmp_neq_f16_sdwa s[4:5], v12, v12 src0_sel:DWORD src1_sel:WORD_1
	s_and_b64 s[4:5], vcc, s[4:5]
	v_cmp_gt_u32_e32 vcc, s3, v42
	v_cndmask_b32_e64 v105, 0, 1, s[4:5]
	v_cmp_neq_f16_sdwa s[4:5], v15, v12 src0_sel:WORD_1 src1_sel:DWORD
	s_and_b64 s[4:5], vcc, s[4:5]
	v_cmp_gt_u32_e32 vcc, s3, v43
	v_cndmask_b32_e64 v106, 0, 1, s[4:5]
	v_cmp_neq_f16_sdwa s[4:5], v15, v15 src0_sel:DWORD src1_sel:WORD_1
	s_and_b64 s[4:5], vcc, s[4:5]
	v_cmp_gt_u32_e32 vcc, s3, v45
	v_cndmask_b32_e64 v107, 0, 1, s[4:5]
	v_cmp_neq_f16_sdwa s[4:5], v14, v15 src0_sel:WORD_1 src1_sel:DWORD
	s_and_b64 s[4:5], vcc, s[4:5]
	v_cmp_gt_u32_e32 vcc, s3, v44
	v_cndmask_b32_e64 v108, 0, 1, s[4:5]
	v_cmp_neq_f16_sdwa s[4:5], v14, v14 src0_sel:DWORD src1_sel:WORD_1
	s_and_b64 s[4:5], vcc, s[4:5]
	v_cmp_gt_u32_e32 vcc, s3, v24
	v_cndmask_b32_e64 v109, 0, 1, s[4:5]
	s_waitcnt vmcnt(0) lgkmcnt(0)
	v_cmp_neq_f16_e64 s[4:5], v14, v47
	s_and_b64 s[4:5], vcc, s[4:5]
.LBB910_75:
	s_mov_b64 s[10:11], -1
	s_cbranch_execnz .LBB910_70
.LBB910_76:
	s_movk_i32 s4, 0xffc6
	v_mad_i32_i24 v46, v0, s4, v46
	s_and_b64 vcc, exec, s[26:27]
	v_cmp_neq_f16_e64 s[4:5], v80, v1
	v_cmp_neq_f16_sdwa s[6:7], v3, v80 src0_sel:WORD_1 src1_sel:DWORD
	v_cmp_neq_f16_sdwa s[12:13], v3, v3 src0_sel:DWORD src1_sel:WORD_1
	v_cmp_neq_f16_sdwa s[14:15], v2, v3 src0_sel:WORD_1 src1_sel:DWORD
	v_cmp_neq_f16_sdwa s[18:19], v2, v2 src0_sel:DWORD src1_sel:WORD_1
	;; [unrolled: 2-line block ×14, first 2 shown]
	ds_write_b16 v46, v1
	s_cbranch_vccz .LBB910_80
; %bb.77:
	v_cndmask_b32_e64 v81, 0, 1, s[4:5]
	v_cndmask_b32_e64 v82, 0, 1, s[6:7]
	;; [unrolled: 1-line block ×29, first 2 shown]
	v_cmp_ne_u32_e32 vcc, 0, v0
	s_waitcnt lgkmcnt(0)
	s_barrier
	s_waitcnt lgkmcnt(0)
                                        ; implicit-def: $sgpr4_sgpr5
	s_and_saveexec_b64 s[6:7], vcc
	s_xor_b64 s[6:7], exec, s[6:7]
	s_cbranch_execz .LBB910_79
; %bb.78:
	s_waitcnt vmcnt(0)
	v_add_u32_e32 v47, -2, v46
	ds_read_u16 v47, v47
	s_or_b64 s[10:11], s[10:11], exec
	s_waitcnt lgkmcnt(0)
	v_cmp_neq_f16_e32 vcc, v47, v14
	s_and_b64 s[4:5], vcc, exec
.LBB910_79:
	s_or_b64 exec, exec, s[6:7]
	s_mov_b32 s12, 1
	s_branch .LBB910_84
.LBB910_80:
                                        ; implicit-def: $sgpr4_sgpr5
                                        ; implicit-def: $vgpr109
                                        ; implicit-def: $vgpr108
                                        ; implicit-def: $vgpr107
                                        ; implicit-def: $vgpr106
                                        ; implicit-def: $vgpr105
                                        ; implicit-def: $vgpr104
                                        ; implicit-def: $vgpr103
                                        ; implicit-def: $vgpr102
                                        ; implicit-def: $vgpr101
                                        ; implicit-def: $vgpr100
                                        ; implicit-def: $vgpr99
                                        ; implicit-def: $vgpr98
                                        ; implicit-def: $vgpr97
                                        ; implicit-def: $vgpr96
                                        ; implicit-def: $vgpr95
                                        ; implicit-def: $vgpr94
                                        ; implicit-def: $vgpr93
                                        ; implicit-def: $vgpr92
                                        ; implicit-def: $vgpr91
                                        ; implicit-def: $vgpr90
                                        ; implicit-def: $vgpr89
                                        ; implicit-def: $vgpr88
                                        ; implicit-def: $vgpr87
                                        ; implicit-def: $vgpr86
                                        ; implicit-def: $vgpr85
                                        ; implicit-def: $vgpr84
                                        ; implicit-def: $vgpr83
                                        ; implicit-def: $vgpr82
                                        ; implicit-def: $vgpr81
                                        ; implicit-def: $sgpr12
	s_cbranch_execz .LBB910_84
; %bb.81:
	v_cmp_gt_u32_e32 vcc, s3, v16
	v_cmp_neq_f16_e64 s[4:5], v80, v1
	s_and_b64 s[4:5], vcc, s[4:5]
	v_cmp_gt_u32_e32 vcc, s3, v17
	v_cndmask_b32_e64 v81, 0, 1, s[4:5]
	v_cmp_neq_f16_sdwa s[4:5], v3, v80 src0_sel:WORD_1 src1_sel:DWORD
	s_and_b64 s[4:5], vcc, s[4:5]
	v_cmp_gt_u32_e32 vcc, s3, v18
	v_cndmask_b32_e64 v82, 0, 1, s[4:5]
	v_cmp_neq_f16_sdwa s[4:5], v3, v3 src0_sel:DWORD src1_sel:WORD_1
	s_and_b64 s[4:5], vcc, s[4:5]
	v_cmp_gt_u32_e32 vcc, s3, v19
	v_cndmask_b32_e64 v83, 0, 1, s[4:5]
	v_cmp_neq_f16_sdwa s[4:5], v2, v3 src0_sel:WORD_1 src1_sel:DWORD
	s_and_b64 s[4:5], vcc, s[4:5]
	v_cmp_gt_u32_e32 vcc, s3, v20
	v_cndmask_b32_e64 v84, 0, 1, s[4:5]
	v_cmp_neq_f16_sdwa s[4:5], v2, v2 src0_sel:DWORD src1_sel:WORD_1
	;; [unrolled: 8-line block ×14, first 2 shown]
	s_and_b64 s[4:5], vcc, s[4:5]
	v_cmp_ne_u32_e32 vcc, 0, v0
	v_cndmask_b32_e64 v109, 0, 1, s[4:5]
	s_waitcnt lgkmcnt(0)
	s_barrier
	s_waitcnt lgkmcnt(0)
                                        ; implicit-def: $sgpr4_sgpr5
	s_and_saveexec_b64 s[6:7], vcc
	s_cbranch_execz .LBB910_83
; %bb.82:
	v_add_u32_e32 v46, -2, v46
	ds_read_u16 v46, v46
	v_cmp_gt_u32_e32 vcc, s3, v24
	s_or_b64 s[10:11], s[10:11], exec
	s_waitcnt lgkmcnt(0)
	v_cmp_neq_f16_e64 s[4:5], v46, v14
	s_and_b64 s[4:5], vcc, s[4:5]
	s_and_b64 s[4:5], s[4:5], exec
.LBB910_83:
	s_or_b64 exec, exec, s[6:7]
	s_mov_b32 s12, 1
.LBB910_84:
	v_mov_b32_e32 v110, s12
	s_and_saveexec_b64 s[6:7], s[10:11]
; %bb.85:
	v_cndmask_b32_e64 v110, 0, 1, s[4:5]
; %bb.86:
	s_or_b64 exec, exec, s[6:7]
	s_load_dwordx2 s[28:29], s[0:1], 0x60
	s_andn2_b64 vcc, exec, s[8:9]
	s_cbranch_vccnz .LBB910_88
; %bb.87:
	v_cmp_gt_u32_e32 vcc, s3, v24
	s_nop 1
	v_cndmask_b32_e32 v110, 0, v110, vcc
	v_cmp_gt_u32_e32 vcc, s3, v44
	s_nop 1
	v_cndmask_b32_e32 v109, 0, v109, vcc
	;; [unrolled: 3-line block ×30, first 2 shown]
.LBB910_88:
	v_and_b32_e32 v61, 0xff, v84
	v_and_b32_e32 v63, 0xff, v83
	v_add_u32_sdwa v16, v82, v81 dst_sel:DWORD dst_unused:UNUSED_PAD src0_sel:BYTE_0 src1_sel:BYTE_0
	v_and_b32_e32 v57, 0xff, v86
	v_and_b32_e32 v59, 0xff, v85
	v_add3_u32 v16, v16, v63, v61
	v_and_b32_e32 v53, 0xff, v88
	v_and_b32_e32 v55, 0xff, v87
	v_add3_u32 v16, v16, v59, v57
	;; [unrolled: 3-line block ×3, first 2 shown]
	v_and_b32_e32 v45, 0xff, v92
	s_waitcnt vmcnt(0)
	v_and_b32_e32 v47, 0xff, v91
	v_add3_u32 v16, v16, v51, v49
	v_and_b32_e32 v42, 0xff, v94
	v_and_b32_e32 v43, 0xff, v93
	v_add3_u32 v16, v16, v47, v45
	v_and_b32_e32 v40, 0xff, v96
	;; [unrolled: 3-line block ×9, first 2 shown]
	v_and_b32_e32 v27, 0xff, v109
	v_add3_u32 v16, v16, v29, v28
	v_add3_u32 v48, v16, v27, v26
	v_mbcnt_lo_u32_b32 v16, -1, 0
	v_mbcnt_hi_u32_b32 v44, -1, v16
	v_and_b32_e32 v16, 15, v44
	v_cmp_eq_u32_e64 s[14:15], 0, v16
	v_cmp_lt_u32_e64 s[12:13], 1, v16
	v_cmp_lt_u32_e64 s[10:11], 3, v16
	v_cmp_lt_u32_e64 s[8:9], 7, v16
	v_and_b32_e32 v16, 16, v44
	v_cmp_eq_u32_e64 s[6:7], 0, v16
	v_or_b32_e32 v16, 63, v0
	v_cmp_lt_u32_e64 s[18:19], 31, v44
	v_lshrrev_b32_e32 v46, 6, v0
	v_cmp_eq_u32_e64 s[4:5], v16, v0
	s_and_b64 vcc, exec, s[16:17]
	s_waitcnt lgkmcnt(0)
	s_barrier
	s_cbranch_vccz .LBB910_119
; %bb.89:
	v_mov_b32_dpp v16, v48 row_shr:1 row_mask:0xf bank_mask:0xf
	v_cndmask_b32_e64 v16, v16, 0, s[14:15]
	v_add_u32_e32 v16, v16, v48
	s_nop 1
	v_mov_b32_dpp v17, v16 row_shr:2 row_mask:0xf bank_mask:0xf
	v_cndmask_b32_e64 v17, 0, v17, s[12:13]
	v_add_u32_e32 v16, v16, v17
	s_nop 1
	;; [unrolled: 4-line block ×4, first 2 shown]
	v_mov_b32_dpp v17, v16 row_bcast:15 row_mask:0xf bank_mask:0xf
	v_cndmask_b32_e64 v17, v17, 0, s[6:7]
	v_add_u32_e32 v16, v16, v17
	s_nop 1
	v_mov_b32_dpp v17, v16 row_bcast:31 row_mask:0xf bank_mask:0xf
	v_cndmask_b32_e64 v17, 0, v17, s[18:19]
	v_add_u32_e32 v16, v16, v17
	s_and_saveexec_b64 s[16:17], s[4:5]
	s_cbranch_execz .LBB910_91
; %bb.90:
	v_lshlrev_b32_e32 v17, 2, v46
	ds_write_b32 v17, v16
.LBB910_91:
	s_or_b64 exec, exec, s[16:17]
	v_cmp_gt_u32_e32 vcc, 8, v0
	s_waitcnt lgkmcnt(0)
	s_barrier
	s_and_saveexec_b64 s[16:17], vcc
	s_cbranch_execz .LBB910_93
; %bb.92:
	v_lshlrev_b32_e32 v17, 2, v0
	ds_read_b32 v18, v17
	v_and_b32_e32 v19, 7, v44
	v_cmp_ne_u32_e32 vcc, 0, v19
	s_waitcnt lgkmcnt(0)
	v_mov_b32_dpp v20, v18 row_shr:1 row_mask:0xf bank_mask:0xf
	v_cndmask_b32_e32 v20, 0, v20, vcc
	v_add_u32_e32 v18, v20, v18
	v_cmp_lt_u32_e32 vcc, 1, v19
	s_nop 0
	v_mov_b32_dpp v20, v18 row_shr:2 row_mask:0xf bank_mask:0xf
	v_cndmask_b32_e32 v20, 0, v20, vcc
	v_add_u32_e32 v18, v18, v20
	v_cmp_lt_u32_e32 vcc, 3, v19
	s_nop 0
	v_mov_b32_dpp v20, v18 row_shr:4 row_mask:0xf bank_mask:0xf
	v_cndmask_b32_e32 v19, 0, v20, vcc
	v_add_u32_e32 v18, v18, v19
	ds_write_b32 v17, v18
.LBB910_93:
	s_or_b64 exec, exec, s[16:17]
	v_cmp_gt_u32_e32 vcc, 64, v0
	v_cmp_lt_u32_e64 s[16:17], 63, v0
	s_waitcnt lgkmcnt(0)
	s_barrier
	s_waitcnt lgkmcnt(0)
                                        ; implicit-def: $vgpr50
	s_and_saveexec_b64 s[30:31], s[16:17]
	s_cbranch_execz .LBB910_95
; %bb.94:
	v_lshl_add_u32 v17, v46, 2, -4
	ds_read_b32 v50, v17
	s_waitcnt lgkmcnt(0)
	v_add_u32_e32 v16, v50, v16
.LBB910_95:
	s_or_b64 exec, exec, s[30:31]
	v_add_u32_e32 v17, -1, v44
	v_and_b32_e32 v18, 64, v44
	v_cmp_lt_i32_e64 s[16:17], v17, v18
	s_nop 1
	v_cndmask_b32_e64 v17, v17, v44, s[16:17]
	v_lshlrev_b32_e32 v17, 2, v17
	ds_bpermute_b32 v52, v17, v16
	v_cmp_eq_u32_e64 s[16:17], 0, v44
	s_and_saveexec_b64 s[30:31], vcc
	s_cbranch_execz .LBB910_118
; %bb.96:
	v_mov_b32_e32 v25, 0
	ds_read_b32 v16, v25 offset:28
	s_and_saveexec_b64 s[34:35], s[16:17]
	s_cbranch_execz .LBB910_98
; %bb.97:
	s_add_i32 s36, s2, 64
	s_mov_b32 s37, 0
	s_lshl_b64 s[36:37], s[36:37], 3
	s_add_u32 s36, s28, s36
	v_mov_b32_e32 v17, 1
	s_addc_u32 s37, s29, s37
	s_waitcnt lgkmcnt(0)
	global_store_dwordx2 v25, v[16:17], s[36:37] sc1
.LBB910_98:
	s_or_b64 exec, exec, s[34:35]
	v_xad_u32 v18, v44, -1, s2
	v_add_u32_e32 v24, 64, v18
	v_lshl_add_u64 v[20:21], v[24:25], 3, s[28:29]
	global_load_dwordx2 v[22:23], v[20:21], off sc1
	s_waitcnt vmcnt(0)
	v_cmp_eq_u16_sdwa s[36:37], v23, v25 src0_sel:BYTE_0 src1_sel:DWORD
	s_and_saveexec_b64 s[34:35], s[36:37]
	s_cbranch_execz .LBB910_104
; %bb.99:
	s_mov_b32 s3, 1
	s_mov_b64 s[36:37], 0
	v_mov_b32_e32 v17, 0
.LBB910_100:                            ; =>This Loop Header: Depth=1
                                        ;     Child Loop BB910_101 Depth 2
	s_max_u32 s33, s3, 1
.LBB910_101:                            ;   Parent Loop BB910_100 Depth=1
                                        ; =>  This Inner Loop Header: Depth=2
	s_add_i32 s33, s33, -1
	s_cmp_eq_u32 s33, 0
	s_sleep 1
	s_cbranch_scc0 .LBB910_101
; %bb.102:                              ;   in Loop: Header=BB910_100 Depth=1
	global_load_dwordx2 v[22:23], v[20:21], off sc1
	s_cmp_lt_u32 s3, 32
	s_cselect_b64 s[38:39], -1, 0
	s_cmp_lg_u64 s[38:39], 0
	s_addc_u32 s3, s3, 0
	s_waitcnt vmcnt(0)
	v_cmp_ne_u16_sdwa s[38:39], v23, v17 src0_sel:BYTE_0 src1_sel:DWORD
	s_or_b64 s[36:37], s[38:39], s[36:37]
	s_andn2_b64 exec, exec, s[36:37]
	s_cbranch_execnz .LBB910_100
; %bb.103:
	s_or_b64 exec, exec, s[36:37]
.LBB910_104:
	s_or_b64 exec, exec, s[34:35]
	v_and_b32_e32 v56, 63, v44
	v_mov_b32_e32 v54, 2
	v_cmp_ne_u32_e32 vcc, 63, v56
	v_cmp_eq_u16_sdwa s[34:35], v23, v54 src0_sel:BYTE_0 src1_sel:DWORD
	v_lshlrev_b64 v[20:21], v44, -1
	v_addc_co_u32_e32 v24, vcc, 0, v44, vcc
	v_and_b32_e32 v17, s35, v21
	v_lshlrev_b32_e32 v58, 2, v24
	v_or_b32_e32 v17, 0x80000000, v17
	ds_bpermute_b32 v24, v58, v22
	v_and_b32_e32 v19, s34, v20
	v_ffbl_b32_e32 v17, v17
	v_add_u32_e32 v17, 32, v17
	v_ffbl_b32_e32 v19, v19
	v_min_u32_e32 v17, v19, v17
	v_cmp_lt_u32_e32 vcc, v56, v17
	v_add_u32_e32 v62, 2, v56
	v_add_u32_e32 v65, 4, v56
	s_waitcnt lgkmcnt(0)
	v_cndmask_b32_e32 v19, 0, v24, vcc
	v_cmp_gt_u32_e32 vcc, 62, v56
	v_add_u32_e32 v19, v19, v22
	v_add_u32_e32 v67, 8, v56
	v_cndmask_b32_e64 v22, 0, 1, vcc
	v_lshlrev_b32_e32 v22, 1, v22
	v_add_lshl_u32 v60, v22, v44, 2
	ds_bpermute_b32 v22, v60, v19
	v_cmp_le_u32_e32 vcc, v62, v17
	v_add_u32_e32 v69, 16, v56
	v_add_u32_e32 v71, 32, v56
	s_waitcnt lgkmcnt(0)
	v_cndmask_b32_e32 v22, 0, v22, vcc
	v_cmp_gt_u32_e32 vcc, 60, v56
	v_add_u32_e32 v19, v19, v22
	s_nop 0
	v_cndmask_b32_e64 v22, 0, 1, vcc
	v_lshlrev_b32_e32 v22, 2, v22
	v_add_lshl_u32 v64, v22, v44, 2
	ds_bpermute_b32 v22, v64, v19
	v_cmp_le_u32_e32 vcc, v65, v17
	s_waitcnt lgkmcnt(0)
	s_nop 0
	v_cndmask_b32_e32 v22, 0, v22, vcc
	v_cmp_gt_u32_e32 vcc, 56, v56
	v_add_u32_e32 v19, v19, v22
	s_nop 0
	v_cndmask_b32_e64 v22, 0, 1, vcc
	v_lshlrev_b32_e32 v22, 3, v22
	v_add_lshl_u32 v66, v22, v44, 2
	ds_bpermute_b32 v22, v66, v19
	v_cmp_le_u32_e32 vcc, v67, v17
	s_waitcnt lgkmcnt(0)
	s_nop 0
	;; [unrolled: 11-line block ×4, first 2 shown]
	v_cndmask_b32_e32 v17, 0, v22, vcc
	v_add_u32_e32 v22, v19, v17
	v_mov_b32_e32 v19, 0
	s_branch .LBB910_106
.LBB910_105:                            ;   in Loop: Header=BB910_106 Depth=1
	s_or_b64 exec, exec, s[34:35]
	v_cmp_eq_u16_sdwa s[34:35], v23, v54 src0_sel:BYTE_0 src1_sel:DWORD
	ds_bpermute_b32 v72, v58, v22
	v_subrev_u32_e32 v18, 64, v18
	v_and_b32_e32 v24, s35, v21
	v_or_b32_e32 v24, 0x80000000, v24
	v_and_b32_e32 v25, s34, v20
	v_ffbl_b32_e32 v24, v24
	v_add_u32_e32 v24, 32, v24
	v_ffbl_b32_e32 v25, v25
	v_min_u32_e32 v24, v25, v24
	v_cmp_lt_u32_e32 vcc, v56, v24
	s_waitcnt lgkmcnt(0)
	s_nop 0
	v_cndmask_b32_e32 v25, 0, v72, vcc
	v_add_u32_e32 v22, v25, v22
	ds_bpermute_b32 v25, v60, v22
	v_cmp_le_u32_e32 vcc, v62, v24
	s_waitcnt lgkmcnt(0)
	s_nop 0
	v_cndmask_b32_e32 v25, 0, v25, vcc
	v_add_u32_e32 v22, v22, v25
	ds_bpermute_b32 v25, v64, v22
	v_cmp_le_u32_e32 vcc, v65, v24
	;; [unrolled: 6-line block ×5, first 2 shown]
	s_waitcnt lgkmcnt(0)
	s_nop 0
	v_cndmask_b32_e32 v24, 0, v25, vcc
	v_add3_u32 v22, v24, v17, v22
.LBB910_106:                            ; =>This Loop Header: Depth=1
                                        ;     Child Loop BB910_109 Depth 2
                                        ;       Child Loop BB910_110 Depth 3
	v_cmp_ne_u16_sdwa s[34:35], v23, v54 src0_sel:BYTE_0 src1_sel:DWORD
	s_nop 1
	v_cndmask_b32_e64 v17, 0, 1, s[34:35]
	;;#ASMSTART
	;;#ASMEND
	s_nop 0
	v_cmp_ne_u32_e32 vcc, 0, v17
	s_cmp_lg_u64 vcc, exec
	v_mov_b32_e32 v17, v22
	s_cbranch_scc1 .LBB910_113
; %bb.107:                              ;   in Loop: Header=BB910_106 Depth=1
	v_lshl_add_u64 v[24:25], v[18:19], 3, s[28:29]
	global_load_dwordx2 v[22:23], v[24:25], off sc1
	s_waitcnt vmcnt(0)
	v_cmp_eq_u16_sdwa s[36:37], v23, v19 src0_sel:BYTE_0 src1_sel:DWORD
	s_and_saveexec_b64 s[34:35], s[36:37]
	s_cbranch_execz .LBB910_105
; %bb.108:                              ;   in Loop: Header=BB910_106 Depth=1
	s_mov_b32 s3, 1
	s_mov_b64 s[36:37], 0
.LBB910_109:                            ;   Parent Loop BB910_106 Depth=1
                                        ; =>  This Loop Header: Depth=2
                                        ;       Child Loop BB910_110 Depth 3
	s_max_u32 s33, s3, 1
.LBB910_110:                            ;   Parent Loop BB910_106 Depth=1
                                        ;     Parent Loop BB910_109 Depth=2
                                        ; =>    This Inner Loop Header: Depth=3
	s_add_i32 s33, s33, -1
	s_cmp_eq_u32 s33, 0
	s_sleep 1
	s_cbranch_scc0 .LBB910_110
; %bb.111:                              ;   in Loop: Header=BB910_109 Depth=2
	global_load_dwordx2 v[22:23], v[24:25], off sc1
	s_cmp_lt_u32 s3, 32
	s_cselect_b64 s[38:39], -1, 0
	s_cmp_lg_u64 s[38:39], 0
	s_addc_u32 s3, s3, 0
	s_waitcnt vmcnt(0)
	v_cmp_ne_u16_sdwa s[38:39], v23, v19 src0_sel:BYTE_0 src1_sel:DWORD
	s_or_b64 s[36:37], s[38:39], s[36:37]
	s_andn2_b64 exec, exec, s[36:37]
	s_cbranch_execnz .LBB910_109
; %bb.112:                              ;   in Loop: Header=BB910_106 Depth=1
	s_or_b64 exec, exec, s[36:37]
	s_branch .LBB910_105
.LBB910_113:                            ;   in Loop: Header=BB910_106 Depth=1
                                        ; implicit-def: $vgpr22
                                        ; implicit-def: $vgpr23
	s_cbranch_execz .LBB910_106
; %bb.114:
	s_and_saveexec_b64 s[34:35], s[16:17]
	s_cbranch_execz .LBB910_116
; %bb.115:
	s_add_i32 s2, s2, 64
	s_mov_b32 s3, 0
	s_lshl_b64 s[2:3], s[2:3], 3
	s_add_u32 s2, s28, s2
	v_add_u32_e32 v18, v17, v16
	v_mov_b32_e32 v19, 2
	s_addc_u32 s3, s29, s3
	v_mov_b32_e32 v20, 0
	global_store_dwordx2 v20, v[18:19], s[2:3] sc1
	ds_write_b64 v20, v[16:17] offset:30720
.LBB910_116:
	s_or_b64 exec, exec, s[34:35]
	v_cmp_eq_u32_e32 vcc, 0, v0
	s_and_b64 exec, exec, vcc
	s_cbranch_execz .LBB910_118
; %bb.117:
	v_mov_b32_e32 v16, 0
	ds_write_b32 v16, v17 offset:28
.LBB910_118:
	s_or_b64 exec, exec, s[30:31]
	v_mov_b32_e32 v16, 0
	s_waitcnt lgkmcnt(0)
	s_barrier
	ds_read_b32 v19, v16 offset:28
	s_waitcnt lgkmcnt(0)
	s_barrier
	ds_read_b64 v[16:17], v16 offset:30720
	v_cndmask_b32_e64 v18, v52, v50, s[16:17]
	v_cmp_ne_u32_e32 vcc, 0, v0
	s_nop 1
	v_cndmask_b32_e32 v18, 0, v18, vcc
	v_add_u32_e32 v72, v19, v18
	s_waitcnt lgkmcnt(0)
	v_mov_b32_e32 v18, v17
	s_load_dwordx2 s[2:3], s[0:1], 0x28
	s_branch .LBB910_129
.LBB910_119:
                                        ; implicit-def: $vgpr18
                                        ; implicit-def: $vgpr16
                                        ; implicit-def: $vgpr72
	s_load_dwordx2 s[2:3], s[0:1], 0x28
	s_cbranch_execz .LBB910_129
; %bb.120:
	v_mov_b32_dpp v16, v48 row_shr:1 row_mask:0xf bank_mask:0xf
	v_cndmask_b32_e64 v16, v16, 0, s[14:15]
	v_add_u32_e32 v16, v16, v48
	s_nop 1
	v_mov_b32_dpp v17, v16 row_shr:2 row_mask:0xf bank_mask:0xf
	v_cndmask_b32_e64 v17, 0, v17, s[12:13]
	v_add_u32_e32 v16, v16, v17
	s_nop 1
	;; [unrolled: 4-line block ×4, first 2 shown]
	v_mov_b32_dpp v17, v16 row_bcast:15 row_mask:0xf bank_mask:0xf
	v_cndmask_b32_e64 v17, v17, 0, s[6:7]
	v_add_u32_e32 v16, v16, v17
	s_nop 1
	v_mov_b32_dpp v17, v16 row_bcast:31 row_mask:0xf bank_mask:0xf
	v_cndmask_b32_e64 v17, 0, v17, s[18:19]
	v_add_u32_e32 v16, v16, v17
	s_and_saveexec_b64 s[0:1], s[4:5]
	s_cbranch_execz .LBB910_122
; %bb.121:
	v_lshlrev_b32_e32 v17, 2, v46
	ds_write_b32 v17, v16
.LBB910_122:
	s_or_b64 exec, exec, s[0:1]
	v_cmp_gt_u32_e32 vcc, 8, v0
	s_waitcnt lgkmcnt(0)
	s_barrier
	s_and_saveexec_b64 s[0:1], vcc
	s_cbranch_execz .LBB910_124
; %bb.123:
	v_lshlrev_b32_e32 v17, 2, v0
	ds_read_b32 v18, v17
	v_and_b32_e32 v19, 7, v44
	v_cmp_ne_u32_e32 vcc, 0, v19
	s_waitcnt lgkmcnt(0)
	v_mov_b32_dpp v20, v18 row_shr:1 row_mask:0xf bank_mask:0xf
	v_cndmask_b32_e32 v20, 0, v20, vcc
	v_add_u32_e32 v18, v20, v18
	v_cmp_lt_u32_e32 vcc, 1, v19
	s_nop 0
	v_mov_b32_dpp v20, v18 row_shr:2 row_mask:0xf bank_mask:0xf
	v_cndmask_b32_e32 v20, 0, v20, vcc
	v_add_u32_e32 v18, v18, v20
	v_cmp_lt_u32_e32 vcc, 3, v19
	s_nop 0
	v_mov_b32_dpp v20, v18 row_shr:4 row_mask:0xf bank_mask:0xf
	v_cndmask_b32_e32 v19, 0, v20, vcc
	v_add_u32_e32 v18, v18, v19
	ds_write_b32 v17, v18
.LBB910_124:
	s_or_b64 exec, exec, s[0:1]
	v_cmp_lt_u32_e32 vcc, 63, v0
	v_mov_b32_e32 v17, 0
	v_mov_b32_e32 v18, 0
	s_waitcnt lgkmcnt(0)
	s_barrier
	s_and_saveexec_b64 s[0:1], vcc
	s_cbranch_execz .LBB910_126
; %bb.125:
	v_lshl_add_u32 v18, v46, 2, -4
	ds_read_b32 v18, v18
.LBB910_126:
	s_or_b64 exec, exec, s[0:1]
	v_add_u32_e32 v19, -1, v44
	v_and_b32_e32 v20, 64, v44
	v_cmp_lt_i32_e32 vcc, v19, v20
	s_waitcnt lgkmcnt(0)
	v_add_u32_e32 v16, v18, v16
	v_cndmask_b32_e32 v19, v19, v44, vcc
	v_lshlrev_b32_e32 v19, 2, v19
	ds_bpermute_b32 v19, v19, v16
	ds_read_b32 v16, v17 offset:28
	v_cmp_eq_u32_e32 vcc, 0, v0
	s_and_saveexec_b64 s[0:1], vcc
	s_cbranch_execz .LBB910_128
; %bb.127:
	v_mov_b32_e32 v20, 0
	v_mov_b32_e32 v17, 2
	s_waitcnt lgkmcnt(0)
	global_store_dwordx2 v20, v[16:17], s[28:29] offset:512 sc1
.LBB910_128:
	s_or_b64 exec, exec, s[0:1]
	v_cmp_eq_u32_e64 s[0:1], 0, v44
	s_waitcnt lgkmcnt(0)
	s_barrier
	v_cndmask_b32_e64 v17, v19, v18, s[0:1]
	v_mov_b32_e32 v18, 0
	v_cndmask_b32_e64 v72, v17, 0, vcc
.LBB910_129:
	v_add_u32_e32 v78, v72, v26
	v_add_u32_e32 v76, v78, v27
	;; [unrolled: 1-line block ×27, first 2 shown]
	s_movk_i32 s0, 0x201
	v_add_u32_e32 v22, v24, v63
	v_cmp_gt_u32_e32 vcc, s0, v16
	v_add_u32_sdwa v20, v22, v82 dst_sel:DWORD dst_unused:UNUSED_PAD src0_sel:DWORD src1_sel:BYTE_0
	s_mov_b64 s[0:1], -1
	s_cbranch_vccnz .LBB910_133
; %bb.130:
	s_and_b64 vcc, exec, s[0:1]
	s_cbranch_vccnz .LBB910_224
.LBB910_131:
	v_cmp_eq_u32_e32 vcc, 0, v0
	s_and_b64 s[0:1], vcc, s[24:25]
	s_waitcnt lgkmcnt(0)
	s_and_saveexec_b64 s[2:3], s[0:1]
	s_cbranch_execnz .LBB910_298
.LBB910_132:
	s_endpgm
.LBB910_133:
	v_add_u32_e32 v17, v18, v16
	s_lshl_b64 s[0:1], s[22:23], 1
	s_waitcnt lgkmcnt(0)
	s_add_u32 s0, s2, s0
	v_cmp_lt_u32_e32 vcc, v72, v17
	s_addc_u32 s1, s3, s1
	s_or_b64 s[6:7], s[26:27], vcc
	s_and_saveexec_b64 s[4:5], s[6:7]
	s_cbranch_execz .LBB910_136
; %bb.134:
	v_and_b32_e32 v19, 1, v110
	v_cmp_eq_u32_e32 vcc, 1, v19
	s_and_b64 exec, exec, vcc
	s_cbranch_execz .LBB910_136
; %bb.135:
	v_mov_b32_e32 v73, 0
	v_lshl_add_u64 v[112:113], v[72:73], 1, s[0:1]
	global_store_short v[112:113], v14, off
.LBB910_136:
	s_or_b64 exec, exec, s[4:5]
	v_cmp_lt_u32_e32 vcc, v78, v17
	s_or_b64 s[6:7], s[26:27], vcc
	s_and_saveexec_b64 s[4:5], s[6:7]
	s_cbranch_execz .LBB910_139
; %bb.137:
	v_and_b32_e32 v19, 1, v109
	v_cmp_eq_u32_e32 vcc, 1, v19
	s_and_b64 exec, exec, vcc
	s_cbranch_execz .LBB910_139
; %bb.138:
	v_mov_b32_e32 v79, 0
	v_lshl_add_u64 v[112:113], v[78:79], 1, s[0:1]
	global_store_short_d16_hi v[112:113], v14, off
.LBB910_139:
	s_or_b64 exec, exec, s[4:5]
	v_cmp_lt_u32_e32 vcc, v76, v17
	s_or_b64 s[6:7], s[26:27], vcc
	s_and_saveexec_b64 s[4:5], s[6:7]
	s_cbranch_execz .LBB910_142
; %bb.140:
	v_and_b32_e32 v19, 1, v108
	v_cmp_eq_u32_e32 vcc, 1, v19
	s_and_b64 exec, exec, vcc
	s_cbranch_execz .LBB910_142
; %bb.141:
	v_mov_b32_e32 v77, 0
	v_lshl_add_u64 v[112:113], v[76:77], 1, s[0:1]
	global_store_short v[112:113], v15, off
.LBB910_142:
	s_or_b64 exec, exec, s[4:5]
	v_cmp_lt_u32_e32 vcc, v74, v17
	s_or_b64 s[6:7], s[26:27], vcc
	s_and_saveexec_b64 s[4:5], s[6:7]
	s_cbranch_execz .LBB910_145
; %bb.143:
	v_and_b32_e32 v19, 1, v107
	v_cmp_eq_u32_e32 vcc, 1, v19
	s_and_b64 exec, exec, vcc
	s_cbranch_execz .LBB910_145
; %bb.144:
	v_mov_b32_e32 v75, 0
	v_lshl_add_u64 v[112:113], v[74:75], 1, s[0:1]
	global_store_short_d16_hi v[112:113], v15, off
.LBB910_145:
	s_or_b64 exec, exec, s[4:5]
	v_cmp_lt_u32_e32 vcc, v70, v17
	;; [unrolled: 30-line block ×14, first 2 shown]
	s_or_b64 s[6:7], s[26:27], vcc
	s_and_saveexec_b64 s[4:5], s[6:7]
	s_cbranch_execz .LBB910_220
; %bb.218:
	v_and_b32_e32 v19, 1, v82
	v_cmp_eq_u32_e32 vcc, 1, v19
	s_and_b64 exec, exec, vcc
	s_cbranch_execz .LBB910_220
; %bb.219:
	v_mov_b32_e32 v23, 0
	v_lshl_add_u64 v[112:113], v[22:23], 1, s[0:1]
	global_store_short v[112:113], v80, off
.LBB910_220:
	s_or_b64 exec, exec, s[4:5]
	v_cmp_lt_u32_e32 vcc, v20, v17
	s_or_b64 s[6:7], s[26:27], vcc
	s_and_saveexec_b64 s[4:5], s[6:7]
	s_cbranch_execz .LBB910_223
; %bb.221:
	v_and_b32_e32 v17, 1, v81
	v_cmp_eq_u32_e32 vcc, 1, v17
	s_and_b64 exec, exec, vcc
	s_cbranch_execz .LBB910_223
; %bb.222:
	v_mov_b32_e32 v21, 0
	v_lshl_add_u64 v[112:113], v[20:21], 1, s[0:1]
	global_store_short v[112:113], v1, off
.LBB910_223:
	s_or_b64 exec, exec, s[4:5]
	s_branch .LBB910_131
.LBB910_224:
	v_and_b32_e32 v17, 1, v110
	v_cmp_eq_u32_e32 vcc, 1, v17
	s_and_saveexec_b64 s[0:1], vcc
	s_cbranch_execz .LBB910_226
; %bb.225:
	v_sub_u32_e32 v17, v72, v18
	v_lshlrev_b32_e32 v17, 1, v17
	ds_write_b16 v17, v14
.LBB910_226:
	s_or_b64 exec, exec, s[0:1]
	v_and_b32_e32 v17, 1, v109
	v_cmp_eq_u32_e32 vcc, 1, v17
	s_and_saveexec_b64 s[0:1], vcc
	s_cbranch_execz .LBB910_228
; %bb.227:
	v_sub_u32_e32 v17, v78, v18
	v_lshlrev_b32_e32 v17, 1, v17
	ds_write_b16_d16_hi v17, v14
.LBB910_228:
	s_or_b64 exec, exec, s[0:1]
	v_and_b32_e32 v14, 1, v108
	v_cmp_eq_u32_e32 vcc, 1, v14
	s_and_saveexec_b64 s[0:1], vcc
	s_cbranch_execz .LBB910_230
; %bb.229:
	v_sub_u32_e32 v14, v76, v18
	v_lshlrev_b32_e32 v14, 1, v14
	ds_write_b16 v14, v15
.LBB910_230:
	s_or_b64 exec, exec, s[0:1]
	v_and_b32_e32 v14, 1, v107
	v_cmp_eq_u32_e32 vcc, 1, v14
	s_and_saveexec_b64 s[0:1], vcc
	s_cbranch_execz .LBB910_232
; %bb.231:
	v_sub_u32_e32 v14, v74, v18
	v_lshlrev_b32_e32 v14, 1, v14
	ds_write_b16_d16_hi v14, v15
.LBB910_232:
	s_or_b64 exec, exec, s[0:1]
	;; [unrolled: 20-line block ×14, first 2 shown]
	v_and_b32_e32 v2, 1, v82
	v_cmp_eq_u32_e32 vcc, 1, v2
	s_and_saveexec_b64 s[0:1], vcc
	s_cbranch_execz .LBB910_282
; %bb.281:
	v_sub_u32_e32 v2, v22, v18
	v_lshlrev_b32_e32 v2, 1, v2
	ds_write_b16 v2, v80
.LBB910_282:
	s_or_b64 exec, exec, s[0:1]
	v_and_b32_e32 v2, 1, v81
	v_cmp_eq_u32_e32 vcc, 1, v2
	s_and_saveexec_b64 s[0:1], vcc
	s_cbranch_execz .LBB910_284
; %bb.283:
	v_sub_u32_e32 v2, v20, v18
	v_lshlrev_b32_e32 v2, 1, v2
	ds_write_b16 v2, v1
.LBB910_284:
	s_or_b64 exec, exec, s[0:1]
	v_cmp_lt_u32_e32 vcc, v0, v16
	s_waitcnt lgkmcnt(0)
	s_barrier
	s_and_saveexec_b64 s[0:1], vcc
	s_cbranch_execz .LBB910_297
; %bb.285:
	s_lshl_b64 s[4:5], s[22:23], 1
	v_mov_b32_e32 v19, 0
	s_add_u32 s2, s2, s4
	s_addc_u32 s3, s3, s5
	v_lshlrev_b64 v[2:3], 1, v[18:19]
	v_lshl_add_u64 v[8:9], s[2:3], 0, v[2:3]
	v_xad_u32 v1, v0, -1, v16
	s_movk_i32 s2, 0x5ff
	v_cmp_lt_u32_e32 vcc, s2, v1
	s_mov_b64 s[4:5], -1
	v_mov_b32_e32 v2, v0
	s_and_saveexec_b64 s[2:3], vcc
	s_cbranch_execz .LBB910_294
; %bb.286:
	v_lshrrev_b32_e32 v12, 9, v1
	v_add_u32_e32 v4, -3, v12
	v_or_b32_e32 v3, 0x600, v0
	v_or_b32_e32 v2, 0x400, v0
	v_lshrrev_b32_e32 v5, 2, v4
	v_or_b32_e32 v1, 0x200, v0
	v_add_u32_e32 v14, 1, v5
	v_cmp_lt_u32_e32 vcc, 11, v4
	v_mov_b64_e32 v[6:7], v[2:3]
	v_lshlrev_b32_e32 v13, 1, v0
	v_mov_b64_e32 v[4:5], v[0:1]
	s_and_saveexec_b64 s[4:5], vcc
	s_cbranch_execz .LBB910_290
; %bb.287:
	v_mov_b64_e32 v[6:7], v[2:3]
	v_and_b32_e32 v15, 0x7ffffffc, v14
	s_mov_b32 s8, 0
	s_mov_b64 s[6:7], 0
	v_mov_b32_e32 v11, 0
	v_mov_b32_e32 v17, v13
	v_mov_b64_e32 v[4:5], v[0:1]
.LBB910_288:                            ; =>This Inner Loop Header: Depth=1
	v_mov_b32_e32 v10, v4
	ds_read_u16 v1, v17
	ds_read_u16 v44, v17 offset:1024
	ds_read_u16 v45, v17 offset:2048
	;; [unrolled: 1-line block ×7, first 2 shown]
	v_lshl_add_u64 v[36:37], v[10:11], 1, v[8:9]
	v_mov_b32_e32 v10, v5
	v_lshl_add_u64 v[38:39], v[10:11], 1, v[8:9]
	v_mov_b32_e32 v10, v6
	ds_read_u16 v51, v17 offset:8192
	ds_read_u16 v52, v17 offset:9216
	;; [unrolled: 1-line block ×8, first 2 shown]
	v_lshl_add_u64 v[40:41], v[10:11], 1, v[8:9]
	v_mov_b32_e32 v10, v7
	v_add_u32_e32 v2, 0x800, v7
	v_mov_b32_e32 v3, v11
	v_lshl_add_u64 v[42:43], v[10:11], 1, v[8:9]
	v_add_u32_e32 v10, 0x800, v4
	v_add_u32_e32 v20, 0x800, v6
	;; [unrolled: 1-line block ×3, first 2 shown]
	v_mov_b32_e32 v23, v11
	v_mov_b32_e32 v21, v11
	v_add_u32_e32 v15, -4, v15
	v_lshl_add_u64 v[2:3], v[2:3], 1, v[8:9]
	s_waitcnt lgkmcnt(14)
	global_store_short v[36:37], v1, off
	global_store_short v[38:39], v44, off
	s_waitcnt lgkmcnt(13)
	global_store_short v[40:41], v45, off
	s_waitcnt lgkmcnt(12)
	global_store_short v[42:43], v46, off
	v_lshl_add_u64 v[36:37], v[10:11], 1, v[8:9]
	v_add_u32_e32 v10, 0x1000, v4
	v_add_u32_e32 v24, 0x1000, v7
	;; [unrolled: 1-line block ×4, first 2 shown]
	v_mov_b32_e32 v29, v11
	v_mov_b32_e32 v27, v11
	;; [unrolled: 1-line block ×3, first 2 shown]
	s_add_i32 s8, s8, 16
	v_lshl_add_u64 v[22:23], v[22:23], 1, v[8:9]
	v_lshl_add_u64 v[20:21], v[20:21], 1, v[8:9]
	v_cmp_eq_u32_e32 vcc, 0, v15
	s_waitcnt lgkmcnt(11)
	global_store_short v[36:37], v47, off
	s_waitcnt lgkmcnt(10)
	global_store_short v[22:23], v48, off
	;; [unrolled: 2-line block ×4, first 2 shown]
	v_lshl_add_u64 v[2:3], v[10:11], 1, v[8:9]
	v_add_u32_e32 v10, 0x1800, v4
	v_add_u32_e32 v30, 0x1800, v7
	;; [unrolled: 1-line block ×4, first 2 shown]
	v_mov_b32_e32 v35, v11
	v_mov_b32_e32 v33, v11
	;; [unrolled: 1-line block ×3, first 2 shown]
	v_add_u32_e32 v17, 0x4000, v17
	v_lshl_add_u64 v[28:29], v[28:29], 1, v[8:9]
	v_lshl_add_u64 v[26:27], v[26:27], 1, v[8:9]
	;; [unrolled: 1-line block ×3, first 2 shown]
	v_add_u32_e32 v5, 0x2000, v5
	v_mov_b32_e32 v19, s8
	v_add_u32_e32 v6, 0x2000, v6
	s_or_b64 s[6:7], vcc, s[6:7]
	v_add_u32_e32 v7, 0x2000, v7
	v_add_u32_e32 v4, 0x2000, v4
	s_waitcnt lgkmcnt(7)
	global_store_short v[2:3], v51, off
	s_waitcnt lgkmcnt(6)
	global_store_short v[28:29], v52, off
	;; [unrolled: 2-line block ×4, first 2 shown]
	v_lshl_add_u64 v[2:3], v[10:11], 1, v[8:9]
	v_lshl_add_u64 v[34:35], v[34:35], 1, v[8:9]
	v_lshl_add_u64 v[32:33], v[32:33], 1, v[8:9]
	v_lshl_add_u64 v[30:31], v[30:31], 1, v[8:9]
	s_waitcnt lgkmcnt(3)
	global_store_short v[2:3], v55, off
	s_waitcnt lgkmcnt(2)
	global_store_short v[34:35], v56, off
	;; [unrolled: 2-line block ×4, first 2 shown]
	s_andn2_b64 exec, exec, s[6:7]
	s_cbranch_execnz .LBB910_288
; %bb.289:
	s_or_b64 exec, exec, s[6:7]
.LBB910_290:
	s_or_b64 exec, exec, s[4:5]
	v_and_b32_e32 v1, 3, v14
	v_cmp_ne_u32_e32 vcc, 0, v1
	s_and_saveexec_b64 s[4:5], vcc
	s_cbranch_execz .LBB910_293
; %bb.291:
	v_lshl_or_b32 v10, v19, 10, v13
	s_mov_b64 s[6:7], 0
	v_mov_b32_e32 v3, 0
.LBB910_292:                            ; =>This Inner Loop Header: Depth=1
	ds_read_u16 v11, v10
	ds_read_u16 v13, v10 offset:1024
	ds_read_u16 v17, v10 offset:2048
	;; [unrolled: 1-line block ×3, first 2 shown]
	v_mov_b32_e32 v2, v4
	v_add_u32_e32 v1, -1, v1
	v_lshl_add_u64 v[14:15], v[2:3], 1, v[8:9]
	v_mov_b32_e32 v2, v5
	v_cmp_eq_u32_e32 vcc, 0, v1
	v_lshl_add_u64 v[20:21], v[2:3], 1, v[8:9]
	v_mov_b32_e32 v2, v6
	v_add_u32_e32 v4, 0x800, v4
	v_add_u32_e32 v10, 0x1000, v10
	;; [unrolled: 1-line block ×4, first 2 shown]
	s_or_b64 s[6:7], vcc, s[6:7]
	v_lshl_add_u64 v[22:23], v[2:3], 1, v[8:9]
	v_mov_b32_e32 v2, v7
	v_add_u32_e32 v7, 0x800, v7
	v_lshl_add_u64 v[24:25], v[2:3], 1, v[8:9]
	s_waitcnt lgkmcnt(3)
	global_store_short v[14:15], v11, off
	s_waitcnt lgkmcnt(2)
	global_store_short v[20:21], v13, off
	;; [unrolled: 2-line block ×4, first 2 shown]
	s_andn2_b64 exec, exec, s[6:7]
	s_cbranch_execnz .LBB910_292
.LBB910_293:
	s_or_b64 exec, exec, s[4:5]
	v_add_u32_e32 v1, 1, v12
	v_and_b32_e32 v3, 0xfffffc, v1
	v_cmp_ne_u32_e32 vcc, v1, v3
	v_lshl_or_b32 v2, v3, 9, v0
	s_orn2_b64 s[4:5], vcc, exec
.LBB910_294:
	s_or_b64 exec, exec, s[2:3]
	s_and_b64 exec, exec, s[4:5]
	s_cbranch_execz .LBB910_297
; %bb.295:
	v_lshlrev_b32_e32 v1, 1, v2
	s_mov_b64 s[2:3], 0
	v_mov_b32_e32 v3, 0
.LBB910_296:                            ; =>This Inner Loop Header: Depth=1
	ds_read_u16 v6, v1
	v_lshl_add_u64 v[4:5], v[2:3], 1, v[8:9]
	v_add_u32_e32 v2, 0x200, v2
	v_cmp_ge_u32_e32 vcc, v2, v16
	v_add_u32_e32 v1, 0x400, v1
	s_or_b64 s[2:3], vcc, s[2:3]
	s_waitcnt lgkmcnt(0)
	global_store_short v[4:5], v6, off
	s_andn2_b64 exec, exec, s[2:3]
	s_cbranch_execnz .LBB910_296
.LBB910_297:
	s_or_b64 exec, exec, s[0:1]
	v_cmp_eq_u32_e32 vcc, 0, v0
	s_and_b64 s[0:1], vcc, s[24:25]
	s_and_saveexec_b64 s[2:3], s[0:1]
	s_cbranch_execz .LBB910_132
.LBB910_298:
	v_mov_b32_e32 v17, 0
	v_lshl_add_u64 v[0:1], s[22:23], 0, v[16:17]
	v_mov_b32_e32 v19, v17
	v_lshl_add_u64 v[0:1], v[0:1], 0, v[18:19]
	global_store_dwordx2 v17, v[0:1], s[20:21]
	s_endpgm
	.section	.rodata,"a",@progbits
	.p2align	6, 0x0
	.amdhsa_kernel _ZN7rocprim17ROCPRIM_400000_NS6detail17trampoline_kernelINS0_14default_configENS1_25partition_config_selectorILNS1_17partition_subalgoE8EN3c104HalfENS0_10empty_typeEbEEZZNS1_14partition_implILS5_8ELb0ES3_jPKS7_PS8_PKS8_NS0_5tupleIJPS7_S8_EEENSG_IJSD_SD_EEENS0_18inequality_wrapperIN6hipcub16HIPCUB_304000_NS8EqualityEEEPlJS8_EEE10hipError_tPvRmT3_T4_T5_T6_T7_T9_mT8_P12ihipStream_tbDpT10_ENKUlT_T0_E_clISt17integral_constantIbLb1EES18_IbLb0EEEEDaS14_S15_EUlS14_E_NS1_11comp_targetILNS1_3genE5ELNS1_11target_archE942ELNS1_3gpuE9ELNS1_3repE0EEENS1_30default_config_static_selectorELNS0_4arch9wavefront6targetE1EEEvT1_
		.amdhsa_group_segment_fixed_size 30728
		.amdhsa_private_segment_fixed_size 0
		.amdhsa_kernarg_size 112
		.amdhsa_user_sgpr_count 2
		.amdhsa_user_sgpr_dispatch_ptr 0
		.amdhsa_user_sgpr_queue_ptr 0
		.amdhsa_user_sgpr_kernarg_segment_ptr 1
		.amdhsa_user_sgpr_dispatch_id 0
		.amdhsa_user_sgpr_kernarg_preload_length 0
		.amdhsa_user_sgpr_kernarg_preload_offset 0
		.amdhsa_user_sgpr_private_segment_size 0
		.amdhsa_uses_dynamic_stack 0
		.amdhsa_enable_private_segment 0
		.amdhsa_system_sgpr_workgroup_id_x 1
		.amdhsa_system_sgpr_workgroup_id_y 0
		.amdhsa_system_sgpr_workgroup_id_z 0
		.amdhsa_system_sgpr_workgroup_info 0
		.amdhsa_system_vgpr_workitem_id 0
		.amdhsa_next_free_vgpr 114
		.amdhsa_next_free_sgpr 78
		.amdhsa_accum_offset 116
		.amdhsa_reserve_vcc 1
		.amdhsa_float_round_mode_32 0
		.amdhsa_float_round_mode_16_64 0
		.amdhsa_float_denorm_mode_32 3
		.amdhsa_float_denorm_mode_16_64 3
		.amdhsa_dx10_clamp 1
		.amdhsa_ieee_mode 1
		.amdhsa_fp16_overflow 0
		.amdhsa_tg_split 0
		.amdhsa_exception_fp_ieee_invalid_op 0
		.amdhsa_exception_fp_denorm_src 0
		.amdhsa_exception_fp_ieee_div_zero 0
		.amdhsa_exception_fp_ieee_overflow 0
		.amdhsa_exception_fp_ieee_underflow 0
		.amdhsa_exception_fp_ieee_inexact 0
		.amdhsa_exception_int_div_zero 0
	.end_amdhsa_kernel
	.section	.text._ZN7rocprim17ROCPRIM_400000_NS6detail17trampoline_kernelINS0_14default_configENS1_25partition_config_selectorILNS1_17partition_subalgoE8EN3c104HalfENS0_10empty_typeEbEEZZNS1_14partition_implILS5_8ELb0ES3_jPKS7_PS8_PKS8_NS0_5tupleIJPS7_S8_EEENSG_IJSD_SD_EEENS0_18inequality_wrapperIN6hipcub16HIPCUB_304000_NS8EqualityEEEPlJS8_EEE10hipError_tPvRmT3_T4_T5_T6_T7_T9_mT8_P12ihipStream_tbDpT10_ENKUlT_T0_E_clISt17integral_constantIbLb1EES18_IbLb0EEEEDaS14_S15_EUlS14_E_NS1_11comp_targetILNS1_3genE5ELNS1_11target_archE942ELNS1_3gpuE9ELNS1_3repE0EEENS1_30default_config_static_selectorELNS0_4arch9wavefront6targetE1EEEvT1_,"axG",@progbits,_ZN7rocprim17ROCPRIM_400000_NS6detail17trampoline_kernelINS0_14default_configENS1_25partition_config_selectorILNS1_17partition_subalgoE8EN3c104HalfENS0_10empty_typeEbEEZZNS1_14partition_implILS5_8ELb0ES3_jPKS7_PS8_PKS8_NS0_5tupleIJPS7_S8_EEENSG_IJSD_SD_EEENS0_18inequality_wrapperIN6hipcub16HIPCUB_304000_NS8EqualityEEEPlJS8_EEE10hipError_tPvRmT3_T4_T5_T6_T7_T9_mT8_P12ihipStream_tbDpT10_ENKUlT_T0_E_clISt17integral_constantIbLb1EES18_IbLb0EEEEDaS14_S15_EUlS14_E_NS1_11comp_targetILNS1_3genE5ELNS1_11target_archE942ELNS1_3gpuE9ELNS1_3repE0EEENS1_30default_config_static_selectorELNS0_4arch9wavefront6targetE1EEEvT1_,comdat
.Lfunc_end910:
	.size	_ZN7rocprim17ROCPRIM_400000_NS6detail17trampoline_kernelINS0_14default_configENS1_25partition_config_selectorILNS1_17partition_subalgoE8EN3c104HalfENS0_10empty_typeEbEEZZNS1_14partition_implILS5_8ELb0ES3_jPKS7_PS8_PKS8_NS0_5tupleIJPS7_S8_EEENSG_IJSD_SD_EEENS0_18inequality_wrapperIN6hipcub16HIPCUB_304000_NS8EqualityEEEPlJS8_EEE10hipError_tPvRmT3_T4_T5_T6_T7_T9_mT8_P12ihipStream_tbDpT10_ENKUlT_T0_E_clISt17integral_constantIbLb1EES18_IbLb0EEEEDaS14_S15_EUlS14_E_NS1_11comp_targetILNS1_3genE5ELNS1_11target_archE942ELNS1_3gpuE9ELNS1_3repE0EEENS1_30default_config_static_selectorELNS0_4arch9wavefront6targetE1EEEvT1_, .Lfunc_end910-_ZN7rocprim17ROCPRIM_400000_NS6detail17trampoline_kernelINS0_14default_configENS1_25partition_config_selectorILNS1_17partition_subalgoE8EN3c104HalfENS0_10empty_typeEbEEZZNS1_14partition_implILS5_8ELb0ES3_jPKS7_PS8_PKS8_NS0_5tupleIJPS7_S8_EEENSG_IJSD_SD_EEENS0_18inequality_wrapperIN6hipcub16HIPCUB_304000_NS8EqualityEEEPlJS8_EEE10hipError_tPvRmT3_T4_T5_T6_T7_T9_mT8_P12ihipStream_tbDpT10_ENKUlT_T0_E_clISt17integral_constantIbLb1EES18_IbLb0EEEEDaS14_S15_EUlS14_E_NS1_11comp_targetILNS1_3genE5ELNS1_11target_archE942ELNS1_3gpuE9ELNS1_3repE0EEENS1_30default_config_static_selectorELNS0_4arch9wavefront6targetE1EEEvT1_
                                        ; -- End function
	.section	.AMDGPU.csdata,"",@progbits
; Kernel info:
; codeLenInByte = 12388
; NumSgprs: 84
; NumVgprs: 114
; NumAgprs: 0
; TotalNumVgprs: 114
; ScratchSize: 0
; MemoryBound: 0
; FloatMode: 240
; IeeeMode: 1
; LDSByteSize: 30728 bytes/workgroup (compile time only)
; SGPRBlocks: 10
; VGPRBlocks: 14
; NumSGPRsForWavesPerEU: 84
; NumVGPRsForWavesPerEU: 114
; AccumOffset: 116
; Occupancy: 4
; WaveLimiterHint : 1
; COMPUTE_PGM_RSRC2:SCRATCH_EN: 0
; COMPUTE_PGM_RSRC2:USER_SGPR: 2
; COMPUTE_PGM_RSRC2:TRAP_HANDLER: 0
; COMPUTE_PGM_RSRC2:TGID_X_EN: 1
; COMPUTE_PGM_RSRC2:TGID_Y_EN: 0
; COMPUTE_PGM_RSRC2:TGID_Z_EN: 0
; COMPUTE_PGM_RSRC2:TIDIG_COMP_CNT: 0
; COMPUTE_PGM_RSRC3_GFX90A:ACCUM_OFFSET: 28
; COMPUTE_PGM_RSRC3_GFX90A:TG_SPLIT: 0
	.section	.text._ZN7rocprim17ROCPRIM_400000_NS6detail17trampoline_kernelINS0_14default_configENS1_25partition_config_selectorILNS1_17partition_subalgoE8EN3c104HalfENS0_10empty_typeEbEEZZNS1_14partition_implILS5_8ELb0ES3_jPKS7_PS8_PKS8_NS0_5tupleIJPS7_S8_EEENSG_IJSD_SD_EEENS0_18inequality_wrapperIN6hipcub16HIPCUB_304000_NS8EqualityEEEPlJS8_EEE10hipError_tPvRmT3_T4_T5_T6_T7_T9_mT8_P12ihipStream_tbDpT10_ENKUlT_T0_E_clISt17integral_constantIbLb1EES18_IbLb0EEEEDaS14_S15_EUlS14_E_NS1_11comp_targetILNS1_3genE4ELNS1_11target_archE910ELNS1_3gpuE8ELNS1_3repE0EEENS1_30default_config_static_selectorELNS0_4arch9wavefront6targetE1EEEvT1_,"axG",@progbits,_ZN7rocprim17ROCPRIM_400000_NS6detail17trampoline_kernelINS0_14default_configENS1_25partition_config_selectorILNS1_17partition_subalgoE8EN3c104HalfENS0_10empty_typeEbEEZZNS1_14partition_implILS5_8ELb0ES3_jPKS7_PS8_PKS8_NS0_5tupleIJPS7_S8_EEENSG_IJSD_SD_EEENS0_18inequality_wrapperIN6hipcub16HIPCUB_304000_NS8EqualityEEEPlJS8_EEE10hipError_tPvRmT3_T4_T5_T6_T7_T9_mT8_P12ihipStream_tbDpT10_ENKUlT_T0_E_clISt17integral_constantIbLb1EES18_IbLb0EEEEDaS14_S15_EUlS14_E_NS1_11comp_targetILNS1_3genE4ELNS1_11target_archE910ELNS1_3gpuE8ELNS1_3repE0EEENS1_30default_config_static_selectorELNS0_4arch9wavefront6targetE1EEEvT1_,comdat
	.protected	_ZN7rocprim17ROCPRIM_400000_NS6detail17trampoline_kernelINS0_14default_configENS1_25partition_config_selectorILNS1_17partition_subalgoE8EN3c104HalfENS0_10empty_typeEbEEZZNS1_14partition_implILS5_8ELb0ES3_jPKS7_PS8_PKS8_NS0_5tupleIJPS7_S8_EEENSG_IJSD_SD_EEENS0_18inequality_wrapperIN6hipcub16HIPCUB_304000_NS8EqualityEEEPlJS8_EEE10hipError_tPvRmT3_T4_T5_T6_T7_T9_mT8_P12ihipStream_tbDpT10_ENKUlT_T0_E_clISt17integral_constantIbLb1EES18_IbLb0EEEEDaS14_S15_EUlS14_E_NS1_11comp_targetILNS1_3genE4ELNS1_11target_archE910ELNS1_3gpuE8ELNS1_3repE0EEENS1_30default_config_static_selectorELNS0_4arch9wavefront6targetE1EEEvT1_ ; -- Begin function _ZN7rocprim17ROCPRIM_400000_NS6detail17trampoline_kernelINS0_14default_configENS1_25partition_config_selectorILNS1_17partition_subalgoE8EN3c104HalfENS0_10empty_typeEbEEZZNS1_14partition_implILS5_8ELb0ES3_jPKS7_PS8_PKS8_NS0_5tupleIJPS7_S8_EEENSG_IJSD_SD_EEENS0_18inequality_wrapperIN6hipcub16HIPCUB_304000_NS8EqualityEEEPlJS8_EEE10hipError_tPvRmT3_T4_T5_T6_T7_T9_mT8_P12ihipStream_tbDpT10_ENKUlT_T0_E_clISt17integral_constantIbLb1EES18_IbLb0EEEEDaS14_S15_EUlS14_E_NS1_11comp_targetILNS1_3genE4ELNS1_11target_archE910ELNS1_3gpuE8ELNS1_3repE0EEENS1_30default_config_static_selectorELNS0_4arch9wavefront6targetE1EEEvT1_
	.globl	_ZN7rocprim17ROCPRIM_400000_NS6detail17trampoline_kernelINS0_14default_configENS1_25partition_config_selectorILNS1_17partition_subalgoE8EN3c104HalfENS0_10empty_typeEbEEZZNS1_14partition_implILS5_8ELb0ES3_jPKS7_PS8_PKS8_NS0_5tupleIJPS7_S8_EEENSG_IJSD_SD_EEENS0_18inequality_wrapperIN6hipcub16HIPCUB_304000_NS8EqualityEEEPlJS8_EEE10hipError_tPvRmT3_T4_T5_T6_T7_T9_mT8_P12ihipStream_tbDpT10_ENKUlT_T0_E_clISt17integral_constantIbLb1EES18_IbLb0EEEEDaS14_S15_EUlS14_E_NS1_11comp_targetILNS1_3genE4ELNS1_11target_archE910ELNS1_3gpuE8ELNS1_3repE0EEENS1_30default_config_static_selectorELNS0_4arch9wavefront6targetE1EEEvT1_
	.p2align	8
	.type	_ZN7rocprim17ROCPRIM_400000_NS6detail17trampoline_kernelINS0_14default_configENS1_25partition_config_selectorILNS1_17partition_subalgoE8EN3c104HalfENS0_10empty_typeEbEEZZNS1_14partition_implILS5_8ELb0ES3_jPKS7_PS8_PKS8_NS0_5tupleIJPS7_S8_EEENSG_IJSD_SD_EEENS0_18inequality_wrapperIN6hipcub16HIPCUB_304000_NS8EqualityEEEPlJS8_EEE10hipError_tPvRmT3_T4_T5_T6_T7_T9_mT8_P12ihipStream_tbDpT10_ENKUlT_T0_E_clISt17integral_constantIbLb1EES18_IbLb0EEEEDaS14_S15_EUlS14_E_NS1_11comp_targetILNS1_3genE4ELNS1_11target_archE910ELNS1_3gpuE8ELNS1_3repE0EEENS1_30default_config_static_selectorELNS0_4arch9wavefront6targetE1EEEvT1_,@function
_ZN7rocprim17ROCPRIM_400000_NS6detail17trampoline_kernelINS0_14default_configENS1_25partition_config_selectorILNS1_17partition_subalgoE8EN3c104HalfENS0_10empty_typeEbEEZZNS1_14partition_implILS5_8ELb0ES3_jPKS7_PS8_PKS8_NS0_5tupleIJPS7_S8_EEENSG_IJSD_SD_EEENS0_18inequality_wrapperIN6hipcub16HIPCUB_304000_NS8EqualityEEEPlJS8_EEE10hipError_tPvRmT3_T4_T5_T6_T7_T9_mT8_P12ihipStream_tbDpT10_ENKUlT_T0_E_clISt17integral_constantIbLb1EES18_IbLb0EEEEDaS14_S15_EUlS14_E_NS1_11comp_targetILNS1_3genE4ELNS1_11target_archE910ELNS1_3gpuE8ELNS1_3repE0EEENS1_30default_config_static_selectorELNS0_4arch9wavefront6targetE1EEEvT1_: ; @_ZN7rocprim17ROCPRIM_400000_NS6detail17trampoline_kernelINS0_14default_configENS1_25partition_config_selectorILNS1_17partition_subalgoE8EN3c104HalfENS0_10empty_typeEbEEZZNS1_14partition_implILS5_8ELb0ES3_jPKS7_PS8_PKS8_NS0_5tupleIJPS7_S8_EEENSG_IJSD_SD_EEENS0_18inequality_wrapperIN6hipcub16HIPCUB_304000_NS8EqualityEEEPlJS8_EEE10hipError_tPvRmT3_T4_T5_T6_T7_T9_mT8_P12ihipStream_tbDpT10_ENKUlT_T0_E_clISt17integral_constantIbLb1EES18_IbLb0EEEEDaS14_S15_EUlS14_E_NS1_11comp_targetILNS1_3genE4ELNS1_11target_archE910ELNS1_3gpuE8ELNS1_3repE0EEENS1_30default_config_static_selectorELNS0_4arch9wavefront6targetE1EEEvT1_
; %bb.0:
	.section	.rodata,"a",@progbits
	.p2align	6, 0x0
	.amdhsa_kernel _ZN7rocprim17ROCPRIM_400000_NS6detail17trampoline_kernelINS0_14default_configENS1_25partition_config_selectorILNS1_17partition_subalgoE8EN3c104HalfENS0_10empty_typeEbEEZZNS1_14partition_implILS5_8ELb0ES3_jPKS7_PS8_PKS8_NS0_5tupleIJPS7_S8_EEENSG_IJSD_SD_EEENS0_18inequality_wrapperIN6hipcub16HIPCUB_304000_NS8EqualityEEEPlJS8_EEE10hipError_tPvRmT3_T4_T5_T6_T7_T9_mT8_P12ihipStream_tbDpT10_ENKUlT_T0_E_clISt17integral_constantIbLb1EES18_IbLb0EEEEDaS14_S15_EUlS14_E_NS1_11comp_targetILNS1_3genE4ELNS1_11target_archE910ELNS1_3gpuE8ELNS1_3repE0EEENS1_30default_config_static_selectorELNS0_4arch9wavefront6targetE1EEEvT1_
		.amdhsa_group_segment_fixed_size 0
		.amdhsa_private_segment_fixed_size 0
		.amdhsa_kernarg_size 112
		.amdhsa_user_sgpr_count 2
		.amdhsa_user_sgpr_dispatch_ptr 0
		.amdhsa_user_sgpr_queue_ptr 0
		.amdhsa_user_sgpr_kernarg_segment_ptr 1
		.amdhsa_user_sgpr_dispatch_id 0
		.amdhsa_user_sgpr_kernarg_preload_length 0
		.amdhsa_user_sgpr_kernarg_preload_offset 0
		.amdhsa_user_sgpr_private_segment_size 0
		.amdhsa_uses_dynamic_stack 0
		.amdhsa_enable_private_segment 0
		.amdhsa_system_sgpr_workgroup_id_x 1
		.amdhsa_system_sgpr_workgroup_id_y 0
		.amdhsa_system_sgpr_workgroup_id_z 0
		.amdhsa_system_sgpr_workgroup_info 0
		.amdhsa_system_vgpr_workitem_id 0
		.amdhsa_next_free_vgpr 1
		.amdhsa_next_free_sgpr 0
		.amdhsa_accum_offset 4
		.amdhsa_reserve_vcc 0
		.amdhsa_float_round_mode_32 0
		.amdhsa_float_round_mode_16_64 0
		.amdhsa_float_denorm_mode_32 3
		.amdhsa_float_denorm_mode_16_64 3
		.amdhsa_dx10_clamp 1
		.amdhsa_ieee_mode 1
		.amdhsa_fp16_overflow 0
		.amdhsa_tg_split 0
		.amdhsa_exception_fp_ieee_invalid_op 0
		.amdhsa_exception_fp_denorm_src 0
		.amdhsa_exception_fp_ieee_div_zero 0
		.amdhsa_exception_fp_ieee_overflow 0
		.amdhsa_exception_fp_ieee_underflow 0
		.amdhsa_exception_fp_ieee_inexact 0
		.amdhsa_exception_int_div_zero 0
	.end_amdhsa_kernel
	.section	.text._ZN7rocprim17ROCPRIM_400000_NS6detail17trampoline_kernelINS0_14default_configENS1_25partition_config_selectorILNS1_17partition_subalgoE8EN3c104HalfENS0_10empty_typeEbEEZZNS1_14partition_implILS5_8ELb0ES3_jPKS7_PS8_PKS8_NS0_5tupleIJPS7_S8_EEENSG_IJSD_SD_EEENS0_18inequality_wrapperIN6hipcub16HIPCUB_304000_NS8EqualityEEEPlJS8_EEE10hipError_tPvRmT3_T4_T5_T6_T7_T9_mT8_P12ihipStream_tbDpT10_ENKUlT_T0_E_clISt17integral_constantIbLb1EES18_IbLb0EEEEDaS14_S15_EUlS14_E_NS1_11comp_targetILNS1_3genE4ELNS1_11target_archE910ELNS1_3gpuE8ELNS1_3repE0EEENS1_30default_config_static_selectorELNS0_4arch9wavefront6targetE1EEEvT1_,"axG",@progbits,_ZN7rocprim17ROCPRIM_400000_NS6detail17trampoline_kernelINS0_14default_configENS1_25partition_config_selectorILNS1_17partition_subalgoE8EN3c104HalfENS0_10empty_typeEbEEZZNS1_14partition_implILS5_8ELb0ES3_jPKS7_PS8_PKS8_NS0_5tupleIJPS7_S8_EEENSG_IJSD_SD_EEENS0_18inequality_wrapperIN6hipcub16HIPCUB_304000_NS8EqualityEEEPlJS8_EEE10hipError_tPvRmT3_T4_T5_T6_T7_T9_mT8_P12ihipStream_tbDpT10_ENKUlT_T0_E_clISt17integral_constantIbLb1EES18_IbLb0EEEEDaS14_S15_EUlS14_E_NS1_11comp_targetILNS1_3genE4ELNS1_11target_archE910ELNS1_3gpuE8ELNS1_3repE0EEENS1_30default_config_static_selectorELNS0_4arch9wavefront6targetE1EEEvT1_,comdat
.Lfunc_end911:
	.size	_ZN7rocprim17ROCPRIM_400000_NS6detail17trampoline_kernelINS0_14default_configENS1_25partition_config_selectorILNS1_17partition_subalgoE8EN3c104HalfENS0_10empty_typeEbEEZZNS1_14partition_implILS5_8ELb0ES3_jPKS7_PS8_PKS8_NS0_5tupleIJPS7_S8_EEENSG_IJSD_SD_EEENS0_18inequality_wrapperIN6hipcub16HIPCUB_304000_NS8EqualityEEEPlJS8_EEE10hipError_tPvRmT3_T4_T5_T6_T7_T9_mT8_P12ihipStream_tbDpT10_ENKUlT_T0_E_clISt17integral_constantIbLb1EES18_IbLb0EEEEDaS14_S15_EUlS14_E_NS1_11comp_targetILNS1_3genE4ELNS1_11target_archE910ELNS1_3gpuE8ELNS1_3repE0EEENS1_30default_config_static_selectorELNS0_4arch9wavefront6targetE1EEEvT1_, .Lfunc_end911-_ZN7rocprim17ROCPRIM_400000_NS6detail17trampoline_kernelINS0_14default_configENS1_25partition_config_selectorILNS1_17partition_subalgoE8EN3c104HalfENS0_10empty_typeEbEEZZNS1_14partition_implILS5_8ELb0ES3_jPKS7_PS8_PKS8_NS0_5tupleIJPS7_S8_EEENSG_IJSD_SD_EEENS0_18inequality_wrapperIN6hipcub16HIPCUB_304000_NS8EqualityEEEPlJS8_EEE10hipError_tPvRmT3_T4_T5_T6_T7_T9_mT8_P12ihipStream_tbDpT10_ENKUlT_T0_E_clISt17integral_constantIbLb1EES18_IbLb0EEEEDaS14_S15_EUlS14_E_NS1_11comp_targetILNS1_3genE4ELNS1_11target_archE910ELNS1_3gpuE8ELNS1_3repE0EEENS1_30default_config_static_selectorELNS0_4arch9wavefront6targetE1EEEvT1_
                                        ; -- End function
	.section	.AMDGPU.csdata,"",@progbits
; Kernel info:
; codeLenInByte = 0
; NumSgprs: 6
; NumVgprs: 0
; NumAgprs: 0
; TotalNumVgprs: 0
; ScratchSize: 0
; MemoryBound: 0
; FloatMode: 240
; IeeeMode: 1
; LDSByteSize: 0 bytes/workgroup (compile time only)
; SGPRBlocks: 0
; VGPRBlocks: 0
; NumSGPRsForWavesPerEU: 6
; NumVGPRsForWavesPerEU: 1
; AccumOffset: 4
; Occupancy: 8
; WaveLimiterHint : 0
; COMPUTE_PGM_RSRC2:SCRATCH_EN: 0
; COMPUTE_PGM_RSRC2:USER_SGPR: 2
; COMPUTE_PGM_RSRC2:TRAP_HANDLER: 0
; COMPUTE_PGM_RSRC2:TGID_X_EN: 1
; COMPUTE_PGM_RSRC2:TGID_Y_EN: 0
; COMPUTE_PGM_RSRC2:TGID_Z_EN: 0
; COMPUTE_PGM_RSRC2:TIDIG_COMP_CNT: 0
; COMPUTE_PGM_RSRC3_GFX90A:ACCUM_OFFSET: 0
; COMPUTE_PGM_RSRC3_GFX90A:TG_SPLIT: 0
	.section	.text._ZN7rocprim17ROCPRIM_400000_NS6detail17trampoline_kernelINS0_14default_configENS1_25partition_config_selectorILNS1_17partition_subalgoE8EN3c104HalfENS0_10empty_typeEbEEZZNS1_14partition_implILS5_8ELb0ES3_jPKS7_PS8_PKS8_NS0_5tupleIJPS7_S8_EEENSG_IJSD_SD_EEENS0_18inequality_wrapperIN6hipcub16HIPCUB_304000_NS8EqualityEEEPlJS8_EEE10hipError_tPvRmT3_T4_T5_T6_T7_T9_mT8_P12ihipStream_tbDpT10_ENKUlT_T0_E_clISt17integral_constantIbLb1EES18_IbLb0EEEEDaS14_S15_EUlS14_E_NS1_11comp_targetILNS1_3genE3ELNS1_11target_archE908ELNS1_3gpuE7ELNS1_3repE0EEENS1_30default_config_static_selectorELNS0_4arch9wavefront6targetE1EEEvT1_,"axG",@progbits,_ZN7rocprim17ROCPRIM_400000_NS6detail17trampoline_kernelINS0_14default_configENS1_25partition_config_selectorILNS1_17partition_subalgoE8EN3c104HalfENS0_10empty_typeEbEEZZNS1_14partition_implILS5_8ELb0ES3_jPKS7_PS8_PKS8_NS0_5tupleIJPS7_S8_EEENSG_IJSD_SD_EEENS0_18inequality_wrapperIN6hipcub16HIPCUB_304000_NS8EqualityEEEPlJS8_EEE10hipError_tPvRmT3_T4_T5_T6_T7_T9_mT8_P12ihipStream_tbDpT10_ENKUlT_T0_E_clISt17integral_constantIbLb1EES18_IbLb0EEEEDaS14_S15_EUlS14_E_NS1_11comp_targetILNS1_3genE3ELNS1_11target_archE908ELNS1_3gpuE7ELNS1_3repE0EEENS1_30default_config_static_selectorELNS0_4arch9wavefront6targetE1EEEvT1_,comdat
	.protected	_ZN7rocprim17ROCPRIM_400000_NS6detail17trampoline_kernelINS0_14default_configENS1_25partition_config_selectorILNS1_17partition_subalgoE8EN3c104HalfENS0_10empty_typeEbEEZZNS1_14partition_implILS5_8ELb0ES3_jPKS7_PS8_PKS8_NS0_5tupleIJPS7_S8_EEENSG_IJSD_SD_EEENS0_18inequality_wrapperIN6hipcub16HIPCUB_304000_NS8EqualityEEEPlJS8_EEE10hipError_tPvRmT3_T4_T5_T6_T7_T9_mT8_P12ihipStream_tbDpT10_ENKUlT_T0_E_clISt17integral_constantIbLb1EES18_IbLb0EEEEDaS14_S15_EUlS14_E_NS1_11comp_targetILNS1_3genE3ELNS1_11target_archE908ELNS1_3gpuE7ELNS1_3repE0EEENS1_30default_config_static_selectorELNS0_4arch9wavefront6targetE1EEEvT1_ ; -- Begin function _ZN7rocprim17ROCPRIM_400000_NS6detail17trampoline_kernelINS0_14default_configENS1_25partition_config_selectorILNS1_17partition_subalgoE8EN3c104HalfENS0_10empty_typeEbEEZZNS1_14partition_implILS5_8ELb0ES3_jPKS7_PS8_PKS8_NS0_5tupleIJPS7_S8_EEENSG_IJSD_SD_EEENS0_18inequality_wrapperIN6hipcub16HIPCUB_304000_NS8EqualityEEEPlJS8_EEE10hipError_tPvRmT3_T4_T5_T6_T7_T9_mT8_P12ihipStream_tbDpT10_ENKUlT_T0_E_clISt17integral_constantIbLb1EES18_IbLb0EEEEDaS14_S15_EUlS14_E_NS1_11comp_targetILNS1_3genE3ELNS1_11target_archE908ELNS1_3gpuE7ELNS1_3repE0EEENS1_30default_config_static_selectorELNS0_4arch9wavefront6targetE1EEEvT1_
	.globl	_ZN7rocprim17ROCPRIM_400000_NS6detail17trampoline_kernelINS0_14default_configENS1_25partition_config_selectorILNS1_17partition_subalgoE8EN3c104HalfENS0_10empty_typeEbEEZZNS1_14partition_implILS5_8ELb0ES3_jPKS7_PS8_PKS8_NS0_5tupleIJPS7_S8_EEENSG_IJSD_SD_EEENS0_18inequality_wrapperIN6hipcub16HIPCUB_304000_NS8EqualityEEEPlJS8_EEE10hipError_tPvRmT3_T4_T5_T6_T7_T9_mT8_P12ihipStream_tbDpT10_ENKUlT_T0_E_clISt17integral_constantIbLb1EES18_IbLb0EEEEDaS14_S15_EUlS14_E_NS1_11comp_targetILNS1_3genE3ELNS1_11target_archE908ELNS1_3gpuE7ELNS1_3repE0EEENS1_30default_config_static_selectorELNS0_4arch9wavefront6targetE1EEEvT1_
	.p2align	8
	.type	_ZN7rocprim17ROCPRIM_400000_NS6detail17trampoline_kernelINS0_14default_configENS1_25partition_config_selectorILNS1_17partition_subalgoE8EN3c104HalfENS0_10empty_typeEbEEZZNS1_14partition_implILS5_8ELb0ES3_jPKS7_PS8_PKS8_NS0_5tupleIJPS7_S8_EEENSG_IJSD_SD_EEENS0_18inequality_wrapperIN6hipcub16HIPCUB_304000_NS8EqualityEEEPlJS8_EEE10hipError_tPvRmT3_T4_T5_T6_T7_T9_mT8_P12ihipStream_tbDpT10_ENKUlT_T0_E_clISt17integral_constantIbLb1EES18_IbLb0EEEEDaS14_S15_EUlS14_E_NS1_11comp_targetILNS1_3genE3ELNS1_11target_archE908ELNS1_3gpuE7ELNS1_3repE0EEENS1_30default_config_static_selectorELNS0_4arch9wavefront6targetE1EEEvT1_,@function
_ZN7rocprim17ROCPRIM_400000_NS6detail17trampoline_kernelINS0_14default_configENS1_25partition_config_selectorILNS1_17partition_subalgoE8EN3c104HalfENS0_10empty_typeEbEEZZNS1_14partition_implILS5_8ELb0ES3_jPKS7_PS8_PKS8_NS0_5tupleIJPS7_S8_EEENSG_IJSD_SD_EEENS0_18inequality_wrapperIN6hipcub16HIPCUB_304000_NS8EqualityEEEPlJS8_EEE10hipError_tPvRmT3_T4_T5_T6_T7_T9_mT8_P12ihipStream_tbDpT10_ENKUlT_T0_E_clISt17integral_constantIbLb1EES18_IbLb0EEEEDaS14_S15_EUlS14_E_NS1_11comp_targetILNS1_3genE3ELNS1_11target_archE908ELNS1_3gpuE7ELNS1_3repE0EEENS1_30default_config_static_selectorELNS0_4arch9wavefront6targetE1EEEvT1_: ; @_ZN7rocprim17ROCPRIM_400000_NS6detail17trampoline_kernelINS0_14default_configENS1_25partition_config_selectorILNS1_17partition_subalgoE8EN3c104HalfENS0_10empty_typeEbEEZZNS1_14partition_implILS5_8ELb0ES3_jPKS7_PS8_PKS8_NS0_5tupleIJPS7_S8_EEENSG_IJSD_SD_EEENS0_18inequality_wrapperIN6hipcub16HIPCUB_304000_NS8EqualityEEEPlJS8_EEE10hipError_tPvRmT3_T4_T5_T6_T7_T9_mT8_P12ihipStream_tbDpT10_ENKUlT_T0_E_clISt17integral_constantIbLb1EES18_IbLb0EEEEDaS14_S15_EUlS14_E_NS1_11comp_targetILNS1_3genE3ELNS1_11target_archE908ELNS1_3gpuE7ELNS1_3repE0EEENS1_30default_config_static_selectorELNS0_4arch9wavefront6targetE1EEEvT1_
; %bb.0:
	.section	.rodata,"a",@progbits
	.p2align	6, 0x0
	.amdhsa_kernel _ZN7rocprim17ROCPRIM_400000_NS6detail17trampoline_kernelINS0_14default_configENS1_25partition_config_selectorILNS1_17partition_subalgoE8EN3c104HalfENS0_10empty_typeEbEEZZNS1_14partition_implILS5_8ELb0ES3_jPKS7_PS8_PKS8_NS0_5tupleIJPS7_S8_EEENSG_IJSD_SD_EEENS0_18inequality_wrapperIN6hipcub16HIPCUB_304000_NS8EqualityEEEPlJS8_EEE10hipError_tPvRmT3_T4_T5_T6_T7_T9_mT8_P12ihipStream_tbDpT10_ENKUlT_T0_E_clISt17integral_constantIbLb1EES18_IbLb0EEEEDaS14_S15_EUlS14_E_NS1_11comp_targetILNS1_3genE3ELNS1_11target_archE908ELNS1_3gpuE7ELNS1_3repE0EEENS1_30default_config_static_selectorELNS0_4arch9wavefront6targetE1EEEvT1_
		.amdhsa_group_segment_fixed_size 0
		.amdhsa_private_segment_fixed_size 0
		.amdhsa_kernarg_size 112
		.amdhsa_user_sgpr_count 2
		.amdhsa_user_sgpr_dispatch_ptr 0
		.amdhsa_user_sgpr_queue_ptr 0
		.amdhsa_user_sgpr_kernarg_segment_ptr 1
		.amdhsa_user_sgpr_dispatch_id 0
		.amdhsa_user_sgpr_kernarg_preload_length 0
		.amdhsa_user_sgpr_kernarg_preload_offset 0
		.amdhsa_user_sgpr_private_segment_size 0
		.amdhsa_uses_dynamic_stack 0
		.amdhsa_enable_private_segment 0
		.amdhsa_system_sgpr_workgroup_id_x 1
		.amdhsa_system_sgpr_workgroup_id_y 0
		.amdhsa_system_sgpr_workgroup_id_z 0
		.amdhsa_system_sgpr_workgroup_info 0
		.amdhsa_system_vgpr_workitem_id 0
		.amdhsa_next_free_vgpr 1
		.amdhsa_next_free_sgpr 0
		.amdhsa_accum_offset 4
		.amdhsa_reserve_vcc 0
		.amdhsa_float_round_mode_32 0
		.amdhsa_float_round_mode_16_64 0
		.amdhsa_float_denorm_mode_32 3
		.amdhsa_float_denorm_mode_16_64 3
		.amdhsa_dx10_clamp 1
		.amdhsa_ieee_mode 1
		.amdhsa_fp16_overflow 0
		.amdhsa_tg_split 0
		.amdhsa_exception_fp_ieee_invalid_op 0
		.amdhsa_exception_fp_denorm_src 0
		.amdhsa_exception_fp_ieee_div_zero 0
		.amdhsa_exception_fp_ieee_overflow 0
		.amdhsa_exception_fp_ieee_underflow 0
		.amdhsa_exception_fp_ieee_inexact 0
		.amdhsa_exception_int_div_zero 0
	.end_amdhsa_kernel
	.section	.text._ZN7rocprim17ROCPRIM_400000_NS6detail17trampoline_kernelINS0_14default_configENS1_25partition_config_selectorILNS1_17partition_subalgoE8EN3c104HalfENS0_10empty_typeEbEEZZNS1_14partition_implILS5_8ELb0ES3_jPKS7_PS8_PKS8_NS0_5tupleIJPS7_S8_EEENSG_IJSD_SD_EEENS0_18inequality_wrapperIN6hipcub16HIPCUB_304000_NS8EqualityEEEPlJS8_EEE10hipError_tPvRmT3_T4_T5_T6_T7_T9_mT8_P12ihipStream_tbDpT10_ENKUlT_T0_E_clISt17integral_constantIbLb1EES18_IbLb0EEEEDaS14_S15_EUlS14_E_NS1_11comp_targetILNS1_3genE3ELNS1_11target_archE908ELNS1_3gpuE7ELNS1_3repE0EEENS1_30default_config_static_selectorELNS0_4arch9wavefront6targetE1EEEvT1_,"axG",@progbits,_ZN7rocprim17ROCPRIM_400000_NS6detail17trampoline_kernelINS0_14default_configENS1_25partition_config_selectorILNS1_17partition_subalgoE8EN3c104HalfENS0_10empty_typeEbEEZZNS1_14partition_implILS5_8ELb0ES3_jPKS7_PS8_PKS8_NS0_5tupleIJPS7_S8_EEENSG_IJSD_SD_EEENS0_18inequality_wrapperIN6hipcub16HIPCUB_304000_NS8EqualityEEEPlJS8_EEE10hipError_tPvRmT3_T4_T5_T6_T7_T9_mT8_P12ihipStream_tbDpT10_ENKUlT_T0_E_clISt17integral_constantIbLb1EES18_IbLb0EEEEDaS14_S15_EUlS14_E_NS1_11comp_targetILNS1_3genE3ELNS1_11target_archE908ELNS1_3gpuE7ELNS1_3repE0EEENS1_30default_config_static_selectorELNS0_4arch9wavefront6targetE1EEEvT1_,comdat
.Lfunc_end912:
	.size	_ZN7rocprim17ROCPRIM_400000_NS6detail17trampoline_kernelINS0_14default_configENS1_25partition_config_selectorILNS1_17partition_subalgoE8EN3c104HalfENS0_10empty_typeEbEEZZNS1_14partition_implILS5_8ELb0ES3_jPKS7_PS8_PKS8_NS0_5tupleIJPS7_S8_EEENSG_IJSD_SD_EEENS0_18inequality_wrapperIN6hipcub16HIPCUB_304000_NS8EqualityEEEPlJS8_EEE10hipError_tPvRmT3_T4_T5_T6_T7_T9_mT8_P12ihipStream_tbDpT10_ENKUlT_T0_E_clISt17integral_constantIbLb1EES18_IbLb0EEEEDaS14_S15_EUlS14_E_NS1_11comp_targetILNS1_3genE3ELNS1_11target_archE908ELNS1_3gpuE7ELNS1_3repE0EEENS1_30default_config_static_selectorELNS0_4arch9wavefront6targetE1EEEvT1_, .Lfunc_end912-_ZN7rocprim17ROCPRIM_400000_NS6detail17trampoline_kernelINS0_14default_configENS1_25partition_config_selectorILNS1_17partition_subalgoE8EN3c104HalfENS0_10empty_typeEbEEZZNS1_14partition_implILS5_8ELb0ES3_jPKS7_PS8_PKS8_NS0_5tupleIJPS7_S8_EEENSG_IJSD_SD_EEENS0_18inequality_wrapperIN6hipcub16HIPCUB_304000_NS8EqualityEEEPlJS8_EEE10hipError_tPvRmT3_T4_T5_T6_T7_T9_mT8_P12ihipStream_tbDpT10_ENKUlT_T0_E_clISt17integral_constantIbLb1EES18_IbLb0EEEEDaS14_S15_EUlS14_E_NS1_11comp_targetILNS1_3genE3ELNS1_11target_archE908ELNS1_3gpuE7ELNS1_3repE0EEENS1_30default_config_static_selectorELNS0_4arch9wavefront6targetE1EEEvT1_
                                        ; -- End function
	.section	.AMDGPU.csdata,"",@progbits
; Kernel info:
; codeLenInByte = 0
; NumSgprs: 6
; NumVgprs: 0
; NumAgprs: 0
; TotalNumVgprs: 0
; ScratchSize: 0
; MemoryBound: 0
; FloatMode: 240
; IeeeMode: 1
; LDSByteSize: 0 bytes/workgroup (compile time only)
; SGPRBlocks: 0
; VGPRBlocks: 0
; NumSGPRsForWavesPerEU: 6
; NumVGPRsForWavesPerEU: 1
; AccumOffset: 4
; Occupancy: 8
; WaveLimiterHint : 0
; COMPUTE_PGM_RSRC2:SCRATCH_EN: 0
; COMPUTE_PGM_RSRC2:USER_SGPR: 2
; COMPUTE_PGM_RSRC2:TRAP_HANDLER: 0
; COMPUTE_PGM_RSRC2:TGID_X_EN: 1
; COMPUTE_PGM_RSRC2:TGID_Y_EN: 0
; COMPUTE_PGM_RSRC2:TGID_Z_EN: 0
; COMPUTE_PGM_RSRC2:TIDIG_COMP_CNT: 0
; COMPUTE_PGM_RSRC3_GFX90A:ACCUM_OFFSET: 0
; COMPUTE_PGM_RSRC3_GFX90A:TG_SPLIT: 0
	.section	.text._ZN7rocprim17ROCPRIM_400000_NS6detail17trampoline_kernelINS0_14default_configENS1_25partition_config_selectorILNS1_17partition_subalgoE8EN3c104HalfENS0_10empty_typeEbEEZZNS1_14partition_implILS5_8ELb0ES3_jPKS7_PS8_PKS8_NS0_5tupleIJPS7_S8_EEENSG_IJSD_SD_EEENS0_18inequality_wrapperIN6hipcub16HIPCUB_304000_NS8EqualityEEEPlJS8_EEE10hipError_tPvRmT3_T4_T5_T6_T7_T9_mT8_P12ihipStream_tbDpT10_ENKUlT_T0_E_clISt17integral_constantIbLb1EES18_IbLb0EEEEDaS14_S15_EUlS14_E_NS1_11comp_targetILNS1_3genE2ELNS1_11target_archE906ELNS1_3gpuE6ELNS1_3repE0EEENS1_30default_config_static_selectorELNS0_4arch9wavefront6targetE1EEEvT1_,"axG",@progbits,_ZN7rocprim17ROCPRIM_400000_NS6detail17trampoline_kernelINS0_14default_configENS1_25partition_config_selectorILNS1_17partition_subalgoE8EN3c104HalfENS0_10empty_typeEbEEZZNS1_14partition_implILS5_8ELb0ES3_jPKS7_PS8_PKS8_NS0_5tupleIJPS7_S8_EEENSG_IJSD_SD_EEENS0_18inequality_wrapperIN6hipcub16HIPCUB_304000_NS8EqualityEEEPlJS8_EEE10hipError_tPvRmT3_T4_T5_T6_T7_T9_mT8_P12ihipStream_tbDpT10_ENKUlT_T0_E_clISt17integral_constantIbLb1EES18_IbLb0EEEEDaS14_S15_EUlS14_E_NS1_11comp_targetILNS1_3genE2ELNS1_11target_archE906ELNS1_3gpuE6ELNS1_3repE0EEENS1_30default_config_static_selectorELNS0_4arch9wavefront6targetE1EEEvT1_,comdat
	.protected	_ZN7rocprim17ROCPRIM_400000_NS6detail17trampoline_kernelINS0_14default_configENS1_25partition_config_selectorILNS1_17partition_subalgoE8EN3c104HalfENS0_10empty_typeEbEEZZNS1_14partition_implILS5_8ELb0ES3_jPKS7_PS8_PKS8_NS0_5tupleIJPS7_S8_EEENSG_IJSD_SD_EEENS0_18inequality_wrapperIN6hipcub16HIPCUB_304000_NS8EqualityEEEPlJS8_EEE10hipError_tPvRmT3_T4_T5_T6_T7_T9_mT8_P12ihipStream_tbDpT10_ENKUlT_T0_E_clISt17integral_constantIbLb1EES18_IbLb0EEEEDaS14_S15_EUlS14_E_NS1_11comp_targetILNS1_3genE2ELNS1_11target_archE906ELNS1_3gpuE6ELNS1_3repE0EEENS1_30default_config_static_selectorELNS0_4arch9wavefront6targetE1EEEvT1_ ; -- Begin function _ZN7rocprim17ROCPRIM_400000_NS6detail17trampoline_kernelINS0_14default_configENS1_25partition_config_selectorILNS1_17partition_subalgoE8EN3c104HalfENS0_10empty_typeEbEEZZNS1_14partition_implILS5_8ELb0ES3_jPKS7_PS8_PKS8_NS0_5tupleIJPS7_S8_EEENSG_IJSD_SD_EEENS0_18inequality_wrapperIN6hipcub16HIPCUB_304000_NS8EqualityEEEPlJS8_EEE10hipError_tPvRmT3_T4_T5_T6_T7_T9_mT8_P12ihipStream_tbDpT10_ENKUlT_T0_E_clISt17integral_constantIbLb1EES18_IbLb0EEEEDaS14_S15_EUlS14_E_NS1_11comp_targetILNS1_3genE2ELNS1_11target_archE906ELNS1_3gpuE6ELNS1_3repE0EEENS1_30default_config_static_selectorELNS0_4arch9wavefront6targetE1EEEvT1_
	.globl	_ZN7rocprim17ROCPRIM_400000_NS6detail17trampoline_kernelINS0_14default_configENS1_25partition_config_selectorILNS1_17partition_subalgoE8EN3c104HalfENS0_10empty_typeEbEEZZNS1_14partition_implILS5_8ELb0ES3_jPKS7_PS8_PKS8_NS0_5tupleIJPS7_S8_EEENSG_IJSD_SD_EEENS0_18inequality_wrapperIN6hipcub16HIPCUB_304000_NS8EqualityEEEPlJS8_EEE10hipError_tPvRmT3_T4_T5_T6_T7_T9_mT8_P12ihipStream_tbDpT10_ENKUlT_T0_E_clISt17integral_constantIbLb1EES18_IbLb0EEEEDaS14_S15_EUlS14_E_NS1_11comp_targetILNS1_3genE2ELNS1_11target_archE906ELNS1_3gpuE6ELNS1_3repE0EEENS1_30default_config_static_selectorELNS0_4arch9wavefront6targetE1EEEvT1_
	.p2align	8
	.type	_ZN7rocprim17ROCPRIM_400000_NS6detail17trampoline_kernelINS0_14default_configENS1_25partition_config_selectorILNS1_17partition_subalgoE8EN3c104HalfENS0_10empty_typeEbEEZZNS1_14partition_implILS5_8ELb0ES3_jPKS7_PS8_PKS8_NS0_5tupleIJPS7_S8_EEENSG_IJSD_SD_EEENS0_18inequality_wrapperIN6hipcub16HIPCUB_304000_NS8EqualityEEEPlJS8_EEE10hipError_tPvRmT3_T4_T5_T6_T7_T9_mT8_P12ihipStream_tbDpT10_ENKUlT_T0_E_clISt17integral_constantIbLb1EES18_IbLb0EEEEDaS14_S15_EUlS14_E_NS1_11comp_targetILNS1_3genE2ELNS1_11target_archE906ELNS1_3gpuE6ELNS1_3repE0EEENS1_30default_config_static_selectorELNS0_4arch9wavefront6targetE1EEEvT1_,@function
_ZN7rocprim17ROCPRIM_400000_NS6detail17trampoline_kernelINS0_14default_configENS1_25partition_config_selectorILNS1_17partition_subalgoE8EN3c104HalfENS0_10empty_typeEbEEZZNS1_14partition_implILS5_8ELb0ES3_jPKS7_PS8_PKS8_NS0_5tupleIJPS7_S8_EEENSG_IJSD_SD_EEENS0_18inequality_wrapperIN6hipcub16HIPCUB_304000_NS8EqualityEEEPlJS8_EEE10hipError_tPvRmT3_T4_T5_T6_T7_T9_mT8_P12ihipStream_tbDpT10_ENKUlT_T0_E_clISt17integral_constantIbLb1EES18_IbLb0EEEEDaS14_S15_EUlS14_E_NS1_11comp_targetILNS1_3genE2ELNS1_11target_archE906ELNS1_3gpuE6ELNS1_3repE0EEENS1_30default_config_static_selectorELNS0_4arch9wavefront6targetE1EEEvT1_: ; @_ZN7rocprim17ROCPRIM_400000_NS6detail17trampoline_kernelINS0_14default_configENS1_25partition_config_selectorILNS1_17partition_subalgoE8EN3c104HalfENS0_10empty_typeEbEEZZNS1_14partition_implILS5_8ELb0ES3_jPKS7_PS8_PKS8_NS0_5tupleIJPS7_S8_EEENSG_IJSD_SD_EEENS0_18inequality_wrapperIN6hipcub16HIPCUB_304000_NS8EqualityEEEPlJS8_EEE10hipError_tPvRmT3_T4_T5_T6_T7_T9_mT8_P12ihipStream_tbDpT10_ENKUlT_T0_E_clISt17integral_constantIbLb1EES18_IbLb0EEEEDaS14_S15_EUlS14_E_NS1_11comp_targetILNS1_3genE2ELNS1_11target_archE906ELNS1_3gpuE6ELNS1_3repE0EEENS1_30default_config_static_selectorELNS0_4arch9wavefront6targetE1EEEvT1_
; %bb.0:
	.section	.rodata,"a",@progbits
	.p2align	6, 0x0
	.amdhsa_kernel _ZN7rocprim17ROCPRIM_400000_NS6detail17trampoline_kernelINS0_14default_configENS1_25partition_config_selectorILNS1_17partition_subalgoE8EN3c104HalfENS0_10empty_typeEbEEZZNS1_14partition_implILS5_8ELb0ES3_jPKS7_PS8_PKS8_NS0_5tupleIJPS7_S8_EEENSG_IJSD_SD_EEENS0_18inequality_wrapperIN6hipcub16HIPCUB_304000_NS8EqualityEEEPlJS8_EEE10hipError_tPvRmT3_T4_T5_T6_T7_T9_mT8_P12ihipStream_tbDpT10_ENKUlT_T0_E_clISt17integral_constantIbLb1EES18_IbLb0EEEEDaS14_S15_EUlS14_E_NS1_11comp_targetILNS1_3genE2ELNS1_11target_archE906ELNS1_3gpuE6ELNS1_3repE0EEENS1_30default_config_static_selectorELNS0_4arch9wavefront6targetE1EEEvT1_
		.amdhsa_group_segment_fixed_size 0
		.amdhsa_private_segment_fixed_size 0
		.amdhsa_kernarg_size 112
		.amdhsa_user_sgpr_count 2
		.amdhsa_user_sgpr_dispatch_ptr 0
		.amdhsa_user_sgpr_queue_ptr 0
		.amdhsa_user_sgpr_kernarg_segment_ptr 1
		.amdhsa_user_sgpr_dispatch_id 0
		.amdhsa_user_sgpr_kernarg_preload_length 0
		.amdhsa_user_sgpr_kernarg_preload_offset 0
		.amdhsa_user_sgpr_private_segment_size 0
		.amdhsa_uses_dynamic_stack 0
		.amdhsa_enable_private_segment 0
		.amdhsa_system_sgpr_workgroup_id_x 1
		.amdhsa_system_sgpr_workgroup_id_y 0
		.amdhsa_system_sgpr_workgroup_id_z 0
		.amdhsa_system_sgpr_workgroup_info 0
		.amdhsa_system_vgpr_workitem_id 0
		.amdhsa_next_free_vgpr 1
		.amdhsa_next_free_sgpr 0
		.amdhsa_accum_offset 4
		.amdhsa_reserve_vcc 0
		.amdhsa_float_round_mode_32 0
		.amdhsa_float_round_mode_16_64 0
		.amdhsa_float_denorm_mode_32 3
		.amdhsa_float_denorm_mode_16_64 3
		.amdhsa_dx10_clamp 1
		.amdhsa_ieee_mode 1
		.amdhsa_fp16_overflow 0
		.amdhsa_tg_split 0
		.amdhsa_exception_fp_ieee_invalid_op 0
		.amdhsa_exception_fp_denorm_src 0
		.amdhsa_exception_fp_ieee_div_zero 0
		.amdhsa_exception_fp_ieee_overflow 0
		.amdhsa_exception_fp_ieee_underflow 0
		.amdhsa_exception_fp_ieee_inexact 0
		.amdhsa_exception_int_div_zero 0
	.end_amdhsa_kernel
	.section	.text._ZN7rocprim17ROCPRIM_400000_NS6detail17trampoline_kernelINS0_14default_configENS1_25partition_config_selectorILNS1_17partition_subalgoE8EN3c104HalfENS0_10empty_typeEbEEZZNS1_14partition_implILS5_8ELb0ES3_jPKS7_PS8_PKS8_NS0_5tupleIJPS7_S8_EEENSG_IJSD_SD_EEENS0_18inequality_wrapperIN6hipcub16HIPCUB_304000_NS8EqualityEEEPlJS8_EEE10hipError_tPvRmT3_T4_T5_T6_T7_T9_mT8_P12ihipStream_tbDpT10_ENKUlT_T0_E_clISt17integral_constantIbLb1EES18_IbLb0EEEEDaS14_S15_EUlS14_E_NS1_11comp_targetILNS1_3genE2ELNS1_11target_archE906ELNS1_3gpuE6ELNS1_3repE0EEENS1_30default_config_static_selectorELNS0_4arch9wavefront6targetE1EEEvT1_,"axG",@progbits,_ZN7rocprim17ROCPRIM_400000_NS6detail17trampoline_kernelINS0_14default_configENS1_25partition_config_selectorILNS1_17partition_subalgoE8EN3c104HalfENS0_10empty_typeEbEEZZNS1_14partition_implILS5_8ELb0ES3_jPKS7_PS8_PKS8_NS0_5tupleIJPS7_S8_EEENSG_IJSD_SD_EEENS0_18inequality_wrapperIN6hipcub16HIPCUB_304000_NS8EqualityEEEPlJS8_EEE10hipError_tPvRmT3_T4_T5_T6_T7_T9_mT8_P12ihipStream_tbDpT10_ENKUlT_T0_E_clISt17integral_constantIbLb1EES18_IbLb0EEEEDaS14_S15_EUlS14_E_NS1_11comp_targetILNS1_3genE2ELNS1_11target_archE906ELNS1_3gpuE6ELNS1_3repE0EEENS1_30default_config_static_selectorELNS0_4arch9wavefront6targetE1EEEvT1_,comdat
.Lfunc_end913:
	.size	_ZN7rocprim17ROCPRIM_400000_NS6detail17trampoline_kernelINS0_14default_configENS1_25partition_config_selectorILNS1_17partition_subalgoE8EN3c104HalfENS0_10empty_typeEbEEZZNS1_14partition_implILS5_8ELb0ES3_jPKS7_PS8_PKS8_NS0_5tupleIJPS7_S8_EEENSG_IJSD_SD_EEENS0_18inequality_wrapperIN6hipcub16HIPCUB_304000_NS8EqualityEEEPlJS8_EEE10hipError_tPvRmT3_T4_T5_T6_T7_T9_mT8_P12ihipStream_tbDpT10_ENKUlT_T0_E_clISt17integral_constantIbLb1EES18_IbLb0EEEEDaS14_S15_EUlS14_E_NS1_11comp_targetILNS1_3genE2ELNS1_11target_archE906ELNS1_3gpuE6ELNS1_3repE0EEENS1_30default_config_static_selectorELNS0_4arch9wavefront6targetE1EEEvT1_, .Lfunc_end913-_ZN7rocprim17ROCPRIM_400000_NS6detail17trampoline_kernelINS0_14default_configENS1_25partition_config_selectorILNS1_17partition_subalgoE8EN3c104HalfENS0_10empty_typeEbEEZZNS1_14partition_implILS5_8ELb0ES3_jPKS7_PS8_PKS8_NS0_5tupleIJPS7_S8_EEENSG_IJSD_SD_EEENS0_18inequality_wrapperIN6hipcub16HIPCUB_304000_NS8EqualityEEEPlJS8_EEE10hipError_tPvRmT3_T4_T5_T6_T7_T9_mT8_P12ihipStream_tbDpT10_ENKUlT_T0_E_clISt17integral_constantIbLb1EES18_IbLb0EEEEDaS14_S15_EUlS14_E_NS1_11comp_targetILNS1_3genE2ELNS1_11target_archE906ELNS1_3gpuE6ELNS1_3repE0EEENS1_30default_config_static_selectorELNS0_4arch9wavefront6targetE1EEEvT1_
                                        ; -- End function
	.section	.AMDGPU.csdata,"",@progbits
; Kernel info:
; codeLenInByte = 0
; NumSgprs: 6
; NumVgprs: 0
; NumAgprs: 0
; TotalNumVgprs: 0
; ScratchSize: 0
; MemoryBound: 0
; FloatMode: 240
; IeeeMode: 1
; LDSByteSize: 0 bytes/workgroup (compile time only)
; SGPRBlocks: 0
; VGPRBlocks: 0
; NumSGPRsForWavesPerEU: 6
; NumVGPRsForWavesPerEU: 1
; AccumOffset: 4
; Occupancy: 8
; WaveLimiterHint : 0
; COMPUTE_PGM_RSRC2:SCRATCH_EN: 0
; COMPUTE_PGM_RSRC2:USER_SGPR: 2
; COMPUTE_PGM_RSRC2:TRAP_HANDLER: 0
; COMPUTE_PGM_RSRC2:TGID_X_EN: 1
; COMPUTE_PGM_RSRC2:TGID_Y_EN: 0
; COMPUTE_PGM_RSRC2:TGID_Z_EN: 0
; COMPUTE_PGM_RSRC2:TIDIG_COMP_CNT: 0
; COMPUTE_PGM_RSRC3_GFX90A:ACCUM_OFFSET: 0
; COMPUTE_PGM_RSRC3_GFX90A:TG_SPLIT: 0
	.section	.text._ZN7rocprim17ROCPRIM_400000_NS6detail17trampoline_kernelINS0_14default_configENS1_25partition_config_selectorILNS1_17partition_subalgoE8EN3c104HalfENS0_10empty_typeEbEEZZNS1_14partition_implILS5_8ELb0ES3_jPKS7_PS8_PKS8_NS0_5tupleIJPS7_S8_EEENSG_IJSD_SD_EEENS0_18inequality_wrapperIN6hipcub16HIPCUB_304000_NS8EqualityEEEPlJS8_EEE10hipError_tPvRmT3_T4_T5_T6_T7_T9_mT8_P12ihipStream_tbDpT10_ENKUlT_T0_E_clISt17integral_constantIbLb1EES18_IbLb0EEEEDaS14_S15_EUlS14_E_NS1_11comp_targetILNS1_3genE10ELNS1_11target_archE1200ELNS1_3gpuE4ELNS1_3repE0EEENS1_30default_config_static_selectorELNS0_4arch9wavefront6targetE1EEEvT1_,"axG",@progbits,_ZN7rocprim17ROCPRIM_400000_NS6detail17trampoline_kernelINS0_14default_configENS1_25partition_config_selectorILNS1_17partition_subalgoE8EN3c104HalfENS0_10empty_typeEbEEZZNS1_14partition_implILS5_8ELb0ES3_jPKS7_PS8_PKS8_NS0_5tupleIJPS7_S8_EEENSG_IJSD_SD_EEENS0_18inequality_wrapperIN6hipcub16HIPCUB_304000_NS8EqualityEEEPlJS8_EEE10hipError_tPvRmT3_T4_T5_T6_T7_T9_mT8_P12ihipStream_tbDpT10_ENKUlT_T0_E_clISt17integral_constantIbLb1EES18_IbLb0EEEEDaS14_S15_EUlS14_E_NS1_11comp_targetILNS1_3genE10ELNS1_11target_archE1200ELNS1_3gpuE4ELNS1_3repE0EEENS1_30default_config_static_selectorELNS0_4arch9wavefront6targetE1EEEvT1_,comdat
	.protected	_ZN7rocprim17ROCPRIM_400000_NS6detail17trampoline_kernelINS0_14default_configENS1_25partition_config_selectorILNS1_17partition_subalgoE8EN3c104HalfENS0_10empty_typeEbEEZZNS1_14partition_implILS5_8ELb0ES3_jPKS7_PS8_PKS8_NS0_5tupleIJPS7_S8_EEENSG_IJSD_SD_EEENS0_18inequality_wrapperIN6hipcub16HIPCUB_304000_NS8EqualityEEEPlJS8_EEE10hipError_tPvRmT3_T4_T5_T6_T7_T9_mT8_P12ihipStream_tbDpT10_ENKUlT_T0_E_clISt17integral_constantIbLb1EES18_IbLb0EEEEDaS14_S15_EUlS14_E_NS1_11comp_targetILNS1_3genE10ELNS1_11target_archE1200ELNS1_3gpuE4ELNS1_3repE0EEENS1_30default_config_static_selectorELNS0_4arch9wavefront6targetE1EEEvT1_ ; -- Begin function _ZN7rocprim17ROCPRIM_400000_NS6detail17trampoline_kernelINS0_14default_configENS1_25partition_config_selectorILNS1_17partition_subalgoE8EN3c104HalfENS0_10empty_typeEbEEZZNS1_14partition_implILS5_8ELb0ES3_jPKS7_PS8_PKS8_NS0_5tupleIJPS7_S8_EEENSG_IJSD_SD_EEENS0_18inequality_wrapperIN6hipcub16HIPCUB_304000_NS8EqualityEEEPlJS8_EEE10hipError_tPvRmT3_T4_T5_T6_T7_T9_mT8_P12ihipStream_tbDpT10_ENKUlT_T0_E_clISt17integral_constantIbLb1EES18_IbLb0EEEEDaS14_S15_EUlS14_E_NS1_11comp_targetILNS1_3genE10ELNS1_11target_archE1200ELNS1_3gpuE4ELNS1_3repE0EEENS1_30default_config_static_selectorELNS0_4arch9wavefront6targetE1EEEvT1_
	.globl	_ZN7rocprim17ROCPRIM_400000_NS6detail17trampoline_kernelINS0_14default_configENS1_25partition_config_selectorILNS1_17partition_subalgoE8EN3c104HalfENS0_10empty_typeEbEEZZNS1_14partition_implILS5_8ELb0ES3_jPKS7_PS8_PKS8_NS0_5tupleIJPS7_S8_EEENSG_IJSD_SD_EEENS0_18inequality_wrapperIN6hipcub16HIPCUB_304000_NS8EqualityEEEPlJS8_EEE10hipError_tPvRmT3_T4_T5_T6_T7_T9_mT8_P12ihipStream_tbDpT10_ENKUlT_T0_E_clISt17integral_constantIbLb1EES18_IbLb0EEEEDaS14_S15_EUlS14_E_NS1_11comp_targetILNS1_3genE10ELNS1_11target_archE1200ELNS1_3gpuE4ELNS1_3repE0EEENS1_30default_config_static_selectorELNS0_4arch9wavefront6targetE1EEEvT1_
	.p2align	8
	.type	_ZN7rocprim17ROCPRIM_400000_NS6detail17trampoline_kernelINS0_14default_configENS1_25partition_config_selectorILNS1_17partition_subalgoE8EN3c104HalfENS0_10empty_typeEbEEZZNS1_14partition_implILS5_8ELb0ES3_jPKS7_PS8_PKS8_NS0_5tupleIJPS7_S8_EEENSG_IJSD_SD_EEENS0_18inequality_wrapperIN6hipcub16HIPCUB_304000_NS8EqualityEEEPlJS8_EEE10hipError_tPvRmT3_T4_T5_T6_T7_T9_mT8_P12ihipStream_tbDpT10_ENKUlT_T0_E_clISt17integral_constantIbLb1EES18_IbLb0EEEEDaS14_S15_EUlS14_E_NS1_11comp_targetILNS1_3genE10ELNS1_11target_archE1200ELNS1_3gpuE4ELNS1_3repE0EEENS1_30default_config_static_selectorELNS0_4arch9wavefront6targetE1EEEvT1_,@function
_ZN7rocprim17ROCPRIM_400000_NS6detail17trampoline_kernelINS0_14default_configENS1_25partition_config_selectorILNS1_17partition_subalgoE8EN3c104HalfENS0_10empty_typeEbEEZZNS1_14partition_implILS5_8ELb0ES3_jPKS7_PS8_PKS8_NS0_5tupleIJPS7_S8_EEENSG_IJSD_SD_EEENS0_18inequality_wrapperIN6hipcub16HIPCUB_304000_NS8EqualityEEEPlJS8_EEE10hipError_tPvRmT3_T4_T5_T6_T7_T9_mT8_P12ihipStream_tbDpT10_ENKUlT_T0_E_clISt17integral_constantIbLb1EES18_IbLb0EEEEDaS14_S15_EUlS14_E_NS1_11comp_targetILNS1_3genE10ELNS1_11target_archE1200ELNS1_3gpuE4ELNS1_3repE0EEENS1_30default_config_static_selectorELNS0_4arch9wavefront6targetE1EEEvT1_: ; @_ZN7rocprim17ROCPRIM_400000_NS6detail17trampoline_kernelINS0_14default_configENS1_25partition_config_selectorILNS1_17partition_subalgoE8EN3c104HalfENS0_10empty_typeEbEEZZNS1_14partition_implILS5_8ELb0ES3_jPKS7_PS8_PKS8_NS0_5tupleIJPS7_S8_EEENSG_IJSD_SD_EEENS0_18inequality_wrapperIN6hipcub16HIPCUB_304000_NS8EqualityEEEPlJS8_EEE10hipError_tPvRmT3_T4_T5_T6_T7_T9_mT8_P12ihipStream_tbDpT10_ENKUlT_T0_E_clISt17integral_constantIbLb1EES18_IbLb0EEEEDaS14_S15_EUlS14_E_NS1_11comp_targetILNS1_3genE10ELNS1_11target_archE1200ELNS1_3gpuE4ELNS1_3repE0EEENS1_30default_config_static_selectorELNS0_4arch9wavefront6targetE1EEEvT1_
; %bb.0:
	.section	.rodata,"a",@progbits
	.p2align	6, 0x0
	.amdhsa_kernel _ZN7rocprim17ROCPRIM_400000_NS6detail17trampoline_kernelINS0_14default_configENS1_25partition_config_selectorILNS1_17partition_subalgoE8EN3c104HalfENS0_10empty_typeEbEEZZNS1_14partition_implILS5_8ELb0ES3_jPKS7_PS8_PKS8_NS0_5tupleIJPS7_S8_EEENSG_IJSD_SD_EEENS0_18inequality_wrapperIN6hipcub16HIPCUB_304000_NS8EqualityEEEPlJS8_EEE10hipError_tPvRmT3_T4_T5_T6_T7_T9_mT8_P12ihipStream_tbDpT10_ENKUlT_T0_E_clISt17integral_constantIbLb1EES18_IbLb0EEEEDaS14_S15_EUlS14_E_NS1_11comp_targetILNS1_3genE10ELNS1_11target_archE1200ELNS1_3gpuE4ELNS1_3repE0EEENS1_30default_config_static_selectorELNS0_4arch9wavefront6targetE1EEEvT1_
		.amdhsa_group_segment_fixed_size 0
		.amdhsa_private_segment_fixed_size 0
		.amdhsa_kernarg_size 112
		.amdhsa_user_sgpr_count 2
		.amdhsa_user_sgpr_dispatch_ptr 0
		.amdhsa_user_sgpr_queue_ptr 0
		.amdhsa_user_sgpr_kernarg_segment_ptr 1
		.amdhsa_user_sgpr_dispatch_id 0
		.amdhsa_user_sgpr_kernarg_preload_length 0
		.amdhsa_user_sgpr_kernarg_preload_offset 0
		.amdhsa_user_sgpr_private_segment_size 0
		.amdhsa_uses_dynamic_stack 0
		.amdhsa_enable_private_segment 0
		.amdhsa_system_sgpr_workgroup_id_x 1
		.amdhsa_system_sgpr_workgroup_id_y 0
		.amdhsa_system_sgpr_workgroup_id_z 0
		.amdhsa_system_sgpr_workgroup_info 0
		.amdhsa_system_vgpr_workitem_id 0
		.amdhsa_next_free_vgpr 1
		.amdhsa_next_free_sgpr 0
		.amdhsa_accum_offset 4
		.amdhsa_reserve_vcc 0
		.amdhsa_float_round_mode_32 0
		.amdhsa_float_round_mode_16_64 0
		.amdhsa_float_denorm_mode_32 3
		.amdhsa_float_denorm_mode_16_64 3
		.amdhsa_dx10_clamp 1
		.amdhsa_ieee_mode 1
		.amdhsa_fp16_overflow 0
		.amdhsa_tg_split 0
		.amdhsa_exception_fp_ieee_invalid_op 0
		.amdhsa_exception_fp_denorm_src 0
		.amdhsa_exception_fp_ieee_div_zero 0
		.amdhsa_exception_fp_ieee_overflow 0
		.amdhsa_exception_fp_ieee_underflow 0
		.amdhsa_exception_fp_ieee_inexact 0
		.amdhsa_exception_int_div_zero 0
	.end_amdhsa_kernel
	.section	.text._ZN7rocprim17ROCPRIM_400000_NS6detail17trampoline_kernelINS0_14default_configENS1_25partition_config_selectorILNS1_17partition_subalgoE8EN3c104HalfENS0_10empty_typeEbEEZZNS1_14partition_implILS5_8ELb0ES3_jPKS7_PS8_PKS8_NS0_5tupleIJPS7_S8_EEENSG_IJSD_SD_EEENS0_18inequality_wrapperIN6hipcub16HIPCUB_304000_NS8EqualityEEEPlJS8_EEE10hipError_tPvRmT3_T4_T5_T6_T7_T9_mT8_P12ihipStream_tbDpT10_ENKUlT_T0_E_clISt17integral_constantIbLb1EES18_IbLb0EEEEDaS14_S15_EUlS14_E_NS1_11comp_targetILNS1_3genE10ELNS1_11target_archE1200ELNS1_3gpuE4ELNS1_3repE0EEENS1_30default_config_static_selectorELNS0_4arch9wavefront6targetE1EEEvT1_,"axG",@progbits,_ZN7rocprim17ROCPRIM_400000_NS6detail17trampoline_kernelINS0_14default_configENS1_25partition_config_selectorILNS1_17partition_subalgoE8EN3c104HalfENS0_10empty_typeEbEEZZNS1_14partition_implILS5_8ELb0ES3_jPKS7_PS8_PKS8_NS0_5tupleIJPS7_S8_EEENSG_IJSD_SD_EEENS0_18inequality_wrapperIN6hipcub16HIPCUB_304000_NS8EqualityEEEPlJS8_EEE10hipError_tPvRmT3_T4_T5_T6_T7_T9_mT8_P12ihipStream_tbDpT10_ENKUlT_T0_E_clISt17integral_constantIbLb1EES18_IbLb0EEEEDaS14_S15_EUlS14_E_NS1_11comp_targetILNS1_3genE10ELNS1_11target_archE1200ELNS1_3gpuE4ELNS1_3repE0EEENS1_30default_config_static_selectorELNS0_4arch9wavefront6targetE1EEEvT1_,comdat
.Lfunc_end914:
	.size	_ZN7rocprim17ROCPRIM_400000_NS6detail17trampoline_kernelINS0_14default_configENS1_25partition_config_selectorILNS1_17partition_subalgoE8EN3c104HalfENS0_10empty_typeEbEEZZNS1_14partition_implILS5_8ELb0ES3_jPKS7_PS8_PKS8_NS0_5tupleIJPS7_S8_EEENSG_IJSD_SD_EEENS0_18inequality_wrapperIN6hipcub16HIPCUB_304000_NS8EqualityEEEPlJS8_EEE10hipError_tPvRmT3_T4_T5_T6_T7_T9_mT8_P12ihipStream_tbDpT10_ENKUlT_T0_E_clISt17integral_constantIbLb1EES18_IbLb0EEEEDaS14_S15_EUlS14_E_NS1_11comp_targetILNS1_3genE10ELNS1_11target_archE1200ELNS1_3gpuE4ELNS1_3repE0EEENS1_30default_config_static_selectorELNS0_4arch9wavefront6targetE1EEEvT1_, .Lfunc_end914-_ZN7rocprim17ROCPRIM_400000_NS6detail17trampoline_kernelINS0_14default_configENS1_25partition_config_selectorILNS1_17partition_subalgoE8EN3c104HalfENS0_10empty_typeEbEEZZNS1_14partition_implILS5_8ELb0ES3_jPKS7_PS8_PKS8_NS0_5tupleIJPS7_S8_EEENSG_IJSD_SD_EEENS0_18inequality_wrapperIN6hipcub16HIPCUB_304000_NS8EqualityEEEPlJS8_EEE10hipError_tPvRmT3_T4_T5_T6_T7_T9_mT8_P12ihipStream_tbDpT10_ENKUlT_T0_E_clISt17integral_constantIbLb1EES18_IbLb0EEEEDaS14_S15_EUlS14_E_NS1_11comp_targetILNS1_3genE10ELNS1_11target_archE1200ELNS1_3gpuE4ELNS1_3repE0EEENS1_30default_config_static_selectorELNS0_4arch9wavefront6targetE1EEEvT1_
                                        ; -- End function
	.section	.AMDGPU.csdata,"",@progbits
; Kernel info:
; codeLenInByte = 0
; NumSgprs: 6
; NumVgprs: 0
; NumAgprs: 0
; TotalNumVgprs: 0
; ScratchSize: 0
; MemoryBound: 0
; FloatMode: 240
; IeeeMode: 1
; LDSByteSize: 0 bytes/workgroup (compile time only)
; SGPRBlocks: 0
; VGPRBlocks: 0
; NumSGPRsForWavesPerEU: 6
; NumVGPRsForWavesPerEU: 1
; AccumOffset: 4
; Occupancy: 8
; WaveLimiterHint : 0
; COMPUTE_PGM_RSRC2:SCRATCH_EN: 0
; COMPUTE_PGM_RSRC2:USER_SGPR: 2
; COMPUTE_PGM_RSRC2:TRAP_HANDLER: 0
; COMPUTE_PGM_RSRC2:TGID_X_EN: 1
; COMPUTE_PGM_RSRC2:TGID_Y_EN: 0
; COMPUTE_PGM_RSRC2:TGID_Z_EN: 0
; COMPUTE_PGM_RSRC2:TIDIG_COMP_CNT: 0
; COMPUTE_PGM_RSRC3_GFX90A:ACCUM_OFFSET: 0
; COMPUTE_PGM_RSRC3_GFX90A:TG_SPLIT: 0
	.section	.text._ZN7rocprim17ROCPRIM_400000_NS6detail17trampoline_kernelINS0_14default_configENS1_25partition_config_selectorILNS1_17partition_subalgoE8EN3c104HalfENS0_10empty_typeEbEEZZNS1_14partition_implILS5_8ELb0ES3_jPKS7_PS8_PKS8_NS0_5tupleIJPS7_S8_EEENSG_IJSD_SD_EEENS0_18inequality_wrapperIN6hipcub16HIPCUB_304000_NS8EqualityEEEPlJS8_EEE10hipError_tPvRmT3_T4_T5_T6_T7_T9_mT8_P12ihipStream_tbDpT10_ENKUlT_T0_E_clISt17integral_constantIbLb1EES18_IbLb0EEEEDaS14_S15_EUlS14_E_NS1_11comp_targetILNS1_3genE9ELNS1_11target_archE1100ELNS1_3gpuE3ELNS1_3repE0EEENS1_30default_config_static_selectorELNS0_4arch9wavefront6targetE1EEEvT1_,"axG",@progbits,_ZN7rocprim17ROCPRIM_400000_NS6detail17trampoline_kernelINS0_14default_configENS1_25partition_config_selectorILNS1_17partition_subalgoE8EN3c104HalfENS0_10empty_typeEbEEZZNS1_14partition_implILS5_8ELb0ES3_jPKS7_PS8_PKS8_NS0_5tupleIJPS7_S8_EEENSG_IJSD_SD_EEENS0_18inequality_wrapperIN6hipcub16HIPCUB_304000_NS8EqualityEEEPlJS8_EEE10hipError_tPvRmT3_T4_T5_T6_T7_T9_mT8_P12ihipStream_tbDpT10_ENKUlT_T0_E_clISt17integral_constantIbLb1EES18_IbLb0EEEEDaS14_S15_EUlS14_E_NS1_11comp_targetILNS1_3genE9ELNS1_11target_archE1100ELNS1_3gpuE3ELNS1_3repE0EEENS1_30default_config_static_selectorELNS0_4arch9wavefront6targetE1EEEvT1_,comdat
	.protected	_ZN7rocprim17ROCPRIM_400000_NS6detail17trampoline_kernelINS0_14default_configENS1_25partition_config_selectorILNS1_17partition_subalgoE8EN3c104HalfENS0_10empty_typeEbEEZZNS1_14partition_implILS5_8ELb0ES3_jPKS7_PS8_PKS8_NS0_5tupleIJPS7_S8_EEENSG_IJSD_SD_EEENS0_18inequality_wrapperIN6hipcub16HIPCUB_304000_NS8EqualityEEEPlJS8_EEE10hipError_tPvRmT3_T4_T5_T6_T7_T9_mT8_P12ihipStream_tbDpT10_ENKUlT_T0_E_clISt17integral_constantIbLb1EES18_IbLb0EEEEDaS14_S15_EUlS14_E_NS1_11comp_targetILNS1_3genE9ELNS1_11target_archE1100ELNS1_3gpuE3ELNS1_3repE0EEENS1_30default_config_static_selectorELNS0_4arch9wavefront6targetE1EEEvT1_ ; -- Begin function _ZN7rocprim17ROCPRIM_400000_NS6detail17trampoline_kernelINS0_14default_configENS1_25partition_config_selectorILNS1_17partition_subalgoE8EN3c104HalfENS0_10empty_typeEbEEZZNS1_14partition_implILS5_8ELb0ES3_jPKS7_PS8_PKS8_NS0_5tupleIJPS7_S8_EEENSG_IJSD_SD_EEENS0_18inequality_wrapperIN6hipcub16HIPCUB_304000_NS8EqualityEEEPlJS8_EEE10hipError_tPvRmT3_T4_T5_T6_T7_T9_mT8_P12ihipStream_tbDpT10_ENKUlT_T0_E_clISt17integral_constantIbLb1EES18_IbLb0EEEEDaS14_S15_EUlS14_E_NS1_11comp_targetILNS1_3genE9ELNS1_11target_archE1100ELNS1_3gpuE3ELNS1_3repE0EEENS1_30default_config_static_selectorELNS0_4arch9wavefront6targetE1EEEvT1_
	.globl	_ZN7rocprim17ROCPRIM_400000_NS6detail17trampoline_kernelINS0_14default_configENS1_25partition_config_selectorILNS1_17partition_subalgoE8EN3c104HalfENS0_10empty_typeEbEEZZNS1_14partition_implILS5_8ELb0ES3_jPKS7_PS8_PKS8_NS0_5tupleIJPS7_S8_EEENSG_IJSD_SD_EEENS0_18inequality_wrapperIN6hipcub16HIPCUB_304000_NS8EqualityEEEPlJS8_EEE10hipError_tPvRmT3_T4_T5_T6_T7_T9_mT8_P12ihipStream_tbDpT10_ENKUlT_T0_E_clISt17integral_constantIbLb1EES18_IbLb0EEEEDaS14_S15_EUlS14_E_NS1_11comp_targetILNS1_3genE9ELNS1_11target_archE1100ELNS1_3gpuE3ELNS1_3repE0EEENS1_30default_config_static_selectorELNS0_4arch9wavefront6targetE1EEEvT1_
	.p2align	8
	.type	_ZN7rocprim17ROCPRIM_400000_NS6detail17trampoline_kernelINS0_14default_configENS1_25partition_config_selectorILNS1_17partition_subalgoE8EN3c104HalfENS0_10empty_typeEbEEZZNS1_14partition_implILS5_8ELb0ES3_jPKS7_PS8_PKS8_NS0_5tupleIJPS7_S8_EEENSG_IJSD_SD_EEENS0_18inequality_wrapperIN6hipcub16HIPCUB_304000_NS8EqualityEEEPlJS8_EEE10hipError_tPvRmT3_T4_T5_T6_T7_T9_mT8_P12ihipStream_tbDpT10_ENKUlT_T0_E_clISt17integral_constantIbLb1EES18_IbLb0EEEEDaS14_S15_EUlS14_E_NS1_11comp_targetILNS1_3genE9ELNS1_11target_archE1100ELNS1_3gpuE3ELNS1_3repE0EEENS1_30default_config_static_selectorELNS0_4arch9wavefront6targetE1EEEvT1_,@function
_ZN7rocprim17ROCPRIM_400000_NS6detail17trampoline_kernelINS0_14default_configENS1_25partition_config_selectorILNS1_17partition_subalgoE8EN3c104HalfENS0_10empty_typeEbEEZZNS1_14partition_implILS5_8ELb0ES3_jPKS7_PS8_PKS8_NS0_5tupleIJPS7_S8_EEENSG_IJSD_SD_EEENS0_18inequality_wrapperIN6hipcub16HIPCUB_304000_NS8EqualityEEEPlJS8_EEE10hipError_tPvRmT3_T4_T5_T6_T7_T9_mT8_P12ihipStream_tbDpT10_ENKUlT_T0_E_clISt17integral_constantIbLb1EES18_IbLb0EEEEDaS14_S15_EUlS14_E_NS1_11comp_targetILNS1_3genE9ELNS1_11target_archE1100ELNS1_3gpuE3ELNS1_3repE0EEENS1_30default_config_static_selectorELNS0_4arch9wavefront6targetE1EEEvT1_: ; @_ZN7rocprim17ROCPRIM_400000_NS6detail17trampoline_kernelINS0_14default_configENS1_25partition_config_selectorILNS1_17partition_subalgoE8EN3c104HalfENS0_10empty_typeEbEEZZNS1_14partition_implILS5_8ELb0ES3_jPKS7_PS8_PKS8_NS0_5tupleIJPS7_S8_EEENSG_IJSD_SD_EEENS0_18inequality_wrapperIN6hipcub16HIPCUB_304000_NS8EqualityEEEPlJS8_EEE10hipError_tPvRmT3_T4_T5_T6_T7_T9_mT8_P12ihipStream_tbDpT10_ENKUlT_T0_E_clISt17integral_constantIbLb1EES18_IbLb0EEEEDaS14_S15_EUlS14_E_NS1_11comp_targetILNS1_3genE9ELNS1_11target_archE1100ELNS1_3gpuE3ELNS1_3repE0EEENS1_30default_config_static_selectorELNS0_4arch9wavefront6targetE1EEEvT1_
; %bb.0:
	.section	.rodata,"a",@progbits
	.p2align	6, 0x0
	.amdhsa_kernel _ZN7rocprim17ROCPRIM_400000_NS6detail17trampoline_kernelINS0_14default_configENS1_25partition_config_selectorILNS1_17partition_subalgoE8EN3c104HalfENS0_10empty_typeEbEEZZNS1_14partition_implILS5_8ELb0ES3_jPKS7_PS8_PKS8_NS0_5tupleIJPS7_S8_EEENSG_IJSD_SD_EEENS0_18inequality_wrapperIN6hipcub16HIPCUB_304000_NS8EqualityEEEPlJS8_EEE10hipError_tPvRmT3_T4_T5_T6_T7_T9_mT8_P12ihipStream_tbDpT10_ENKUlT_T0_E_clISt17integral_constantIbLb1EES18_IbLb0EEEEDaS14_S15_EUlS14_E_NS1_11comp_targetILNS1_3genE9ELNS1_11target_archE1100ELNS1_3gpuE3ELNS1_3repE0EEENS1_30default_config_static_selectorELNS0_4arch9wavefront6targetE1EEEvT1_
		.amdhsa_group_segment_fixed_size 0
		.amdhsa_private_segment_fixed_size 0
		.amdhsa_kernarg_size 112
		.amdhsa_user_sgpr_count 2
		.amdhsa_user_sgpr_dispatch_ptr 0
		.amdhsa_user_sgpr_queue_ptr 0
		.amdhsa_user_sgpr_kernarg_segment_ptr 1
		.amdhsa_user_sgpr_dispatch_id 0
		.amdhsa_user_sgpr_kernarg_preload_length 0
		.amdhsa_user_sgpr_kernarg_preload_offset 0
		.amdhsa_user_sgpr_private_segment_size 0
		.amdhsa_uses_dynamic_stack 0
		.amdhsa_enable_private_segment 0
		.amdhsa_system_sgpr_workgroup_id_x 1
		.amdhsa_system_sgpr_workgroup_id_y 0
		.amdhsa_system_sgpr_workgroup_id_z 0
		.amdhsa_system_sgpr_workgroup_info 0
		.amdhsa_system_vgpr_workitem_id 0
		.amdhsa_next_free_vgpr 1
		.amdhsa_next_free_sgpr 0
		.amdhsa_accum_offset 4
		.amdhsa_reserve_vcc 0
		.amdhsa_float_round_mode_32 0
		.amdhsa_float_round_mode_16_64 0
		.amdhsa_float_denorm_mode_32 3
		.amdhsa_float_denorm_mode_16_64 3
		.amdhsa_dx10_clamp 1
		.amdhsa_ieee_mode 1
		.amdhsa_fp16_overflow 0
		.amdhsa_tg_split 0
		.amdhsa_exception_fp_ieee_invalid_op 0
		.amdhsa_exception_fp_denorm_src 0
		.amdhsa_exception_fp_ieee_div_zero 0
		.amdhsa_exception_fp_ieee_overflow 0
		.amdhsa_exception_fp_ieee_underflow 0
		.amdhsa_exception_fp_ieee_inexact 0
		.amdhsa_exception_int_div_zero 0
	.end_amdhsa_kernel
	.section	.text._ZN7rocprim17ROCPRIM_400000_NS6detail17trampoline_kernelINS0_14default_configENS1_25partition_config_selectorILNS1_17partition_subalgoE8EN3c104HalfENS0_10empty_typeEbEEZZNS1_14partition_implILS5_8ELb0ES3_jPKS7_PS8_PKS8_NS0_5tupleIJPS7_S8_EEENSG_IJSD_SD_EEENS0_18inequality_wrapperIN6hipcub16HIPCUB_304000_NS8EqualityEEEPlJS8_EEE10hipError_tPvRmT3_T4_T5_T6_T7_T9_mT8_P12ihipStream_tbDpT10_ENKUlT_T0_E_clISt17integral_constantIbLb1EES18_IbLb0EEEEDaS14_S15_EUlS14_E_NS1_11comp_targetILNS1_3genE9ELNS1_11target_archE1100ELNS1_3gpuE3ELNS1_3repE0EEENS1_30default_config_static_selectorELNS0_4arch9wavefront6targetE1EEEvT1_,"axG",@progbits,_ZN7rocprim17ROCPRIM_400000_NS6detail17trampoline_kernelINS0_14default_configENS1_25partition_config_selectorILNS1_17partition_subalgoE8EN3c104HalfENS0_10empty_typeEbEEZZNS1_14partition_implILS5_8ELb0ES3_jPKS7_PS8_PKS8_NS0_5tupleIJPS7_S8_EEENSG_IJSD_SD_EEENS0_18inequality_wrapperIN6hipcub16HIPCUB_304000_NS8EqualityEEEPlJS8_EEE10hipError_tPvRmT3_T4_T5_T6_T7_T9_mT8_P12ihipStream_tbDpT10_ENKUlT_T0_E_clISt17integral_constantIbLb1EES18_IbLb0EEEEDaS14_S15_EUlS14_E_NS1_11comp_targetILNS1_3genE9ELNS1_11target_archE1100ELNS1_3gpuE3ELNS1_3repE0EEENS1_30default_config_static_selectorELNS0_4arch9wavefront6targetE1EEEvT1_,comdat
.Lfunc_end915:
	.size	_ZN7rocprim17ROCPRIM_400000_NS6detail17trampoline_kernelINS0_14default_configENS1_25partition_config_selectorILNS1_17partition_subalgoE8EN3c104HalfENS0_10empty_typeEbEEZZNS1_14partition_implILS5_8ELb0ES3_jPKS7_PS8_PKS8_NS0_5tupleIJPS7_S8_EEENSG_IJSD_SD_EEENS0_18inequality_wrapperIN6hipcub16HIPCUB_304000_NS8EqualityEEEPlJS8_EEE10hipError_tPvRmT3_T4_T5_T6_T7_T9_mT8_P12ihipStream_tbDpT10_ENKUlT_T0_E_clISt17integral_constantIbLb1EES18_IbLb0EEEEDaS14_S15_EUlS14_E_NS1_11comp_targetILNS1_3genE9ELNS1_11target_archE1100ELNS1_3gpuE3ELNS1_3repE0EEENS1_30default_config_static_selectorELNS0_4arch9wavefront6targetE1EEEvT1_, .Lfunc_end915-_ZN7rocprim17ROCPRIM_400000_NS6detail17trampoline_kernelINS0_14default_configENS1_25partition_config_selectorILNS1_17partition_subalgoE8EN3c104HalfENS0_10empty_typeEbEEZZNS1_14partition_implILS5_8ELb0ES3_jPKS7_PS8_PKS8_NS0_5tupleIJPS7_S8_EEENSG_IJSD_SD_EEENS0_18inequality_wrapperIN6hipcub16HIPCUB_304000_NS8EqualityEEEPlJS8_EEE10hipError_tPvRmT3_T4_T5_T6_T7_T9_mT8_P12ihipStream_tbDpT10_ENKUlT_T0_E_clISt17integral_constantIbLb1EES18_IbLb0EEEEDaS14_S15_EUlS14_E_NS1_11comp_targetILNS1_3genE9ELNS1_11target_archE1100ELNS1_3gpuE3ELNS1_3repE0EEENS1_30default_config_static_selectorELNS0_4arch9wavefront6targetE1EEEvT1_
                                        ; -- End function
	.section	.AMDGPU.csdata,"",@progbits
; Kernel info:
; codeLenInByte = 0
; NumSgprs: 6
; NumVgprs: 0
; NumAgprs: 0
; TotalNumVgprs: 0
; ScratchSize: 0
; MemoryBound: 0
; FloatMode: 240
; IeeeMode: 1
; LDSByteSize: 0 bytes/workgroup (compile time only)
; SGPRBlocks: 0
; VGPRBlocks: 0
; NumSGPRsForWavesPerEU: 6
; NumVGPRsForWavesPerEU: 1
; AccumOffset: 4
; Occupancy: 8
; WaveLimiterHint : 0
; COMPUTE_PGM_RSRC2:SCRATCH_EN: 0
; COMPUTE_PGM_RSRC2:USER_SGPR: 2
; COMPUTE_PGM_RSRC2:TRAP_HANDLER: 0
; COMPUTE_PGM_RSRC2:TGID_X_EN: 1
; COMPUTE_PGM_RSRC2:TGID_Y_EN: 0
; COMPUTE_PGM_RSRC2:TGID_Z_EN: 0
; COMPUTE_PGM_RSRC2:TIDIG_COMP_CNT: 0
; COMPUTE_PGM_RSRC3_GFX90A:ACCUM_OFFSET: 0
; COMPUTE_PGM_RSRC3_GFX90A:TG_SPLIT: 0
	.section	.text._ZN7rocprim17ROCPRIM_400000_NS6detail17trampoline_kernelINS0_14default_configENS1_25partition_config_selectorILNS1_17partition_subalgoE8EN3c104HalfENS0_10empty_typeEbEEZZNS1_14partition_implILS5_8ELb0ES3_jPKS7_PS8_PKS8_NS0_5tupleIJPS7_S8_EEENSG_IJSD_SD_EEENS0_18inequality_wrapperIN6hipcub16HIPCUB_304000_NS8EqualityEEEPlJS8_EEE10hipError_tPvRmT3_T4_T5_T6_T7_T9_mT8_P12ihipStream_tbDpT10_ENKUlT_T0_E_clISt17integral_constantIbLb1EES18_IbLb0EEEEDaS14_S15_EUlS14_E_NS1_11comp_targetILNS1_3genE8ELNS1_11target_archE1030ELNS1_3gpuE2ELNS1_3repE0EEENS1_30default_config_static_selectorELNS0_4arch9wavefront6targetE1EEEvT1_,"axG",@progbits,_ZN7rocprim17ROCPRIM_400000_NS6detail17trampoline_kernelINS0_14default_configENS1_25partition_config_selectorILNS1_17partition_subalgoE8EN3c104HalfENS0_10empty_typeEbEEZZNS1_14partition_implILS5_8ELb0ES3_jPKS7_PS8_PKS8_NS0_5tupleIJPS7_S8_EEENSG_IJSD_SD_EEENS0_18inequality_wrapperIN6hipcub16HIPCUB_304000_NS8EqualityEEEPlJS8_EEE10hipError_tPvRmT3_T4_T5_T6_T7_T9_mT8_P12ihipStream_tbDpT10_ENKUlT_T0_E_clISt17integral_constantIbLb1EES18_IbLb0EEEEDaS14_S15_EUlS14_E_NS1_11comp_targetILNS1_3genE8ELNS1_11target_archE1030ELNS1_3gpuE2ELNS1_3repE0EEENS1_30default_config_static_selectorELNS0_4arch9wavefront6targetE1EEEvT1_,comdat
	.protected	_ZN7rocprim17ROCPRIM_400000_NS6detail17trampoline_kernelINS0_14default_configENS1_25partition_config_selectorILNS1_17partition_subalgoE8EN3c104HalfENS0_10empty_typeEbEEZZNS1_14partition_implILS5_8ELb0ES3_jPKS7_PS8_PKS8_NS0_5tupleIJPS7_S8_EEENSG_IJSD_SD_EEENS0_18inequality_wrapperIN6hipcub16HIPCUB_304000_NS8EqualityEEEPlJS8_EEE10hipError_tPvRmT3_T4_T5_T6_T7_T9_mT8_P12ihipStream_tbDpT10_ENKUlT_T0_E_clISt17integral_constantIbLb1EES18_IbLb0EEEEDaS14_S15_EUlS14_E_NS1_11comp_targetILNS1_3genE8ELNS1_11target_archE1030ELNS1_3gpuE2ELNS1_3repE0EEENS1_30default_config_static_selectorELNS0_4arch9wavefront6targetE1EEEvT1_ ; -- Begin function _ZN7rocprim17ROCPRIM_400000_NS6detail17trampoline_kernelINS0_14default_configENS1_25partition_config_selectorILNS1_17partition_subalgoE8EN3c104HalfENS0_10empty_typeEbEEZZNS1_14partition_implILS5_8ELb0ES3_jPKS7_PS8_PKS8_NS0_5tupleIJPS7_S8_EEENSG_IJSD_SD_EEENS0_18inequality_wrapperIN6hipcub16HIPCUB_304000_NS8EqualityEEEPlJS8_EEE10hipError_tPvRmT3_T4_T5_T6_T7_T9_mT8_P12ihipStream_tbDpT10_ENKUlT_T0_E_clISt17integral_constantIbLb1EES18_IbLb0EEEEDaS14_S15_EUlS14_E_NS1_11comp_targetILNS1_3genE8ELNS1_11target_archE1030ELNS1_3gpuE2ELNS1_3repE0EEENS1_30default_config_static_selectorELNS0_4arch9wavefront6targetE1EEEvT1_
	.globl	_ZN7rocprim17ROCPRIM_400000_NS6detail17trampoline_kernelINS0_14default_configENS1_25partition_config_selectorILNS1_17partition_subalgoE8EN3c104HalfENS0_10empty_typeEbEEZZNS1_14partition_implILS5_8ELb0ES3_jPKS7_PS8_PKS8_NS0_5tupleIJPS7_S8_EEENSG_IJSD_SD_EEENS0_18inequality_wrapperIN6hipcub16HIPCUB_304000_NS8EqualityEEEPlJS8_EEE10hipError_tPvRmT3_T4_T5_T6_T7_T9_mT8_P12ihipStream_tbDpT10_ENKUlT_T0_E_clISt17integral_constantIbLb1EES18_IbLb0EEEEDaS14_S15_EUlS14_E_NS1_11comp_targetILNS1_3genE8ELNS1_11target_archE1030ELNS1_3gpuE2ELNS1_3repE0EEENS1_30default_config_static_selectorELNS0_4arch9wavefront6targetE1EEEvT1_
	.p2align	8
	.type	_ZN7rocprim17ROCPRIM_400000_NS6detail17trampoline_kernelINS0_14default_configENS1_25partition_config_selectorILNS1_17partition_subalgoE8EN3c104HalfENS0_10empty_typeEbEEZZNS1_14partition_implILS5_8ELb0ES3_jPKS7_PS8_PKS8_NS0_5tupleIJPS7_S8_EEENSG_IJSD_SD_EEENS0_18inequality_wrapperIN6hipcub16HIPCUB_304000_NS8EqualityEEEPlJS8_EEE10hipError_tPvRmT3_T4_T5_T6_T7_T9_mT8_P12ihipStream_tbDpT10_ENKUlT_T0_E_clISt17integral_constantIbLb1EES18_IbLb0EEEEDaS14_S15_EUlS14_E_NS1_11comp_targetILNS1_3genE8ELNS1_11target_archE1030ELNS1_3gpuE2ELNS1_3repE0EEENS1_30default_config_static_selectorELNS0_4arch9wavefront6targetE1EEEvT1_,@function
_ZN7rocprim17ROCPRIM_400000_NS6detail17trampoline_kernelINS0_14default_configENS1_25partition_config_selectorILNS1_17partition_subalgoE8EN3c104HalfENS0_10empty_typeEbEEZZNS1_14partition_implILS5_8ELb0ES3_jPKS7_PS8_PKS8_NS0_5tupleIJPS7_S8_EEENSG_IJSD_SD_EEENS0_18inequality_wrapperIN6hipcub16HIPCUB_304000_NS8EqualityEEEPlJS8_EEE10hipError_tPvRmT3_T4_T5_T6_T7_T9_mT8_P12ihipStream_tbDpT10_ENKUlT_T0_E_clISt17integral_constantIbLb1EES18_IbLb0EEEEDaS14_S15_EUlS14_E_NS1_11comp_targetILNS1_3genE8ELNS1_11target_archE1030ELNS1_3gpuE2ELNS1_3repE0EEENS1_30default_config_static_selectorELNS0_4arch9wavefront6targetE1EEEvT1_: ; @_ZN7rocprim17ROCPRIM_400000_NS6detail17trampoline_kernelINS0_14default_configENS1_25partition_config_selectorILNS1_17partition_subalgoE8EN3c104HalfENS0_10empty_typeEbEEZZNS1_14partition_implILS5_8ELb0ES3_jPKS7_PS8_PKS8_NS0_5tupleIJPS7_S8_EEENSG_IJSD_SD_EEENS0_18inequality_wrapperIN6hipcub16HIPCUB_304000_NS8EqualityEEEPlJS8_EEE10hipError_tPvRmT3_T4_T5_T6_T7_T9_mT8_P12ihipStream_tbDpT10_ENKUlT_T0_E_clISt17integral_constantIbLb1EES18_IbLb0EEEEDaS14_S15_EUlS14_E_NS1_11comp_targetILNS1_3genE8ELNS1_11target_archE1030ELNS1_3gpuE2ELNS1_3repE0EEENS1_30default_config_static_selectorELNS0_4arch9wavefront6targetE1EEEvT1_
; %bb.0:
	.section	.rodata,"a",@progbits
	.p2align	6, 0x0
	.amdhsa_kernel _ZN7rocprim17ROCPRIM_400000_NS6detail17trampoline_kernelINS0_14default_configENS1_25partition_config_selectorILNS1_17partition_subalgoE8EN3c104HalfENS0_10empty_typeEbEEZZNS1_14partition_implILS5_8ELb0ES3_jPKS7_PS8_PKS8_NS0_5tupleIJPS7_S8_EEENSG_IJSD_SD_EEENS0_18inequality_wrapperIN6hipcub16HIPCUB_304000_NS8EqualityEEEPlJS8_EEE10hipError_tPvRmT3_T4_T5_T6_T7_T9_mT8_P12ihipStream_tbDpT10_ENKUlT_T0_E_clISt17integral_constantIbLb1EES18_IbLb0EEEEDaS14_S15_EUlS14_E_NS1_11comp_targetILNS1_3genE8ELNS1_11target_archE1030ELNS1_3gpuE2ELNS1_3repE0EEENS1_30default_config_static_selectorELNS0_4arch9wavefront6targetE1EEEvT1_
		.amdhsa_group_segment_fixed_size 0
		.amdhsa_private_segment_fixed_size 0
		.amdhsa_kernarg_size 112
		.amdhsa_user_sgpr_count 2
		.amdhsa_user_sgpr_dispatch_ptr 0
		.amdhsa_user_sgpr_queue_ptr 0
		.amdhsa_user_sgpr_kernarg_segment_ptr 1
		.amdhsa_user_sgpr_dispatch_id 0
		.amdhsa_user_sgpr_kernarg_preload_length 0
		.amdhsa_user_sgpr_kernarg_preload_offset 0
		.amdhsa_user_sgpr_private_segment_size 0
		.amdhsa_uses_dynamic_stack 0
		.amdhsa_enable_private_segment 0
		.amdhsa_system_sgpr_workgroup_id_x 1
		.amdhsa_system_sgpr_workgroup_id_y 0
		.amdhsa_system_sgpr_workgroup_id_z 0
		.amdhsa_system_sgpr_workgroup_info 0
		.amdhsa_system_vgpr_workitem_id 0
		.amdhsa_next_free_vgpr 1
		.amdhsa_next_free_sgpr 0
		.amdhsa_accum_offset 4
		.amdhsa_reserve_vcc 0
		.amdhsa_float_round_mode_32 0
		.amdhsa_float_round_mode_16_64 0
		.amdhsa_float_denorm_mode_32 3
		.amdhsa_float_denorm_mode_16_64 3
		.amdhsa_dx10_clamp 1
		.amdhsa_ieee_mode 1
		.amdhsa_fp16_overflow 0
		.amdhsa_tg_split 0
		.amdhsa_exception_fp_ieee_invalid_op 0
		.amdhsa_exception_fp_denorm_src 0
		.amdhsa_exception_fp_ieee_div_zero 0
		.amdhsa_exception_fp_ieee_overflow 0
		.amdhsa_exception_fp_ieee_underflow 0
		.amdhsa_exception_fp_ieee_inexact 0
		.amdhsa_exception_int_div_zero 0
	.end_amdhsa_kernel
	.section	.text._ZN7rocprim17ROCPRIM_400000_NS6detail17trampoline_kernelINS0_14default_configENS1_25partition_config_selectorILNS1_17partition_subalgoE8EN3c104HalfENS0_10empty_typeEbEEZZNS1_14partition_implILS5_8ELb0ES3_jPKS7_PS8_PKS8_NS0_5tupleIJPS7_S8_EEENSG_IJSD_SD_EEENS0_18inequality_wrapperIN6hipcub16HIPCUB_304000_NS8EqualityEEEPlJS8_EEE10hipError_tPvRmT3_T4_T5_T6_T7_T9_mT8_P12ihipStream_tbDpT10_ENKUlT_T0_E_clISt17integral_constantIbLb1EES18_IbLb0EEEEDaS14_S15_EUlS14_E_NS1_11comp_targetILNS1_3genE8ELNS1_11target_archE1030ELNS1_3gpuE2ELNS1_3repE0EEENS1_30default_config_static_selectorELNS0_4arch9wavefront6targetE1EEEvT1_,"axG",@progbits,_ZN7rocprim17ROCPRIM_400000_NS6detail17trampoline_kernelINS0_14default_configENS1_25partition_config_selectorILNS1_17partition_subalgoE8EN3c104HalfENS0_10empty_typeEbEEZZNS1_14partition_implILS5_8ELb0ES3_jPKS7_PS8_PKS8_NS0_5tupleIJPS7_S8_EEENSG_IJSD_SD_EEENS0_18inequality_wrapperIN6hipcub16HIPCUB_304000_NS8EqualityEEEPlJS8_EEE10hipError_tPvRmT3_T4_T5_T6_T7_T9_mT8_P12ihipStream_tbDpT10_ENKUlT_T0_E_clISt17integral_constantIbLb1EES18_IbLb0EEEEDaS14_S15_EUlS14_E_NS1_11comp_targetILNS1_3genE8ELNS1_11target_archE1030ELNS1_3gpuE2ELNS1_3repE0EEENS1_30default_config_static_selectorELNS0_4arch9wavefront6targetE1EEEvT1_,comdat
.Lfunc_end916:
	.size	_ZN7rocprim17ROCPRIM_400000_NS6detail17trampoline_kernelINS0_14default_configENS1_25partition_config_selectorILNS1_17partition_subalgoE8EN3c104HalfENS0_10empty_typeEbEEZZNS1_14partition_implILS5_8ELb0ES3_jPKS7_PS8_PKS8_NS0_5tupleIJPS7_S8_EEENSG_IJSD_SD_EEENS0_18inequality_wrapperIN6hipcub16HIPCUB_304000_NS8EqualityEEEPlJS8_EEE10hipError_tPvRmT3_T4_T5_T6_T7_T9_mT8_P12ihipStream_tbDpT10_ENKUlT_T0_E_clISt17integral_constantIbLb1EES18_IbLb0EEEEDaS14_S15_EUlS14_E_NS1_11comp_targetILNS1_3genE8ELNS1_11target_archE1030ELNS1_3gpuE2ELNS1_3repE0EEENS1_30default_config_static_selectorELNS0_4arch9wavefront6targetE1EEEvT1_, .Lfunc_end916-_ZN7rocprim17ROCPRIM_400000_NS6detail17trampoline_kernelINS0_14default_configENS1_25partition_config_selectorILNS1_17partition_subalgoE8EN3c104HalfENS0_10empty_typeEbEEZZNS1_14partition_implILS5_8ELb0ES3_jPKS7_PS8_PKS8_NS0_5tupleIJPS7_S8_EEENSG_IJSD_SD_EEENS0_18inequality_wrapperIN6hipcub16HIPCUB_304000_NS8EqualityEEEPlJS8_EEE10hipError_tPvRmT3_T4_T5_T6_T7_T9_mT8_P12ihipStream_tbDpT10_ENKUlT_T0_E_clISt17integral_constantIbLb1EES18_IbLb0EEEEDaS14_S15_EUlS14_E_NS1_11comp_targetILNS1_3genE8ELNS1_11target_archE1030ELNS1_3gpuE2ELNS1_3repE0EEENS1_30default_config_static_selectorELNS0_4arch9wavefront6targetE1EEEvT1_
                                        ; -- End function
	.section	.AMDGPU.csdata,"",@progbits
; Kernel info:
; codeLenInByte = 0
; NumSgprs: 6
; NumVgprs: 0
; NumAgprs: 0
; TotalNumVgprs: 0
; ScratchSize: 0
; MemoryBound: 0
; FloatMode: 240
; IeeeMode: 1
; LDSByteSize: 0 bytes/workgroup (compile time only)
; SGPRBlocks: 0
; VGPRBlocks: 0
; NumSGPRsForWavesPerEU: 6
; NumVGPRsForWavesPerEU: 1
; AccumOffset: 4
; Occupancy: 8
; WaveLimiterHint : 0
; COMPUTE_PGM_RSRC2:SCRATCH_EN: 0
; COMPUTE_PGM_RSRC2:USER_SGPR: 2
; COMPUTE_PGM_RSRC2:TRAP_HANDLER: 0
; COMPUTE_PGM_RSRC2:TGID_X_EN: 1
; COMPUTE_PGM_RSRC2:TGID_Y_EN: 0
; COMPUTE_PGM_RSRC2:TGID_Z_EN: 0
; COMPUTE_PGM_RSRC2:TIDIG_COMP_CNT: 0
; COMPUTE_PGM_RSRC3_GFX90A:ACCUM_OFFSET: 0
; COMPUTE_PGM_RSRC3_GFX90A:TG_SPLIT: 0
	.section	.text._ZN7rocprim17ROCPRIM_400000_NS6detail17trampoline_kernelINS0_14default_configENS1_25partition_config_selectorILNS1_17partition_subalgoE8EN3c104HalfENS0_10empty_typeEbEEZZNS1_14partition_implILS5_8ELb0ES3_jPKS7_PS8_PKS8_NS0_5tupleIJPS7_S8_EEENSG_IJSD_SD_EEENS0_18inequality_wrapperIN6hipcub16HIPCUB_304000_NS8EqualityEEEPlJS8_EEE10hipError_tPvRmT3_T4_T5_T6_T7_T9_mT8_P12ihipStream_tbDpT10_ENKUlT_T0_E_clISt17integral_constantIbLb0EES18_IbLb1EEEEDaS14_S15_EUlS14_E_NS1_11comp_targetILNS1_3genE0ELNS1_11target_archE4294967295ELNS1_3gpuE0ELNS1_3repE0EEENS1_30default_config_static_selectorELNS0_4arch9wavefront6targetE1EEEvT1_,"axG",@progbits,_ZN7rocprim17ROCPRIM_400000_NS6detail17trampoline_kernelINS0_14default_configENS1_25partition_config_selectorILNS1_17partition_subalgoE8EN3c104HalfENS0_10empty_typeEbEEZZNS1_14partition_implILS5_8ELb0ES3_jPKS7_PS8_PKS8_NS0_5tupleIJPS7_S8_EEENSG_IJSD_SD_EEENS0_18inequality_wrapperIN6hipcub16HIPCUB_304000_NS8EqualityEEEPlJS8_EEE10hipError_tPvRmT3_T4_T5_T6_T7_T9_mT8_P12ihipStream_tbDpT10_ENKUlT_T0_E_clISt17integral_constantIbLb0EES18_IbLb1EEEEDaS14_S15_EUlS14_E_NS1_11comp_targetILNS1_3genE0ELNS1_11target_archE4294967295ELNS1_3gpuE0ELNS1_3repE0EEENS1_30default_config_static_selectorELNS0_4arch9wavefront6targetE1EEEvT1_,comdat
	.protected	_ZN7rocprim17ROCPRIM_400000_NS6detail17trampoline_kernelINS0_14default_configENS1_25partition_config_selectorILNS1_17partition_subalgoE8EN3c104HalfENS0_10empty_typeEbEEZZNS1_14partition_implILS5_8ELb0ES3_jPKS7_PS8_PKS8_NS0_5tupleIJPS7_S8_EEENSG_IJSD_SD_EEENS0_18inequality_wrapperIN6hipcub16HIPCUB_304000_NS8EqualityEEEPlJS8_EEE10hipError_tPvRmT3_T4_T5_T6_T7_T9_mT8_P12ihipStream_tbDpT10_ENKUlT_T0_E_clISt17integral_constantIbLb0EES18_IbLb1EEEEDaS14_S15_EUlS14_E_NS1_11comp_targetILNS1_3genE0ELNS1_11target_archE4294967295ELNS1_3gpuE0ELNS1_3repE0EEENS1_30default_config_static_selectorELNS0_4arch9wavefront6targetE1EEEvT1_ ; -- Begin function _ZN7rocprim17ROCPRIM_400000_NS6detail17trampoline_kernelINS0_14default_configENS1_25partition_config_selectorILNS1_17partition_subalgoE8EN3c104HalfENS0_10empty_typeEbEEZZNS1_14partition_implILS5_8ELb0ES3_jPKS7_PS8_PKS8_NS0_5tupleIJPS7_S8_EEENSG_IJSD_SD_EEENS0_18inequality_wrapperIN6hipcub16HIPCUB_304000_NS8EqualityEEEPlJS8_EEE10hipError_tPvRmT3_T4_T5_T6_T7_T9_mT8_P12ihipStream_tbDpT10_ENKUlT_T0_E_clISt17integral_constantIbLb0EES18_IbLb1EEEEDaS14_S15_EUlS14_E_NS1_11comp_targetILNS1_3genE0ELNS1_11target_archE4294967295ELNS1_3gpuE0ELNS1_3repE0EEENS1_30default_config_static_selectorELNS0_4arch9wavefront6targetE1EEEvT1_
	.globl	_ZN7rocprim17ROCPRIM_400000_NS6detail17trampoline_kernelINS0_14default_configENS1_25partition_config_selectorILNS1_17partition_subalgoE8EN3c104HalfENS0_10empty_typeEbEEZZNS1_14partition_implILS5_8ELb0ES3_jPKS7_PS8_PKS8_NS0_5tupleIJPS7_S8_EEENSG_IJSD_SD_EEENS0_18inequality_wrapperIN6hipcub16HIPCUB_304000_NS8EqualityEEEPlJS8_EEE10hipError_tPvRmT3_T4_T5_T6_T7_T9_mT8_P12ihipStream_tbDpT10_ENKUlT_T0_E_clISt17integral_constantIbLb0EES18_IbLb1EEEEDaS14_S15_EUlS14_E_NS1_11comp_targetILNS1_3genE0ELNS1_11target_archE4294967295ELNS1_3gpuE0ELNS1_3repE0EEENS1_30default_config_static_selectorELNS0_4arch9wavefront6targetE1EEEvT1_
	.p2align	8
	.type	_ZN7rocprim17ROCPRIM_400000_NS6detail17trampoline_kernelINS0_14default_configENS1_25partition_config_selectorILNS1_17partition_subalgoE8EN3c104HalfENS0_10empty_typeEbEEZZNS1_14partition_implILS5_8ELb0ES3_jPKS7_PS8_PKS8_NS0_5tupleIJPS7_S8_EEENSG_IJSD_SD_EEENS0_18inequality_wrapperIN6hipcub16HIPCUB_304000_NS8EqualityEEEPlJS8_EEE10hipError_tPvRmT3_T4_T5_T6_T7_T9_mT8_P12ihipStream_tbDpT10_ENKUlT_T0_E_clISt17integral_constantIbLb0EES18_IbLb1EEEEDaS14_S15_EUlS14_E_NS1_11comp_targetILNS1_3genE0ELNS1_11target_archE4294967295ELNS1_3gpuE0ELNS1_3repE0EEENS1_30default_config_static_selectorELNS0_4arch9wavefront6targetE1EEEvT1_,@function
_ZN7rocprim17ROCPRIM_400000_NS6detail17trampoline_kernelINS0_14default_configENS1_25partition_config_selectorILNS1_17partition_subalgoE8EN3c104HalfENS0_10empty_typeEbEEZZNS1_14partition_implILS5_8ELb0ES3_jPKS7_PS8_PKS8_NS0_5tupleIJPS7_S8_EEENSG_IJSD_SD_EEENS0_18inequality_wrapperIN6hipcub16HIPCUB_304000_NS8EqualityEEEPlJS8_EEE10hipError_tPvRmT3_T4_T5_T6_T7_T9_mT8_P12ihipStream_tbDpT10_ENKUlT_T0_E_clISt17integral_constantIbLb0EES18_IbLb1EEEEDaS14_S15_EUlS14_E_NS1_11comp_targetILNS1_3genE0ELNS1_11target_archE4294967295ELNS1_3gpuE0ELNS1_3repE0EEENS1_30default_config_static_selectorELNS0_4arch9wavefront6targetE1EEEvT1_: ; @_ZN7rocprim17ROCPRIM_400000_NS6detail17trampoline_kernelINS0_14default_configENS1_25partition_config_selectorILNS1_17partition_subalgoE8EN3c104HalfENS0_10empty_typeEbEEZZNS1_14partition_implILS5_8ELb0ES3_jPKS7_PS8_PKS8_NS0_5tupleIJPS7_S8_EEENSG_IJSD_SD_EEENS0_18inequality_wrapperIN6hipcub16HIPCUB_304000_NS8EqualityEEEPlJS8_EEE10hipError_tPvRmT3_T4_T5_T6_T7_T9_mT8_P12ihipStream_tbDpT10_ENKUlT_T0_E_clISt17integral_constantIbLb0EES18_IbLb1EEEEDaS14_S15_EUlS14_E_NS1_11comp_targetILNS1_3genE0ELNS1_11target_archE4294967295ELNS1_3gpuE0ELNS1_3repE0EEENS1_30default_config_static_selectorELNS0_4arch9wavefront6targetE1EEEvT1_
; %bb.0:
	.section	.rodata,"a",@progbits
	.p2align	6, 0x0
	.amdhsa_kernel _ZN7rocprim17ROCPRIM_400000_NS6detail17trampoline_kernelINS0_14default_configENS1_25partition_config_selectorILNS1_17partition_subalgoE8EN3c104HalfENS0_10empty_typeEbEEZZNS1_14partition_implILS5_8ELb0ES3_jPKS7_PS8_PKS8_NS0_5tupleIJPS7_S8_EEENSG_IJSD_SD_EEENS0_18inequality_wrapperIN6hipcub16HIPCUB_304000_NS8EqualityEEEPlJS8_EEE10hipError_tPvRmT3_T4_T5_T6_T7_T9_mT8_P12ihipStream_tbDpT10_ENKUlT_T0_E_clISt17integral_constantIbLb0EES18_IbLb1EEEEDaS14_S15_EUlS14_E_NS1_11comp_targetILNS1_3genE0ELNS1_11target_archE4294967295ELNS1_3gpuE0ELNS1_3repE0EEENS1_30default_config_static_selectorELNS0_4arch9wavefront6targetE1EEEvT1_
		.amdhsa_group_segment_fixed_size 0
		.amdhsa_private_segment_fixed_size 0
		.amdhsa_kernarg_size 128
		.amdhsa_user_sgpr_count 2
		.amdhsa_user_sgpr_dispatch_ptr 0
		.amdhsa_user_sgpr_queue_ptr 0
		.amdhsa_user_sgpr_kernarg_segment_ptr 1
		.amdhsa_user_sgpr_dispatch_id 0
		.amdhsa_user_sgpr_kernarg_preload_length 0
		.amdhsa_user_sgpr_kernarg_preload_offset 0
		.amdhsa_user_sgpr_private_segment_size 0
		.amdhsa_uses_dynamic_stack 0
		.amdhsa_enable_private_segment 0
		.amdhsa_system_sgpr_workgroup_id_x 1
		.amdhsa_system_sgpr_workgroup_id_y 0
		.amdhsa_system_sgpr_workgroup_id_z 0
		.amdhsa_system_sgpr_workgroup_info 0
		.amdhsa_system_vgpr_workitem_id 0
		.amdhsa_next_free_vgpr 1
		.amdhsa_next_free_sgpr 0
		.amdhsa_accum_offset 4
		.amdhsa_reserve_vcc 0
		.amdhsa_float_round_mode_32 0
		.amdhsa_float_round_mode_16_64 0
		.amdhsa_float_denorm_mode_32 3
		.amdhsa_float_denorm_mode_16_64 3
		.amdhsa_dx10_clamp 1
		.amdhsa_ieee_mode 1
		.amdhsa_fp16_overflow 0
		.amdhsa_tg_split 0
		.amdhsa_exception_fp_ieee_invalid_op 0
		.amdhsa_exception_fp_denorm_src 0
		.amdhsa_exception_fp_ieee_div_zero 0
		.amdhsa_exception_fp_ieee_overflow 0
		.amdhsa_exception_fp_ieee_underflow 0
		.amdhsa_exception_fp_ieee_inexact 0
		.amdhsa_exception_int_div_zero 0
	.end_amdhsa_kernel
	.section	.text._ZN7rocprim17ROCPRIM_400000_NS6detail17trampoline_kernelINS0_14default_configENS1_25partition_config_selectorILNS1_17partition_subalgoE8EN3c104HalfENS0_10empty_typeEbEEZZNS1_14partition_implILS5_8ELb0ES3_jPKS7_PS8_PKS8_NS0_5tupleIJPS7_S8_EEENSG_IJSD_SD_EEENS0_18inequality_wrapperIN6hipcub16HIPCUB_304000_NS8EqualityEEEPlJS8_EEE10hipError_tPvRmT3_T4_T5_T6_T7_T9_mT8_P12ihipStream_tbDpT10_ENKUlT_T0_E_clISt17integral_constantIbLb0EES18_IbLb1EEEEDaS14_S15_EUlS14_E_NS1_11comp_targetILNS1_3genE0ELNS1_11target_archE4294967295ELNS1_3gpuE0ELNS1_3repE0EEENS1_30default_config_static_selectorELNS0_4arch9wavefront6targetE1EEEvT1_,"axG",@progbits,_ZN7rocprim17ROCPRIM_400000_NS6detail17trampoline_kernelINS0_14default_configENS1_25partition_config_selectorILNS1_17partition_subalgoE8EN3c104HalfENS0_10empty_typeEbEEZZNS1_14partition_implILS5_8ELb0ES3_jPKS7_PS8_PKS8_NS0_5tupleIJPS7_S8_EEENSG_IJSD_SD_EEENS0_18inequality_wrapperIN6hipcub16HIPCUB_304000_NS8EqualityEEEPlJS8_EEE10hipError_tPvRmT3_T4_T5_T6_T7_T9_mT8_P12ihipStream_tbDpT10_ENKUlT_T0_E_clISt17integral_constantIbLb0EES18_IbLb1EEEEDaS14_S15_EUlS14_E_NS1_11comp_targetILNS1_3genE0ELNS1_11target_archE4294967295ELNS1_3gpuE0ELNS1_3repE0EEENS1_30default_config_static_selectorELNS0_4arch9wavefront6targetE1EEEvT1_,comdat
.Lfunc_end917:
	.size	_ZN7rocprim17ROCPRIM_400000_NS6detail17trampoline_kernelINS0_14default_configENS1_25partition_config_selectorILNS1_17partition_subalgoE8EN3c104HalfENS0_10empty_typeEbEEZZNS1_14partition_implILS5_8ELb0ES3_jPKS7_PS8_PKS8_NS0_5tupleIJPS7_S8_EEENSG_IJSD_SD_EEENS0_18inequality_wrapperIN6hipcub16HIPCUB_304000_NS8EqualityEEEPlJS8_EEE10hipError_tPvRmT3_T4_T5_T6_T7_T9_mT8_P12ihipStream_tbDpT10_ENKUlT_T0_E_clISt17integral_constantIbLb0EES18_IbLb1EEEEDaS14_S15_EUlS14_E_NS1_11comp_targetILNS1_3genE0ELNS1_11target_archE4294967295ELNS1_3gpuE0ELNS1_3repE0EEENS1_30default_config_static_selectorELNS0_4arch9wavefront6targetE1EEEvT1_, .Lfunc_end917-_ZN7rocprim17ROCPRIM_400000_NS6detail17trampoline_kernelINS0_14default_configENS1_25partition_config_selectorILNS1_17partition_subalgoE8EN3c104HalfENS0_10empty_typeEbEEZZNS1_14partition_implILS5_8ELb0ES3_jPKS7_PS8_PKS8_NS0_5tupleIJPS7_S8_EEENSG_IJSD_SD_EEENS0_18inequality_wrapperIN6hipcub16HIPCUB_304000_NS8EqualityEEEPlJS8_EEE10hipError_tPvRmT3_T4_T5_T6_T7_T9_mT8_P12ihipStream_tbDpT10_ENKUlT_T0_E_clISt17integral_constantIbLb0EES18_IbLb1EEEEDaS14_S15_EUlS14_E_NS1_11comp_targetILNS1_3genE0ELNS1_11target_archE4294967295ELNS1_3gpuE0ELNS1_3repE0EEENS1_30default_config_static_selectorELNS0_4arch9wavefront6targetE1EEEvT1_
                                        ; -- End function
	.section	.AMDGPU.csdata,"",@progbits
; Kernel info:
; codeLenInByte = 0
; NumSgprs: 6
; NumVgprs: 0
; NumAgprs: 0
; TotalNumVgprs: 0
; ScratchSize: 0
; MemoryBound: 0
; FloatMode: 240
; IeeeMode: 1
; LDSByteSize: 0 bytes/workgroup (compile time only)
; SGPRBlocks: 0
; VGPRBlocks: 0
; NumSGPRsForWavesPerEU: 6
; NumVGPRsForWavesPerEU: 1
; AccumOffset: 4
; Occupancy: 8
; WaveLimiterHint : 0
; COMPUTE_PGM_RSRC2:SCRATCH_EN: 0
; COMPUTE_PGM_RSRC2:USER_SGPR: 2
; COMPUTE_PGM_RSRC2:TRAP_HANDLER: 0
; COMPUTE_PGM_RSRC2:TGID_X_EN: 1
; COMPUTE_PGM_RSRC2:TGID_Y_EN: 0
; COMPUTE_PGM_RSRC2:TGID_Z_EN: 0
; COMPUTE_PGM_RSRC2:TIDIG_COMP_CNT: 0
; COMPUTE_PGM_RSRC3_GFX90A:ACCUM_OFFSET: 0
; COMPUTE_PGM_RSRC3_GFX90A:TG_SPLIT: 0
	.section	.text._ZN7rocprim17ROCPRIM_400000_NS6detail17trampoline_kernelINS0_14default_configENS1_25partition_config_selectorILNS1_17partition_subalgoE8EN3c104HalfENS0_10empty_typeEbEEZZNS1_14partition_implILS5_8ELb0ES3_jPKS7_PS8_PKS8_NS0_5tupleIJPS7_S8_EEENSG_IJSD_SD_EEENS0_18inequality_wrapperIN6hipcub16HIPCUB_304000_NS8EqualityEEEPlJS8_EEE10hipError_tPvRmT3_T4_T5_T6_T7_T9_mT8_P12ihipStream_tbDpT10_ENKUlT_T0_E_clISt17integral_constantIbLb0EES18_IbLb1EEEEDaS14_S15_EUlS14_E_NS1_11comp_targetILNS1_3genE5ELNS1_11target_archE942ELNS1_3gpuE9ELNS1_3repE0EEENS1_30default_config_static_selectorELNS0_4arch9wavefront6targetE1EEEvT1_,"axG",@progbits,_ZN7rocprim17ROCPRIM_400000_NS6detail17trampoline_kernelINS0_14default_configENS1_25partition_config_selectorILNS1_17partition_subalgoE8EN3c104HalfENS0_10empty_typeEbEEZZNS1_14partition_implILS5_8ELb0ES3_jPKS7_PS8_PKS8_NS0_5tupleIJPS7_S8_EEENSG_IJSD_SD_EEENS0_18inequality_wrapperIN6hipcub16HIPCUB_304000_NS8EqualityEEEPlJS8_EEE10hipError_tPvRmT3_T4_T5_T6_T7_T9_mT8_P12ihipStream_tbDpT10_ENKUlT_T0_E_clISt17integral_constantIbLb0EES18_IbLb1EEEEDaS14_S15_EUlS14_E_NS1_11comp_targetILNS1_3genE5ELNS1_11target_archE942ELNS1_3gpuE9ELNS1_3repE0EEENS1_30default_config_static_selectorELNS0_4arch9wavefront6targetE1EEEvT1_,comdat
	.protected	_ZN7rocprim17ROCPRIM_400000_NS6detail17trampoline_kernelINS0_14default_configENS1_25partition_config_selectorILNS1_17partition_subalgoE8EN3c104HalfENS0_10empty_typeEbEEZZNS1_14partition_implILS5_8ELb0ES3_jPKS7_PS8_PKS8_NS0_5tupleIJPS7_S8_EEENSG_IJSD_SD_EEENS0_18inequality_wrapperIN6hipcub16HIPCUB_304000_NS8EqualityEEEPlJS8_EEE10hipError_tPvRmT3_T4_T5_T6_T7_T9_mT8_P12ihipStream_tbDpT10_ENKUlT_T0_E_clISt17integral_constantIbLb0EES18_IbLb1EEEEDaS14_S15_EUlS14_E_NS1_11comp_targetILNS1_3genE5ELNS1_11target_archE942ELNS1_3gpuE9ELNS1_3repE0EEENS1_30default_config_static_selectorELNS0_4arch9wavefront6targetE1EEEvT1_ ; -- Begin function _ZN7rocprim17ROCPRIM_400000_NS6detail17trampoline_kernelINS0_14default_configENS1_25partition_config_selectorILNS1_17partition_subalgoE8EN3c104HalfENS0_10empty_typeEbEEZZNS1_14partition_implILS5_8ELb0ES3_jPKS7_PS8_PKS8_NS0_5tupleIJPS7_S8_EEENSG_IJSD_SD_EEENS0_18inequality_wrapperIN6hipcub16HIPCUB_304000_NS8EqualityEEEPlJS8_EEE10hipError_tPvRmT3_T4_T5_T6_T7_T9_mT8_P12ihipStream_tbDpT10_ENKUlT_T0_E_clISt17integral_constantIbLb0EES18_IbLb1EEEEDaS14_S15_EUlS14_E_NS1_11comp_targetILNS1_3genE5ELNS1_11target_archE942ELNS1_3gpuE9ELNS1_3repE0EEENS1_30default_config_static_selectorELNS0_4arch9wavefront6targetE1EEEvT1_
	.globl	_ZN7rocprim17ROCPRIM_400000_NS6detail17trampoline_kernelINS0_14default_configENS1_25partition_config_selectorILNS1_17partition_subalgoE8EN3c104HalfENS0_10empty_typeEbEEZZNS1_14partition_implILS5_8ELb0ES3_jPKS7_PS8_PKS8_NS0_5tupleIJPS7_S8_EEENSG_IJSD_SD_EEENS0_18inequality_wrapperIN6hipcub16HIPCUB_304000_NS8EqualityEEEPlJS8_EEE10hipError_tPvRmT3_T4_T5_T6_T7_T9_mT8_P12ihipStream_tbDpT10_ENKUlT_T0_E_clISt17integral_constantIbLb0EES18_IbLb1EEEEDaS14_S15_EUlS14_E_NS1_11comp_targetILNS1_3genE5ELNS1_11target_archE942ELNS1_3gpuE9ELNS1_3repE0EEENS1_30default_config_static_selectorELNS0_4arch9wavefront6targetE1EEEvT1_
	.p2align	8
	.type	_ZN7rocprim17ROCPRIM_400000_NS6detail17trampoline_kernelINS0_14default_configENS1_25partition_config_selectorILNS1_17partition_subalgoE8EN3c104HalfENS0_10empty_typeEbEEZZNS1_14partition_implILS5_8ELb0ES3_jPKS7_PS8_PKS8_NS0_5tupleIJPS7_S8_EEENSG_IJSD_SD_EEENS0_18inequality_wrapperIN6hipcub16HIPCUB_304000_NS8EqualityEEEPlJS8_EEE10hipError_tPvRmT3_T4_T5_T6_T7_T9_mT8_P12ihipStream_tbDpT10_ENKUlT_T0_E_clISt17integral_constantIbLb0EES18_IbLb1EEEEDaS14_S15_EUlS14_E_NS1_11comp_targetILNS1_3genE5ELNS1_11target_archE942ELNS1_3gpuE9ELNS1_3repE0EEENS1_30default_config_static_selectorELNS0_4arch9wavefront6targetE1EEEvT1_,@function
_ZN7rocprim17ROCPRIM_400000_NS6detail17trampoline_kernelINS0_14default_configENS1_25partition_config_selectorILNS1_17partition_subalgoE8EN3c104HalfENS0_10empty_typeEbEEZZNS1_14partition_implILS5_8ELb0ES3_jPKS7_PS8_PKS8_NS0_5tupleIJPS7_S8_EEENSG_IJSD_SD_EEENS0_18inequality_wrapperIN6hipcub16HIPCUB_304000_NS8EqualityEEEPlJS8_EEE10hipError_tPvRmT3_T4_T5_T6_T7_T9_mT8_P12ihipStream_tbDpT10_ENKUlT_T0_E_clISt17integral_constantIbLb0EES18_IbLb1EEEEDaS14_S15_EUlS14_E_NS1_11comp_targetILNS1_3genE5ELNS1_11target_archE942ELNS1_3gpuE9ELNS1_3repE0EEENS1_30default_config_static_selectorELNS0_4arch9wavefront6targetE1EEEvT1_: ; @_ZN7rocprim17ROCPRIM_400000_NS6detail17trampoline_kernelINS0_14default_configENS1_25partition_config_selectorILNS1_17partition_subalgoE8EN3c104HalfENS0_10empty_typeEbEEZZNS1_14partition_implILS5_8ELb0ES3_jPKS7_PS8_PKS8_NS0_5tupleIJPS7_S8_EEENSG_IJSD_SD_EEENS0_18inequality_wrapperIN6hipcub16HIPCUB_304000_NS8EqualityEEEPlJS8_EEE10hipError_tPvRmT3_T4_T5_T6_T7_T9_mT8_P12ihipStream_tbDpT10_ENKUlT_T0_E_clISt17integral_constantIbLb0EES18_IbLb1EEEEDaS14_S15_EUlS14_E_NS1_11comp_targetILNS1_3genE5ELNS1_11target_archE942ELNS1_3gpuE9ELNS1_3repE0EEENS1_30default_config_static_selectorELNS0_4arch9wavefront6targetE1EEEvT1_
; %bb.0:
	s_load_dwordx4 s[20:23], s[0:1], 0x40
	s_load_dwordx2 s[8:9], s[0:1], 0x50
	s_load_dwordx2 s[28:29], s[0:1], 0x60
	v_cmp_ne_u32_e64 s[2:3], 0, v0
	v_cmp_eq_u32_e64 s[18:19], 0, v0
	s_and_saveexec_b64 s[4:5], s[18:19]
	s_cbranch_execz .LBB918_4
; %bb.1:
	s_mov_b64 s[10:11], exec
	v_mbcnt_lo_u32_b32 v1, s10, 0
	v_mbcnt_hi_u32_b32 v1, s11, v1
	v_cmp_eq_u32_e32 vcc, 0, v1
                                        ; implicit-def: $vgpr2
	s_and_saveexec_b64 s[6:7], vcc
	s_cbranch_execz .LBB918_3
; %bb.2:
	s_load_dwordx2 s[12:13], s[0:1], 0x70
	s_bcnt1_i32_b64 s10, s[10:11]
	v_mov_b32_e32 v2, 0
	v_mov_b32_e32 v3, s10
	s_waitcnt lgkmcnt(0)
	global_atomic_add v2, v2, v3, s[12:13] sc0
.LBB918_3:
	s_or_b64 exec, exec, s[6:7]
	s_waitcnt vmcnt(0)
	v_readfirstlane_b32 s6, v2
	v_mov_b32_e32 v2, 0
	s_nop 0
	v_add_u32_e32 v1, s6, v1
	ds_write_b32 v2, v1
.LBB918_4:
	s_or_b64 exec, exec, s[4:5]
	v_mov_b32_e32 v3, 0
	s_load_dwordx4 s[4:7], s[0:1], 0x8
	s_load_dwordx2 s[24:25], s[0:1], 0x28
	s_load_dword s10, s[0:1], 0x68
	s_waitcnt lgkmcnt(0)
	s_barrier
	ds_read_b32 v1, v3
	s_waitcnt lgkmcnt(0)
	s_barrier
	global_load_dwordx2 v[8:9], v3, s[22:23]
	s_lshl_b64 s[0:1], s[6:7], 1
	s_add_u32 s12, s4, s0
	s_movk_i32 s0, 0x3c00
	v_mul_lo_u32 v2, v1, s0
	s_mul_i32 s0, s10, 0x3c00
	s_addc_u32 s13, s5, s1
	s_add_i32 s1, s0, s6
	s_add_i32 s4, s10, -1
	s_sub_i32 s80, s8, s1
	s_add_u32 s0, s6, s0
	v_readfirstlane_b32 s33, v1
	s_addc_u32 s1, s7, 0
	v_mov_b32_e32 v4, s8
	v_mov_b32_e32 v5, s9
	s_cmp_eq_u32 s33, s4
	v_cmp_ge_u64_e32 vcc, s[0:1], v[4:5]
	s_cselect_b64 s[22:23], -1, 0
	s_and_b64 s[4:5], vcc, s[22:23]
	s_xor_b64 s[26:27], s[4:5], -1
	v_lshlrev_b64 v[4:5], 1, v[2:3]
	s_mov_b64 s[0:1], -1
	v_lshl_add_u64 v[18:19], s[12:13], 0, v[4:5]
	s_and_b64 vcc, exec, s[26:27]
	s_cbranch_vccz .LBB918_6
; %bb.5:
	v_lshlrev_b32_e32 v2, 1, v0
	v_lshl_add_u64 v[4:5], v[18:19], 0, v[2:3]
	v_add_co_u32_e32 v6, vcc, 0x1000, v4
	v_readfirstlane_b32 s0, v18
	s_nop 0
	v_addc_co_u32_e32 v7, vcc, 0, v5, vcc
	v_add_co_u32_e32 v10, vcc, 0x2000, v4
	v_readfirstlane_b32 s1, v19
	s_nop 0
	v_addc_co_u32_e32 v11, vcc, 0, v5, vcc
	s_nop 2
	global_load_ushort v1, v2, s[0:1]
	global_load_ushort v3, v2, s[0:1] offset:1024
	global_load_ushort v12, v2, s[0:1] offset:2048
	;; [unrolled: 1-line block ×3, first 2 shown]
	global_load_ushort v14, v[6:7], off
	global_load_ushort v15, v[6:7], off offset:1024
	global_load_ushort v16, v[6:7], off offset:2048
	;; [unrolled: 1-line block ×3, first 2 shown]
	global_load_ushort v20, v[10:11], off
	global_load_ushort v21, v[10:11], off offset:1024
	global_load_ushort v22, v[10:11], off offset:2048
	;; [unrolled: 1-line block ×3, first 2 shown]
	v_add_co_u32_e32 v6, vcc, 0x3000, v4
	s_mov_b64 s[0:1], 0
	s_nop 0
	v_addc_co_u32_e32 v7, vcc, 0, v5, vcc
	v_add_co_u32_e32 v10, vcc, 0x4000, v4
	s_nop 1
	v_addc_co_u32_e32 v11, vcc, 0, v5, vcc
	global_load_ushort v24, v[6:7], off
	global_load_ushort v25, v[6:7], off offset:1024
	global_load_ushort v26, v[6:7], off offset:2048
	;; [unrolled: 1-line block ×3, first 2 shown]
	global_load_ushort v28, v[10:11], off
	global_load_ushort v29, v[10:11], off offset:1024
	global_load_ushort v30, v[10:11], off offset:2048
	global_load_ushort v31, v[10:11], off offset:3072
	v_add_co_u32_e32 v6, vcc, 0x5000, v4
	s_nop 1
	v_addc_co_u32_e32 v7, vcc, 0, v5, vcc
	v_add_co_u32_e32 v10, vcc, 0x6000, v4
	s_nop 1
	v_addc_co_u32_e32 v11, vcc, 0, v5, vcc
	v_add_co_u32_e32 v4, vcc, 0x7000, v4
	global_load_ushort v32, v[6:7], off
	global_load_ushort v33, v[6:7], off offset:1024
	global_load_ushort v34, v[6:7], off offset:2048
	;; [unrolled: 1-line block ×3, first 2 shown]
	global_load_ushort v36, v[10:11], off
	global_load_ushort v37, v[10:11], off offset:1024
	global_load_ushort v38, v[10:11], off offset:2048
	global_load_ushort v39, v[10:11], off offset:3072
	v_addc_co_u32_e32 v5, vcc, 0, v5, vcc
	global_load_ushort v6, v[4:5], off
	global_load_ushort v7, v[4:5], off offset:1024
	s_waitcnt vmcnt(29)
	ds_write_b16 v2, v1
	s_waitcnt vmcnt(28)
	ds_write_b16 v2, v3 offset:1024
	s_waitcnt vmcnt(27)
	ds_write_b16 v2, v12 offset:2048
	;; [unrolled: 2-line block ×29, first 2 shown]
	s_waitcnt lgkmcnt(0)
	s_barrier
.LBB918_6:
	s_andn2_b64 vcc, exec, s[0:1]
	s_addk_i32 s80, 0x3c00
	s_cbranch_vccnz .LBB918_68
; %bb.7:
	v_cmp_gt_u32_e32 vcc, s80, v0
                                        ; implicit-def: $vgpr1
	s_and_saveexec_b64 s[0:1], vcc
	s_cbranch_execz .LBB918_9
; %bb.8:
	v_lshlrev_b32_e32 v1, 1, v0
	v_readfirstlane_b32 s8, v18
	v_readfirstlane_b32 s9, v19
	s_nop 4
	global_load_ushort v1, v1, s[8:9]
.LBB918_9:
	s_or_b64 exec, exec, s[0:1]
	v_or_b32_e32 v2, 0x200, v0
	v_cmp_gt_u32_e32 vcc, s80, v2
                                        ; implicit-def: $vgpr2
	s_and_saveexec_b64 s[0:1], vcc
	s_cbranch_execz .LBB918_11
; %bb.10:
	v_lshlrev_b32_e32 v2, 1, v0
	v_readfirstlane_b32 s8, v18
	v_readfirstlane_b32 s9, v19
	s_nop 4
	global_load_ushort v2, v2, s[8:9] offset:1024
.LBB918_11:
	s_or_b64 exec, exec, s[0:1]
	v_or_b32_e32 v3, 0x400, v0
	v_cmp_gt_u32_e32 vcc, s80, v3
                                        ; implicit-def: $vgpr3
	s_and_saveexec_b64 s[0:1], vcc
	s_cbranch_execz .LBB918_13
; %bb.12:
	v_lshlrev_b32_e32 v3, 1, v0
	v_readfirstlane_b32 s8, v18
	v_readfirstlane_b32 s9, v19
	s_nop 4
	global_load_ushort v3, v3, s[8:9] offset:2048
.LBB918_13:
	s_or_b64 exec, exec, s[0:1]
	v_or_b32_e32 v4, 0x600, v0
	v_cmp_gt_u32_e32 vcc, s80, v4
                                        ; implicit-def: $vgpr4
	s_and_saveexec_b64 s[0:1], vcc
	s_cbranch_execz .LBB918_15
; %bb.14:
	v_lshlrev_b32_e32 v4, 1, v0
	v_readfirstlane_b32 s8, v18
	v_readfirstlane_b32 s9, v19
	s_nop 4
	global_load_ushort v4, v4, s[8:9] offset:3072
.LBB918_15:
	s_or_b64 exec, exec, s[0:1]
	v_or_b32_e32 v6, 0x800, v0
	v_cmp_gt_u32_e32 vcc, s80, v6
                                        ; implicit-def: $vgpr5
	s_and_saveexec_b64 s[0:1], vcc
	s_cbranch_execz .LBB918_17
; %bb.16:
	v_lshlrev_b32_e32 v5, 1, v6
	v_readfirstlane_b32 s8, v18
	v_readfirstlane_b32 s9, v19
	s_nop 4
	global_load_ushort v5, v5, s[8:9]
.LBB918_17:
	s_or_b64 exec, exec, s[0:1]
	v_or_b32_e32 v7, 0xa00, v0
	v_cmp_gt_u32_e32 vcc, s80, v7
                                        ; implicit-def: $vgpr6
	s_and_saveexec_b64 s[0:1], vcc
	s_cbranch_execz .LBB918_19
; %bb.18:
	v_lshlrev_b32_e32 v6, 1, v7
	v_readfirstlane_b32 s8, v18
	v_readfirstlane_b32 s9, v19
	s_nop 4
	global_load_ushort v6, v6, s[8:9]
.LBB918_19:
	s_or_b64 exec, exec, s[0:1]
	v_or_b32_e32 v10, 0xc00, v0
	v_cmp_gt_u32_e32 vcc, s80, v10
                                        ; implicit-def: $vgpr7
	s_and_saveexec_b64 s[0:1], vcc
	s_cbranch_execz .LBB918_21
; %bb.20:
	v_lshlrev_b32_e32 v7, 1, v10
	v_readfirstlane_b32 s8, v18
	v_readfirstlane_b32 s9, v19
	s_nop 4
	global_load_ushort v7, v7, s[8:9]
.LBB918_21:
	s_or_b64 exec, exec, s[0:1]
	v_or_b32_e32 v11, 0xe00, v0
	v_cmp_gt_u32_e32 vcc, s80, v11
                                        ; implicit-def: $vgpr10
	s_and_saveexec_b64 s[0:1], vcc
	s_cbranch_execz .LBB918_23
; %bb.22:
	v_lshlrev_b32_e32 v10, 1, v11
	v_readfirstlane_b32 s8, v18
	v_readfirstlane_b32 s9, v19
	s_nop 4
	global_load_ushort v10, v10, s[8:9]
.LBB918_23:
	s_or_b64 exec, exec, s[0:1]
	v_or_b32_e32 v12, 0x1000, v0
	v_cmp_gt_u32_e32 vcc, s80, v12
                                        ; implicit-def: $vgpr11
	s_and_saveexec_b64 s[0:1], vcc
	s_cbranch_execz .LBB918_25
; %bb.24:
	v_lshlrev_b32_e32 v11, 1, v12
	v_readfirstlane_b32 s8, v18
	v_readfirstlane_b32 s9, v19
	s_nop 4
	global_load_ushort v11, v11, s[8:9]
.LBB918_25:
	s_or_b64 exec, exec, s[0:1]
	v_or_b32_e32 v13, 0x1200, v0
	v_cmp_gt_u32_e32 vcc, s80, v13
                                        ; implicit-def: $vgpr12
	s_and_saveexec_b64 s[0:1], vcc
	s_cbranch_execz .LBB918_27
; %bb.26:
	v_lshlrev_b32_e32 v12, 1, v13
	v_readfirstlane_b32 s8, v18
	v_readfirstlane_b32 s9, v19
	s_nop 4
	global_load_ushort v12, v12, s[8:9]
.LBB918_27:
	s_or_b64 exec, exec, s[0:1]
	v_or_b32_e32 v14, 0x1400, v0
	v_cmp_gt_u32_e32 vcc, s80, v14
                                        ; implicit-def: $vgpr13
	s_and_saveexec_b64 s[0:1], vcc
	s_cbranch_execz .LBB918_29
; %bb.28:
	v_lshlrev_b32_e32 v13, 1, v14
	v_readfirstlane_b32 s8, v18
	v_readfirstlane_b32 s9, v19
	s_nop 4
	global_load_ushort v13, v13, s[8:9]
.LBB918_29:
	s_or_b64 exec, exec, s[0:1]
	v_or_b32_e32 v15, 0x1600, v0
	v_cmp_gt_u32_e32 vcc, s80, v15
                                        ; implicit-def: $vgpr14
	s_and_saveexec_b64 s[0:1], vcc
	s_cbranch_execz .LBB918_31
; %bb.30:
	v_lshlrev_b32_e32 v14, 1, v15
	v_readfirstlane_b32 s8, v18
	v_readfirstlane_b32 s9, v19
	s_nop 4
	global_load_ushort v14, v14, s[8:9]
.LBB918_31:
	s_or_b64 exec, exec, s[0:1]
	v_or_b32_e32 v16, 0x1800, v0
	v_cmp_gt_u32_e32 vcc, s80, v16
                                        ; implicit-def: $vgpr15
	s_and_saveexec_b64 s[0:1], vcc
	s_cbranch_execz .LBB918_33
; %bb.32:
	v_lshlrev_b32_e32 v15, 1, v16
	v_readfirstlane_b32 s8, v18
	v_readfirstlane_b32 s9, v19
	s_nop 4
	global_load_ushort v15, v15, s[8:9]
.LBB918_33:
	s_or_b64 exec, exec, s[0:1]
	v_or_b32_e32 v17, 0x1a00, v0
	v_cmp_gt_u32_e32 vcc, s80, v17
                                        ; implicit-def: $vgpr16
	s_and_saveexec_b64 s[0:1], vcc
	s_cbranch_execz .LBB918_35
; %bb.34:
	v_lshlrev_b32_e32 v16, 1, v17
	v_readfirstlane_b32 s8, v18
	v_readfirstlane_b32 s9, v19
	s_nop 4
	global_load_ushort v16, v16, s[8:9]
.LBB918_35:
	s_or_b64 exec, exec, s[0:1]
	v_or_b32_e32 v20, 0x1c00, v0
	v_cmp_gt_u32_e32 vcc, s80, v20
                                        ; implicit-def: $vgpr17
	s_and_saveexec_b64 s[0:1], vcc
	s_cbranch_execz .LBB918_37
; %bb.36:
	v_lshlrev_b32_e32 v17, 1, v20
	v_readfirstlane_b32 s8, v18
	v_readfirstlane_b32 s9, v19
	s_nop 4
	global_load_ushort v17, v17, s[8:9]
.LBB918_37:
	s_or_b64 exec, exec, s[0:1]
	v_or_b32_e32 v21, 0x1e00, v0
	v_cmp_gt_u32_e32 vcc, s80, v21
                                        ; implicit-def: $vgpr20
	s_and_saveexec_b64 s[0:1], vcc
	s_cbranch_execz .LBB918_39
; %bb.38:
	v_lshlrev_b32_e32 v20, 1, v21
	v_readfirstlane_b32 s8, v18
	v_readfirstlane_b32 s9, v19
	s_nop 4
	global_load_ushort v20, v20, s[8:9]
.LBB918_39:
	s_or_b64 exec, exec, s[0:1]
	v_or_b32_e32 v22, 0x2000, v0
	v_cmp_gt_u32_e32 vcc, s80, v22
                                        ; implicit-def: $vgpr21
	s_and_saveexec_b64 s[0:1], vcc
	s_cbranch_execz .LBB918_41
; %bb.40:
	v_lshlrev_b32_e32 v21, 1, v22
	v_readfirstlane_b32 s8, v18
	v_readfirstlane_b32 s9, v19
	s_nop 4
	global_load_ushort v21, v21, s[8:9]
.LBB918_41:
	s_or_b64 exec, exec, s[0:1]
	v_or_b32_e32 v23, 0x2200, v0
	v_cmp_gt_u32_e32 vcc, s80, v23
                                        ; implicit-def: $vgpr22
	s_and_saveexec_b64 s[0:1], vcc
	s_cbranch_execz .LBB918_43
; %bb.42:
	v_lshlrev_b32_e32 v22, 1, v23
	v_readfirstlane_b32 s8, v18
	v_readfirstlane_b32 s9, v19
	s_nop 4
	global_load_ushort v22, v22, s[8:9]
.LBB918_43:
	s_or_b64 exec, exec, s[0:1]
	v_or_b32_e32 v24, 0x2400, v0
	v_cmp_gt_u32_e32 vcc, s80, v24
                                        ; implicit-def: $vgpr23
	s_and_saveexec_b64 s[0:1], vcc
	s_cbranch_execz .LBB918_45
; %bb.44:
	v_lshlrev_b32_e32 v23, 1, v24
	v_readfirstlane_b32 s8, v18
	v_readfirstlane_b32 s9, v19
	s_nop 4
	global_load_ushort v23, v23, s[8:9]
.LBB918_45:
	s_or_b64 exec, exec, s[0:1]
	v_or_b32_e32 v25, 0x2600, v0
	v_cmp_gt_u32_e32 vcc, s80, v25
                                        ; implicit-def: $vgpr24
	s_and_saveexec_b64 s[0:1], vcc
	s_cbranch_execz .LBB918_47
; %bb.46:
	v_lshlrev_b32_e32 v24, 1, v25
	v_readfirstlane_b32 s8, v18
	v_readfirstlane_b32 s9, v19
	s_nop 4
	global_load_ushort v24, v24, s[8:9]
.LBB918_47:
	s_or_b64 exec, exec, s[0:1]
	v_or_b32_e32 v26, 0x2800, v0
	v_cmp_gt_u32_e32 vcc, s80, v26
                                        ; implicit-def: $vgpr25
	s_and_saveexec_b64 s[0:1], vcc
	s_cbranch_execz .LBB918_49
; %bb.48:
	v_lshlrev_b32_e32 v25, 1, v26
	v_readfirstlane_b32 s8, v18
	v_readfirstlane_b32 s9, v19
	s_nop 4
	global_load_ushort v25, v25, s[8:9]
.LBB918_49:
	s_or_b64 exec, exec, s[0:1]
	v_or_b32_e32 v27, 0x2a00, v0
	v_cmp_gt_u32_e32 vcc, s80, v27
                                        ; implicit-def: $vgpr26
	s_and_saveexec_b64 s[0:1], vcc
	s_cbranch_execz .LBB918_51
; %bb.50:
	v_lshlrev_b32_e32 v26, 1, v27
	v_readfirstlane_b32 s8, v18
	v_readfirstlane_b32 s9, v19
	s_nop 4
	global_load_ushort v26, v26, s[8:9]
.LBB918_51:
	s_or_b64 exec, exec, s[0:1]
	v_or_b32_e32 v28, 0x2c00, v0
	v_cmp_gt_u32_e32 vcc, s80, v28
                                        ; implicit-def: $vgpr27
	s_and_saveexec_b64 s[0:1], vcc
	s_cbranch_execz .LBB918_53
; %bb.52:
	v_lshlrev_b32_e32 v27, 1, v28
	v_readfirstlane_b32 s8, v18
	v_readfirstlane_b32 s9, v19
	s_nop 4
	global_load_ushort v27, v27, s[8:9]
.LBB918_53:
	s_or_b64 exec, exec, s[0:1]
	v_or_b32_e32 v29, 0x2e00, v0
	v_cmp_gt_u32_e32 vcc, s80, v29
                                        ; implicit-def: $vgpr28
	s_and_saveexec_b64 s[0:1], vcc
	s_cbranch_execz .LBB918_55
; %bb.54:
	v_lshlrev_b32_e32 v28, 1, v29
	v_readfirstlane_b32 s8, v18
	v_readfirstlane_b32 s9, v19
	s_nop 4
	global_load_ushort v28, v28, s[8:9]
.LBB918_55:
	s_or_b64 exec, exec, s[0:1]
	v_or_b32_e32 v30, 0x3000, v0
	v_cmp_gt_u32_e32 vcc, s80, v30
                                        ; implicit-def: $vgpr29
	s_and_saveexec_b64 s[0:1], vcc
	s_cbranch_execz .LBB918_57
; %bb.56:
	v_lshlrev_b32_e32 v29, 1, v30
	v_readfirstlane_b32 s8, v18
	v_readfirstlane_b32 s9, v19
	s_nop 4
	global_load_ushort v29, v29, s[8:9]
.LBB918_57:
	s_or_b64 exec, exec, s[0:1]
	v_or_b32_e32 v31, 0x3200, v0
	v_cmp_gt_u32_e32 vcc, s80, v31
                                        ; implicit-def: $vgpr30
	s_and_saveexec_b64 s[0:1], vcc
	s_cbranch_execz .LBB918_59
; %bb.58:
	v_lshlrev_b32_e32 v30, 1, v31
	v_readfirstlane_b32 s8, v18
	v_readfirstlane_b32 s9, v19
	s_nop 4
	global_load_ushort v30, v30, s[8:9]
.LBB918_59:
	s_or_b64 exec, exec, s[0:1]
	v_or_b32_e32 v32, 0x3400, v0
	v_cmp_gt_u32_e32 vcc, s80, v32
                                        ; implicit-def: $vgpr31
	s_and_saveexec_b64 s[0:1], vcc
	s_cbranch_execz .LBB918_61
; %bb.60:
	v_lshlrev_b32_e32 v31, 1, v32
	v_readfirstlane_b32 s8, v18
	v_readfirstlane_b32 s9, v19
	s_nop 4
	global_load_ushort v31, v31, s[8:9]
.LBB918_61:
	s_or_b64 exec, exec, s[0:1]
	v_or_b32_e32 v33, 0x3600, v0
	v_cmp_gt_u32_e32 vcc, s80, v33
                                        ; implicit-def: $vgpr32
	s_and_saveexec_b64 s[0:1], vcc
	s_cbranch_execz .LBB918_63
; %bb.62:
	v_lshlrev_b32_e32 v32, 1, v33
	v_readfirstlane_b32 s8, v18
	v_readfirstlane_b32 s9, v19
	s_nop 4
	global_load_ushort v32, v32, s[8:9]
.LBB918_63:
	s_or_b64 exec, exec, s[0:1]
	v_or_b32_e32 v34, 0x3800, v0
	v_cmp_gt_u32_e32 vcc, s80, v34
                                        ; implicit-def: $vgpr33
	s_and_saveexec_b64 s[0:1], vcc
	s_cbranch_execz .LBB918_65
; %bb.64:
	v_lshlrev_b32_e32 v33, 1, v34
	v_readfirstlane_b32 s8, v18
	v_readfirstlane_b32 s9, v19
	s_nop 4
	global_load_ushort v33, v33, s[8:9]
.LBB918_65:
	s_or_b64 exec, exec, s[0:1]
	v_or_b32_e32 v35, 0x3a00, v0
	v_cmp_gt_u32_e32 vcc, s80, v35
                                        ; implicit-def: $vgpr34
	s_and_saveexec_b64 s[0:1], vcc
	s_cbranch_execz .LBB918_67
; %bb.66:
	v_lshlrev_b32_e32 v34, 1, v35
	v_readfirstlane_b32 s8, v18
	v_readfirstlane_b32 s9, v19
	s_nop 4
	global_load_ushort v34, v34, s[8:9]
.LBB918_67:
	s_or_b64 exec, exec, s[0:1]
	v_lshlrev_b32_e32 v35, 1, v0
	s_waitcnt vmcnt(0)
	ds_write_b16 v35, v1
	ds_write_b16 v35, v2 offset:1024
	ds_write_b16 v35, v3 offset:2048
	;; [unrolled: 1-line block ×29, first 2 shown]
	s_waitcnt lgkmcnt(0)
	s_barrier
.LBB918_68:
	v_mul_u32_u24_e32 v28, 30, v0
	v_lshlrev_b32_e32 v50, 1, v28
	ds_read_b32 v84, v50 offset:56
	ds_read2_b32 v[2:3], v50 offset0:12 offset1:13
	ds_read2_b32 v[16:17], v50 offset1:1
	ds_read2_b32 v[14:15], v50 offset0:2 offset1:3
	ds_read2_b32 v[12:13], v50 offset0:4 offset1:5
	;; [unrolled: 1-line block ×5, first 2 shown]
	s_cmp_lg_u32 s33, 0
	s_cselect_b64 s[16:17], -1, 0
	s_cmp_lg_u64 s[6:7], 0
	s_cselect_b64 s[0:1], -1, 0
	s_or_b64 s[0:1], s[0:1], s[16:17]
	v_mad_u32_u24 v20, v0, 30, 29
	v_mad_u32_u24 v21, v0, 30, 28
	s_waitcnt lgkmcnt(7)
	v_lshrrev_b32_e32 v1, 16, v84
	v_mad_u32_u24 v22, v0, 30, 27
	v_mad_u32_u24 v23, v0, 30, 26
	;; [unrolled: 1-line block ×6, first 2 shown]
	v_or_b32_e32 v48, 1, v28
	v_mad_u32_u24 v49, v0, 30, 2
	v_mad_u32_u24 v47, v0, 30, 3
	;; [unrolled: 1-line block ×20, first 2 shown]
	s_mov_b64 s[8:9], 0
	s_and_b64 vcc, exec, s[0:1]
	s_waitcnt lgkmcnt(0)
	s_barrier
	s_cbranch_vccz .LBB918_73
; %bb.69:
	global_load_ushort v18, v[18:19], off offset:-2
	v_lshlrev_b32_e32 v19, 1, v0
	s_and_b64 vcc, exec, s[26:27]
	ds_write_b16 v19, v1
	s_cbranch_vccz .LBB918_75
; %bb.70:
	s_waitcnt vmcnt(0)
	v_mov_b32_e32 v51, v18
	s_waitcnt lgkmcnt(0)
	s_barrier
	s_and_saveexec_b64 s[0:1], s[2:3]
	s_cbranch_execz .LBB918_72
; %bb.71:
	v_add_u32_e32 v51, -2, v19
	ds_read_u16 v51, v51
.LBB918_72:
	s_or_b64 exec, exec, s[0:1]
	v_cmp_neq_f16_sdwa s[0:1], v3, v84 src0_sel:WORD_1 src1_sel:DWORD
	v_cmp_neq_f16_e32 vcc, v84, v1
	s_nop 0
	v_cndmask_b32_e64 v86, 0, 1, s[0:1]
	v_cmp_neq_f16_sdwa s[0:1], v3, v3 src0_sel:DWORD src1_sel:WORD_1
	v_cndmask_b32_e64 v85, 0, 1, vcc
	s_nop 0
	v_cndmask_b32_e64 v87, 0, 1, s[0:1]
	v_cmp_neq_f16_sdwa s[0:1], v2, v3 src0_sel:WORD_1 src1_sel:DWORD
	s_nop 1
	v_cndmask_b32_e64 v88, 0, 1, s[0:1]
	v_cmp_neq_f16_sdwa s[0:1], v2, v2 src0_sel:DWORD src1_sel:WORD_1
	s_nop 1
	v_cndmask_b32_e64 v89, 0, 1, s[0:1]
	v_cmp_neq_f16_sdwa s[0:1], v5, v2 src0_sel:WORD_1 src1_sel:DWORD
	s_nop 1
	v_cndmask_b32_e64 v90, 0, 1, s[0:1]
	v_cmp_neq_f16_sdwa s[0:1], v5, v5 src0_sel:DWORD src1_sel:WORD_1
	;; [unrolled: 6-line block ×13, first 2 shown]
	s_nop 1
	v_cndmask_b32_e64 v113, 0, 1, s[0:1]
	s_waitcnt lgkmcnt(0)
	v_cmp_neq_f16_e64 s[0:1], v16, v51
	s_branch .LBB918_79
.LBB918_73:
                                        ; implicit-def: $sgpr0_sgpr1
                                        ; implicit-def: $vgpr113
                                        ; implicit-def: $vgpr112
                                        ; implicit-def: $vgpr111
                                        ; implicit-def: $vgpr110
                                        ; implicit-def: $vgpr109
                                        ; implicit-def: $vgpr108
                                        ; implicit-def: $vgpr107
                                        ; implicit-def: $vgpr106
                                        ; implicit-def: $vgpr105
                                        ; implicit-def: $vgpr104
                                        ; implicit-def: $vgpr103
                                        ; implicit-def: $vgpr102
                                        ; implicit-def: $vgpr101
                                        ; implicit-def: $vgpr100
                                        ; implicit-def: $vgpr99
                                        ; implicit-def: $vgpr98
                                        ; implicit-def: $vgpr97
                                        ; implicit-def: $vgpr96
                                        ; implicit-def: $vgpr95
                                        ; implicit-def: $vgpr94
                                        ; implicit-def: $vgpr93
                                        ; implicit-def: $vgpr92
                                        ; implicit-def: $vgpr91
                                        ; implicit-def: $vgpr90
                                        ; implicit-def: $vgpr89
                                        ; implicit-def: $vgpr88
                                        ; implicit-def: $vgpr87
                                        ; implicit-def: $vgpr86
                                        ; implicit-def: $vgpr85
	s_branch .LBB918_80
.LBB918_74:
                                        ; implicit-def: $sgpr10
	s_branch .LBB918_88
.LBB918_75:
                                        ; implicit-def: $sgpr0_sgpr1
                                        ; implicit-def: $vgpr113
                                        ; implicit-def: $vgpr112
                                        ; implicit-def: $vgpr111
                                        ; implicit-def: $vgpr110
                                        ; implicit-def: $vgpr109
                                        ; implicit-def: $vgpr108
                                        ; implicit-def: $vgpr107
                                        ; implicit-def: $vgpr106
                                        ; implicit-def: $vgpr105
                                        ; implicit-def: $vgpr104
                                        ; implicit-def: $vgpr103
                                        ; implicit-def: $vgpr102
                                        ; implicit-def: $vgpr101
                                        ; implicit-def: $vgpr100
                                        ; implicit-def: $vgpr99
                                        ; implicit-def: $vgpr98
                                        ; implicit-def: $vgpr97
                                        ; implicit-def: $vgpr96
                                        ; implicit-def: $vgpr95
                                        ; implicit-def: $vgpr94
                                        ; implicit-def: $vgpr93
                                        ; implicit-def: $vgpr92
                                        ; implicit-def: $vgpr91
                                        ; implicit-def: $vgpr90
                                        ; implicit-def: $vgpr89
                                        ; implicit-def: $vgpr88
                                        ; implicit-def: $vgpr87
                                        ; implicit-def: $vgpr86
                                        ; implicit-def: $vgpr85
	s_cbranch_execz .LBB918_79
; %bb.76:
	s_waitcnt lgkmcnt(0)
	s_barrier
	s_and_saveexec_b64 s[0:1], s[2:3]
	s_cbranch_execz .LBB918_78
; %bb.77:
	s_waitcnt vmcnt(0)
	v_add_u32_e32 v18, -2, v19
	ds_read_u16 v18, v18
.LBB918_78:
	s_or_b64 exec, exec, s[0:1]
	v_cmp_gt_u32_e32 vcc, s80, v20
	v_cmp_neq_f16_e64 s[0:1], v84, v1
	s_and_b64 s[0:1], vcc, s[0:1]
	v_cmp_gt_u32_e32 vcc, s80, v21
	v_cndmask_b32_e64 v85, 0, 1, s[0:1]
	v_cmp_neq_f16_sdwa s[0:1], v3, v84 src0_sel:WORD_1 src1_sel:DWORD
	s_and_b64 s[0:1], vcc, s[0:1]
	v_cmp_gt_u32_e32 vcc, s80, v22
	v_cndmask_b32_e64 v86, 0, 1, s[0:1]
	v_cmp_neq_f16_sdwa s[0:1], v3, v3 src0_sel:DWORD src1_sel:WORD_1
	s_and_b64 s[0:1], vcc, s[0:1]
	v_cmp_gt_u32_e32 vcc, s80, v23
	v_cndmask_b32_e64 v87, 0, 1, s[0:1]
	v_cmp_neq_f16_sdwa s[0:1], v2, v3 src0_sel:WORD_1 src1_sel:DWORD
	s_and_b64 s[0:1], vcc, s[0:1]
	v_cmp_gt_u32_e32 vcc, s80, v24
	v_cndmask_b32_e64 v88, 0, 1, s[0:1]
	v_cmp_neq_f16_sdwa s[0:1], v2, v2 src0_sel:DWORD src1_sel:WORD_1
	;; [unrolled: 8-line block ×14, first 2 shown]
	s_and_b64 s[0:1], vcc, s[0:1]
	v_cmp_gt_u32_e32 vcc, s80, v28
	v_cndmask_b32_e64 v113, 0, 1, s[0:1]
	s_waitcnt vmcnt(0) lgkmcnt(0)
	v_cmp_neq_f16_e64 s[0:1], v16, v18
	s_and_b64 s[0:1], vcc, s[0:1]
.LBB918_79:
	s_mov_b64 s[8:9], -1
	s_cbranch_execnz .LBB918_74
.LBB918_80:
	s_movk_i32 s0, 0xffc6
	s_waitcnt vmcnt(0)
	v_mad_i32_i24 v18, v0, s0, v50
	s_and_b64 vcc, exec, s[26:27]
	v_cmp_neq_f16_e64 s[0:1], v84, v1
	v_cmp_neq_f16_sdwa s[6:7], v3, v84 src0_sel:WORD_1 src1_sel:DWORD
	v_cmp_neq_f16_sdwa s[10:11], v3, v3 src0_sel:DWORD src1_sel:WORD_1
	v_cmp_neq_f16_sdwa s[12:13], v2, v3 src0_sel:WORD_1 src1_sel:DWORD
	v_cmp_neq_f16_sdwa s[14:15], v2, v2 src0_sel:DWORD src1_sel:WORD_1
	;; [unrolled: 2-line block ×14, first 2 shown]
	ds_write_b16 v18, v1
	s_cbranch_vccz .LBB918_84
; %bb.81:
	v_cndmask_b32_e64 v85, 0, 1, s[0:1]
	v_cndmask_b32_e64 v86, 0, 1, s[6:7]
	;; [unrolled: 1-line block ×29, first 2 shown]
	s_waitcnt lgkmcnt(0)
	s_barrier
	s_waitcnt lgkmcnt(0)
                                        ; implicit-def: $sgpr0_sgpr1
	s_and_saveexec_b64 s[6:7], s[2:3]
	s_xor_b64 s[6:7], exec, s[6:7]
	s_cbranch_execz .LBB918_83
; %bb.82:
	v_add_u32_e32 v19, -2, v18
	ds_read_u16 v19, v19
	s_or_b64 s[8:9], s[8:9], exec
	s_waitcnt lgkmcnt(0)
	v_cmp_neq_f16_e32 vcc, v19, v16
	s_and_b64 s[0:1], vcc, exec
.LBB918_83:
	s_or_b64 exec, exec, s[6:7]
	s_mov_b32 s10, 1
	s_branch .LBB918_88
.LBB918_84:
                                        ; implicit-def: $sgpr0_sgpr1
                                        ; implicit-def: $vgpr113
                                        ; implicit-def: $vgpr112
                                        ; implicit-def: $vgpr111
                                        ; implicit-def: $vgpr110
                                        ; implicit-def: $vgpr109
                                        ; implicit-def: $vgpr108
                                        ; implicit-def: $vgpr107
                                        ; implicit-def: $vgpr106
                                        ; implicit-def: $vgpr105
                                        ; implicit-def: $vgpr104
                                        ; implicit-def: $vgpr103
                                        ; implicit-def: $vgpr102
                                        ; implicit-def: $vgpr101
                                        ; implicit-def: $vgpr100
                                        ; implicit-def: $vgpr99
                                        ; implicit-def: $vgpr98
                                        ; implicit-def: $vgpr97
                                        ; implicit-def: $vgpr96
                                        ; implicit-def: $vgpr95
                                        ; implicit-def: $vgpr94
                                        ; implicit-def: $vgpr93
                                        ; implicit-def: $vgpr92
                                        ; implicit-def: $vgpr91
                                        ; implicit-def: $vgpr90
                                        ; implicit-def: $vgpr89
                                        ; implicit-def: $vgpr88
                                        ; implicit-def: $vgpr87
                                        ; implicit-def: $vgpr86
                                        ; implicit-def: $vgpr85
                                        ; implicit-def: $sgpr10
	s_cbranch_execz .LBB918_88
; %bb.85:
	v_cmp_gt_u32_e32 vcc, s80, v20
	v_cmp_neq_f16_e64 s[0:1], v84, v1
	s_and_b64 s[0:1], vcc, s[0:1]
	v_cmp_gt_u32_e32 vcc, s80, v21
	v_cndmask_b32_e64 v85, 0, 1, s[0:1]
	v_cmp_neq_f16_sdwa s[0:1], v3, v84 src0_sel:WORD_1 src1_sel:DWORD
	s_and_b64 s[0:1], vcc, s[0:1]
	v_cmp_gt_u32_e32 vcc, s80, v22
	v_cndmask_b32_e64 v86, 0, 1, s[0:1]
	v_cmp_neq_f16_sdwa s[0:1], v3, v3 src0_sel:DWORD src1_sel:WORD_1
	s_and_b64 s[0:1], vcc, s[0:1]
	v_cmp_gt_u32_e32 vcc, s80, v23
	v_cndmask_b32_e64 v87, 0, 1, s[0:1]
	v_cmp_neq_f16_sdwa s[0:1], v2, v3 src0_sel:WORD_1 src1_sel:DWORD
	s_and_b64 s[0:1], vcc, s[0:1]
	v_cmp_gt_u32_e32 vcc, s80, v24
	v_cndmask_b32_e64 v88, 0, 1, s[0:1]
	v_cmp_neq_f16_sdwa s[0:1], v2, v2 src0_sel:DWORD src1_sel:WORD_1
	;; [unrolled: 8-line block ×14, first 2 shown]
	s_and_b64 s[0:1], vcc, s[0:1]
	s_waitcnt lgkmcnt(0)
	v_cndmask_b32_e64 v113, 0, 1, s[0:1]
	s_barrier
	s_waitcnt lgkmcnt(0)
                                        ; implicit-def: $sgpr0_sgpr1
	s_and_saveexec_b64 s[6:7], s[2:3]
	s_cbranch_execz .LBB918_87
; %bb.86:
	v_add_u32_e32 v18, -2, v18
	ds_read_u16 v18, v18
	v_cmp_gt_u32_e32 vcc, s80, v28
	s_or_b64 s[8:9], s[8:9], exec
	s_waitcnt lgkmcnt(0)
	v_cmp_neq_f16_e64 s[0:1], v18, v16
	s_and_b64 s[0:1], vcc, s[0:1]
	s_and_b64 s[0:1], s[0:1], exec
.LBB918_87:
	s_or_b64 exec, exec, s[6:7]
	s_mov_b32 s10, 1
.LBB918_88:
	v_mov_b32_e32 v114, s10
	s_and_saveexec_b64 s[2:3], s[8:9]
; %bb.89:
	v_cndmask_b32_e64 v114, 0, 1, s[0:1]
; %bb.90:
	s_or_b64 exec, exec, s[2:3]
	s_andn2_b64 vcc, exec, s[4:5]
	s_cbranch_vccnz .LBB918_92
; %bb.91:
	v_cmp_gt_u32_e32 vcc, s80, v28
	s_nop 1
	v_cndmask_b32_e32 v114, 0, v114, vcc
	v_cmp_gt_u32_e32 vcc, s80, v48
	s_nop 1
	v_cndmask_b32_e32 v113, 0, v113, vcc
	v_cmp_gt_u32_e32 vcc, s80, v49
	s_nop 1
	v_cndmask_b32_e32 v112, 0, v112, vcc
	v_cmp_gt_u32_e32 vcc, s80, v47
	s_nop 1
	v_cndmask_b32_e32 v111, 0, v111, vcc
	v_cmp_gt_u32_e32 vcc, s80, v46
	s_nop 1
	v_cndmask_b32_e32 v110, 0, v110, vcc
	v_cmp_gt_u32_e32 vcc, s80, v44
	s_nop 1
	v_cndmask_b32_e32 v109, 0, v109, vcc
	v_cmp_gt_u32_e32 vcc, s80, v45
	s_nop 1
	v_cndmask_b32_e32 v108, 0, v108, vcc
	v_cmp_gt_u32_e32 vcc, s80, v43
	s_nop 1
	v_cndmask_b32_e32 v107, 0, v107, vcc
	v_cmp_gt_u32_e32 vcc, s80, v42
	s_nop 1
	v_cndmask_b32_e32 v106, 0, v106, vcc
	v_cmp_gt_u32_e32 vcc, s80, v39
	s_nop 1
	v_cndmask_b32_e32 v105, 0, v105, vcc
	v_cmp_gt_u32_e32 vcc, s80, v40
	s_nop 1
	v_cndmask_b32_e32 v104, 0, v104, vcc
	v_cmp_gt_u32_e32 vcc, s80, v37
	s_nop 1
	v_cndmask_b32_e32 v103, 0, v103, vcc
	v_cmp_gt_u32_e32 vcc, s80, v34
	s_nop 1
	v_cndmask_b32_e32 v102, 0, v102, vcc
	v_cmp_gt_u32_e32 vcc, s80, v31
	s_nop 1
	v_cndmask_b32_e32 v101, 0, v101, vcc
	v_cmp_gt_u32_e32 vcc, s80, v41
	s_nop 1
	v_cndmask_b32_e32 v100, 0, v100, vcc
	v_cmp_gt_u32_e32 vcc, s80, v38
	s_nop 1
	v_cndmask_b32_e32 v99, 0, v99, vcc
	v_cmp_gt_u32_e32 vcc, s80, v35
	s_nop 1
	v_cndmask_b32_e32 v98, 0, v98, vcc
	v_cmp_gt_u32_e32 vcc, s80, v32
	s_nop 1
	v_cndmask_b32_e32 v97, 0, v97, vcc
	v_cmp_gt_u32_e32 vcc, s80, v36
	s_nop 1
	v_cndmask_b32_e32 v96, 0, v96, vcc
	v_cmp_gt_u32_e32 vcc, s80, v33
	s_nop 1
	v_cndmask_b32_e32 v95, 0, v95, vcc
	v_cmp_gt_u32_e32 vcc, s80, v30
	s_nop 1
	v_cndmask_b32_e32 v94, 0, v94, vcc
	v_cmp_gt_u32_e32 vcc, s80, v29
	s_nop 1
	v_cndmask_b32_e32 v93, 0, v93, vcc
	v_cmp_gt_u32_e32 vcc, s80, v27
	s_nop 1
	v_cndmask_b32_e32 v92, 0, v92, vcc
	v_cmp_gt_u32_e32 vcc, s80, v26
	s_nop 1
	v_cndmask_b32_e32 v91, 0, v91, vcc
	v_cmp_gt_u32_e32 vcc, s80, v25
	s_nop 1
	v_cndmask_b32_e32 v90, 0, v90, vcc
	v_cmp_gt_u32_e32 vcc, s80, v24
	s_nop 1
	v_cndmask_b32_e32 v89, 0, v89, vcc
	v_cmp_gt_u32_e32 vcc, s80, v23
	s_nop 1
	v_cndmask_b32_e32 v88, 0, v88, vcc
	v_cmp_gt_u32_e32 vcc, s80, v22
	s_nop 1
	v_cndmask_b32_e32 v87, 0, v87, vcc
	v_cmp_gt_u32_e32 vcc, s80, v21
	s_nop 1
	v_cndmask_b32_e32 v86, 0, v86, vcc
	v_cmp_gt_u32_e32 vcc, s80, v20
	s_nop 1
	v_cndmask_b32_e32 v85, 0, v85, vcc
.LBB918_92:
	v_and_b32_e32 v63, 0xff, v88
	v_and_b32_e32 v65, 0xff, v87
	s_waitcnt vmcnt(0)
	v_add_u32_sdwa v18, v86, v85 dst_sel:DWORD dst_unused:UNUSED_PAD src0_sel:BYTE_0 src1_sel:BYTE_0
	v_and_b32_e32 v59, 0xff, v90
	v_and_b32_e32 v61, 0xff, v89
	v_add3_u32 v18, v18, v65, v63
	v_and_b32_e32 v55, 0xff, v92
	v_and_b32_e32 v57, 0xff, v91
	v_add3_u32 v18, v18, v61, v59
	v_and_b32_e32 v51, 0xff, v94
	v_and_b32_e32 v53, 0xff, v93
	v_add3_u32 v18, v18, v57, v55
	v_and_b32_e32 v47, 0xff, v96
	v_and_b32_e32 v49, 0xff, v95
	v_add3_u32 v18, v18, v53, v51
	v_and_b32_e32 v44, 0xff, v98
	v_and_b32_e32 v45, 0xff, v97
	v_add3_u32 v18, v18, v49, v47
	v_and_b32_e32 v42, 0xff, v100
	v_and_b32_e32 v43, 0xff, v99
	v_add3_u32 v18, v18, v45, v44
	v_and_b32_e32 v40, 0xff, v102
	v_and_b32_e32 v41, 0xff, v101
	v_add3_u32 v18, v18, v43, v42
	v_and_b32_e32 v38, 0xff, v104
	v_and_b32_e32 v39, 0xff, v103
	v_add3_u32 v18, v18, v41, v40
	v_and_b32_e32 v36, 0xff, v106
	v_and_b32_e32 v37, 0xff, v105
	v_add3_u32 v18, v18, v39, v38
	v_and_b32_e32 v34, 0xff, v108
	v_and_b32_e32 v35, 0xff, v107
	v_add3_u32 v18, v18, v37, v36
	v_and_b32_e32 v32, 0xff, v110
	v_and_b32_e32 v33, 0xff, v109
	v_add3_u32 v18, v18, v35, v34
	v_and_b32_e32 v30, 0xff, v112
	v_and_b32_e32 v31, 0xff, v111
	v_add3_u32 v18, v18, v33, v32
	v_and_b32_e32 v28, 0xff, v114
	v_and_b32_e32 v29, 0xff, v113
	v_add3_u32 v18, v18, v31, v30
	v_add3_u32 v50, v18, v29, v28
	v_mbcnt_lo_u32_b32 v18, -1, 0
	v_mbcnt_hi_u32_b32 v46, -1, v18
	v_and_b32_e32 v18, 15, v46
	v_cmp_eq_u32_e64 s[14:15], 0, v18
	v_cmp_lt_u32_e64 s[12:13], 1, v18
	v_cmp_lt_u32_e64 s[10:11], 3, v18
	v_cmp_lt_u32_e64 s[8:9], 7, v18
	v_and_b32_e32 v18, 16, v46
	v_cmp_eq_u32_e64 s[6:7], 0, v18
	v_or_b32_e32 v18, 63, v0
	v_cmp_lt_u32_e64 s[2:3], 31, v46
	v_lshrrev_b32_e32 v48, 6, v0
	v_cmp_eq_u32_e64 s[4:5], v18, v0
	s_and_b64 vcc, exec, s[16:17]
	s_waitcnt lgkmcnt(0)
	s_barrier
	s_cbranch_vccz .LBB918_119
; %bb.93:
	v_mov_b32_dpp v18, v50 row_shr:1 row_mask:0xf bank_mask:0xf
	v_cndmask_b32_e64 v18, v18, 0, s[14:15]
	v_add_u32_e32 v18, v18, v50
	s_nop 1
	v_mov_b32_dpp v19, v18 row_shr:2 row_mask:0xf bank_mask:0xf
	v_cndmask_b32_e64 v19, 0, v19, s[12:13]
	v_add_u32_e32 v18, v18, v19
	s_nop 1
	v_mov_b32_dpp v19, v18 row_shr:4 row_mask:0xf bank_mask:0xf
	v_cndmask_b32_e64 v19, 0, v19, s[10:11]
	v_add_u32_e32 v18, v18, v19
	s_nop 1
	v_mov_b32_dpp v19, v18 row_shr:8 row_mask:0xf bank_mask:0xf
	v_cndmask_b32_e64 v19, 0, v19, s[8:9]
	v_add_u32_e32 v18, v18, v19
	s_nop 1
	v_mov_b32_dpp v19, v18 row_bcast:15 row_mask:0xf bank_mask:0xf
	v_cndmask_b32_e64 v19, v19, 0, s[6:7]
	v_add_u32_e32 v18, v18, v19
	s_nop 1
	v_mov_b32_dpp v19, v18 row_bcast:31 row_mask:0xf bank_mask:0xf
	v_cndmask_b32_e64 v19, 0, v19, s[2:3]
	v_add_u32_e32 v18, v18, v19
	s_and_saveexec_b64 s[0:1], s[4:5]
	s_cbranch_execz .LBB918_95
; %bb.94:
	v_lshlrev_b32_e32 v19, 2, v48
	ds_write_b32 v19, v18
.LBB918_95:
	s_or_b64 exec, exec, s[0:1]
	v_cmp_gt_u32_e32 vcc, 8, v0
	s_waitcnt lgkmcnt(0)
	s_barrier
	s_and_saveexec_b64 s[0:1], vcc
	s_cbranch_execz .LBB918_97
; %bb.96:
	v_lshlrev_b32_e32 v19, 2, v0
	ds_read_b32 v20, v19
	v_and_b32_e32 v21, 7, v46
	v_cmp_ne_u32_e32 vcc, 0, v21
	s_waitcnt lgkmcnt(0)
	v_mov_b32_dpp v22, v20 row_shr:1 row_mask:0xf bank_mask:0xf
	v_cndmask_b32_e32 v22, 0, v22, vcc
	v_add_u32_e32 v20, v22, v20
	v_cmp_lt_u32_e32 vcc, 1, v21
	s_nop 0
	v_mov_b32_dpp v22, v20 row_shr:2 row_mask:0xf bank_mask:0xf
	v_cndmask_b32_e32 v22, 0, v22, vcc
	v_add_u32_e32 v20, v20, v22
	v_cmp_lt_u32_e32 vcc, 3, v21
	s_nop 0
	v_mov_b32_dpp v22, v20 row_shr:4 row_mask:0xf bank_mask:0xf
	v_cndmask_b32_e32 v21, 0, v22, vcc
	v_add_u32_e32 v20, v20, v21
	ds_write_b32 v19, v20
.LBB918_97:
	s_or_b64 exec, exec, s[0:1]
	v_cmp_gt_u32_e32 vcc, 64, v0
	v_cmp_lt_u32_e64 s[0:1], 63, v0
	s_waitcnt lgkmcnt(0)
	s_barrier
	s_waitcnt lgkmcnt(0)
                                        ; implicit-def: $vgpr52
	s_and_saveexec_b64 s[16:17], s[0:1]
	s_cbranch_execz .LBB918_99
; %bb.98:
	v_lshl_add_u32 v19, v48, 2, -4
	ds_read_b32 v52, v19
	s_waitcnt lgkmcnt(0)
	v_add_u32_e32 v18, v52, v18
.LBB918_99:
	s_or_b64 exec, exec, s[16:17]
	v_add_u32_e32 v19, -1, v46
	v_and_b32_e32 v20, 64, v46
	v_cmp_lt_i32_e64 s[0:1], v19, v20
	v_cmp_eq_u32_e64 s[16:17], 0, v46
	s_nop 0
	v_cndmask_b32_e64 v19, v19, v46, s[0:1]
	v_lshlrev_b32_e32 v19, 2, v19
	ds_bpermute_b32 v54, v19, v18
	s_and_saveexec_b64 s[0:1], vcc
	s_cbranch_execz .LBB918_118
; %bb.100:
	v_mov_b32_e32 v25, 0
	ds_read_b32 v18, v25 offset:28
	s_and_saveexec_b64 s[30:31], s[16:17]
	s_cbranch_execz .LBB918_102
; %bb.101:
	s_add_i32 s34, s33, 64
	s_mov_b32 s35, 0
	s_lshl_b64 s[34:35], s[34:35], 3
	s_add_u32 s34, s28, s34
	v_mov_b32_e32 v19, 1
	s_addc_u32 s35, s29, s35
	s_waitcnt lgkmcnt(0)
	global_store_dwordx2 v25, v[18:19], s[34:35] sc1
.LBB918_102:
	s_or_b64 exec, exec, s[30:31]
	v_xad_u32 v20, v46, -1, s33
	v_add_u32_e32 v24, 64, v20
	v_lshl_add_u64 v[26:27], v[24:25], 3, s[28:29]
	global_load_dwordx2 v[22:23], v[26:27], off sc1
	s_waitcnt vmcnt(0)
	v_cmp_eq_u16_sdwa s[34:35], v23, v25 src0_sel:BYTE_0 src1_sel:DWORD
	s_and_saveexec_b64 s[30:31], s[34:35]
	s_cbranch_execz .LBB918_106
; %bb.103:
	s_mov_b64 s[34:35], 0
	v_mov_b32_e32 v19, 0
.LBB918_104:                            ; =>This Inner Loop Header: Depth=1
	global_load_dwordx2 v[22:23], v[26:27], off sc1
	s_waitcnt vmcnt(0)
	v_cmp_ne_u16_sdwa s[36:37], v23, v19 src0_sel:BYTE_0 src1_sel:DWORD
	s_or_b64 s[34:35], s[36:37], s[34:35]
	s_andn2_b64 exec, exec, s[34:35]
	s_cbranch_execnz .LBB918_104
; %bb.105:
	s_or_b64 exec, exec, s[34:35]
.LBB918_106:
	s_or_b64 exec, exec, s[30:31]
	v_and_b32_e32 v58, 63, v46
	v_mov_b32_e32 v56, 2
	v_cmp_ne_u32_e32 vcc, 63, v58
	v_cmp_eq_u16_sdwa s[30:31], v23, v56 src0_sel:BYTE_0 src1_sel:DWORD
	v_lshlrev_b64 v[24:25], v46, -1
	v_addc_co_u32_e32 v26, vcc, 0, v46, vcc
	v_and_b32_e32 v19, s31, v25
	v_lshlrev_b32_e32 v60, 2, v26
	v_or_b32_e32 v19, 0x80000000, v19
	ds_bpermute_b32 v26, v60, v22
	v_and_b32_e32 v21, s30, v24
	v_ffbl_b32_e32 v19, v19
	v_add_u32_e32 v19, 32, v19
	v_ffbl_b32_e32 v21, v21
	v_min_u32_e32 v19, v21, v19
	v_cmp_lt_u32_e32 vcc, v58, v19
	v_add_u32_e32 v64, 2, v58
	v_add_u32_e32 v67, 4, v58
	s_waitcnt lgkmcnt(0)
	v_cndmask_b32_e32 v21, 0, v26, vcc
	v_cmp_gt_u32_e32 vcc, 62, v58
	v_add_u32_e32 v21, v21, v22
	v_add_u32_e32 v69, 8, v58
	v_cndmask_b32_e64 v22, 0, 1, vcc
	v_lshlrev_b32_e32 v22, 1, v22
	v_add_lshl_u32 v62, v22, v46, 2
	ds_bpermute_b32 v22, v62, v21
	v_cmp_le_u32_e32 vcc, v64, v19
	v_add_u32_e32 v71, 16, v58
	v_add_u32_e32 v73, 32, v58
	s_waitcnt lgkmcnt(0)
	v_cndmask_b32_e32 v22, 0, v22, vcc
	v_cmp_gt_u32_e32 vcc, 60, v58
	v_add_u32_e32 v21, v21, v22
	s_nop 0
	v_cndmask_b32_e64 v22, 0, 1, vcc
	v_lshlrev_b32_e32 v22, 2, v22
	v_add_lshl_u32 v66, v22, v46, 2
	ds_bpermute_b32 v22, v66, v21
	v_cmp_le_u32_e32 vcc, v67, v19
	s_waitcnt lgkmcnt(0)
	s_nop 0
	v_cndmask_b32_e32 v22, 0, v22, vcc
	v_cmp_gt_u32_e32 vcc, 56, v58
	v_add_u32_e32 v21, v21, v22
	s_nop 0
	v_cndmask_b32_e64 v22, 0, 1, vcc
	v_lshlrev_b32_e32 v22, 3, v22
	v_add_lshl_u32 v68, v22, v46, 2
	ds_bpermute_b32 v22, v68, v21
	v_cmp_le_u32_e32 vcc, v69, v19
	s_waitcnt lgkmcnt(0)
	s_nop 0
	;; [unrolled: 11-line block ×4, first 2 shown]
	v_cndmask_b32_e32 v19, 0, v22, vcc
	v_add_u32_e32 v22, v21, v19
	v_mov_b32_e32 v21, 0
	s_branch .LBB918_108
.LBB918_107:                            ;   in Loop: Header=BB918_108 Depth=1
	s_or_b64 exec, exec, s[30:31]
	v_cmp_eq_u16_sdwa s[30:31], v23, v56 src0_sel:BYTE_0 src1_sel:DWORD
	ds_bpermute_b32 v74, v60, v22
	v_subrev_u32_e32 v20, 64, v20
	v_and_b32_e32 v26, s31, v25
	v_or_b32_e32 v26, 0x80000000, v26
	v_and_b32_e32 v27, s30, v24
	v_ffbl_b32_e32 v26, v26
	v_add_u32_e32 v26, 32, v26
	v_ffbl_b32_e32 v27, v27
	v_min_u32_e32 v26, v27, v26
	v_cmp_lt_u32_e32 vcc, v58, v26
	s_waitcnt lgkmcnt(0)
	s_nop 0
	v_cndmask_b32_e32 v27, 0, v74, vcc
	v_add_u32_e32 v22, v27, v22
	ds_bpermute_b32 v27, v62, v22
	v_cmp_le_u32_e32 vcc, v64, v26
	s_waitcnt lgkmcnt(0)
	s_nop 0
	v_cndmask_b32_e32 v27, 0, v27, vcc
	v_add_u32_e32 v22, v22, v27
	ds_bpermute_b32 v27, v66, v22
	v_cmp_le_u32_e32 vcc, v67, v26
	s_waitcnt lgkmcnt(0)
	s_nop 0
	v_cndmask_b32_e32 v27, 0, v27, vcc
	v_add_u32_e32 v22, v22, v27
	ds_bpermute_b32 v27, v68, v22
	v_cmp_le_u32_e32 vcc, v69, v26
	s_waitcnt lgkmcnt(0)
	s_nop 0
	v_cndmask_b32_e32 v27, 0, v27, vcc
	v_add_u32_e32 v22, v22, v27
	ds_bpermute_b32 v27, v70, v22
	v_cmp_le_u32_e32 vcc, v71, v26
	s_waitcnt lgkmcnt(0)
	s_nop 0
	v_cndmask_b32_e32 v27, 0, v27, vcc
	v_add_u32_e32 v22, v22, v27
	ds_bpermute_b32 v27, v72, v22
	v_cmp_le_u32_e32 vcc, v73, v26
	s_waitcnt lgkmcnt(0)
	s_nop 0
	v_cndmask_b32_e32 v26, 0, v27, vcc
	v_add3_u32 v22, v26, v19, v22
.LBB918_108:                            ; =>This Loop Header: Depth=1
                                        ;     Child Loop BB918_111 Depth 2
	v_cmp_ne_u16_sdwa s[30:31], v23, v56 src0_sel:BYTE_0 src1_sel:DWORD
	s_nop 1
	v_cndmask_b32_e64 v19, 0, 1, s[30:31]
	;;#ASMSTART
	;;#ASMEND
	s_nop 0
	v_cmp_ne_u32_e32 vcc, 0, v19
	s_cmp_lg_u64 vcc, exec
	v_mov_b32_e32 v19, v22
	s_cbranch_scc1 .LBB918_113
; %bb.109:                              ;   in Loop: Header=BB918_108 Depth=1
	v_lshl_add_u64 v[26:27], v[20:21], 3, s[28:29]
	global_load_dwordx2 v[22:23], v[26:27], off sc1
	s_waitcnt vmcnt(0)
	v_cmp_eq_u16_sdwa s[34:35], v23, v21 src0_sel:BYTE_0 src1_sel:DWORD
	s_and_saveexec_b64 s[30:31], s[34:35]
	s_cbranch_execz .LBB918_107
; %bb.110:                              ;   in Loop: Header=BB918_108 Depth=1
	s_mov_b64 s[34:35], 0
.LBB918_111:                            ;   Parent Loop BB918_108 Depth=1
                                        ; =>  This Inner Loop Header: Depth=2
	global_load_dwordx2 v[22:23], v[26:27], off sc1
	s_waitcnt vmcnt(0)
	v_cmp_ne_u16_sdwa s[36:37], v23, v21 src0_sel:BYTE_0 src1_sel:DWORD
	s_or_b64 s[34:35], s[36:37], s[34:35]
	s_andn2_b64 exec, exec, s[34:35]
	s_cbranch_execnz .LBB918_111
; %bb.112:                              ;   in Loop: Header=BB918_108 Depth=1
	s_or_b64 exec, exec, s[34:35]
	s_branch .LBB918_107
.LBB918_113:                            ;   in Loop: Header=BB918_108 Depth=1
                                        ; implicit-def: $vgpr22
                                        ; implicit-def: $vgpr23
	s_cbranch_execz .LBB918_108
; %bb.114:
	s_and_saveexec_b64 s[30:31], s[16:17]
	s_cbranch_execz .LBB918_116
; %bb.115:
	s_add_i32 s34, s33, 64
	s_mov_b32 s35, 0
	s_lshl_b64 s[34:35], s[34:35], 3
	s_add_u32 s34, s28, s34
	v_add_u32_e32 v20, v19, v18
	v_mov_b32_e32 v21, 2
	s_addc_u32 s35, s29, s35
	v_mov_b32_e32 v22, 0
	global_store_dwordx2 v22, v[20:21], s[34:35] sc1
	ds_write_b64 v22, v[18:19] offset:30720
.LBB918_116:
	s_or_b64 exec, exec, s[30:31]
	s_and_b64 exec, exec, s[18:19]
	s_cbranch_execz .LBB918_118
; %bb.117:
	v_mov_b32_e32 v18, 0
	ds_write_b32 v18, v19 offset:28
.LBB918_118:
	s_or_b64 exec, exec, s[0:1]
	v_mov_b32_e32 v18, 0
	s_waitcnt lgkmcnt(0)
	s_barrier
	ds_read_b32 v20, v18 offset:28
	s_waitcnt lgkmcnt(0)
	s_barrier
	ds_read_b64 v[18:19], v18 offset:30720
	v_cndmask_b32_e64 v21, v54, v52, s[16:17]
	v_cndmask_b32_e64 v21, v21, 0, s[18:19]
	v_add_u32_e32 v76, v20, v21
	s_waitcnt lgkmcnt(0)
	v_mov_b32_e32 v20, v19
	s_branch .LBB918_129
.LBB918_119:
                                        ; implicit-def: $vgpr20
                                        ; implicit-def: $vgpr18
                                        ; implicit-def: $vgpr76
	s_cbranch_execz .LBB918_129
; %bb.120:
	s_nop 0
	v_mov_b32_dpp v18, v50 row_shr:1 row_mask:0xf bank_mask:0xf
	v_cndmask_b32_e64 v18, v18, 0, s[14:15]
	v_add_u32_e32 v18, v18, v50
	s_nop 1
	v_mov_b32_dpp v19, v18 row_shr:2 row_mask:0xf bank_mask:0xf
	v_cndmask_b32_e64 v19, 0, v19, s[12:13]
	v_add_u32_e32 v18, v18, v19
	;; [unrolled: 4-line block ×4, first 2 shown]
	s_nop 1
	v_mov_b32_dpp v19, v18 row_bcast:15 row_mask:0xf bank_mask:0xf
	v_cndmask_b32_e64 v19, v19, 0, s[6:7]
	v_add_u32_e32 v18, v18, v19
	s_nop 1
	v_mov_b32_dpp v19, v18 row_bcast:31 row_mask:0xf bank_mask:0xf
	v_cndmask_b32_e64 v19, 0, v19, s[2:3]
	v_add_u32_e32 v18, v18, v19
	s_and_saveexec_b64 s[0:1], s[4:5]
	s_cbranch_execz .LBB918_122
; %bb.121:
	v_lshlrev_b32_e32 v19, 2, v48
	ds_write_b32 v19, v18
.LBB918_122:
	s_or_b64 exec, exec, s[0:1]
	v_cmp_gt_u32_e32 vcc, 8, v0
	s_waitcnt lgkmcnt(0)
	s_barrier
	s_and_saveexec_b64 s[0:1], vcc
	s_cbranch_execz .LBB918_124
; %bb.123:
	v_lshlrev_b32_e32 v19, 2, v0
	ds_read_b32 v20, v19
	v_and_b32_e32 v21, 7, v46
	v_cmp_ne_u32_e32 vcc, 0, v21
	s_waitcnt lgkmcnt(0)
	v_mov_b32_dpp v22, v20 row_shr:1 row_mask:0xf bank_mask:0xf
	v_cndmask_b32_e32 v22, 0, v22, vcc
	v_add_u32_e32 v20, v22, v20
	v_cmp_lt_u32_e32 vcc, 1, v21
	s_nop 0
	v_mov_b32_dpp v22, v20 row_shr:2 row_mask:0xf bank_mask:0xf
	v_cndmask_b32_e32 v22, 0, v22, vcc
	v_add_u32_e32 v20, v20, v22
	v_cmp_lt_u32_e32 vcc, 3, v21
	s_nop 0
	v_mov_b32_dpp v22, v20 row_shr:4 row_mask:0xf bank_mask:0xf
	v_cndmask_b32_e32 v21, 0, v22, vcc
	v_add_u32_e32 v20, v20, v21
	ds_write_b32 v19, v20
.LBB918_124:
	s_or_b64 exec, exec, s[0:1]
	v_cmp_lt_u32_e32 vcc, 63, v0
	v_mov_b32_e32 v19, 0
	v_mov_b32_e32 v20, 0
	s_waitcnt lgkmcnt(0)
	s_barrier
	s_and_saveexec_b64 s[0:1], vcc
	s_cbranch_execz .LBB918_126
; %bb.125:
	v_lshl_add_u32 v20, v48, 2, -4
	ds_read_b32 v20, v20
.LBB918_126:
	s_or_b64 exec, exec, s[0:1]
	v_add_u32_e32 v21, -1, v46
	v_and_b32_e32 v22, 64, v46
	v_cmp_lt_i32_e32 vcc, v21, v22
	s_waitcnt lgkmcnt(0)
	v_add_u32_e32 v18, v20, v18
	v_cndmask_b32_e32 v21, v21, v46, vcc
	v_lshlrev_b32_e32 v21, 2, v21
	ds_bpermute_b32 v21, v21, v18
	ds_read_b32 v18, v19 offset:28
	s_and_saveexec_b64 s[0:1], s[18:19]
	s_cbranch_execz .LBB918_128
; %bb.127:
	v_mov_b32_e32 v22, 0
	v_mov_b32_e32 v19, 2
	s_waitcnt lgkmcnt(0)
	global_store_dwordx2 v22, v[18:19], s[28:29] offset:512 sc1
.LBB918_128:
	s_or_b64 exec, exec, s[0:1]
	v_cmp_eq_u32_e32 vcc, 0, v46
	s_waitcnt lgkmcnt(0)
	s_barrier
	v_cndmask_b32_e32 v19, v21, v20, vcc
	v_mov_b32_e32 v20, 0
	v_cndmask_b32_e64 v76, v19, 0, s[18:19]
.LBB918_129:
	v_add_u32_e32 v80, v76, v28
	v_add_u32_e32 v78, v80, v29
	;; [unrolled: 1-line block ×27, first 2 shown]
	s_movk_i32 s0, 0x201
	v_add_u32_e32 v24, v26, v65
	v_cmp_gt_u32_e32 vcc, s0, v18
	v_add_u32_sdwa v22, v24, v86 dst_sel:DWORD dst_unused:UNUSED_PAD src0_sel:DWORD src1_sel:BYTE_0
	s_mov_b64 s[0:1], -1
	s_cbranch_vccnz .LBB918_133
; %bb.130:
	s_and_b64 vcc, exec, s[0:1]
	s_cbranch_vccnz .LBB918_224
.LBB918_131:
	s_and_b64 s[0:1], s[18:19], s[22:23]
	s_and_saveexec_b64 s[2:3], s[0:1]
	s_cbranch_execnz .LBB918_298
.LBB918_132:
	s_endpgm
.LBB918_133:
	v_add_u32_e32 v19, v20, v18
	v_lshlrev_b64 v[82:83], 1, v[8:9]
	v_cmp_lt_u32_e32 vcc, v76, v19
	v_lshl_add_u64 v[82:83], s[24:25], 0, v[82:83]
	s_or_b64 s[2:3], s[26:27], vcc
	s_and_saveexec_b64 s[0:1], s[2:3]
	s_cbranch_execz .LBB918_136
; %bb.134:
	v_and_b32_e32 v21, 1, v114
	v_cmp_eq_u32_e32 vcc, 1, v21
	s_and_b64 exec, exec, vcc
	s_cbranch_execz .LBB918_136
; %bb.135:
	v_mov_b32_e32 v77, 0
	v_lshl_add_u64 v[116:117], v[76:77], 1, v[82:83]
	global_store_short v[116:117], v16, off
.LBB918_136:
	s_or_b64 exec, exec, s[0:1]
	v_cmp_lt_u32_e32 vcc, v80, v19
	s_or_b64 s[2:3], s[26:27], vcc
	s_and_saveexec_b64 s[0:1], s[2:3]
	s_cbranch_execz .LBB918_139
; %bb.137:
	v_and_b32_e32 v21, 1, v113
	v_cmp_eq_u32_e32 vcc, 1, v21
	s_and_b64 exec, exec, vcc
	s_cbranch_execz .LBB918_139
; %bb.138:
	v_mov_b32_e32 v81, 0
	v_lshl_add_u64 v[116:117], v[80:81], 1, v[82:83]
	global_store_short_d16_hi v[116:117], v16, off
.LBB918_139:
	s_or_b64 exec, exec, s[0:1]
	v_cmp_lt_u32_e32 vcc, v78, v19
	s_or_b64 s[2:3], s[26:27], vcc
	s_and_saveexec_b64 s[0:1], s[2:3]
	s_cbranch_execz .LBB918_142
; %bb.140:
	v_and_b32_e32 v21, 1, v112
	v_cmp_eq_u32_e32 vcc, 1, v21
	s_and_b64 exec, exec, vcc
	s_cbranch_execz .LBB918_142
; %bb.141:
	v_mov_b32_e32 v79, 0
	v_lshl_add_u64 v[116:117], v[78:79], 1, v[82:83]
	global_store_short v[116:117], v17, off
.LBB918_142:
	s_or_b64 exec, exec, s[0:1]
	v_cmp_lt_u32_e32 vcc, v74, v19
	s_or_b64 s[2:3], s[26:27], vcc
	s_and_saveexec_b64 s[0:1], s[2:3]
	s_cbranch_execz .LBB918_145
; %bb.143:
	v_and_b32_e32 v21, 1, v111
	v_cmp_eq_u32_e32 vcc, 1, v21
	s_and_b64 exec, exec, vcc
	s_cbranch_execz .LBB918_145
; %bb.144:
	v_mov_b32_e32 v75, 0
	v_lshl_add_u64 v[116:117], v[74:75], 1, v[82:83]
	global_store_short_d16_hi v[116:117], v17, off
.LBB918_145:
	s_or_b64 exec, exec, s[0:1]
	v_cmp_lt_u32_e32 vcc, v72, v19
	;; [unrolled: 30-line block ×14, first 2 shown]
	s_or_b64 s[2:3], s[26:27], vcc
	s_and_saveexec_b64 s[0:1], s[2:3]
	s_cbranch_execz .LBB918_220
; %bb.218:
	v_and_b32_e32 v21, 1, v86
	v_cmp_eq_u32_e32 vcc, 1, v21
	s_and_b64 exec, exec, vcc
	s_cbranch_execz .LBB918_220
; %bb.219:
	v_mov_b32_e32 v25, 0
	v_lshl_add_u64 v[116:117], v[24:25], 1, v[82:83]
	global_store_short v[116:117], v84, off
.LBB918_220:
	s_or_b64 exec, exec, s[0:1]
	v_cmp_lt_u32_e32 vcc, v22, v19
	s_or_b64 s[2:3], s[26:27], vcc
	s_and_saveexec_b64 s[0:1], s[2:3]
	s_cbranch_execz .LBB918_223
; %bb.221:
	v_and_b32_e32 v19, 1, v85
	v_cmp_eq_u32_e32 vcc, 1, v19
	s_and_b64 exec, exec, vcc
	s_cbranch_execz .LBB918_223
; %bb.222:
	v_mov_b32_e32 v23, 0
	v_lshl_add_u64 v[82:83], v[22:23], 1, v[82:83]
	global_store_short v[82:83], v1, off
.LBB918_223:
	s_or_b64 exec, exec, s[0:1]
	s_branch .LBB918_131
.LBB918_224:
	v_and_b32_e32 v19, 1, v114
	v_cmp_eq_u32_e32 vcc, 1, v19
	s_and_saveexec_b64 s[0:1], vcc
	s_cbranch_execz .LBB918_226
; %bb.225:
	v_sub_u32_e32 v19, v76, v20
	v_lshlrev_b32_e32 v19, 1, v19
	ds_write_b16 v19, v16
.LBB918_226:
	s_or_b64 exec, exec, s[0:1]
	v_and_b32_e32 v19, 1, v113
	v_cmp_eq_u32_e32 vcc, 1, v19
	s_and_saveexec_b64 s[0:1], vcc
	s_cbranch_execz .LBB918_228
; %bb.227:
	v_sub_u32_e32 v19, v80, v20
	v_lshlrev_b32_e32 v19, 1, v19
	ds_write_b16_d16_hi v19, v16
.LBB918_228:
	s_or_b64 exec, exec, s[0:1]
	v_and_b32_e32 v16, 1, v112
	v_cmp_eq_u32_e32 vcc, 1, v16
	s_and_saveexec_b64 s[0:1], vcc
	s_cbranch_execz .LBB918_230
; %bb.229:
	v_sub_u32_e32 v16, v78, v20
	v_lshlrev_b32_e32 v16, 1, v16
	ds_write_b16 v16, v17
.LBB918_230:
	s_or_b64 exec, exec, s[0:1]
	v_and_b32_e32 v16, 1, v111
	v_cmp_eq_u32_e32 vcc, 1, v16
	s_and_saveexec_b64 s[0:1], vcc
	s_cbranch_execz .LBB918_232
; %bb.231:
	v_sub_u32_e32 v16, v74, v20
	v_lshlrev_b32_e32 v16, 1, v16
	ds_write_b16_d16_hi v16, v17
.LBB918_232:
	s_or_b64 exec, exec, s[0:1]
	;; [unrolled: 20-line block ×14, first 2 shown]
	v_and_b32_e32 v2, 1, v86
	v_cmp_eq_u32_e32 vcc, 1, v2
	s_and_saveexec_b64 s[0:1], vcc
	s_cbranch_execz .LBB918_282
; %bb.281:
	v_sub_u32_e32 v2, v24, v20
	v_lshlrev_b32_e32 v2, 1, v2
	ds_write_b16 v2, v84
.LBB918_282:
	s_or_b64 exec, exec, s[0:1]
	v_and_b32_e32 v2, 1, v85
	v_cmp_eq_u32_e32 vcc, 1, v2
	s_and_saveexec_b64 s[0:1], vcc
	s_cbranch_execz .LBB918_284
; %bb.283:
	v_sub_u32_e32 v2, v22, v20
	v_lshlrev_b32_e32 v2, 1, v2
	ds_write_b16 v2, v1
.LBB918_284:
	s_or_b64 exec, exec, s[0:1]
	v_cmp_lt_u32_e32 vcc, v0, v18
	s_waitcnt lgkmcnt(0)
	s_barrier
	s_and_saveexec_b64 s[0:1], vcc
	s_cbranch_execz .LBB918_297
; %bb.285:
	v_mov_b32_e32 v21, 0
	v_lshlrev_b64 v[2:3], 1, v[8:9]
	v_lshl_add_u64 v[2:3], s[24:25], 0, v[2:3]
	v_lshlrev_b64 v[4:5], 1, v[20:21]
	v_xad_u32 v1, v0, -1, v18
	s_movk_i32 s2, 0x5ff
	v_lshl_add_u64 v[10:11], v[2:3], 0, v[4:5]
	v_cmp_lt_u32_e32 vcc, s2, v1
	s_mov_b64 s[4:5], -1
	s_and_saveexec_b64 s[2:3], vcc
	s_cbranch_execz .LBB918_294
; %bb.286:
	v_lshrrev_b32_e32 v14, 9, v1
	v_add_u32_e32 v4, -3, v14
	v_or_b32_e32 v3, 0x600, v0
	v_or_b32_e32 v2, 0x400, v0
	v_lshrrev_b32_e32 v5, 2, v4
	v_or_b32_e32 v1, 0x200, v0
	v_add_u32_e32 v16, 1, v5
	v_cmp_lt_u32_e32 vcc, 11, v4
	v_mov_b64_e32 v[6:7], v[2:3]
	v_lshlrev_b32_e32 v15, 1, v0
	v_mov_b64_e32 v[4:5], v[0:1]
	s_and_saveexec_b64 s[4:5], vcc
	s_cbranch_execz .LBB918_290
; %bb.287:
	v_mov_b64_e32 v[6:7], v[2:3]
	v_and_b32_e32 v17, 0x7ffffffc, v16
	s_mov_b32 s8, 0
	s_mov_b64 s[6:7], 0
	v_mov_b32_e32 v13, 0
	v_mov_b32_e32 v19, v15
	v_mov_b64_e32 v[4:5], v[0:1]
.LBB918_288:                            ; =>This Inner Loop Header: Depth=1
	v_mov_b32_e32 v12, v4
	ds_read_u16 v1, v19
	ds_read_u16 v46, v19 offset:1024
	ds_read_u16 v47, v19 offset:2048
	;; [unrolled: 1-line block ×7, first 2 shown]
	v_lshl_add_u64 v[38:39], v[12:13], 1, v[10:11]
	v_mov_b32_e32 v12, v5
	v_lshl_add_u64 v[40:41], v[12:13], 1, v[10:11]
	v_mov_b32_e32 v12, v6
	ds_read_u16 v53, v19 offset:8192
	ds_read_u16 v54, v19 offset:9216
	;; [unrolled: 1-line block ×8, first 2 shown]
	v_lshl_add_u64 v[42:43], v[12:13], 1, v[10:11]
	v_mov_b32_e32 v12, v7
	v_add_u32_e32 v2, 0x800, v7
	v_mov_b32_e32 v3, v13
	v_lshl_add_u64 v[44:45], v[12:13], 1, v[10:11]
	v_add_u32_e32 v12, 0x800, v4
	v_add_u32_e32 v22, 0x800, v6
	;; [unrolled: 1-line block ×3, first 2 shown]
	v_mov_b32_e32 v25, v13
	v_mov_b32_e32 v23, v13
	v_add_u32_e32 v17, -4, v17
	v_lshl_add_u64 v[2:3], v[2:3], 1, v[10:11]
	s_waitcnt lgkmcnt(14)
	global_store_short v[38:39], v1, off
	global_store_short v[40:41], v46, off
	s_waitcnt lgkmcnt(13)
	global_store_short v[42:43], v47, off
	s_waitcnt lgkmcnt(12)
	global_store_short v[44:45], v48, off
	v_lshl_add_u64 v[38:39], v[12:13], 1, v[10:11]
	v_add_u32_e32 v12, 0x1000, v4
	v_add_u32_e32 v26, 0x1000, v7
	v_add_u32_e32 v28, 0x1000, v6
	v_add_u32_e32 v30, 0x1000, v5
	v_mov_b32_e32 v31, v13
	v_mov_b32_e32 v29, v13
	;; [unrolled: 1-line block ×3, first 2 shown]
	s_add_i32 s8, s8, 16
	v_lshl_add_u64 v[24:25], v[24:25], 1, v[10:11]
	v_lshl_add_u64 v[22:23], v[22:23], 1, v[10:11]
	v_cmp_eq_u32_e32 vcc, 0, v17
	s_waitcnt lgkmcnt(11)
	global_store_short v[38:39], v49, off
	s_waitcnt lgkmcnt(10)
	global_store_short v[24:25], v50, off
	;; [unrolled: 2-line block ×4, first 2 shown]
	v_lshl_add_u64 v[2:3], v[12:13], 1, v[10:11]
	v_add_u32_e32 v12, 0x1800, v4
	v_add_u32_e32 v32, 0x1800, v7
	;; [unrolled: 1-line block ×4, first 2 shown]
	v_mov_b32_e32 v37, v13
	v_mov_b32_e32 v35, v13
	;; [unrolled: 1-line block ×3, first 2 shown]
	v_add_u32_e32 v19, 0x4000, v19
	v_lshl_add_u64 v[30:31], v[30:31], 1, v[10:11]
	v_lshl_add_u64 v[28:29], v[28:29], 1, v[10:11]
	;; [unrolled: 1-line block ×3, first 2 shown]
	v_add_u32_e32 v5, 0x2000, v5
	v_mov_b32_e32 v21, s8
	v_add_u32_e32 v6, 0x2000, v6
	s_or_b64 s[6:7], vcc, s[6:7]
	v_add_u32_e32 v7, 0x2000, v7
	v_add_u32_e32 v4, 0x2000, v4
	s_waitcnt lgkmcnt(7)
	global_store_short v[2:3], v53, off
	s_waitcnt lgkmcnt(6)
	global_store_short v[30:31], v54, off
	;; [unrolled: 2-line block ×4, first 2 shown]
	v_lshl_add_u64 v[2:3], v[12:13], 1, v[10:11]
	v_lshl_add_u64 v[36:37], v[36:37], 1, v[10:11]
	;; [unrolled: 1-line block ×4, first 2 shown]
	s_waitcnt lgkmcnt(3)
	global_store_short v[2:3], v57, off
	s_waitcnt lgkmcnt(2)
	global_store_short v[36:37], v58, off
	;; [unrolled: 2-line block ×4, first 2 shown]
	s_andn2_b64 exec, exec, s[6:7]
	s_cbranch_execnz .LBB918_288
; %bb.289:
	s_or_b64 exec, exec, s[6:7]
.LBB918_290:
	s_or_b64 exec, exec, s[4:5]
	v_and_b32_e32 v1, 3, v16
	v_cmp_ne_u32_e32 vcc, 0, v1
	s_and_saveexec_b64 s[4:5], vcc
	s_cbranch_execz .LBB918_293
; %bb.291:
	v_lshl_or_b32 v12, v21, 10, v15
	s_mov_b64 s[6:7], 0
	v_mov_b32_e32 v3, 0
.LBB918_292:                            ; =>This Inner Loop Header: Depth=1
	ds_read_u16 v13, v12
	ds_read_u16 v15, v12 offset:1024
	ds_read_u16 v19, v12 offset:2048
	;; [unrolled: 1-line block ×3, first 2 shown]
	v_mov_b32_e32 v2, v4
	v_add_u32_e32 v1, -1, v1
	v_lshl_add_u64 v[16:17], v[2:3], 1, v[10:11]
	v_mov_b32_e32 v2, v5
	v_cmp_eq_u32_e32 vcc, 0, v1
	v_lshl_add_u64 v[22:23], v[2:3], 1, v[10:11]
	v_mov_b32_e32 v2, v6
	v_add_u32_e32 v4, 0x800, v4
	v_add_u32_e32 v12, 0x1000, v12
	;; [unrolled: 1-line block ×4, first 2 shown]
	s_or_b64 s[6:7], vcc, s[6:7]
	v_lshl_add_u64 v[24:25], v[2:3], 1, v[10:11]
	v_mov_b32_e32 v2, v7
	v_add_u32_e32 v7, 0x800, v7
	v_lshl_add_u64 v[26:27], v[2:3], 1, v[10:11]
	s_waitcnt lgkmcnt(3)
	global_store_short v[16:17], v13, off
	s_waitcnt lgkmcnt(2)
	global_store_short v[22:23], v15, off
	;; [unrolled: 2-line block ×4, first 2 shown]
	s_andn2_b64 exec, exec, s[6:7]
	s_cbranch_execnz .LBB918_292
.LBB918_293:
	s_or_b64 exec, exec, s[4:5]
	v_add_u32_e32 v1, 1, v14
	v_and_b32_e32 v2, 0xfffffc, v1
	v_cmp_ne_u32_e32 vcc, v1, v2
	v_lshl_or_b32 v0, v2, 9, v0
	s_orn2_b64 s[4:5], vcc, exec
.LBB918_294:
	s_or_b64 exec, exec, s[2:3]
	s_and_b64 exec, exec, s[4:5]
	s_cbranch_execz .LBB918_297
; %bb.295:
	v_lshlrev_b32_e32 v2, 1, v0
	s_mov_b64 s[2:3], 0
	v_mov_b32_e32 v1, 0
.LBB918_296:                            ; =>This Inner Loop Header: Depth=1
	ds_read_u16 v3, v2
	v_lshl_add_u64 v[4:5], v[0:1], 1, v[10:11]
	v_add_u32_e32 v0, 0x200, v0
	v_cmp_ge_u32_e32 vcc, v0, v18
	v_add_u32_e32 v2, 0x400, v2
	s_or_b64 s[2:3], vcc, s[2:3]
	s_waitcnt lgkmcnt(0)
	global_store_short v[4:5], v3, off
	s_andn2_b64 exec, exec, s[2:3]
	s_cbranch_execnz .LBB918_296
.LBB918_297:
	s_or_b64 exec, exec, s[0:1]
	s_and_b64 s[0:1], s[18:19], s[22:23]
	s_and_saveexec_b64 s[2:3], s[0:1]
	s_cbranch_execz .LBB918_132
.LBB918_298:
	v_mov_b32_e32 v19, 0
	v_lshl_add_u64 v[0:1], v[8:9], 0, v[18:19]
	v_mov_b32_e32 v21, v19
	v_lshl_add_u64 v[0:1], v[0:1], 0, v[20:21]
	global_store_dwordx2 v19, v[0:1], s[20:21]
	s_endpgm
	.section	.rodata,"a",@progbits
	.p2align	6, 0x0
	.amdhsa_kernel _ZN7rocprim17ROCPRIM_400000_NS6detail17trampoline_kernelINS0_14default_configENS1_25partition_config_selectorILNS1_17partition_subalgoE8EN3c104HalfENS0_10empty_typeEbEEZZNS1_14partition_implILS5_8ELb0ES3_jPKS7_PS8_PKS8_NS0_5tupleIJPS7_S8_EEENSG_IJSD_SD_EEENS0_18inequality_wrapperIN6hipcub16HIPCUB_304000_NS8EqualityEEEPlJS8_EEE10hipError_tPvRmT3_T4_T5_T6_T7_T9_mT8_P12ihipStream_tbDpT10_ENKUlT_T0_E_clISt17integral_constantIbLb0EES18_IbLb1EEEEDaS14_S15_EUlS14_E_NS1_11comp_targetILNS1_3genE5ELNS1_11target_archE942ELNS1_3gpuE9ELNS1_3repE0EEENS1_30default_config_static_selectorELNS0_4arch9wavefront6targetE1EEEvT1_
		.amdhsa_group_segment_fixed_size 30728
		.amdhsa_private_segment_fixed_size 0
		.amdhsa_kernarg_size 128
		.amdhsa_user_sgpr_count 2
		.amdhsa_user_sgpr_dispatch_ptr 0
		.amdhsa_user_sgpr_queue_ptr 0
		.amdhsa_user_sgpr_kernarg_segment_ptr 1
		.amdhsa_user_sgpr_dispatch_id 0
		.amdhsa_user_sgpr_kernarg_preload_length 0
		.amdhsa_user_sgpr_kernarg_preload_offset 0
		.amdhsa_user_sgpr_private_segment_size 0
		.amdhsa_uses_dynamic_stack 0
		.amdhsa_enable_private_segment 0
		.amdhsa_system_sgpr_workgroup_id_x 1
		.amdhsa_system_sgpr_workgroup_id_y 0
		.amdhsa_system_sgpr_workgroup_id_z 0
		.amdhsa_system_sgpr_workgroup_info 0
		.amdhsa_system_vgpr_workitem_id 0
		.amdhsa_next_free_vgpr 118
		.amdhsa_next_free_sgpr 81
		.amdhsa_accum_offset 120
		.amdhsa_reserve_vcc 1
		.amdhsa_float_round_mode_32 0
		.amdhsa_float_round_mode_16_64 0
		.amdhsa_float_denorm_mode_32 3
		.amdhsa_float_denorm_mode_16_64 3
		.amdhsa_dx10_clamp 1
		.amdhsa_ieee_mode 1
		.amdhsa_fp16_overflow 0
		.amdhsa_tg_split 0
		.amdhsa_exception_fp_ieee_invalid_op 0
		.amdhsa_exception_fp_denorm_src 0
		.amdhsa_exception_fp_ieee_div_zero 0
		.amdhsa_exception_fp_ieee_overflow 0
		.amdhsa_exception_fp_ieee_underflow 0
		.amdhsa_exception_fp_ieee_inexact 0
		.amdhsa_exception_int_div_zero 0
	.end_amdhsa_kernel
	.section	.text._ZN7rocprim17ROCPRIM_400000_NS6detail17trampoline_kernelINS0_14default_configENS1_25partition_config_selectorILNS1_17partition_subalgoE8EN3c104HalfENS0_10empty_typeEbEEZZNS1_14partition_implILS5_8ELb0ES3_jPKS7_PS8_PKS8_NS0_5tupleIJPS7_S8_EEENSG_IJSD_SD_EEENS0_18inequality_wrapperIN6hipcub16HIPCUB_304000_NS8EqualityEEEPlJS8_EEE10hipError_tPvRmT3_T4_T5_T6_T7_T9_mT8_P12ihipStream_tbDpT10_ENKUlT_T0_E_clISt17integral_constantIbLb0EES18_IbLb1EEEEDaS14_S15_EUlS14_E_NS1_11comp_targetILNS1_3genE5ELNS1_11target_archE942ELNS1_3gpuE9ELNS1_3repE0EEENS1_30default_config_static_selectorELNS0_4arch9wavefront6targetE1EEEvT1_,"axG",@progbits,_ZN7rocprim17ROCPRIM_400000_NS6detail17trampoline_kernelINS0_14default_configENS1_25partition_config_selectorILNS1_17partition_subalgoE8EN3c104HalfENS0_10empty_typeEbEEZZNS1_14partition_implILS5_8ELb0ES3_jPKS7_PS8_PKS8_NS0_5tupleIJPS7_S8_EEENSG_IJSD_SD_EEENS0_18inequality_wrapperIN6hipcub16HIPCUB_304000_NS8EqualityEEEPlJS8_EEE10hipError_tPvRmT3_T4_T5_T6_T7_T9_mT8_P12ihipStream_tbDpT10_ENKUlT_T0_E_clISt17integral_constantIbLb0EES18_IbLb1EEEEDaS14_S15_EUlS14_E_NS1_11comp_targetILNS1_3genE5ELNS1_11target_archE942ELNS1_3gpuE9ELNS1_3repE0EEENS1_30default_config_static_selectorELNS0_4arch9wavefront6targetE1EEEvT1_,comdat
.Lfunc_end918:
	.size	_ZN7rocprim17ROCPRIM_400000_NS6detail17trampoline_kernelINS0_14default_configENS1_25partition_config_selectorILNS1_17partition_subalgoE8EN3c104HalfENS0_10empty_typeEbEEZZNS1_14partition_implILS5_8ELb0ES3_jPKS7_PS8_PKS8_NS0_5tupleIJPS7_S8_EEENSG_IJSD_SD_EEENS0_18inequality_wrapperIN6hipcub16HIPCUB_304000_NS8EqualityEEEPlJS8_EEE10hipError_tPvRmT3_T4_T5_T6_T7_T9_mT8_P12ihipStream_tbDpT10_ENKUlT_T0_E_clISt17integral_constantIbLb0EES18_IbLb1EEEEDaS14_S15_EUlS14_E_NS1_11comp_targetILNS1_3genE5ELNS1_11target_archE942ELNS1_3gpuE9ELNS1_3repE0EEENS1_30default_config_static_selectorELNS0_4arch9wavefront6targetE1EEEvT1_, .Lfunc_end918-_ZN7rocprim17ROCPRIM_400000_NS6detail17trampoline_kernelINS0_14default_configENS1_25partition_config_selectorILNS1_17partition_subalgoE8EN3c104HalfENS0_10empty_typeEbEEZZNS1_14partition_implILS5_8ELb0ES3_jPKS7_PS8_PKS8_NS0_5tupleIJPS7_S8_EEENSG_IJSD_SD_EEENS0_18inequality_wrapperIN6hipcub16HIPCUB_304000_NS8EqualityEEEPlJS8_EEE10hipError_tPvRmT3_T4_T5_T6_T7_T9_mT8_P12ihipStream_tbDpT10_ENKUlT_T0_E_clISt17integral_constantIbLb0EES18_IbLb1EEEEDaS14_S15_EUlS14_E_NS1_11comp_targetILNS1_3genE5ELNS1_11target_archE942ELNS1_3gpuE9ELNS1_3repE0EEENS1_30default_config_static_selectorELNS0_4arch9wavefront6targetE1EEEvT1_
                                        ; -- End function
	.section	.AMDGPU.csdata,"",@progbits
; Kernel info:
; codeLenInByte = 12776
; NumSgprs: 87
; NumVgprs: 118
; NumAgprs: 0
; TotalNumVgprs: 118
; ScratchSize: 0
; MemoryBound: 0
; FloatMode: 240
; IeeeMode: 1
; LDSByteSize: 30728 bytes/workgroup (compile time only)
; SGPRBlocks: 10
; VGPRBlocks: 14
; NumSGPRsForWavesPerEU: 87
; NumVGPRsForWavesPerEU: 118
; AccumOffset: 120
; Occupancy: 4
; WaveLimiterHint : 1
; COMPUTE_PGM_RSRC2:SCRATCH_EN: 0
; COMPUTE_PGM_RSRC2:USER_SGPR: 2
; COMPUTE_PGM_RSRC2:TRAP_HANDLER: 0
; COMPUTE_PGM_RSRC2:TGID_X_EN: 1
; COMPUTE_PGM_RSRC2:TGID_Y_EN: 0
; COMPUTE_PGM_RSRC2:TGID_Z_EN: 0
; COMPUTE_PGM_RSRC2:TIDIG_COMP_CNT: 0
; COMPUTE_PGM_RSRC3_GFX90A:ACCUM_OFFSET: 29
; COMPUTE_PGM_RSRC3_GFX90A:TG_SPLIT: 0
	.section	.text._ZN7rocprim17ROCPRIM_400000_NS6detail17trampoline_kernelINS0_14default_configENS1_25partition_config_selectorILNS1_17partition_subalgoE8EN3c104HalfENS0_10empty_typeEbEEZZNS1_14partition_implILS5_8ELb0ES3_jPKS7_PS8_PKS8_NS0_5tupleIJPS7_S8_EEENSG_IJSD_SD_EEENS0_18inequality_wrapperIN6hipcub16HIPCUB_304000_NS8EqualityEEEPlJS8_EEE10hipError_tPvRmT3_T4_T5_T6_T7_T9_mT8_P12ihipStream_tbDpT10_ENKUlT_T0_E_clISt17integral_constantIbLb0EES18_IbLb1EEEEDaS14_S15_EUlS14_E_NS1_11comp_targetILNS1_3genE4ELNS1_11target_archE910ELNS1_3gpuE8ELNS1_3repE0EEENS1_30default_config_static_selectorELNS0_4arch9wavefront6targetE1EEEvT1_,"axG",@progbits,_ZN7rocprim17ROCPRIM_400000_NS6detail17trampoline_kernelINS0_14default_configENS1_25partition_config_selectorILNS1_17partition_subalgoE8EN3c104HalfENS0_10empty_typeEbEEZZNS1_14partition_implILS5_8ELb0ES3_jPKS7_PS8_PKS8_NS0_5tupleIJPS7_S8_EEENSG_IJSD_SD_EEENS0_18inequality_wrapperIN6hipcub16HIPCUB_304000_NS8EqualityEEEPlJS8_EEE10hipError_tPvRmT3_T4_T5_T6_T7_T9_mT8_P12ihipStream_tbDpT10_ENKUlT_T0_E_clISt17integral_constantIbLb0EES18_IbLb1EEEEDaS14_S15_EUlS14_E_NS1_11comp_targetILNS1_3genE4ELNS1_11target_archE910ELNS1_3gpuE8ELNS1_3repE0EEENS1_30default_config_static_selectorELNS0_4arch9wavefront6targetE1EEEvT1_,comdat
	.protected	_ZN7rocprim17ROCPRIM_400000_NS6detail17trampoline_kernelINS0_14default_configENS1_25partition_config_selectorILNS1_17partition_subalgoE8EN3c104HalfENS0_10empty_typeEbEEZZNS1_14partition_implILS5_8ELb0ES3_jPKS7_PS8_PKS8_NS0_5tupleIJPS7_S8_EEENSG_IJSD_SD_EEENS0_18inequality_wrapperIN6hipcub16HIPCUB_304000_NS8EqualityEEEPlJS8_EEE10hipError_tPvRmT3_T4_T5_T6_T7_T9_mT8_P12ihipStream_tbDpT10_ENKUlT_T0_E_clISt17integral_constantIbLb0EES18_IbLb1EEEEDaS14_S15_EUlS14_E_NS1_11comp_targetILNS1_3genE4ELNS1_11target_archE910ELNS1_3gpuE8ELNS1_3repE0EEENS1_30default_config_static_selectorELNS0_4arch9wavefront6targetE1EEEvT1_ ; -- Begin function _ZN7rocprim17ROCPRIM_400000_NS6detail17trampoline_kernelINS0_14default_configENS1_25partition_config_selectorILNS1_17partition_subalgoE8EN3c104HalfENS0_10empty_typeEbEEZZNS1_14partition_implILS5_8ELb0ES3_jPKS7_PS8_PKS8_NS0_5tupleIJPS7_S8_EEENSG_IJSD_SD_EEENS0_18inequality_wrapperIN6hipcub16HIPCUB_304000_NS8EqualityEEEPlJS8_EEE10hipError_tPvRmT3_T4_T5_T6_T7_T9_mT8_P12ihipStream_tbDpT10_ENKUlT_T0_E_clISt17integral_constantIbLb0EES18_IbLb1EEEEDaS14_S15_EUlS14_E_NS1_11comp_targetILNS1_3genE4ELNS1_11target_archE910ELNS1_3gpuE8ELNS1_3repE0EEENS1_30default_config_static_selectorELNS0_4arch9wavefront6targetE1EEEvT1_
	.globl	_ZN7rocprim17ROCPRIM_400000_NS6detail17trampoline_kernelINS0_14default_configENS1_25partition_config_selectorILNS1_17partition_subalgoE8EN3c104HalfENS0_10empty_typeEbEEZZNS1_14partition_implILS5_8ELb0ES3_jPKS7_PS8_PKS8_NS0_5tupleIJPS7_S8_EEENSG_IJSD_SD_EEENS0_18inequality_wrapperIN6hipcub16HIPCUB_304000_NS8EqualityEEEPlJS8_EEE10hipError_tPvRmT3_T4_T5_T6_T7_T9_mT8_P12ihipStream_tbDpT10_ENKUlT_T0_E_clISt17integral_constantIbLb0EES18_IbLb1EEEEDaS14_S15_EUlS14_E_NS1_11comp_targetILNS1_3genE4ELNS1_11target_archE910ELNS1_3gpuE8ELNS1_3repE0EEENS1_30default_config_static_selectorELNS0_4arch9wavefront6targetE1EEEvT1_
	.p2align	8
	.type	_ZN7rocprim17ROCPRIM_400000_NS6detail17trampoline_kernelINS0_14default_configENS1_25partition_config_selectorILNS1_17partition_subalgoE8EN3c104HalfENS0_10empty_typeEbEEZZNS1_14partition_implILS5_8ELb0ES3_jPKS7_PS8_PKS8_NS0_5tupleIJPS7_S8_EEENSG_IJSD_SD_EEENS0_18inequality_wrapperIN6hipcub16HIPCUB_304000_NS8EqualityEEEPlJS8_EEE10hipError_tPvRmT3_T4_T5_T6_T7_T9_mT8_P12ihipStream_tbDpT10_ENKUlT_T0_E_clISt17integral_constantIbLb0EES18_IbLb1EEEEDaS14_S15_EUlS14_E_NS1_11comp_targetILNS1_3genE4ELNS1_11target_archE910ELNS1_3gpuE8ELNS1_3repE0EEENS1_30default_config_static_selectorELNS0_4arch9wavefront6targetE1EEEvT1_,@function
_ZN7rocprim17ROCPRIM_400000_NS6detail17trampoline_kernelINS0_14default_configENS1_25partition_config_selectorILNS1_17partition_subalgoE8EN3c104HalfENS0_10empty_typeEbEEZZNS1_14partition_implILS5_8ELb0ES3_jPKS7_PS8_PKS8_NS0_5tupleIJPS7_S8_EEENSG_IJSD_SD_EEENS0_18inequality_wrapperIN6hipcub16HIPCUB_304000_NS8EqualityEEEPlJS8_EEE10hipError_tPvRmT3_T4_T5_T6_T7_T9_mT8_P12ihipStream_tbDpT10_ENKUlT_T0_E_clISt17integral_constantIbLb0EES18_IbLb1EEEEDaS14_S15_EUlS14_E_NS1_11comp_targetILNS1_3genE4ELNS1_11target_archE910ELNS1_3gpuE8ELNS1_3repE0EEENS1_30default_config_static_selectorELNS0_4arch9wavefront6targetE1EEEvT1_: ; @_ZN7rocprim17ROCPRIM_400000_NS6detail17trampoline_kernelINS0_14default_configENS1_25partition_config_selectorILNS1_17partition_subalgoE8EN3c104HalfENS0_10empty_typeEbEEZZNS1_14partition_implILS5_8ELb0ES3_jPKS7_PS8_PKS8_NS0_5tupleIJPS7_S8_EEENSG_IJSD_SD_EEENS0_18inequality_wrapperIN6hipcub16HIPCUB_304000_NS8EqualityEEEPlJS8_EEE10hipError_tPvRmT3_T4_T5_T6_T7_T9_mT8_P12ihipStream_tbDpT10_ENKUlT_T0_E_clISt17integral_constantIbLb0EES18_IbLb1EEEEDaS14_S15_EUlS14_E_NS1_11comp_targetILNS1_3genE4ELNS1_11target_archE910ELNS1_3gpuE8ELNS1_3repE0EEENS1_30default_config_static_selectorELNS0_4arch9wavefront6targetE1EEEvT1_
; %bb.0:
	.section	.rodata,"a",@progbits
	.p2align	6, 0x0
	.amdhsa_kernel _ZN7rocprim17ROCPRIM_400000_NS6detail17trampoline_kernelINS0_14default_configENS1_25partition_config_selectorILNS1_17partition_subalgoE8EN3c104HalfENS0_10empty_typeEbEEZZNS1_14partition_implILS5_8ELb0ES3_jPKS7_PS8_PKS8_NS0_5tupleIJPS7_S8_EEENSG_IJSD_SD_EEENS0_18inequality_wrapperIN6hipcub16HIPCUB_304000_NS8EqualityEEEPlJS8_EEE10hipError_tPvRmT3_T4_T5_T6_T7_T9_mT8_P12ihipStream_tbDpT10_ENKUlT_T0_E_clISt17integral_constantIbLb0EES18_IbLb1EEEEDaS14_S15_EUlS14_E_NS1_11comp_targetILNS1_3genE4ELNS1_11target_archE910ELNS1_3gpuE8ELNS1_3repE0EEENS1_30default_config_static_selectorELNS0_4arch9wavefront6targetE1EEEvT1_
		.amdhsa_group_segment_fixed_size 0
		.amdhsa_private_segment_fixed_size 0
		.amdhsa_kernarg_size 128
		.amdhsa_user_sgpr_count 2
		.amdhsa_user_sgpr_dispatch_ptr 0
		.amdhsa_user_sgpr_queue_ptr 0
		.amdhsa_user_sgpr_kernarg_segment_ptr 1
		.amdhsa_user_sgpr_dispatch_id 0
		.amdhsa_user_sgpr_kernarg_preload_length 0
		.amdhsa_user_sgpr_kernarg_preload_offset 0
		.amdhsa_user_sgpr_private_segment_size 0
		.amdhsa_uses_dynamic_stack 0
		.amdhsa_enable_private_segment 0
		.amdhsa_system_sgpr_workgroup_id_x 1
		.amdhsa_system_sgpr_workgroup_id_y 0
		.amdhsa_system_sgpr_workgroup_id_z 0
		.amdhsa_system_sgpr_workgroup_info 0
		.amdhsa_system_vgpr_workitem_id 0
		.amdhsa_next_free_vgpr 1
		.amdhsa_next_free_sgpr 0
		.amdhsa_accum_offset 4
		.amdhsa_reserve_vcc 0
		.amdhsa_float_round_mode_32 0
		.amdhsa_float_round_mode_16_64 0
		.amdhsa_float_denorm_mode_32 3
		.amdhsa_float_denorm_mode_16_64 3
		.amdhsa_dx10_clamp 1
		.amdhsa_ieee_mode 1
		.amdhsa_fp16_overflow 0
		.amdhsa_tg_split 0
		.amdhsa_exception_fp_ieee_invalid_op 0
		.amdhsa_exception_fp_denorm_src 0
		.amdhsa_exception_fp_ieee_div_zero 0
		.amdhsa_exception_fp_ieee_overflow 0
		.amdhsa_exception_fp_ieee_underflow 0
		.amdhsa_exception_fp_ieee_inexact 0
		.amdhsa_exception_int_div_zero 0
	.end_amdhsa_kernel
	.section	.text._ZN7rocprim17ROCPRIM_400000_NS6detail17trampoline_kernelINS0_14default_configENS1_25partition_config_selectorILNS1_17partition_subalgoE8EN3c104HalfENS0_10empty_typeEbEEZZNS1_14partition_implILS5_8ELb0ES3_jPKS7_PS8_PKS8_NS0_5tupleIJPS7_S8_EEENSG_IJSD_SD_EEENS0_18inequality_wrapperIN6hipcub16HIPCUB_304000_NS8EqualityEEEPlJS8_EEE10hipError_tPvRmT3_T4_T5_T6_T7_T9_mT8_P12ihipStream_tbDpT10_ENKUlT_T0_E_clISt17integral_constantIbLb0EES18_IbLb1EEEEDaS14_S15_EUlS14_E_NS1_11comp_targetILNS1_3genE4ELNS1_11target_archE910ELNS1_3gpuE8ELNS1_3repE0EEENS1_30default_config_static_selectorELNS0_4arch9wavefront6targetE1EEEvT1_,"axG",@progbits,_ZN7rocprim17ROCPRIM_400000_NS6detail17trampoline_kernelINS0_14default_configENS1_25partition_config_selectorILNS1_17partition_subalgoE8EN3c104HalfENS0_10empty_typeEbEEZZNS1_14partition_implILS5_8ELb0ES3_jPKS7_PS8_PKS8_NS0_5tupleIJPS7_S8_EEENSG_IJSD_SD_EEENS0_18inequality_wrapperIN6hipcub16HIPCUB_304000_NS8EqualityEEEPlJS8_EEE10hipError_tPvRmT3_T4_T5_T6_T7_T9_mT8_P12ihipStream_tbDpT10_ENKUlT_T0_E_clISt17integral_constantIbLb0EES18_IbLb1EEEEDaS14_S15_EUlS14_E_NS1_11comp_targetILNS1_3genE4ELNS1_11target_archE910ELNS1_3gpuE8ELNS1_3repE0EEENS1_30default_config_static_selectorELNS0_4arch9wavefront6targetE1EEEvT1_,comdat
.Lfunc_end919:
	.size	_ZN7rocprim17ROCPRIM_400000_NS6detail17trampoline_kernelINS0_14default_configENS1_25partition_config_selectorILNS1_17partition_subalgoE8EN3c104HalfENS0_10empty_typeEbEEZZNS1_14partition_implILS5_8ELb0ES3_jPKS7_PS8_PKS8_NS0_5tupleIJPS7_S8_EEENSG_IJSD_SD_EEENS0_18inequality_wrapperIN6hipcub16HIPCUB_304000_NS8EqualityEEEPlJS8_EEE10hipError_tPvRmT3_T4_T5_T6_T7_T9_mT8_P12ihipStream_tbDpT10_ENKUlT_T0_E_clISt17integral_constantIbLb0EES18_IbLb1EEEEDaS14_S15_EUlS14_E_NS1_11comp_targetILNS1_3genE4ELNS1_11target_archE910ELNS1_3gpuE8ELNS1_3repE0EEENS1_30default_config_static_selectorELNS0_4arch9wavefront6targetE1EEEvT1_, .Lfunc_end919-_ZN7rocprim17ROCPRIM_400000_NS6detail17trampoline_kernelINS0_14default_configENS1_25partition_config_selectorILNS1_17partition_subalgoE8EN3c104HalfENS0_10empty_typeEbEEZZNS1_14partition_implILS5_8ELb0ES3_jPKS7_PS8_PKS8_NS0_5tupleIJPS7_S8_EEENSG_IJSD_SD_EEENS0_18inequality_wrapperIN6hipcub16HIPCUB_304000_NS8EqualityEEEPlJS8_EEE10hipError_tPvRmT3_T4_T5_T6_T7_T9_mT8_P12ihipStream_tbDpT10_ENKUlT_T0_E_clISt17integral_constantIbLb0EES18_IbLb1EEEEDaS14_S15_EUlS14_E_NS1_11comp_targetILNS1_3genE4ELNS1_11target_archE910ELNS1_3gpuE8ELNS1_3repE0EEENS1_30default_config_static_selectorELNS0_4arch9wavefront6targetE1EEEvT1_
                                        ; -- End function
	.section	.AMDGPU.csdata,"",@progbits
; Kernel info:
; codeLenInByte = 0
; NumSgprs: 6
; NumVgprs: 0
; NumAgprs: 0
; TotalNumVgprs: 0
; ScratchSize: 0
; MemoryBound: 0
; FloatMode: 240
; IeeeMode: 1
; LDSByteSize: 0 bytes/workgroup (compile time only)
; SGPRBlocks: 0
; VGPRBlocks: 0
; NumSGPRsForWavesPerEU: 6
; NumVGPRsForWavesPerEU: 1
; AccumOffset: 4
; Occupancy: 8
; WaveLimiterHint : 0
; COMPUTE_PGM_RSRC2:SCRATCH_EN: 0
; COMPUTE_PGM_RSRC2:USER_SGPR: 2
; COMPUTE_PGM_RSRC2:TRAP_HANDLER: 0
; COMPUTE_PGM_RSRC2:TGID_X_EN: 1
; COMPUTE_PGM_RSRC2:TGID_Y_EN: 0
; COMPUTE_PGM_RSRC2:TGID_Z_EN: 0
; COMPUTE_PGM_RSRC2:TIDIG_COMP_CNT: 0
; COMPUTE_PGM_RSRC3_GFX90A:ACCUM_OFFSET: 0
; COMPUTE_PGM_RSRC3_GFX90A:TG_SPLIT: 0
	.section	.text._ZN7rocprim17ROCPRIM_400000_NS6detail17trampoline_kernelINS0_14default_configENS1_25partition_config_selectorILNS1_17partition_subalgoE8EN3c104HalfENS0_10empty_typeEbEEZZNS1_14partition_implILS5_8ELb0ES3_jPKS7_PS8_PKS8_NS0_5tupleIJPS7_S8_EEENSG_IJSD_SD_EEENS0_18inequality_wrapperIN6hipcub16HIPCUB_304000_NS8EqualityEEEPlJS8_EEE10hipError_tPvRmT3_T4_T5_T6_T7_T9_mT8_P12ihipStream_tbDpT10_ENKUlT_T0_E_clISt17integral_constantIbLb0EES18_IbLb1EEEEDaS14_S15_EUlS14_E_NS1_11comp_targetILNS1_3genE3ELNS1_11target_archE908ELNS1_3gpuE7ELNS1_3repE0EEENS1_30default_config_static_selectorELNS0_4arch9wavefront6targetE1EEEvT1_,"axG",@progbits,_ZN7rocprim17ROCPRIM_400000_NS6detail17trampoline_kernelINS0_14default_configENS1_25partition_config_selectorILNS1_17partition_subalgoE8EN3c104HalfENS0_10empty_typeEbEEZZNS1_14partition_implILS5_8ELb0ES3_jPKS7_PS8_PKS8_NS0_5tupleIJPS7_S8_EEENSG_IJSD_SD_EEENS0_18inequality_wrapperIN6hipcub16HIPCUB_304000_NS8EqualityEEEPlJS8_EEE10hipError_tPvRmT3_T4_T5_T6_T7_T9_mT8_P12ihipStream_tbDpT10_ENKUlT_T0_E_clISt17integral_constantIbLb0EES18_IbLb1EEEEDaS14_S15_EUlS14_E_NS1_11comp_targetILNS1_3genE3ELNS1_11target_archE908ELNS1_3gpuE7ELNS1_3repE0EEENS1_30default_config_static_selectorELNS0_4arch9wavefront6targetE1EEEvT1_,comdat
	.protected	_ZN7rocprim17ROCPRIM_400000_NS6detail17trampoline_kernelINS0_14default_configENS1_25partition_config_selectorILNS1_17partition_subalgoE8EN3c104HalfENS0_10empty_typeEbEEZZNS1_14partition_implILS5_8ELb0ES3_jPKS7_PS8_PKS8_NS0_5tupleIJPS7_S8_EEENSG_IJSD_SD_EEENS0_18inequality_wrapperIN6hipcub16HIPCUB_304000_NS8EqualityEEEPlJS8_EEE10hipError_tPvRmT3_T4_T5_T6_T7_T9_mT8_P12ihipStream_tbDpT10_ENKUlT_T0_E_clISt17integral_constantIbLb0EES18_IbLb1EEEEDaS14_S15_EUlS14_E_NS1_11comp_targetILNS1_3genE3ELNS1_11target_archE908ELNS1_3gpuE7ELNS1_3repE0EEENS1_30default_config_static_selectorELNS0_4arch9wavefront6targetE1EEEvT1_ ; -- Begin function _ZN7rocprim17ROCPRIM_400000_NS6detail17trampoline_kernelINS0_14default_configENS1_25partition_config_selectorILNS1_17partition_subalgoE8EN3c104HalfENS0_10empty_typeEbEEZZNS1_14partition_implILS5_8ELb0ES3_jPKS7_PS8_PKS8_NS0_5tupleIJPS7_S8_EEENSG_IJSD_SD_EEENS0_18inequality_wrapperIN6hipcub16HIPCUB_304000_NS8EqualityEEEPlJS8_EEE10hipError_tPvRmT3_T4_T5_T6_T7_T9_mT8_P12ihipStream_tbDpT10_ENKUlT_T0_E_clISt17integral_constantIbLb0EES18_IbLb1EEEEDaS14_S15_EUlS14_E_NS1_11comp_targetILNS1_3genE3ELNS1_11target_archE908ELNS1_3gpuE7ELNS1_3repE0EEENS1_30default_config_static_selectorELNS0_4arch9wavefront6targetE1EEEvT1_
	.globl	_ZN7rocprim17ROCPRIM_400000_NS6detail17trampoline_kernelINS0_14default_configENS1_25partition_config_selectorILNS1_17partition_subalgoE8EN3c104HalfENS0_10empty_typeEbEEZZNS1_14partition_implILS5_8ELb0ES3_jPKS7_PS8_PKS8_NS0_5tupleIJPS7_S8_EEENSG_IJSD_SD_EEENS0_18inequality_wrapperIN6hipcub16HIPCUB_304000_NS8EqualityEEEPlJS8_EEE10hipError_tPvRmT3_T4_T5_T6_T7_T9_mT8_P12ihipStream_tbDpT10_ENKUlT_T0_E_clISt17integral_constantIbLb0EES18_IbLb1EEEEDaS14_S15_EUlS14_E_NS1_11comp_targetILNS1_3genE3ELNS1_11target_archE908ELNS1_3gpuE7ELNS1_3repE0EEENS1_30default_config_static_selectorELNS0_4arch9wavefront6targetE1EEEvT1_
	.p2align	8
	.type	_ZN7rocprim17ROCPRIM_400000_NS6detail17trampoline_kernelINS0_14default_configENS1_25partition_config_selectorILNS1_17partition_subalgoE8EN3c104HalfENS0_10empty_typeEbEEZZNS1_14partition_implILS5_8ELb0ES3_jPKS7_PS8_PKS8_NS0_5tupleIJPS7_S8_EEENSG_IJSD_SD_EEENS0_18inequality_wrapperIN6hipcub16HIPCUB_304000_NS8EqualityEEEPlJS8_EEE10hipError_tPvRmT3_T4_T5_T6_T7_T9_mT8_P12ihipStream_tbDpT10_ENKUlT_T0_E_clISt17integral_constantIbLb0EES18_IbLb1EEEEDaS14_S15_EUlS14_E_NS1_11comp_targetILNS1_3genE3ELNS1_11target_archE908ELNS1_3gpuE7ELNS1_3repE0EEENS1_30default_config_static_selectorELNS0_4arch9wavefront6targetE1EEEvT1_,@function
_ZN7rocprim17ROCPRIM_400000_NS6detail17trampoline_kernelINS0_14default_configENS1_25partition_config_selectorILNS1_17partition_subalgoE8EN3c104HalfENS0_10empty_typeEbEEZZNS1_14partition_implILS5_8ELb0ES3_jPKS7_PS8_PKS8_NS0_5tupleIJPS7_S8_EEENSG_IJSD_SD_EEENS0_18inequality_wrapperIN6hipcub16HIPCUB_304000_NS8EqualityEEEPlJS8_EEE10hipError_tPvRmT3_T4_T5_T6_T7_T9_mT8_P12ihipStream_tbDpT10_ENKUlT_T0_E_clISt17integral_constantIbLb0EES18_IbLb1EEEEDaS14_S15_EUlS14_E_NS1_11comp_targetILNS1_3genE3ELNS1_11target_archE908ELNS1_3gpuE7ELNS1_3repE0EEENS1_30default_config_static_selectorELNS0_4arch9wavefront6targetE1EEEvT1_: ; @_ZN7rocprim17ROCPRIM_400000_NS6detail17trampoline_kernelINS0_14default_configENS1_25partition_config_selectorILNS1_17partition_subalgoE8EN3c104HalfENS0_10empty_typeEbEEZZNS1_14partition_implILS5_8ELb0ES3_jPKS7_PS8_PKS8_NS0_5tupleIJPS7_S8_EEENSG_IJSD_SD_EEENS0_18inequality_wrapperIN6hipcub16HIPCUB_304000_NS8EqualityEEEPlJS8_EEE10hipError_tPvRmT3_T4_T5_T6_T7_T9_mT8_P12ihipStream_tbDpT10_ENKUlT_T0_E_clISt17integral_constantIbLb0EES18_IbLb1EEEEDaS14_S15_EUlS14_E_NS1_11comp_targetILNS1_3genE3ELNS1_11target_archE908ELNS1_3gpuE7ELNS1_3repE0EEENS1_30default_config_static_selectorELNS0_4arch9wavefront6targetE1EEEvT1_
; %bb.0:
	.section	.rodata,"a",@progbits
	.p2align	6, 0x0
	.amdhsa_kernel _ZN7rocprim17ROCPRIM_400000_NS6detail17trampoline_kernelINS0_14default_configENS1_25partition_config_selectorILNS1_17partition_subalgoE8EN3c104HalfENS0_10empty_typeEbEEZZNS1_14partition_implILS5_8ELb0ES3_jPKS7_PS8_PKS8_NS0_5tupleIJPS7_S8_EEENSG_IJSD_SD_EEENS0_18inequality_wrapperIN6hipcub16HIPCUB_304000_NS8EqualityEEEPlJS8_EEE10hipError_tPvRmT3_T4_T5_T6_T7_T9_mT8_P12ihipStream_tbDpT10_ENKUlT_T0_E_clISt17integral_constantIbLb0EES18_IbLb1EEEEDaS14_S15_EUlS14_E_NS1_11comp_targetILNS1_3genE3ELNS1_11target_archE908ELNS1_3gpuE7ELNS1_3repE0EEENS1_30default_config_static_selectorELNS0_4arch9wavefront6targetE1EEEvT1_
		.amdhsa_group_segment_fixed_size 0
		.amdhsa_private_segment_fixed_size 0
		.amdhsa_kernarg_size 128
		.amdhsa_user_sgpr_count 2
		.amdhsa_user_sgpr_dispatch_ptr 0
		.amdhsa_user_sgpr_queue_ptr 0
		.amdhsa_user_sgpr_kernarg_segment_ptr 1
		.amdhsa_user_sgpr_dispatch_id 0
		.amdhsa_user_sgpr_kernarg_preload_length 0
		.amdhsa_user_sgpr_kernarg_preload_offset 0
		.amdhsa_user_sgpr_private_segment_size 0
		.amdhsa_uses_dynamic_stack 0
		.amdhsa_enable_private_segment 0
		.amdhsa_system_sgpr_workgroup_id_x 1
		.amdhsa_system_sgpr_workgroup_id_y 0
		.amdhsa_system_sgpr_workgroup_id_z 0
		.amdhsa_system_sgpr_workgroup_info 0
		.amdhsa_system_vgpr_workitem_id 0
		.amdhsa_next_free_vgpr 1
		.amdhsa_next_free_sgpr 0
		.amdhsa_accum_offset 4
		.amdhsa_reserve_vcc 0
		.amdhsa_float_round_mode_32 0
		.amdhsa_float_round_mode_16_64 0
		.amdhsa_float_denorm_mode_32 3
		.amdhsa_float_denorm_mode_16_64 3
		.amdhsa_dx10_clamp 1
		.amdhsa_ieee_mode 1
		.amdhsa_fp16_overflow 0
		.amdhsa_tg_split 0
		.amdhsa_exception_fp_ieee_invalid_op 0
		.amdhsa_exception_fp_denorm_src 0
		.amdhsa_exception_fp_ieee_div_zero 0
		.amdhsa_exception_fp_ieee_overflow 0
		.amdhsa_exception_fp_ieee_underflow 0
		.amdhsa_exception_fp_ieee_inexact 0
		.amdhsa_exception_int_div_zero 0
	.end_amdhsa_kernel
	.section	.text._ZN7rocprim17ROCPRIM_400000_NS6detail17trampoline_kernelINS0_14default_configENS1_25partition_config_selectorILNS1_17partition_subalgoE8EN3c104HalfENS0_10empty_typeEbEEZZNS1_14partition_implILS5_8ELb0ES3_jPKS7_PS8_PKS8_NS0_5tupleIJPS7_S8_EEENSG_IJSD_SD_EEENS0_18inequality_wrapperIN6hipcub16HIPCUB_304000_NS8EqualityEEEPlJS8_EEE10hipError_tPvRmT3_T4_T5_T6_T7_T9_mT8_P12ihipStream_tbDpT10_ENKUlT_T0_E_clISt17integral_constantIbLb0EES18_IbLb1EEEEDaS14_S15_EUlS14_E_NS1_11comp_targetILNS1_3genE3ELNS1_11target_archE908ELNS1_3gpuE7ELNS1_3repE0EEENS1_30default_config_static_selectorELNS0_4arch9wavefront6targetE1EEEvT1_,"axG",@progbits,_ZN7rocprim17ROCPRIM_400000_NS6detail17trampoline_kernelINS0_14default_configENS1_25partition_config_selectorILNS1_17partition_subalgoE8EN3c104HalfENS0_10empty_typeEbEEZZNS1_14partition_implILS5_8ELb0ES3_jPKS7_PS8_PKS8_NS0_5tupleIJPS7_S8_EEENSG_IJSD_SD_EEENS0_18inequality_wrapperIN6hipcub16HIPCUB_304000_NS8EqualityEEEPlJS8_EEE10hipError_tPvRmT3_T4_T5_T6_T7_T9_mT8_P12ihipStream_tbDpT10_ENKUlT_T0_E_clISt17integral_constantIbLb0EES18_IbLb1EEEEDaS14_S15_EUlS14_E_NS1_11comp_targetILNS1_3genE3ELNS1_11target_archE908ELNS1_3gpuE7ELNS1_3repE0EEENS1_30default_config_static_selectorELNS0_4arch9wavefront6targetE1EEEvT1_,comdat
.Lfunc_end920:
	.size	_ZN7rocprim17ROCPRIM_400000_NS6detail17trampoline_kernelINS0_14default_configENS1_25partition_config_selectorILNS1_17partition_subalgoE8EN3c104HalfENS0_10empty_typeEbEEZZNS1_14partition_implILS5_8ELb0ES3_jPKS7_PS8_PKS8_NS0_5tupleIJPS7_S8_EEENSG_IJSD_SD_EEENS0_18inequality_wrapperIN6hipcub16HIPCUB_304000_NS8EqualityEEEPlJS8_EEE10hipError_tPvRmT3_T4_T5_T6_T7_T9_mT8_P12ihipStream_tbDpT10_ENKUlT_T0_E_clISt17integral_constantIbLb0EES18_IbLb1EEEEDaS14_S15_EUlS14_E_NS1_11comp_targetILNS1_3genE3ELNS1_11target_archE908ELNS1_3gpuE7ELNS1_3repE0EEENS1_30default_config_static_selectorELNS0_4arch9wavefront6targetE1EEEvT1_, .Lfunc_end920-_ZN7rocprim17ROCPRIM_400000_NS6detail17trampoline_kernelINS0_14default_configENS1_25partition_config_selectorILNS1_17partition_subalgoE8EN3c104HalfENS0_10empty_typeEbEEZZNS1_14partition_implILS5_8ELb0ES3_jPKS7_PS8_PKS8_NS0_5tupleIJPS7_S8_EEENSG_IJSD_SD_EEENS0_18inequality_wrapperIN6hipcub16HIPCUB_304000_NS8EqualityEEEPlJS8_EEE10hipError_tPvRmT3_T4_T5_T6_T7_T9_mT8_P12ihipStream_tbDpT10_ENKUlT_T0_E_clISt17integral_constantIbLb0EES18_IbLb1EEEEDaS14_S15_EUlS14_E_NS1_11comp_targetILNS1_3genE3ELNS1_11target_archE908ELNS1_3gpuE7ELNS1_3repE0EEENS1_30default_config_static_selectorELNS0_4arch9wavefront6targetE1EEEvT1_
                                        ; -- End function
	.section	.AMDGPU.csdata,"",@progbits
; Kernel info:
; codeLenInByte = 0
; NumSgprs: 6
; NumVgprs: 0
; NumAgprs: 0
; TotalNumVgprs: 0
; ScratchSize: 0
; MemoryBound: 0
; FloatMode: 240
; IeeeMode: 1
; LDSByteSize: 0 bytes/workgroup (compile time only)
; SGPRBlocks: 0
; VGPRBlocks: 0
; NumSGPRsForWavesPerEU: 6
; NumVGPRsForWavesPerEU: 1
; AccumOffset: 4
; Occupancy: 8
; WaveLimiterHint : 0
; COMPUTE_PGM_RSRC2:SCRATCH_EN: 0
; COMPUTE_PGM_RSRC2:USER_SGPR: 2
; COMPUTE_PGM_RSRC2:TRAP_HANDLER: 0
; COMPUTE_PGM_RSRC2:TGID_X_EN: 1
; COMPUTE_PGM_RSRC2:TGID_Y_EN: 0
; COMPUTE_PGM_RSRC2:TGID_Z_EN: 0
; COMPUTE_PGM_RSRC2:TIDIG_COMP_CNT: 0
; COMPUTE_PGM_RSRC3_GFX90A:ACCUM_OFFSET: 0
; COMPUTE_PGM_RSRC3_GFX90A:TG_SPLIT: 0
	.section	.text._ZN7rocprim17ROCPRIM_400000_NS6detail17trampoline_kernelINS0_14default_configENS1_25partition_config_selectorILNS1_17partition_subalgoE8EN3c104HalfENS0_10empty_typeEbEEZZNS1_14partition_implILS5_8ELb0ES3_jPKS7_PS8_PKS8_NS0_5tupleIJPS7_S8_EEENSG_IJSD_SD_EEENS0_18inequality_wrapperIN6hipcub16HIPCUB_304000_NS8EqualityEEEPlJS8_EEE10hipError_tPvRmT3_T4_T5_T6_T7_T9_mT8_P12ihipStream_tbDpT10_ENKUlT_T0_E_clISt17integral_constantIbLb0EES18_IbLb1EEEEDaS14_S15_EUlS14_E_NS1_11comp_targetILNS1_3genE2ELNS1_11target_archE906ELNS1_3gpuE6ELNS1_3repE0EEENS1_30default_config_static_selectorELNS0_4arch9wavefront6targetE1EEEvT1_,"axG",@progbits,_ZN7rocprim17ROCPRIM_400000_NS6detail17trampoline_kernelINS0_14default_configENS1_25partition_config_selectorILNS1_17partition_subalgoE8EN3c104HalfENS0_10empty_typeEbEEZZNS1_14partition_implILS5_8ELb0ES3_jPKS7_PS8_PKS8_NS0_5tupleIJPS7_S8_EEENSG_IJSD_SD_EEENS0_18inequality_wrapperIN6hipcub16HIPCUB_304000_NS8EqualityEEEPlJS8_EEE10hipError_tPvRmT3_T4_T5_T6_T7_T9_mT8_P12ihipStream_tbDpT10_ENKUlT_T0_E_clISt17integral_constantIbLb0EES18_IbLb1EEEEDaS14_S15_EUlS14_E_NS1_11comp_targetILNS1_3genE2ELNS1_11target_archE906ELNS1_3gpuE6ELNS1_3repE0EEENS1_30default_config_static_selectorELNS0_4arch9wavefront6targetE1EEEvT1_,comdat
	.protected	_ZN7rocprim17ROCPRIM_400000_NS6detail17trampoline_kernelINS0_14default_configENS1_25partition_config_selectorILNS1_17partition_subalgoE8EN3c104HalfENS0_10empty_typeEbEEZZNS1_14partition_implILS5_8ELb0ES3_jPKS7_PS8_PKS8_NS0_5tupleIJPS7_S8_EEENSG_IJSD_SD_EEENS0_18inequality_wrapperIN6hipcub16HIPCUB_304000_NS8EqualityEEEPlJS8_EEE10hipError_tPvRmT3_T4_T5_T6_T7_T9_mT8_P12ihipStream_tbDpT10_ENKUlT_T0_E_clISt17integral_constantIbLb0EES18_IbLb1EEEEDaS14_S15_EUlS14_E_NS1_11comp_targetILNS1_3genE2ELNS1_11target_archE906ELNS1_3gpuE6ELNS1_3repE0EEENS1_30default_config_static_selectorELNS0_4arch9wavefront6targetE1EEEvT1_ ; -- Begin function _ZN7rocprim17ROCPRIM_400000_NS6detail17trampoline_kernelINS0_14default_configENS1_25partition_config_selectorILNS1_17partition_subalgoE8EN3c104HalfENS0_10empty_typeEbEEZZNS1_14partition_implILS5_8ELb0ES3_jPKS7_PS8_PKS8_NS0_5tupleIJPS7_S8_EEENSG_IJSD_SD_EEENS0_18inequality_wrapperIN6hipcub16HIPCUB_304000_NS8EqualityEEEPlJS8_EEE10hipError_tPvRmT3_T4_T5_T6_T7_T9_mT8_P12ihipStream_tbDpT10_ENKUlT_T0_E_clISt17integral_constantIbLb0EES18_IbLb1EEEEDaS14_S15_EUlS14_E_NS1_11comp_targetILNS1_3genE2ELNS1_11target_archE906ELNS1_3gpuE6ELNS1_3repE0EEENS1_30default_config_static_selectorELNS0_4arch9wavefront6targetE1EEEvT1_
	.globl	_ZN7rocprim17ROCPRIM_400000_NS6detail17trampoline_kernelINS0_14default_configENS1_25partition_config_selectorILNS1_17partition_subalgoE8EN3c104HalfENS0_10empty_typeEbEEZZNS1_14partition_implILS5_8ELb0ES3_jPKS7_PS8_PKS8_NS0_5tupleIJPS7_S8_EEENSG_IJSD_SD_EEENS0_18inequality_wrapperIN6hipcub16HIPCUB_304000_NS8EqualityEEEPlJS8_EEE10hipError_tPvRmT3_T4_T5_T6_T7_T9_mT8_P12ihipStream_tbDpT10_ENKUlT_T0_E_clISt17integral_constantIbLb0EES18_IbLb1EEEEDaS14_S15_EUlS14_E_NS1_11comp_targetILNS1_3genE2ELNS1_11target_archE906ELNS1_3gpuE6ELNS1_3repE0EEENS1_30default_config_static_selectorELNS0_4arch9wavefront6targetE1EEEvT1_
	.p2align	8
	.type	_ZN7rocprim17ROCPRIM_400000_NS6detail17trampoline_kernelINS0_14default_configENS1_25partition_config_selectorILNS1_17partition_subalgoE8EN3c104HalfENS0_10empty_typeEbEEZZNS1_14partition_implILS5_8ELb0ES3_jPKS7_PS8_PKS8_NS0_5tupleIJPS7_S8_EEENSG_IJSD_SD_EEENS0_18inequality_wrapperIN6hipcub16HIPCUB_304000_NS8EqualityEEEPlJS8_EEE10hipError_tPvRmT3_T4_T5_T6_T7_T9_mT8_P12ihipStream_tbDpT10_ENKUlT_T0_E_clISt17integral_constantIbLb0EES18_IbLb1EEEEDaS14_S15_EUlS14_E_NS1_11comp_targetILNS1_3genE2ELNS1_11target_archE906ELNS1_3gpuE6ELNS1_3repE0EEENS1_30default_config_static_selectorELNS0_4arch9wavefront6targetE1EEEvT1_,@function
_ZN7rocprim17ROCPRIM_400000_NS6detail17trampoline_kernelINS0_14default_configENS1_25partition_config_selectorILNS1_17partition_subalgoE8EN3c104HalfENS0_10empty_typeEbEEZZNS1_14partition_implILS5_8ELb0ES3_jPKS7_PS8_PKS8_NS0_5tupleIJPS7_S8_EEENSG_IJSD_SD_EEENS0_18inequality_wrapperIN6hipcub16HIPCUB_304000_NS8EqualityEEEPlJS8_EEE10hipError_tPvRmT3_T4_T5_T6_T7_T9_mT8_P12ihipStream_tbDpT10_ENKUlT_T0_E_clISt17integral_constantIbLb0EES18_IbLb1EEEEDaS14_S15_EUlS14_E_NS1_11comp_targetILNS1_3genE2ELNS1_11target_archE906ELNS1_3gpuE6ELNS1_3repE0EEENS1_30default_config_static_selectorELNS0_4arch9wavefront6targetE1EEEvT1_: ; @_ZN7rocprim17ROCPRIM_400000_NS6detail17trampoline_kernelINS0_14default_configENS1_25partition_config_selectorILNS1_17partition_subalgoE8EN3c104HalfENS0_10empty_typeEbEEZZNS1_14partition_implILS5_8ELb0ES3_jPKS7_PS8_PKS8_NS0_5tupleIJPS7_S8_EEENSG_IJSD_SD_EEENS0_18inequality_wrapperIN6hipcub16HIPCUB_304000_NS8EqualityEEEPlJS8_EEE10hipError_tPvRmT3_T4_T5_T6_T7_T9_mT8_P12ihipStream_tbDpT10_ENKUlT_T0_E_clISt17integral_constantIbLb0EES18_IbLb1EEEEDaS14_S15_EUlS14_E_NS1_11comp_targetILNS1_3genE2ELNS1_11target_archE906ELNS1_3gpuE6ELNS1_3repE0EEENS1_30default_config_static_selectorELNS0_4arch9wavefront6targetE1EEEvT1_
; %bb.0:
	.section	.rodata,"a",@progbits
	.p2align	6, 0x0
	.amdhsa_kernel _ZN7rocprim17ROCPRIM_400000_NS6detail17trampoline_kernelINS0_14default_configENS1_25partition_config_selectorILNS1_17partition_subalgoE8EN3c104HalfENS0_10empty_typeEbEEZZNS1_14partition_implILS5_8ELb0ES3_jPKS7_PS8_PKS8_NS0_5tupleIJPS7_S8_EEENSG_IJSD_SD_EEENS0_18inequality_wrapperIN6hipcub16HIPCUB_304000_NS8EqualityEEEPlJS8_EEE10hipError_tPvRmT3_T4_T5_T6_T7_T9_mT8_P12ihipStream_tbDpT10_ENKUlT_T0_E_clISt17integral_constantIbLb0EES18_IbLb1EEEEDaS14_S15_EUlS14_E_NS1_11comp_targetILNS1_3genE2ELNS1_11target_archE906ELNS1_3gpuE6ELNS1_3repE0EEENS1_30default_config_static_selectorELNS0_4arch9wavefront6targetE1EEEvT1_
		.amdhsa_group_segment_fixed_size 0
		.amdhsa_private_segment_fixed_size 0
		.amdhsa_kernarg_size 128
		.amdhsa_user_sgpr_count 2
		.amdhsa_user_sgpr_dispatch_ptr 0
		.amdhsa_user_sgpr_queue_ptr 0
		.amdhsa_user_sgpr_kernarg_segment_ptr 1
		.amdhsa_user_sgpr_dispatch_id 0
		.amdhsa_user_sgpr_kernarg_preload_length 0
		.amdhsa_user_sgpr_kernarg_preload_offset 0
		.amdhsa_user_sgpr_private_segment_size 0
		.amdhsa_uses_dynamic_stack 0
		.amdhsa_enable_private_segment 0
		.amdhsa_system_sgpr_workgroup_id_x 1
		.amdhsa_system_sgpr_workgroup_id_y 0
		.amdhsa_system_sgpr_workgroup_id_z 0
		.amdhsa_system_sgpr_workgroup_info 0
		.amdhsa_system_vgpr_workitem_id 0
		.amdhsa_next_free_vgpr 1
		.amdhsa_next_free_sgpr 0
		.amdhsa_accum_offset 4
		.amdhsa_reserve_vcc 0
		.amdhsa_float_round_mode_32 0
		.amdhsa_float_round_mode_16_64 0
		.amdhsa_float_denorm_mode_32 3
		.amdhsa_float_denorm_mode_16_64 3
		.amdhsa_dx10_clamp 1
		.amdhsa_ieee_mode 1
		.amdhsa_fp16_overflow 0
		.amdhsa_tg_split 0
		.amdhsa_exception_fp_ieee_invalid_op 0
		.amdhsa_exception_fp_denorm_src 0
		.amdhsa_exception_fp_ieee_div_zero 0
		.amdhsa_exception_fp_ieee_overflow 0
		.amdhsa_exception_fp_ieee_underflow 0
		.amdhsa_exception_fp_ieee_inexact 0
		.amdhsa_exception_int_div_zero 0
	.end_amdhsa_kernel
	.section	.text._ZN7rocprim17ROCPRIM_400000_NS6detail17trampoline_kernelINS0_14default_configENS1_25partition_config_selectorILNS1_17partition_subalgoE8EN3c104HalfENS0_10empty_typeEbEEZZNS1_14partition_implILS5_8ELb0ES3_jPKS7_PS8_PKS8_NS0_5tupleIJPS7_S8_EEENSG_IJSD_SD_EEENS0_18inequality_wrapperIN6hipcub16HIPCUB_304000_NS8EqualityEEEPlJS8_EEE10hipError_tPvRmT3_T4_T5_T6_T7_T9_mT8_P12ihipStream_tbDpT10_ENKUlT_T0_E_clISt17integral_constantIbLb0EES18_IbLb1EEEEDaS14_S15_EUlS14_E_NS1_11comp_targetILNS1_3genE2ELNS1_11target_archE906ELNS1_3gpuE6ELNS1_3repE0EEENS1_30default_config_static_selectorELNS0_4arch9wavefront6targetE1EEEvT1_,"axG",@progbits,_ZN7rocprim17ROCPRIM_400000_NS6detail17trampoline_kernelINS0_14default_configENS1_25partition_config_selectorILNS1_17partition_subalgoE8EN3c104HalfENS0_10empty_typeEbEEZZNS1_14partition_implILS5_8ELb0ES3_jPKS7_PS8_PKS8_NS0_5tupleIJPS7_S8_EEENSG_IJSD_SD_EEENS0_18inequality_wrapperIN6hipcub16HIPCUB_304000_NS8EqualityEEEPlJS8_EEE10hipError_tPvRmT3_T4_T5_T6_T7_T9_mT8_P12ihipStream_tbDpT10_ENKUlT_T0_E_clISt17integral_constantIbLb0EES18_IbLb1EEEEDaS14_S15_EUlS14_E_NS1_11comp_targetILNS1_3genE2ELNS1_11target_archE906ELNS1_3gpuE6ELNS1_3repE0EEENS1_30default_config_static_selectorELNS0_4arch9wavefront6targetE1EEEvT1_,comdat
.Lfunc_end921:
	.size	_ZN7rocprim17ROCPRIM_400000_NS6detail17trampoline_kernelINS0_14default_configENS1_25partition_config_selectorILNS1_17partition_subalgoE8EN3c104HalfENS0_10empty_typeEbEEZZNS1_14partition_implILS5_8ELb0ES3_jPKS7_PS8_PKS8_NS0_5tupleIJPS7_S8_EEENSG_IJSD_SD_EEENS0_18inequality_wrapperIN6hipcub16HIPCUB_304000_NS8EqualityEEEPlJS8_EEE10hipError_tPvRmT3_T4_T5_T6_T7_T9_mT8_P12ihipStream_tbDpT10_ENKUlT_T0_E_clISt17integral_constantIbLb0EES18_IbLb1EEEEDaS14_S15_EUlS14_E_NS1_11comp_targetILNS1_3genE2ELNS1_11target_archE906ELNS1_3gpuE6ELNS1_3repE0EEENS1_30default_config_static_selectorELNS0_4arch9wavefront6targetE1EEEvT1_, .Lfunc_end921-_ZN7rocprim17ROCPRIM_400000_NS6detail17trampoline_kernelINS0_14default_configENS1_25partition_config_selectorILNS1_17partition_subalgoE8EN3c104HalfENS0_10empty_typeEbEEZZNS1_14partition_implILS5_8ELb0ES3_jPKS7_PS8_PKS8_NS0_5tupleIJPS7_S8_EEENSG_IJSD_SD_EEENS0_18inequality_wrapperIN6hipcub16HIPCUB_304000_NS8EqualityEEEPlJS8_EEE10hipError_tPvRmT3_T4_T5_T6_T7_T9_mT8_P12ihipStream_tbDpT10_ENKUlT_T0_E_clISt17integral_constantIbLb0EES18_IbLb1EEEEDaS14_S15_EUlS14_E_NS1_11comp_targetILNS1_3genE2ELNS1_11target_archE906ELNS1_3gpuE6ELNS1_3repE0EEENS1_30default_config_static_selectorELNS0_4arch9wavefront6targetE1EEEvT1_
                                        ; -- End function
	.section	.AMDGPU.csdata,"",@progbits
; Kernel info:
; codeLenInByte = 0
; NumSgprs: 6
; NumVgprs: 0
; NumAgprs: 0
; TotalNumVgprs: 0
; ScratchSize: 0
; MemoryBound: 0
; FloatMode: 240
; IeeeMode: 1
; LDSByteSize: 0 bytes/workgroup (compile time only)
; SGPRBlocks: 0
; VGPRBlocks: 0
; NumSGPRsForWavesPerEU: 6
; NumVGPRsForWavesPerEU: 1
; AccumOffset: 4
; Occupancy: 8
; WaveLimiterHint : 0
; COMPUTE_PGM_RSRC2:SCRATCH_EN: 0
; COMPUTE_PGM_RSRC2:USER_SGPR: 2
; COMPUTE_PGM_RSRC2:TRAP_HANDLER: 0
; COMPUTE_PGM_RSRC2:TGID_X_EN: 1
; COMPUTE_PGM_RSRC2:TGID_Y_EN: 0
; COMPUTE_PGM_RSRC2:TGID_Z_EN: 0
; COMPUTE_PGM_RSRC2:TIDIG_COMP_CNT: 0
; COMPUTE_PGM_RSRC3_GFX90A:ACCUM_OFFSET: 0
; COMPUTE_PGM_RSRC3_GFX90A:TG_SPLIT: 0
	.section	.text._ZN7rocprim17ROCPRIM_400000_NS6detail17trampoline_kernelINS0_14default_configENS1_25partition_config_selectorILNS1_17partition_subalgoE8EN3c104HalfENS0_10empty_typeEbEEZZNS1_14partition_implILS5_8ELb0ES3_jPKS7_PS8_PKS8_NS0_5tupleIJPS7_S8_EEENSG_IJSD_SD_EEENS0_18inequality_wrapperIN6hipcub16HIPCUB_304000_NS8EqualityEEEPlJS8_EEE10hipError_tPvRmT3_T4_T5_T6_T7_T9_mT8_P12ihipStream_tbDpT10_ENKUlT_T0_E_clISt17integral_constantIbLb0EES18_IbLb1EEEEDaS14_S15_EUlS14_E_NS1_11comp_targetILNS1_3genE10ELNS1_11target_archE1200ELNS1_3gpuE4ELNS1_3repE0EEENS1_30default_config_static_selectorELNS0_4arch9wavefront6targetE1EEEvT1_,"axG",@progbits,_ZN7rocprim17ROCPRIM_400000_NS6detail17trampoline_kernelINS0_14default_configENS1_25partition_config_selectorILNS1_17partition_subalgoE8EN3c104HalfENS0_10empty_typeEbEEZZNS1_14partition_implILS5_8ELb0ES3_jPKS7_PS8_PKS8_NS0_5tupleIJPS7_S8_EEENSG_IJSD_SD_EEENS0_18inequality_wrapperIN6hipcub16HIPCUB_304000_NS8EqualityEEEPlJS8_EEE10hipError_tPvRmT3_T4_T5_T6_T7_T9_mT8_P12ihipStream_tbDpT10_ENKUlT_T0_E_clISt17integral_constantIbLb0EES18_IbLb1EEEEDaS14_S15_EUlS14_E_NS1_11comp_targetILNS1_3genE10ELNS1_11target_archE1200ELNS1_3gpuE4ELNS1_3repE0EEENS1_30default_config_static_selectorELNS0_4arch9wavefront6targetE1EEEvT1_,comdat
	.protected	_ZN7rocprim17ROCPRIM_400000_NS6detail17trampoline_kernelINS0_14default_configENS1_25partition_config_selectorILNS1_17partition_subalgoE8EN3c104HalfENS0_10empty_typeEbEEZZNS1_14partition_implILS5_8ELb0ES3_jPKS7_PS8_PKS8_NS0_5tupleIJPS7_S8_EEENSG_IJSD_SD_EEENS0_18inequality_wrapperIN6hipcub16HIPCUB_304000_NS8EqualityEEEPlJS8_EEE10hipError_tPvRmT3_T4_T5_T6_T7_T9_mT8_P12ihipStream_tbDpT10_ENKUlT_T0_E_clISt17integral_constantIbLb0EES18_IbLb1EEEEDaS14_S15_EUlS14_E_NS1_11comp_targetILNS1_3genE10ELNS1_11target_archE1200ELNS1_3gpuE4ELNS1_3repE0EEENS1_30default_config_static_selectorELNS0_4arch9wavefront6targetE1EEEvT1_ ; -- Begin function _ZN7rocprim17ROCPRIM_400000_NS6detail17trampoline_kernelINS0_14default_configENS1_25partition_config_selectorILNS1_17partition_subalgoE8EN3c104HalfENS0_10empty_typeEbEEZZNS1_14partition_implILS5_8ELb0ES3_jPKS7_PS8_PKS8_NS0_5tupleIJPS7_S8_EEENSG_IJSD_SD_EEENS0_18inequality_wrapperIN6hipcub16HIPCUB_304000_NS8EqualityEEEPlJS8_EEE10hipError_tPvRmT3_T4_T5_T6_T7_T9_mT8_P12ihipStream_tbDpT10_ENKUlT_T0_E_clISt17integral_constantIbLb0EES18_IbLb1EEEEDaS14_S15_EUlS14_E_NS1_11comp_targetILNS1_3genE10ELNS1_11target_archE1200ELNS1_3gpuE4ELNS1_3repE0EEENS1_30default_config_static_selectorELNS0_4arch9wavefront6targetE1EEEvT1_
	.globl	_ZN7rocprim17ROCPRIM_400000_NS6detail17trampoline_kernelINS0_14default_configENS1_25partition_config_selectorILNS1_17partition_subalgoE8EN3c104HalfENS0_10empty_typeEbEEZZNS1_14partition_implILS5_8ELb0ES3_jPKS7_PS8_PKS8_NS0_5tupleIJPS7_S8_EEENSG_IJSD_SD_EEENS0_18inequality_wrapperIN6hipcub16HIPCUB_304000_NS8EqualityEEEPlJS8_EEE10hipError_tPvRmT3_T4_T5_T6_T7_T9_mT8_P12ihipStream_tbDpT10_ENKUlT_T0_E_clISt17integral_constantIbLb0EES18_IbLb1EEEEDaS14_S15_EUlS14_E_NS1_11comp_targetILNS1_3genE10ELNS1_11target_archE1200ELNS1_3gpuE4ELNS1_3repE0EEENS1_30default_config_static_selectorELNS0_4arch9wavefront6targetE1EEEvT1_
	.p2align	8
	.type	_ZN7rocprim17ROCPRIM_400000_NS6detail17trampoline_kernelINS0_14default_configENS1_25partition_config_selectorILNS1_17partition_subalgoE8EN3c104HalfENS0_10empty_typeEbEEZZNS1_14partition_implILS5_8ELb0ES3_jPKS7_PS8_PKS8_NS0_5tupleIJPS7_S8_EEENSG_IJSD_SD_EEENS0_18inequality_wrapperIN6hipcub16HIPCUB_304000_NS8EqualityEEEPlJS8_EEE10hipError_tPvRmT3_T4_T5_T6_T7_T9_mT8_P12ihipStream_tbDpT10_ENKUlT_T0_E_clISt17integral_constantIbLb0EES18_IbLb1EEEEDaS14_S15_EUlS14_E_NS1_11comp_targetILNS1_3genE10ELNS1_11target_archE1200ELNS1_3gpuE4ELNS1_3repE0EEENS1_30default_config_static_selectorELNS0_4arch9wavefront6targetE1EEEvT1_,@function
_ZN7rocprim17ROCPRIM_400000_NS6detail17trampoline_kernelINS0_14default_configENS1_25partition_config_selectorILNS1_17partition_subalgoE8EN3c104HalfENS0_10empty_typeEbEEZZNS1_14partition_implILS5_8ELb0ES3_jPKS7_PS8_PKS8_NS0_5tupleIJPS7_S8_EEENSG_IJSD_SD_EEENS0_18inequality_wrapperIN6hipcub16HIPCUB_304000_NS8EqualityEEEPlJS8_EEE10hipError_tPvRmT3_T4_T5_T6_T7_T9_mT8_P12ihipStream_tbDpT10_ENKUlT_T0_E_clISt17integral_constantIbLb0EES18_IbLb1EEEEDaS14_S15_EUlS14_E_NS1_11comp_targetILNS1_3genE10ELNS1_11target_archE1200ELNS1_3gpuE4ELNS1_3repE0EEENS1_30default_config_static_selectorELNS0_4arch9wavefront6targetE1EEEvT1_: ; @_ZN7rocprim17ROCPRIM_400000_NS6detail17trampoline_kernelINS0_14default_configENS1_25partition_config_selectorILNS1_17partition_subalgoE8EN3c104HalfENS0_10empty_typeEbEEZZNS1_14partition_implILS5_8ELb0ES3_jPKS7_PS8_PKS8_NS0_5tupleIJPS7_S8_EEENSG_IJSD_SD_EEENS0_18inequality_wrapperIN6hipcub16HIPCUB_304000_NS8EqualityEEEPlJS8_EEE10hipError_tPvRmT3_T4_T5_T6_T7_T9_mT8_P12ihipStream_tbDpT10_ENKUlT_T0_E_clISt17integral_constantIbLb0EES18_IbLb1EEEEDaS14_S15_EUlS14_E_NS1_11comp_targetILNS1_3genE10ELNS1_11target_archE1200ELNS1_3gpuE4ELNS1_3repE0EEENS1_30default_config_static_selectorELNS0_4arch9wavefront6targetE1EEEvT1_
; %bb.0:
	.section	.rodata,"a",@progbits
	.p2align	6, 0x0
	.amdhsa_kernel _ZN7rocprim17ROCPRIM_400000_NS6detail17trampoline_kernelINS0_14default_configENS1_25partition_config_selectorILNS1_17partition_subalgoE8EN3c104HalfENS0_10empty_typeEbEEZZNS1_14partition_implILS5_8ELb0ES3_jPKS7_PS8_PKS8_NS0_5tupleIJPS7_S8_EEENSG_IJSD_SD_EEENS0_18inequality_wrapperIN6hipcub16HIPCUB_304000_NS8EqualityEEEPlJS8_EEE10hipError_tPvRmT3_T4_T5_T6_T7_T9_mT8_P12ihipStream_tbDpT10_ENKUlT_T0_E_clISt17integral_constantIbLb0EES18_IbLb1EEEEDaS14_S15_EUlS14_E_NS1_11comp_targetILNS1_3genE10ELNS1_11target_archE1200ELNS1_3gpuE4ELNS1_3repE0EEENS1_30default_config_static_selectorELNS0_4arch9wavefront6targetE1EEEvT1_
		.amdhsa_group_segment_fixed_size 0
		.amdhsa_private_segment_fixed_size 0
		.amdhsa_kernarg_size 128
		.amdhsa_user_sgpr_count 2
		.amdhsa_user_sgpr_dispatch_ptr 0
		.amdhsa_user_sgpr_queue_ptr 0
		.amdhsa_user_sgpr_kernarg_segment_ptr 1
		.amdhsa_user_sgpr_dispatch_id 0
		.amdhsa_user_sgpr_kernarg_preload_length 0
		.amdhsa_user_sgpr_kernarg_preload_offset 0
		.amdhsa_user_sgpr_private_segment_size 0
		.amdhsa_uses_dynamic_stack 0
		.amdhsa_enable_private_segment 0
		.amdhsa_system_sgpr_workgroup_id_x 1
		.amdhsa_system_sgpr_workgroup_id_y 0
		.amdhsa_system_sgpr_workgroup_id_z 0
		.amdhsa_system_sgpr_workgroup_info 0
		.amdhsa_system_vgpr_workitem_id 0
		.amdhsa_next_free_vgpr 1
		.amdhsa_next_free_sgpr 0
		.amdhsa_accum_offset 4
		.amdhsa_reserve_vcc 0
		.amdhsa_float_round_mode_32 0
		.amdhsa_float_round_mode_16_64 0
		.amdhsa_float_denorm_mode_32 3
		.amdhsa_float_denorm_mode_16_64 3
		.amdhsa_dx10_clamp 1
		.amdhsa_ieee_mode 1
		.amdhsa_fp16_overflow 0
		.amdhsa_tg_split 0
		.amdhsa_exception_fp_ieee_invalid_op 0
		.amdhsa_exception_fp_denorm_src 0
		.amdhsa_exception_fp_ieee_div_zero 0
		.amdhsa_exception_fp_ieee_overflow 0
		.amdhsa_exception_fp_ieee_underflow 0
		.amdhsa_exception_fp_ieee_inexact 0
		.amdhsa_exception_int_div_zero 0
	.end_amdhsa_kernel
	.section	.text._ZN7rocprim17ROCPRIM_400000_NS6detail17trampoline_kernelINS0_14default_configENS1_25partition_config_selectorILNS1_17partition_subalgoE8EN3c104HalfENS0_10empty_typeEbEEZZNS1_14partition_implILS5_8ELb0ES3_jPKS7_PS8_PKS8_NS0_5tupleIJPS7_S8_EEENSG_IJSD_SD_EEENS0_18inequality_wrapperIN6hipcub16HIPCUB_304000_NS8EqualityEEEPlJS8_EEE10hipError_tPvRmT3_T4_T5_T6_T7_T9_mT8_P12ihipStream_tbDpT10_ENKUlT_T0_E_clISt17integral_constantIbLb0EES18_IbLb1EEEEDaS14_S15_EUlS14_E_NS1_11comp_targetILNS1_3genE10ELNS1_11target_archE1200ELNS1_3gpuE4ELNS1_3repE0EEENS1_30default_config_static_selectorELNS0_4arch9wavefront6targetE1EEEvT1_,"axG",@progbits,_ZN7rocprim17ROCPRIM_400000_NS6detail17trampoline_kernelINS0_14default_configENS1_25partition_config_selectorILNS1_17partition_subalgoE8EN3c104HalfENS0_10empty_typeEbEEZZNS1_14partition_implILS5_8ELb0ES3_jPKS7_PS8_PKS8_NS0_5tupleIJPS7_S8_EEENSG_IJSD_SD_EEENS0_18inequality_wrapperIN6hipcub16HIPCUB_304000_NS8EqualityEEEPlJS8_EEE10hipError_tPvRmT3_T4_T5_T6_T7_T9_mT8_P12ihipStream_tbDpT10_ENKUlT_T0_E_clISt17integral_constantIbLb0EES18_IbLb1EEEEDaS14_S15_EUlS14_E_NS1_11comp_targetILNS1_3genE10ELNS1_11target_archE1200ELNS1_3gpuE4ELNS1_3repE0EEENS1_30default_config_static_selectorELNS0_4arch9wavefront6targetE1EEEvT1_,comdat
.Lfunc_end922:
	.size	_ZN7rocprim17ROCPRIM_400000_NS6detail17trampoline_kernelINS0_14default_configENS1_25partition_config_selectorILNS1_17partition_subalgoE8EN3c104HalfENS0_10empty_typeEbEEZZNS1_14partition_implILS5_8ELb0ES3_jPKS7_PS8_PKS8_NS0_5tupleIJPS7_S8_EEENSG_IJSD_SD_EEENS0_18inequality_wrapperIN6hipcub16HIPCUB_304000_NS8EqualityEEEPlJS8_EEE10hipError_tPvRmT3_T4_T5_T6_T7_T9_mT8_P12ihipStream_tbDpT10_ENKUlT_T0_E_clISt17integral_constantIbLb0EES18_IbLb1EEEEDaS14_S15_EUlS14_E_NS1_11comp_targetILNS1_3genE10ELNS1_11target_archE1200ELNS1_3gpuE4ELNS1_3repE0EEENS1_30default_config_static_selectorELNS0_4arch9wavefront6targetE1EEEvT1_, .Lfunc_end922-_ZN7rocprim17ROCPRIM_400000_NS6detail17trampoline_kernelINS0_14default_configENS1_25partition_config_selectorILNS1_17partition_subalgoE8EN3c104HalfENS0_10empty_typeEbEEZZNS1_14partition_implILS5_8ELb0ES3_jPKS7_PS8_PKS8_NS0_5tupleIJPS7_S8_EEENSG_IJSD_SD_EEENS0_18inequality_wrapperIN6hipcub16HIPCUB_304000_NS8EqualityEEEPlJS8_EEE10hipError_tPvRmT3_T4_T5_T6_T7_T9_mT8_P12ihipStream_tbDpT10_ENKUlT_T0_E_clISt17integral_constantIbLb0EES18_IbLb1EEEEDaS14_S15_EUlS14_E_NS1_11comp_targetILNS1_3genE10ELNS1_11target_archE1200ELNS1_3gpuE4ELNS1_3repE0EEENS1_30default_config_static_selectorELNS0_4arch9wavefront6targetE1EEEvT1_
                                        ; -- End function
	.section	.AMDGPU.csdata,"",@progbits
; Kernel info:
; codeLenInByte = 0
; NumSgprs: 6
; NumVgprs: 0
; NumAgprs: 0
; TotalNumVgprs: 0
; ScratchSize: 0
; MemoryBound: 0
; FloatMode: 240
; IeeeMode: 1
; LDSByteSize: 0 bytes/workgroup (compile time only)
; SGPRBlocks: 0
; VGPRBlocks: 0
; NumSGPRsForWavesPerEU: 6
; NumVGPRsForWavesPerEU: 1
; AccumOffset: 4
; Occupancy: 8
; WaveLimiterHint : 0
; COMPUTE_PGM_RSRC2:SCRATCH_EN: 0
; COMPUTE_PGM_RSRC2:USER_SGPR: 2
; COMPUTE_PGM_RSRC2:TRAP_HANDLER: 0
; COMPUTE_PGM_RSRC2:TGID_X_EN: 1
; COMPUTE_PGM_RSRC2:TGID_Y_EN: 0
; COMPUTE_PGM_RSRC2:TGID_Z_EN: 0
; COMPUTE_PGM_RSRC2:TIDIG_COMP_CNT: 0
; COMPUTE_PGM_RSRC3_GFX90A:ACCUM_OFFSET: 0
; COMPUTE_PGM_RSRC3_GFX90A:TG_SPLIT: 0
	.section	.text._ZN7rocprim17ROCPRIM_400000_NS6detail17trampoline_kernelINS0_14default_configENS1_25partition_config_selectorILNS1_17partition_subalgoE8EN3c104HalfENS0_10empty_typeEbEEZZNS1_14partition_implILS5_8ELb0ES3_jPKS7_PS8_PKS8_NS0_5tupleIJPS7_S8_EEENSG_IJSD_SD_EEENS0_18inequality_wrapperIN6hipcub16HIPCUB_304000_NS8EqualityEEEPlJS8_EEE10hipError_tPvRmT3_T4_T5_T6_T7_T9_mT8_P12ihipStream_tbDpT10_ENKUlT_T0_E_clISt17integral_constantIbLb0EES18_IbLb1EEEEDaS14_S15_EUlS14_E_NS1_11comp_targetILNS1_3genE9ELNS1_11target_archE1100ELNS1_3gpuE3ELNS1_3repE0EEENS1_30default_config_static_selectorELNS0_4arch9wavefront6targetE1EEEvT1_,"axG",@progbits,_ZN7rocprim17ROCPRIM_400000_NS6detail17trampoline_kernelINS0_14default_configENS1_25partition_config_selectorILNS1_17partition_subalgoE8EN3c104HalfENS0_10empty_typeEbEEZZNS1_14partition_implILS5_8ELb0ES3_jPKS7_PS8_PKS8_NS0_5tupleIJPS7_S8_EEENSG_IJSD_SD_EEENS0_18inequality_wrapperIN6hipcub16HIPCUB_304000_NS8EqualityEEEPlJS8_EEE10hipError_tPvRmT3_T4_T5_T6_T7_T9_mT8_P12ihipStream_tbDpT10_ENKUlT_T0_E_clISt17integral_constantIbLb0EES18_IbLb1EEEEDaS14_S15_EUlS14_E_NS1_11comp_targetILNS1_3genE9ELNS1_11target_archE1100ELNS1_3gpuE3ELNS1_3repE0EEENS1_30default_config_static_selectorELNS0_4arch9wavefront6targetE1EEEvT1_,comdat
	.protected	_ZN7rocprim17ROCPRIM_400000_NS6detail17trampoline_kernelINS0_14default_configENS1_25partition_config_selectorILNS1_17partition_subalgoE8EN3c104HalfENS0_10empty_typeEbEEZZNS1_14partition_implILS5_8ELb0ES3_jPKS7_PS8_PKS8_NS0_5tupleIJPS7_S8_EEENSG_IJSD_SD_EEENS0_18inequality_wrapperIN6hipcub16HIPCUB_304000_NS8EqualityEEEPlJS8_EEE10hipError_tPvRmT3_T4_T5_T6_T7_T9_mT8_P12ihipStream_tbDpT10_ENKUlT_T0_E_clISt17integral_constantIbLb0EES18_IbLb1EEEEDaS14_S15_EUlS14_E_NS1_11comp_targetILNS1_3genE9ELNS1_11target_archE1100ELNS1_3gpuE3ELNS1_3repE0EEENS1_30default_config_static_selectorELNS0_4arch9wavefront6targetE1EEEvT1_ ; -- Begin function _ZN7rocprim17ROCPRIM_400000_NS6detail17trampoline_kernelINS0_14default_configENS1_25partition_config_selectorILNS1_17partition_subalgoE8EN3c104HalfENS0_10empty_typeEbEEZZNS1_14partition_implILS5_8ELb0ES3_jPKS7_PS8_PKS8_NS0_5tupleIJPS7_S8_EEENSG_IJSD_SD_EEENS0_18inequality_wrapperIN6hipcub16HIPCUB_304000_NS8EqualityEEEPlJS8_EEE10hipError_tPvRmT3_T4_T5_T6_T7_T9_mT8_P12ihipStream_tbDpT10_ENKUlT_T0_E_clISt17integral_constantIbLb0EES18_IbLb1EEEEDaS14_S15_EUlS14_E_NS1_11comp_targetILNS1_3genE9ELNS1_11target_archE1100ELNS1_3gpuE3ELNS1_3repE0EEENS1_30default_config_static_selectorELNS0_4arch9wavefront6targetE1EEEvT1_
	.globl	_ZN7rocprim17ROCPRIM_400000_NS6detail17trampoline_kernelINS0_14default_configENS1_25partition_config_selectorILNS1_17partition_subalgoE8EN3c104HalfENS0_10empty_typeEbEEZZNS1_14partition_implILS5_8ELb0ES3_jPKS7_PS8_PKS8_NS0_5tupleIJPS7_S8_EEENSG_IJSD_SD_EEENS0_18inequality_wrapperIN6hipcub16HIPCUB_304000_NS8EqualityEEEPlJS8_EEE10hipError_tPvRmT3_T4_T5_T6_T7_T9_mT8_P12ihipStream_tbDpT10_ENKUlT_T0_E_clISt17integral_constantIbLb0EES18_IbLb1EEEEDaS14_S15_EUlS14_E_NS1_11comp_targetILNS1_3genE9ELNS1_11target_archE1100ELNS1_3gpuE3ELNS1_3repE0EEENS1_30default_config_static_selectorELNS0_4arch9wavefront6targetE1EEEvT1_
	.p2align	8
	.type	_ZN7rocprim17ROCPRIM_400000_NS6detail17trampoline_kernelINS0_14default_configENS1_25partition_config_selectorILNS1_17partition_subalgoE8EN3c104HalfENS0_10empty_typeEbEEZZNS1_14partition_implILS5_8ELb0ES3_jPKS7_PS8_PKS8_NS0_5tupleIJPS7_S8_EEENSG_IJSD_SD_EEENS0_18inequality_wrapperIN6hipcub16HIPCUB_304000_NS8EqualityEEEPlJS8_EEE10hipError_tPvRmT3_T4_T5_T6_T7_T9_mT8_P12ihipStream_tbDpT10_ENKUlT_T0_E_clISt17integral_constantIbLb0EES18_IbLb1EEEEDaS14_S15_EUlS14_E_NS1_11comp_targetILNS1_3genE9ELNS1_11target_archE1100ELNS1_3gpuE3ELNS1_3repE0EEENS1_30default_config_static_selectorELNS0_4arch9wavefront6targetE1EEEvT1_,@function
_ZN7rocprim17ROCPRIM_400000_NS6detail17trampoline_kernelINS0_14default_configENS1_25partition_config_selectorILNS1_17partition_subalgoE8EN3c104HalfENS0_10empty_typeEbEEZZNS1_14partition_implILS5_8ELb0ES3_jPKS7_PS8_PKS8_NS0_5tupleIJPS7_S8_EEENSG_IJSD_SD_EEENS0_18inequality_wrapperIN6hipcub16HIPCUB_304000_NS8EqualityEEEPlJS8_EEE10hipError_tPvRmT3_T4_T5_T6_T7_T9_mT8_P12ihipStream_tbDpT10_ENKUlT_T0_E_clISt17integral_constantIbLb0EES18_IbLb1EEEEDaS14_S15_EUlS14_E_NS1_11comp_targetILNS1_3genE9ELNS1_11target_archE1100ELNS1_3gpuE3ELNS1_3repE0EEENS1_30default_config_static_selectorELNS0_4arch9wavefront6targetE1EEEvT1_: ; @_ZN7rocprim17ROCPRIM_400000_NS6detail17trampoline_kernelINS0_14default_configENS1_25partition_config_selectorILNS1_17partition_subalgoE8EN3c104HalfENS0_10empty_typeEbEEZZNS1_14partition_implILS5_8ELb0ES3_jPKS7_PS8_PKS8_NS0_5tupleIJPS7_S8_EEENSG_IJSD_SD_EEENS0_18inequality_wrapperIN6hipcub16HIPCUB_304000_NS8EqualityEEEPlJS8_EEE10hipError_tPvRmT3_T4_T5_T6_T7_T9_mT8_P12ihipStream_tbDpT10_ENKUlT_T0_E_clISt17integral_constantIbLb0EES18_IbLb1EEEEDaS14_S15_EUlS14_E_NS1_11comp_targetILNS1_3genE9ELNS1_11target_archE1100ELNS1_3gpuE3ELNS1_3repE0EEENS1_30default_config_static_selectorELNS0_4arch9wavefront6targetE1EEEvT1_
; %bb.0:
	.section	.rodata,"a",@progbits
	.p2align	6, 0x0
	.amdhsa_kernel _ZN7rocprim17ROCPRIM_400000_NS6detail17trampoline_kernelINS0_14default_configENS1_25partition_config_selectorILNS1_17partition_subalgoE8EN3c104HalfENS0_10empty_typeEbEEZZNS1_14partition_implILS5_8ELb0ES3_jPKS7_PS8_PKS8_NS0_5tupleIJPS7_S8_EEENSG_IJSD_SD_EEENS0_18inequality_wrapperIN6hipcub16HIPCUB_304000_NS8EqualityEEEPlJS8_EEE10hipError_tPvRmT3_T4_T5_T6_T7_T9_mT8_P12ihipStream_tbDpT10_ENKUlT_T0_E_clISt17integral_constantIbLb0EES18_IbLb1EEEEDaS14_S15_EUlS14_E_NS1_11comp_targetILNS1_3genE9ELNS1_11target_archE1100ELNS1_3gpuE3ELNS1_3repE0EEENS1_30default_config_static_selectorELNS0_4arch9wavefront6targetE1EEEvT1_
		.amdhsa_group_segment_fixed_size 0
		.amdhsa_private_segment_fixed_size 0
		.amdhsa_kernarg_size 128
		.amdhsa_user_sgpr_count 2
		.amdhsa_user_sgpr_dispatch_ptr 0
		.amdhsa_user_sgpr_queue_ptr 0
		.amdhsa_user_sgpr_kernarg_segment_ptr 1
		.amdhsa_user_sgpr_dispatch_id 0
		.amdhsa_user_sgpr_kernarg_preload_length 0
		.amdhsa_user_sgpr_kernarg_preload_offset 0
		.amdhsa_user_sgpr_private_segment_size 0
		.amdhsa_uses_dynamic_stack 0
		.amdhsa_enable_private_segment 0
		.amdhsa_system_sgpr_workgroup_id_x 1
		.amdhsa_system_sgpr_workgroup_id_y 0
		.amdhsa_system_sgpr_workgroup_id_z 0
		.amdhsa_system_sgpr_workgroup_info 0
		.amdhsa_system_vgpr_workitem_id 0
		.amdhsa_next_free_vgpr 1
		.amdhsa_next_free_sgpr 0
		.amdhsa_accum_offset 4
		.amdhsa_reserve_vcc 0
		.amdhsa_float_round_mode_32 0
		.amdhsa_float_round_mode_16_64 0
		.amdhsa_float_denorm_mode_32 3
		.amdhsa_float_denorm_mode_16_64 3
		.amdhsa_dx10_clamp 1
		.amdhsa_ieee_mode 1
		.amdhsa_fp16_overflow 0
		.amdhsa_tg_split 0
		.amdhsa_exception_fp_ieee_invalid_op 0
		.amdhsa_exception_fp_denorm_src 0
		.amdhsa_exception_fp_ieee_div_zero 0
		.amdhsa_exception_fp_ieee_overflow 0
		.amdhsa_exception_fp_ieee_underflow 0
		.amdhsa_exception_fp_ieee_inexact 0
		.amdhsa_exception_int_div_zero 0
	.end_amdhsa_kernel
	.section	.text._ZN7rocprim17ROCPRIM_400000_NS6detail17trampoline_kernelINS0_14default_configENS1_25partition_config_selectorILNS1_17partition_subalgoE8EN3c104HalfENS0_10empty_typeEbEEZZNS1_14partition_implILS5_8ELb0ES3_jPKS7_PS8_PKS8_NS0_5tupleIJPS7_S8_EEENSG_IJSD_SD_EEENS0_18inequality_wrapperIN6hipcub16HIPCUB_304000_NS8EqualityEEEPlJS8_EEE10hipError_tPvRmT3_T4_T5_T6_T7_T9_mT8_P12ihipStream_tbDpT10_ENKUlT_T0_E_clISt17integral_constantIbLb0EES18_IbLb1EEEEDaS14_S15_EUlS14_E_NS1_11comp_targetILNS1_3genE9ELNS1_11target_archE1100ELNS1_3gpuE3ELNS1_3repE0EEENS1_30default_config_static_selectorELNS0_4arch9wavefront6targetE1EEEvT1_,"axG",@progbits,_ZN7rocprim17ROCPRIM_400000_NS6detail17trampoline_kernelINS0_14default_configENS1_25partition_config_selectorILNS1_17partition_subalgoE8EN3c104HalfENS0_10empty_typeEbEEZZNS1_14partition_implILS5_8ELb0ES3_jPKS7_PS8_PKS8_NS0_5tupleIJPS7_S8_EEENSG_IJSD_SD_EEENS0_18inequality_wrapperIN6hipcub16HIPCUB_304000_NS8EqualityEEEPlJS8_EEE10hipError_tPvRmT3_T4_T5_T6_T7_T9_mT8_P12ihipStream_tbDpT10_ENKUlT_T0_E_clISt17integral_constantIbLb0EES18_IbLb1EEEEDaS14_S15_EUlS14_E_NS1_11comp_targetILNS1_3genE9ELNS1_11target_archE1100ELNS1_3gpuE3ELNS1_3repE0EEENS1_30default_config_static_selectorELNS0_4arch9wavefront6targetE1EEEvT1_,comdat
.Lfunc_end923:
	.size	_ZN7rocprim17ROCPRIM_400000_NS6detail17trampoline_kernelINS0_14default_configENS1_25partition_config_selectorILNS1_17partition_subalgoE8EN3c104HalfENS0_10empty_typeEbEEZZNS1_14partition_implILS5_8ELb0ES3_jPKS7_PS8_PKS8_NS0_5tupleIJPS7_S8_EEENSG_IJSD_SD_EEENS0_18inequality_wrapperIN6hipcub16HIPCUB_304000_NS8EqualityEEEPlJS8_EEE10hipError_tPvRmT3_T4_T5_T6_T7_T9_mT8_P12ihipStream_tbDpT10_ENKUlT_T0_E_clISt17integral_constantIbLb0EES18_IbLb1EEEEDaS14_S15_EUlS14_E_NS1_11comp_targetILNS1_3genE9ELNS1_11target_archE1100ELNS1_3gpuE3ELNS1_3repE0EEENS1_30default_config_static_selectorELNS0_4arch9wavefront6targetE1EEEvT1_, .Lfunc_end923-_ZN7rocprim17ROCPRIM_400000_NS6detail17trampoline_kernelINS0_14default_configENS1_25partition_config_selectorILNS1_17partition_subalgoE8EN3c104HalfENS0_10empty_typeEbEEZZNS1_14partition_implILS5_8ELb0ES3_jPKS7_PS8_PKS8_NS0_5tupleIJPS7_S8_EEENSG_IJSD_SD_EEENS0_18inequality_wrapperIN6hipcub16HIPCUB_304000_NS8EqualityEEEPlJS8_EEE10hipError_tPvRmT3_T4_T5_T6_T7_T9_mT8_P12ihipStream_tbDpT10_ENKUlT_T0_E_clISt17integral_constantIbLb0EES18_IbLb1EEEEDaS14_S15_EUlS14_E_NS1_11comp_targetILNS1_3genE9ELNS1_11target_archE1100ELNS1_3gpuE3ELNS1_3repE0EEENS1_30default_config_static_selectorELNS0_4arch9wavefront6targetE1EEEvT1_
                                        ; -- End function
	.section	.AMDGPU.csdata,"",@progbits
; Kernel info:
; codeLenInByte = 0
; NumSgprs: 6
; NumVgprs: 0
; NumAgprs: 0
; TotalNumVgprs: 0
; ScratchSize: 0
; MemoryBound: 0
; FloatMode: 240
; IeeeMode: 1
; LDSByteSize: 0 bytes/workgroup (compile time only)
; SGPRBlocks: 0
; VGPRBlocks: 0
; NumSGPRsForWavesPerEU: 6
; NumVGPRsForWavesPerEU: 1
; AccumOffset: 4
; Occupancy: 8
; WaveLimiterHint : 0
; COMPUTE_PGM_RSRC2:SCRATCH_EN: 0
; COMPUTE_PGM_RSRC2:USER_SGPR: 2
; COMPUTE_PGM_RSRC2:TRAP_HANDLER: 0
; COMPUTE_PGM_RSRC2:TGID_X_EN: 1
; COMPUTE_PGM_RSRC2:TGID_Y_EN: 0
; COMPUTE_PGM_RSRC2:TGID_Z_EN: 0
; COMPUTE_PGM_RSRC2:TIDIG_COMP_CNT: 0
; COMPUTE_PGM_RSRC3_GFX90A:ACCUM_OFFSET: 0
; COMPUTE_PGM_RSRC3_GFX90A:TG_SPLIT: 0
	.section	.text._ZN7rocprim17ROCPRIM_400000_NS6detail17trampoline_kernelINS0_14default_configENS1_25partition_config_selectorILNS1_17partition_subalgoE8EN3c104HalfENS0_10empty_typeEbEEZZNS1_14partition_implILS5_8ELb0ES3_jPKS7_PS8_PKS8_NS0_5tupleIJPS7_S8_EEENSG_IJSD_SD_EEENS0_18inequality_wrapperIN6hipcub16HIPCUB_304000_NS8EqualityEEEPlJS8_EEE10hipError_tPvRmT3_T4_T5_T6_T7_T9_mT8_P12ihipStream_tbDpT10_ENKUlT_T0_E_clISt17integral_constantIbLb0EES18_IbLb1EEEEDaS14_S15_EUlS14_E_NS1_11comp_targetILNS1_3genE8ELNS1_11target_archE1030ELNS1_3gpuE2ELNS1_3repE0EEENS1_30default_config_static_selectorELNS0_4arch9wavefront6targetE1EEEvT1_,"axG",@progbits,_ZN7rocprim17ROCPRIM_400000_NS6detail17trampoline_kernelINS0_14default_configENS1_25partition_config_selectorILNS1_17partition_subalgoE8EN3c104HalfENS0_10empty_typeEbEEZZNS1_14partition_implILS5_8ELb0ES3_jPKS7_PS8_PKS8_NS0_5tupleIJPS7_S8_EEENSG_IJSD_SD_EEENS0_18inequality_wrapperIN6hipcub16HIPCUB_304000_NS8EqualityEEEPlJS8_EEE10hipError_tPvRmT3_T4_T5_T6_T7_T9_mT8_P12ihipStream_tbDpT10_ENKUlT_T0_E_clISt17integral_constantIbLb0EES18_IbLb1EEEEDaS14_S15_EUlS14_E_NS1_11comp_targetILNS1_3genE8ELNS1_11target_archE1030ELNS1_3gpuE2ELNS1_3repE0EEENS1_30default_config_static_selectorELNS0_4arch9wavefront6targetE1EEEvT1_,comdat
	.protected	_ZN7rocprim17ROCPRIM_400000_NS6detail17trampoline_kernelINS0_14default_configENS1_25partition_config_selectorILNS1_17partition_subalgoE8EN3c104HalfENS0_10empty_typeEbEEZZNS1_14partition_implILS5_8ELb0ES3_jPKS7_PS8_PKS8_NS0_5tupleIJPS7_S8_EEENSG_IJSD_SD_EEENS0_18inequality_wrapperIN6hipcub16HIPCUB_304000_NS8EqualityEEEPlJS8_EEE10hipError_tPvRmT3_T4_T5_T6_T7_T9_mT8_P12ihipStream_tbDpT10_ENKUlT_T0_E_clISt17integral_constantIbLb0EES18_IbLb1EEEEDaS14_S15_EUlS14_E_NS1_11comp_targetILNS1_3genE8ELNS1_11target_archE1030ELNS1_3gpuE2ELNS1_3repE0EEENS1_30default_config_static_selectorELNS0_4arch9wavefront6targetE1EEEvT1_ ; -- Begin function _ZN7rocprim17ROCPRIM_400000_NS6detail17trampoline_kernelINS0_14default_configENS1_25partition_config_selectorILNS1_17partition_subalgoE8EN3c104HalfENS0_10empty_typeEbEEZZNS1_14partition_implILS5_8ELb0ES3_jPKS7_PS8_PKS8_NS0_5tupleIJPS7_S8_EEENSG_IJSD_SD_EEENS0_18inequality_wrapperIN6hipcub16HIPCUB_304000_NS8EqualityEEEPlJS8_EEE10hipError_tPvRmT3_T4_T5_T6_T7_T9_mT8_P12ihipStream_tbDpT10_ENKUlT_T0_E_clISt17integral_constantIbLb0EES18_IbLb1EEEEDaS14_S15_EUlS14_E_NS1_11comp_targetILNS1_3genE8ELNS1_11target_archE1030ELNS1_3gpuE2ELNS1_3repE0EEENS1_30default_config_static_selectorELNS0_4arch9wavefront6targetE1EEEvT1_
	.globl	_ZN7rocprim17ROCPRIM_400000_NS6detail17trampoline_kernelINS0_14default_configENS1_25partition_config_selectorILNS1_17partition_subalgoE8EN3c104HalfENS0_10empty_typeEbEEZZNS1_14partition_implILS5_8ELb0ES3_jPKS7_PS8_PKS8_NS0_5tupleIJPS7_S8_EEENSG_IJSD_SD_EEENS0_18inequality_wrapperIN6hipcub16HIPCUB_304000_NS8EqualityEEEPlJS8_EEE10hipError_tPvRmT3_T4_T5_T6_T7_T9_mT8_P12ihipStream_tbDpT10_ENKUlT_T0_E_clISt17integral_constantIbLb0EES18_IbLb1EEEEDaS14_S15_EUlS14_E_NS1_11comp_targetILNS1_3genE8ELNS1_11target_archE1030ELNS1_3gpuE2ELNS1_3repE0EEENS1_30default_config_static_selectorELNS0_4arch9wavefront6targetE1EEEvT1_
	.p2align	8
	.type	_ZN7rocprim17ROCPRIM_400000_NS6detail17trampoline_kernelINS0_14default_configENS1_25partition_config_selectorILNS1_17partition_subalgoE8EN3c104HalfENS0_10empty_typeEbEEZZNS1_14partition_implILS5_8ELb0ES3_jPKS7_PS8_PKS8_NS0_5tupleIJPS7_S8_EEENSG_IJSD_SD_EEENS0_18inequality_wrapperIN6hipcub16HIPCUB_304000_NS8EqualityEEEPlJS8_EEE10hipError_tPvRmT3_T4_T5_T6_T7_T9_mT8_P12ihipStream_tbDpT10_ENKUlT_T0_E_clISt17integral_constantIbLb0EES18_IbLb1EEEEDaS14_S15_EUlS14_E_NS1_11comp_targetILNS1_3genE8ELNS1_11target_archE1030ELNS1_3gpuE2ELNS1_3repE0EEENS1_30default_config_static_selectorELNS0_4arch9wavefront6targetE1EEEvT1_,@function
_ZN7rocprim17ROCPRIM_400000_NS6detail17trampoline_kernelINS0_14default_configENS1_25partition_config_selectorILNS1_17partition_subalgoE8EN3c104HalfENS0_10empty_typeEbEEZZNS1_14partition_implILS5_8ELb0ES3_jPKS7_PS8_PKS8_NS0_5tupleIJPS7_S8_EEENSG_IJSD_SD_EEENS0_18inequality_wrapperIN6hipcub16HIPCUB_304000_NS8EqualityEEEPlJS8_EEE10hipError_tPvRmT3_T4_T5_T6_T7_T9_mT8_P12ihipStream_tbDpT10_ENKUlT_T0_E_clISt17integral_constantIbLb0EES18_IbLb1EEEEDaS14_S15_EUlS14_E_NS1_11comp_targetILNS1_3genE8ELNS1_11target_archE1030ELNS1_3gpuE2ELNS1_3repE0EEENS1_30default_config_static_selectorELNS0_4arch9wavefront6targetE1EEEvT1_: ; @_ZN7rocprim17ROCPRIM_400000_NS6detail17trampoline_kernelINS0_14default_configENS1_25partition_config_selectorILNS1_17partition_subalgoE8EN3c104HalfENS0_10empty_typeEbEEZZNS1_14partition_implILS5_8ELb0ES3_jPKS7_PS8_PKS8_NS0_5tupleIJPS7_S8_EEENSG_IJSD_SD_EEENS0_18inequality_wrapperIN6hipcub16HIPCUB_304000_NS8EqualityEEEPlJS8_EEE10hipError_tPvRmT3_T4_T5_T6_T7_T9_mT8_P12ihipStream_tbDpT10_ENKUlT_T0_E_clISt17integral_constantIbLb0EES18_IbLb1EEEEDaS14_S15_EUlS14_E_NS1_11comp_targetILNS1_3genE8ELNS1_11target_archE1030ELNS1_3gpuE2ELNS1_3repE0EEENS1_30default_config_static_selectorELNS0_4arch9wavefront6targetE1EEEvT1_
; %bb.0:
	.section	.rodata,"a",@progbits
	.p2align	6, 0x0
	.amdhsa_kernel _ZN7rocprim17ROCPRIM_400000_NS6detail17trampoline_kernelINS0_14default_configENS1_25partition_config_selectorILNS1_17partition_subalgoE8EN3c104HalfENS0_10empty_typeEbEEZZNS1_14partition_implILS5_8ELb0ES3_jPKS7_PS8_PKS8_NS0_5tupleIJPS7_S8_EEENSG_IJSD_SD_EEENS0_18inequality_wrapperIN6hipcub16HIPCUB_304000_NS8EqualityEEEPlJS8_EEE10hipError_tPvRmT3_T4_T5_T6_T7_T9_mT8_P12ihipStream_tbDpT10_ENKUlT_T0_E_clISt17integral_constantIbLb0EES18_IbLb1EEEEDaS14_S15_EUlS14_E_NS1_11comp_targetILNS1_3genE8ELNS1_11target_archE1030ELNS1_3gpuE2ELNS1_3repE0EEENS1_30default_config_static_selectorELNS0_4arch9wavefront6targetE1EEEvT1_
		.amdhsa_group_segment_fixed_size 0
		.amdhsa_private_segment_fixed_size 0
		.amdhsa_kernarg_size 128
		.amdhsa_user_sgpr_count 2
		.amdhsa_user_sgpr_dispatch_ptr 0
		.amdhsa_user_sgpr_queue_ptr 0
		.amdhsa_user_sgpr_kernarg_segment_ptr 1
		.amdhsa_user_sgpr_dispatch_id 0
		.amdhsa_user_sgpr_kernarg_preload_length 0
		.amdhsa_user_sgpr_kernarg_preload_offset 0
		.amdhsa_user_sgpr_private_segment_size 0
		.amdhsa_uses_dynamic_stack 0
		.amdhsa_enable_private_segment 0
		.amdhsa_system_sgpr_workgroup_id_x 1
		.amdhsa_system_sgpr_workgroup_id_y 0
		.amdhsa_system_sgpr_workgroup_id_z 0
		.amdhsa_system_sgpr_workgroup_info 0
		.amdhsa_system_vgpr_workitem_id 0
		.amdhsa_next_free_vgpr 1
		.amdhsa_next_free_sgpr 0
		.amdhsa_accum_offset 4
		.amdhsa_reserve_vcc 0
		.amdhsa_float_round_mode_32 0
		.amdhsa_float_round_mode_16_64 0
		.amdhsa_float_denorm_mode_32 3
		.amdhsa_float_denorm_mode_16_64 3
		.amdhsa_dx10_clamp 1
		.amdhsa_ieee_mode 1
		.amdhsa_fp16_overflow 0
		.amdhsa_tg_split 0
		.amdhsa_exception_fp_ieee_invalid_op 0
		.amdhsa_exception_fp_denorm_src 0
		.amdhsa_exception_fp_ieee_div_zero 0
		.amdhsa_exception_fp_ieee_overflow 0
		.amdhsa_exception_fp_ieee_underflow 0
		.amdhsa_exception_fp_ieee_inexact 0
		.amdhsa_exception_int_div_zero 0
	.end_amdhsa_kernel
	.section	.text._ZN7rocprim17ROCPRIM_400000_NS6detail17trampoline_kernelINS0_14default_configENS1_25partition_config_selectorILNS1_17partition_subalgoE8EN3c104HalfENS0_10empty_typeEbEEZZNS1_14partition_implILS5_8ELb0ES3_jPKS7_PS8_PKS8_NS0_5tupleIJPS7_S8_EEENSG_IJSD_SD_EEENS0_18inequality_wrapperIN6hipcub16HIPCUB_304000_NS8EqualityEEEPlJS8_EEE10hipError_tPvRmT3_T4_T5_T6_T7_T9_mT8_P12ihipStream_tbDpT10_ENKUlT_T0_E_clISt17integral_constantIbLb0EES18_IbLb1EEEEDaS14_S15_EUlS14_E_NS1_11comp_targetILNS1_3genE8ELNS1_11target_archE1030ELNS1_3gpuE2ELNS1_3repE0EEENS1_30default_config_static_selectorELNS0_4arch9wavefront6targetE1EEEvT1_,"axG",@progbits,_ZN7rocprim17ROCPRIM_400000_NS6detail17trampoline_kernelINS0_14default_configENS1_25partition_config_selectorILNS1_17partition_subalgoE8EN3c104HalfENS0_10empty_typeEbEEZZNS1_14partition_implILS5_8ELb0ES3_jPKS7_PS8_PKS8_NS0_5tupleIJPS7_S8_EEENSG_IJSD_SD_EEENS0_18inequality_wrapperIN6hipcub16HIPCUB_304000_NS8EqualityEEEPlJS8_EEE10hipError_tPvRmT3_T4_T5_T6_T7_T9_mT8_P12ihipStream_tbDpT10_ENKUlT_T0_E_clISt17integral_constantIbLb0EES18_IbLb1EEEEDaS14_S15_EUlS14_E_NS1_11comp_targetILNS1_3genE8ELNS1_11target_archE1030ELNS1_3gpuE2ELNS1_3repE0EEENS1_30default_config_static_selectorELNS0_4arch9wavefront6targetE1EEEvT1_,comdat
.Lfunc_end924:
	.size	_ZN7rocprim17ROCPRIM_400000_NS6detail17trampoline_kernelINS0_14default_configENS1_25partition_config_selectorILNS1_17partition_subalgoE8EN3c104HalfENS0_10empty_typeEbEEZZNS1_14partition_implILS5_8ELb0ES3_jPKS7_PS8_PKS8_NS0_5tupleIJPS7_S8_EEENSG_IJSD_SD_EEENS0_18inequality_wrapperIN6hipcub16HIPCUB_304000_NS8EqualityEEEPlJS8_EEE10hipError_tPvRmT3_T4_T5_T6_T7_T9_mT8_P12ihipStream_tbDpT10_ENKUlT_T0_E_clISt17integral_constantIbLb0EES18_IbLb1EEEEDaS14_S15_EUlS14_E_NS1_11comp_targetILNS1_3genE8ELNS1_11target_archE1030ELNS1_3gpuE2ELNS1_3repE0EEENS1_30default_config_static_selectorELNS0_4arch9wavefront6targetE1EEEvT1_, .Lfunc_end924-_ZN7rocprim17ROCPRIM_400000_NS6detail17trampoline_kernelINS0_14default_configENS1_25partition_config_selectorILNS1_17partition_subalgoE8EN3c104HalfENS0_10empty_typeEbEEZZNS1_14partition_implILS5_8ELb0ES3_jPKS7_PS8_PKS8_NS0_5tupleIJPS7_S8_EEENSG_IJSD_SD_EEENS0_18inequality_wrapperIN6hipcub16HIPCUB_304000_NS8EqualityEEEPlJS8_EEE10hipError_tPvRmT3_T4_T5_T6_T7_T9_mT8_P12ihipStream_tbDpT10_ENKUlT_T0_E_clISt17integral_constantIbLb0EES18_IbLb1EEEEDaS14_S15_EUlS14_E_NS1_11comp_targetILNS1_3genE8ELNS1_11target_archE1030ELNS1_3gpuE2ELNS1_3repE0EEENS1_30default_config_static_selectorELNS0_4arch9wavefront6targetE1EEEvT1_
                                        ; -- End function
	.section	.AMDGPU.csdata,"",@progbits
; Kernel info:
; codeLenInByte = 0
; NumSgprs: 6
; NumVgprs: 0
; NumAgprs: 0
; TotalNumVgprs: 0
; ScratchSize: 0
; MemoryBound: 0
; FloatMode: 240
; IeeeMode: 1
; LDSByteSize: 0 bytes/workgroup (compile time only)
; SGPRBlocks: 0
; VGPRBlocks: 0
; NumSGPRsForWavesPerEU: 6
; NumVGPRsForWavesPerEU: 1
; AccumOffset: 4
; Occupancy: 8
; WaveLimiterHint : 0
; COMPUTE_PGM_RSRC2:SCRATCH_EN: 0
; COMPUTE_PGM_RSRC2:USER_SGPR: 2
; COMPUTE_PGM_RSRC2:TRAP_HANDLER: 0
; COMPUTE_PGM_RSRC2:TGID_X_EN: 1
; COMPUTE_PGM_RSRC2:TGID_Y_EN: 0
; COMPUTE_PGM_RSRC2:TGID_Z_EN: 0
; COMPUTE_PGM_RSRC2:TIDIG_COMP_CNT: 0
; COMPUTE_PGM_RSRC3_GFX90A:ACCUM_OFFSET: 0
; COMPUTE_PGM_RSRC3_GFX90A:TG_SPLIT: 0
	.section	.text._ZN7rocprim17ROCPRIM_400000_NS6detail17trampoline_kernelINS0_14default_configENS1_33run_length_encode_config_selectorIN3c104HalfEjNS0_4plusIjEEEEZZNS1_33reduce_by_key_impl_wrapped_configILNS1_25lookback_scan_determinismE0ES3_S9_PKS6_NS0_17constant_iteratorIjlEEPS6_PlSH_S8_NS0_8equal_toIS6_EEEE10hipError_tPvRmT2_T3_mT4_T5_T6_T7_T8_P12ihipStream_tbENKUlT_T0_E_clISt17integral_constantIbLb0EES11_EEDaSW_SX_EUlSW_E_NS1_11comp_targetILNS1_3genE0ELNS1_11target_archE4294967295ELNS1_3gpuE0ELNS1_3repE0EEENS1_30default_config_static_selectorELNS0_4arch9wavefront6targetE1EEEvT1_,"axG",@progbits,_ZN7rocprim17ROCPRIM_400000_NS6detail17trampoline_kernelINS0_14default_configENS1_33run_length_encode_config_selectorIN3c104HalfEjNS0_4plusIjEEEEZZNS1_33reduce_by_key_impl_wrapped_configILNS1_25lookback_scan_determinismE0ES3_S9_PKS6_NS0_17constant_iteratorIjlEEPS6_PlSH_S8_NS0_8equal_toIS6_EEEE10hipError_tPvRmT2_T3_mT4_T5_T6_T7_T8_P12ihipStream_tbENKUlT_T0_E_clISt17integral_constantIbLb0EES11_EEDaSW_SX_EUlSW_E_NS1_11comp_targetILNS1_3genE0ELNS1_11target_archE4294967295ELNS1_3gpuE0ELNS1_3repE0EEENS1_30default_config_static_selectorELNS0_4arch9wavefront6targetE1EEEvT1_,comdat
	.protected	_ZN7rocprim17ROCPRIM_400000_NS6detail17trampoline_kernelINS0_14default_configENS1_33run_length_encode_config_selectorIN3c104HalfEjNS0_4plusIjEEEEZZNS1_33reduce_by_key_impl_wrapped_configILNS1_25lookback_scan_determinismE0ES3_S9_PKS6_NS0_17constant_iteratorIjlEEPS6_PlSH_S8_NS0_8equal_toIS6_EEEE10hipError_tPvRmT2_T3_mT4_T5_T6_T7_T8_P12ihipStream_tbENKUlT_T0_E_clISt17integral_constantIbLb0EES11_EEDaSW_SX_EUlSW_E_NS1_11comp_targetILNS1_3genE0ELNS1_11target_archE4294967295ELNS1_3gpuE0ELNS1_3repE0EEENS1_30default_config_static_selectorELNS0_4arch9wavefront6targetE1EEEvT1_ ; -- Begin function _ZN7rocprim17ROCPRIM_400000_NS6detail17trampoline_kernelINS0_14default_configENS1_33run_length_encode_config_selectorIN3c104HalfEjNS0_4plusIjEEEEZZNS1_33reduce_by_key_impl_wrapped_configILNS1_25lookback_scan_determinismE0ES3_S9_PKS6_NS0_17constant_iteratorIjlEEPS6_PlSH_S8_NS0_8equal_toIS6_EEEE10hipError_tPvRmT2_T3_mT4_T5_T6_T7_T8_P12ihipStream_tbENKUlT_T0_E_clISt17integral_constantIbLb0EES11_EEDaSW_SX_EUlSW_E_NS1_11comp_targetILNS1_3genE0ELNS1_11target_archE4294967295ELNS1_3gpuE0ELNS1_3repE0EEENS1_30default_config_static_selectorELNS0_4arch9wavefront6targetE1EEEvT1_
	.globl	_ZN7rocprim17ROCPRIM_400000_NS6detail17trampoline_kernelINS0_14default_configENS1_33run_length_encode_config_selectorIN3c104HalfEjNS0_4plusIjEEEEZZNS1_33reduce_by_key_impl_wrapped_configILNS1_25lookback_scan_determinismE0ES3_S9_PKS6_NS0_17constant_iteratorIjlEEPS6_PlSH_S8_NS0_8equal_toIS6_EEEE10hipError_tPvRmT2_T3_mT4_T5_T6_T7_T8_P12ihipStream_tbENKUlT_T0_E_clISt17integral_constantIbLb0EES11_EEDaSW_SX_EUlSW_E_NS1_11comp_targetILNS1_3genE0ELNS1_11target_archE4294967295ELNS1_3gpuE0ELNS1_3repE0EEENS1_30default_config_static_selectorELNS0_4arch9wavefront6targetE1EEEvT1_
	.p2align	8
	.type	_ZN7rocprim17ROCPRIM_400000_NS6detail17trampoline_kernelINS0_14default_configENS1_33run_length_encode_config_selectorIN3c104HalfEjNS0_4plusIjEEEEZZNS1_33reduce_by_key_impl_wrapped_configILNS1_25lookback_scan_determinismE0ES3_S9_PKS6_NS0_17constant_iteratorIjlEEPS6_PlSH_S8_NS0_8equal_toIS6_EEEE10hipError_tPvRmT2_T3_mT4_T5_T6_T7_T8_P12ihipStream_tbENKUlT_T0_E_clISt17integral_constantIbLb0EES11_EEDaSW_SX_EUlSW_E_NS1_11comp_targetILNS1_3genE0ELNS1_11target_archE4294967295ELNS1_3gpuE0ELNS1_3repE0EEENS1_30default_config_static_selectorELNS0_4arch9wavefront6targetE1EEEvT1_,@function
_ZN7rocprim17ROCPRIM_400000_NS6detail17trampoline_kernelINS0_14default_configENS1_33run_length_encode_config_selectorIN3c104HalfEjNS0_4plusIjEEEEZZNS1_33reduce_by_key_impl_wrapped_configILNS1_25lookback_scan_determinismE0ES3_S9_PKS6_NS0_17constant_iteratorIjlEEPS6_PlSH_S8_NS0_8equal_toIS6_EEEE10hipError_tPvRmT2_T3_mT4_T5_T6_T7_T8_P12ihipStream_tbENKUlT_T0_E_clISt17integral_constantIbLb0EES11_EEDaSW_SX_EUlSW_E_NS1_11comp_targetILNS1_3genE0ELNS1_11target_archE4294967295ELNS1_3gpuE0ELNS1_3repE0EEENS1_30default_config_static_selectorELNS0_4arch9wavefront6targetE1EEEvT1_: ; @_ZN7rocprim17ROCPRIM_400000_NS6detail17trampoline_kernelINS0_14default_configENS1_33run_length_encode_config_selectorIN3c104HalfEjNS0_4plusIjEEEEZZNS1_33reduce_by_key_impl_wrapped_configILNS1_25lookback_scan_determinismE0ES3_S9_PKS6_NS0_17constant_iteratorIjlEEPS6_PlSH_S8_NS0_8equal_toIS6_EEEE10hipError_tPvRmT2_T3_mT4_T5_T6_T7_T8_P12ihipStream_tbENKUlT_T0_E_clISt17integral_constantIbLb0EES11_EEDaSW_SX_EUlSW_E_NS1_11comp_targetILNS1_3genE0ELNS1_11target_archE4294967295ELNS1_3gpuE0ELNS1_3repE0EEENS1_30default_config_static_selectorELNS0_4arch9wavefront6targetE1EEEvT1_
; %bb.0:
	.section	.rodata,"a",@progbits
	.p2align	6, 0x0
	.amdhsa_kernel _ZN7rocprim17ROCPRIM_400000_NS6detail17trampoline_kernelINS0_14default_configENS1_33run_length_encode_config_selectorIN3c104HalfEjNS0_4plusIjEEEEZZNS1_33reduce_by_key_impl_wrapped_configILNS1_25lookback_scan_determinismE0ES3_S9_PKS6_NS0_17constant_iteratorIjlEEPS6_PlSH_S8_NS0_8equal_toIS6_EEEE10hipError_tPvRmT2_T3_mT4_T5_T6_T7_T8_P12ihipStream_tbENKUlT_T0_E_clISt17integral_constantIbLb0EES11_EEDaSW_SX_EUlSW_E_NS1_11comp_targetILNS1_3genE0ELNS1_11target_archE4294967295ELNS1_3gpuE0ELNS1_3repE0EEENS1_30default_config_static_selectorELNS0_4arch9wavefront6targetE1EEEvT1_
		.amdhsa_group_segment_fixed_size 0
		.amdhsa_private_segment_fixed_size 0
		.amdhsa_kernarg_size 128
		.amdhsa_user_sgpr_count 2
		.amdhsa_user_sgpr_dispatch_ptr 0
		.amdhsa_user_sgpr_queue_ptr 0
		.amdhsa_user_sgpr_kernarg_segment_ptr 1
		.amdhsa_user_sgpr_dispatch_id 0
		.amdhsa_user_sgpr_kernarg_preload_length 0
		.amdhsa_user_sgpr_kernarg_preload_offset 0
		.amdhsa_user_sgpr_private_segment_size 0
		.amdhsa_uses_dynamic_stack 0
		.amdhsa_enable_private_segment 0
		.amdhsa_system_sgpr_workgroup_id_x 1
		.amdhsa_system_sgpr_workgroup_id_y 0
		.amdhsa_system_sgpr_workgroup_id_z 0
		.amdhsa_system_sgpr_workgroup_info 0
		.amdhsa_system_vgpr_workitem_id 0
		.amdhsa_next_free_vgpr 1
		.amdhsa_next_free_sgpr 0
		.amdhsa_accum_offset 4
		.amdhsa_reserve_vcc 0
		.amdhsa_float_round_mode_32 0
		.amdhsa_float_round_mode_16_64 0
		.amdhsa_float_denorm_mode_32 3
		.amdhsa_float_denorm_mode_16_64 3
		.amdhsa_dx10_clamp 1
		.amdhsa_ieee_mode 1
		.amdhsa_fp16_overflow 0
		.amdhsa_tg_split 0
		.amdhsa_exception_fp_ieee_invalid_op 0
		.amdhsa_exception_fp_denorm_src 0
		.amdhsa_exception_fp_ieee_div_zero 0
		.amdhsa_exception_fp_ieee_overflow 0
		.amdhsa_exception_fp_ieee_underflow 0
		.amdhsa_exception_fp_ieee_inexact 0
		.amdhsa_exception_int_div_zero 0
	.end_amdhsa_kernel
	.section	.text._ZN7rocprim17ROCPRIM_400000_NS6detail17trampoline_kernelINS0_14default_configENS1_33run_length_encode_config_selectorIN3c104HalfEjNS0_4plusIjEEEEZZNS1_33reduce_by_key_impl_wrapped_configILNS1_25lookback_scan_determinismE0ES3_S9_PKS6_NS0_17constant_iteratorIjlEEPS6_PlSH_S8_NS0_8equal_toIS6_EEEE10hipError_tPvRmT2_T3_mT4_T5_T6_T7_T8_P12ihipStream_tbENKUlT_T0_E_clISt17integral_constantIbLb0EES11_EEDaSW_SX_EUlSW_E_NS1_11comp_targetILNS1_3genE0ELNS1_11target_archE4294967295ELNS1_3gpuE0ELNS1_3repE0EEENS1_30default_config_static_selectorELNS0_4arch9wavefront6targetE1EEEvT1_,"axG",@progbits,_ZN7rocprim17ROCPRIM_400000_NS6detail17trampoline_kernelINS0_14default_configENS1_33run_length_encode_config_selectorIN3c104HalfEjNS0_4plusIjEEEEZZNS1_33reduce_by_key_impl_wrapped_configILNS1_25lookback_scan_determinismE0ES3_S9_PKS6_NS0_17constant_iteratorIjlEEPS6_PlSH_S8_NS0_8equal_toIS6_EEEE10hipError_tPvRmT2_T3_mT4_T5_T6_T7_T8_P12ihipStream_tbENKUlT_T0_E_clISt17integral_constantIbLb0EES11_EEDaSW_SX_EUlSW_E_NS1_11comp_targetILNS1_3genE0ELNS1_11target_archE4294967295ELNS1_3gpuE0ELNS1_3repE0EEENS1_30default_config_static_selectorELNS0_4arch9wavefront6targetE1EEEvT1_,comdat
.Lfunc_end925:
	.size	_ZN7rocprim17ROCPRIM_400000_NS6detail17trampoline_kernelINS0_14default_configENS1_33run_length_encode_config_selectorIN3c104HalfEjNS0_4plusIjEEEEZZNS1_33reduce_by_key_impl_wrapped_configILNS1_25lookback_scan_determinismE0ES3_S9_PKS6_NS0_17constant_iteratorIjlEEPS6_PlSH_S8_NS0_8equal_toIS6_EEEE10hipError_tPvRmT2_T3_mT4_T5_T6_T7_T8_P12ihipStream_tbENKUlT_T0_E_clISt17integral_constantIbLb0EES11_EEDaSW_SX_EUlSW_E_NS1_11comp_targetILNS1_3genE0ELNS1_11target_archE4294967295ELNS1_3gpuE0ELNS1_3repE0EEENS1_30default_config_static_selectorELNS0_4arch9wavefront6targetE1EEEvT1_, .Lfunc_end925-_ZN7rocprim17ROCPRIM_400000_NS6detail17trampoline_kernelINS0_14default_configENS1_33run_length_encode_config_selectorIN3c104HalfEjNS0_4plusIjEEEEZZNS1_33reduce_by_key_impl_wrapped_configILNS1_25lookback_scan_determinismE0ES3_S9_PKS6_NS0_17constant_iteratorIjlEEPS6_PlSH_S8_NS0_8equal_toIS6_EEEE10hipError_tPvRmT2_T3_mT4_T5_T6_T7_T8_P12ihipStream_tbENKUlT_T0_E_clISt17integral_constantIbLb0EES11_EEDaSW_SX_EUlSW_E_NS1_11comp_targetILNS1_3genE0ELNS1_11target_archE4294967295ELNS1_3gpuE0ELNS1_3repE0EEENS1_30default_config_static_selectorELNS0_4arch9wavefront6targetE1EEEvT1_
                                        ; -- End function
	.section	.AMDGPU.csdata,"",@progbits
; Kernel info:
; codeLenInByte = 0
; NumSgprs: 6
; NumVgprs: 0
; NumAgprs: 0
; TotalNumVgprs: 0
; ScratchSize: 0
; MemoryBound: 0
; FloatMode: 240
; IeeeMode: 1
; LDSByteSize: 0 bytes/workgroup (compile time only)
; SGPRBlocks: 0
; VGPRBlocks: 0
; NumSGPRsForWavesPerEU: 6
; NumVGPRsForWavesPerEU: 1
; AccumOffset: 4
; Occupancy: 8
; WaveLimiterHint : 0
; COMPUTE_PGM_RSRC2:SCRATCH_EN: 0
; COMPUTE_PGM_RSRC2:USER_SGPR: 2
; COMPUTE_PGM_RSRC2:TRAP_HANDLER: 0
; COMPUTE_PGM_RSRC2:TGID_X_EN: 1
; COMPUTE_PGM_RSRC2:TGID_Y_EN: 0
; COMPUTE_PGM_RSRC2:TGID_Z_EN: 0
; COMPUTE_PGM_RSRC2:TIDIG_COMP_CNT: 0
; COMPUTE_PGM_RSRC3_GFX90A:ACCUM_OFFSET: 0
; COMPUTE_PGM_RSRC3_GFX90A:TG_SPLIT: 0
	.section	.text._ZN7rocprim17ROCPRIM_400000_NS6detail17trampoline_kernelINS0_14default_configENS1_33run_length_encode_config_selectorIN3c104HalfEjNS0_4plusIjEEEEZZNS1_33reduce_by_key_impl_wrapped_configILNS1_25lookback_scan_determinismE0ES3_S9_PKS6_NS0_17constant_iteratorIjlEEPS6_PlSH_S8_NS0_8equal_toIS6_EEEE10hipError_tPvRmT2_T3_mT4_T5_T6_T7_T8_P12ihipStream_tbENKUlT_T0_E_clISt17integral_constantIbLb0EES11_EEDaSW_SX_EUlSW_E_NS1_11comp_targetILNS1_3genE5ELNS1_11target_archE942ELNS1_3gpuE9ELNS1_3repE0EEENS1_30default_config_static_selectorELNS0_4arch9wavefront6targetE1EEEvT1_,"axG",@progbits,_ZN7rocprim17ROCPRIM_400000_NS6detail17trampoline_kernelINS0_14default_configENS1_33run_length_encode_config_selectorIN3c104HalfEjNS0_4plusIjEEEEZZNS1_33reduce_by_key_impl_wrapped_configILNS1_25lookback_scan_determinismE0ES3_S9_PKS6_NS0_17constant_iteratorIjlEEPS6_PlSH_S8_NS0_8equal_toIS6_EEEE10hipError_tPvRmT2_T3_mT4_T5_T6_T7_T8_P12ihipStream_tbENKUlT_T0_E_clISt17integral_constantIbLb0EES11_EEDaSW_SX_EUlSW_E_NS1_11comp_targetILNS1_3genE5ELNS1_11target_archE942ELNS1_3gpuE9ELNS1_3repE0EEENS1_30default_config_static_selectorELNS0_4arch9wavefront6targetE1EEEvT1_,comdat
	.protected	_ZN7rocprim17ROCPRIM_400000_NS6detail17trampoline_kernelINS0_14default_configENS1_33run_length_encode_config_selectorIN3c104HalfEjNS0_4plusIjEEEEZZNS1_33reduce_by_key_impl_wrapped_configILNS1_25lookback_scan_determinismE0ES3_S9_PKS6_NS0_17constant_iteratorIjlEEPS6_PlSH_S8_NS0_8equal_toIS6_EEEE10hipError_tPvRmT2_T3_mT4_T5_T6_T7_T8_P12ihipStream_tbENKUlT_T0_E_clISt17integral_constantIbLb0EES11_EEDaSW_SX_EUlSW_E_NS1_11comp_targetILNS1_3genE5ELNS1_11target_archE942ELNS1_3gpuE9ELNS1_3repE0EEENS1_30default_config_static_selectorELNS0_4arch9wavefront6targetE1EEEvT1_ ; -- Begin function _ZN7rocprim17ROCPRIM_400000_NS6detail17trampoline_kernelINS0_14default_configENS1_33run_length_encode_config_selectorIN3c104HalfEjNS0_4plusIjEEEEZZNS1_33reduce_by_key_impl_wrapped_configILNS1_25lookback_scan_determinismE0ES3_S9_PKS6_NS0_17constant_iteratorIjlEEPS6_PlSH_S8_NS0_8equal_toIS6_EEEE10hipError_tPvRmT2_T3_mT4_T5_T6_T7_T8_P12ihipStream_tbENKUlT_T0_E_clISt17integral_constantIbLb0EES11_EEDaSW_SX_EUlSW_E_NS1_11comp_targetILNS1_3genE5ELNS1_11target_archE942ELNS1_3gpuE9ELNS1_3repE0EEENS1_30default_config_static_selectorELNS0_4arch9wavefront6targetE1EEEvT1_
	.globl	_ZN7rocprim17ROCPRIM_400000_NS6detail17trampoline_kernelINS0_14default_configENS1_33run_length_encode_config_selectorIN3c104HalfEjNS0_4plusIjEEEEZZNS1_33reduce_by_key_impl_wrapped_configILNS1_25lookback_scan_determinismE0ES3_S9_PKS6_NS0_17constant_iteratorIjlEEPS6_PlSH_S8_NS0_8equal_toIS6_EEEE10hipError_tPvRmT2_T3_mT4_T5_T6_T7_T8_P12ihipStream_tbENKUlT_T0_E_clISt17integral_constantIbLb0EES11_EEDaSW_SX_EUlSW_E_NS1_11comp_targetILNS1_3genE5ELNS1_11target_archE942ELNS1_3gpuE9ELNS1_3repE0EEENS1_30default_config_static_selectorELNS0_4arch9wavefront6targetE1EEEvT1_
	.p2align	8
	.type	_ZN7rocprim17ROCPRIM_400000_NS6detail17trampoline_kernelINS0_14default_configENS1_33run_length_encode_config_selectorIN3c104HalfEjNS0_4plusIjEEEEZZNS1_33reduce_by_key_impl_wrapped_configILNS1_25lookback_scan_determinismE0ES3_S9_PKS6_NS0_17constant_iteratorIjlEEPS6_PlSH_S8_NS0_8equal_toIS6_EEEE10hipError_tPvRmT2_T3_mT4_T5_T6_T7_T8_P12ihipStream_tbENKUlT_T0_E_clISt17integral_constantIbLb0EES11_EEDaSW_SX_EUlSW_E_NS1_11comp_targetILNS1_3genE5ELNS1_11target_archE942ELNS1_3gpuE9ELNS1_3repE0EEENS1_30default_config_static_selectorELNS0_4arch9wavefront6targetE1EEEvT1_,@function
_ZN7rocprim17ROCPRIM_400000_NS6detail17trampoline_kernelINS0_14default_configENS1_33run_length_encode_config_selectorIN3c104HalfEjNS0_4plusIjEEEEZZNS1_33reduce_by_key_impl_wrapped_configILNS1_25lookback_scan_determinismE0ES3_S9_PKS6_NS0_17constant_iteratorIjlEEPS6_PlSH_S8_NS0_8equal_toIS6_EEEE10hipError_tPvRmT2_T3_mT4_T5_T6_T7_T8_P12ihipStream_tbENKUlT_T0_E_clISt17integral_constantIbLb0EES11_EEDaSW_SX_EUlSW_E_NS1_11comp_targetILNS1_3genE5ELNS1_11target_archE942ELNS1_3gpuE9ELNS1_3repE0EEENS1_30default_config_static_selectorELNS0_4arch9wavefront6targetE1EEEvT1_: ; @_ZN7rocprim17ROCPRIM_400000_NS6detail17trampoline_kernelINS0_14default_configENS1_33run_length_encode_config_selectorIN3c104HalfEjNS0_4plusIjEEEEZZNS1_33reduce_by_key_impl_wrapped_configILNS1_25lookback_scan_determinismE0ES3_S9_PKS6_NS0_17constant_iteratorIjlEEPS6_PlSH_S8_NS0_8equal_toIS6_EEEE10hipError_tPvRmT2_T3_mT4_T5_T6_T7_T8_P12ihipStream_tbENKUlT_T0_E_clISt17integral_constantIbLb0EES11_EEDaSW_SX_EUlSW_E_NS1_11comp_targetILNS1_3genE5ELNS1_11target_archE942ELNS1_3gpuE9ELNS1_3repE0EEENS1_30default_config_static_selectorELNS0_4arch9wavefront6targetE1EEEvT1_
; %bb.0:
	s_load_dwordx4 s[4:7], s[0:1], 0x0
	s_load_dword s3, s[0:1], 0x10
	s_load_dwordx8 s[36:43], s[0:1], 0x40
	s_load_dwordx4 s[44:47], s[0:1], 0x20
	s_load_dwordx2 s[34:35], s[0:1], 0x30
	s_load_dwordx2 s[52:53], s[0:1], 0x70
	s_load_dwordx4 s[48:51], s[0:1], 0x60
	s_waitcnt lgkmcnt(0)
	s_mul_i32 s0, s40, s39
	s_mul_hi_u32 s1, s40, s38
	s_add_i32 s0, s1, s0
	s_mul_i32 s1, s41, s38
	s_add_i32 s9, s0, s1
	s_lshl_b64 s[0:1], s[6:7], 1
	s_add_u32 s4, s4, s0
	s_addc_u32 s5, s5, s1
	s_mul_i32 s0, s2, 0xf00
	s_mov_b32 s1, 0
	s_lshl_b64 s[0:1], s[0:1], 1
	s_add_u32 s6, s4, s0
	s_mul_i32 s8, s40, s38
	s_addc_u32 s7, s5, s1
	s_add_u32 s8, s8, s2
	s_addc_u32 s9, s9, 0
	s_add_u32 s10, s42, -1
	s_addc_u32 s11, s43, -1
	s_cmp_eq_u64 s[8:9], s[10:11]
	s_cselect_b64 s[40:41], -1, 0
	s_cmp_lg_u64 s[8:9], s[10:11]
	s_mov_b64 s[4:5], -1
	s_cselect_b64 s[0:1], -1, 0
	s_mul_i32 s33, s10, 0xfffff100
	s_and_b64 vcc, exec, s[40:41]
	v_mad_u32_u24 v6, v0, 15, 1
	v_mad_u32_u24 v8, v0, 15, 3
	;; [unrolled: 1-line block ×7, first 2 shown]
	s_cbranch_vccnz .LBB926_2
; %bb.1:
	v_lshlrev_b32_e32 v2, 1, v0
	v_mov_b32_e32 v3, 0
	v_lshl_add_u64 v[4:5], s[6:7], 0, v[2:3]
	v_add_co_u32_e32 v4, vcc, 0x1000, v4
	global_load_ushort v1, v2, s[6:7]
	global_load_ushort v3, v2, s[6:7] offset:512
	global_load_ushort v12, v2, s[6:7] offset:1024
	;; [unrolled: 1-line block ×7, first 2 shown]
	v_addc_co_u32_e32 v5, vcc, 0, v5, vcc
	global_load_ushort v19, v[4:5], off
	global_load_ushort v20, v[4:5], off offset:512
	global_load_ushort v21, v[4:5], off offset:1024
	;; [unrolled: 1-line block ×6, first 2 shown]
	v_mad_u32_u24 v35, v0, 28, v2
	s_movk_i32 s4, 0xffe6
	v_mul_u32_u24_e32 v7, 15, v0
	v_mad_u32_u24 v29, v0, 15, 1
	v_mad_u32_u24 v31, v0, 15, 3
	;; [unrolled: 1-line block ×7, first 2 shown]
	v_mov_b32_e32 v34, s3
	v_mad_i32_i24 v36, v0, s4, v35
	s_waitcnt vmcnt(14)
	ds_write_b16 v2, v1
	s_waitcnt vmcnt(13)
	ds_write_b16 v2, v3 offset:512
	s_waitcnt vmcnt(12)
	ds_write_b16 v2, v12 offset:1024
	;; [unrolled: 2-line block ×14, first 2 shown]
	s_waitcnt lgkmcnt(0)
	s_barrier
	ds_read_u16 v1, v35
	ds_read_b128 v[2:5], v35 offset:2
	ds_read_b96 v[12:14], v35 offset:18
	s_waitcnt lgkmcnt(0)
	s_barrier
	ds_write2st64_b32 v36, v34, v34 offset1:4
	ds_write2st64_b32 v36, v34, v34 offset0:8 offset1:12
	ds_write2st64_b32 v36, v34, v34 offset0:16 offset1:20
	;; [unrolled: 1-line block ×6, first 2 shown]
	ds_write_b32 v36, v34 offset:14336
	s_waitcnt lgkmcnt(0)
	s_barrier
	s_add_i32 s33, s33, s48
	s_cbranch_execz .LBB926_3
	s_branch .LBB926_34
.LBB926_2:
                                        ; implicit-def: $vgpr2
                                        ; implicit-def: $vgpr12
                                        ; implicit-def: $vgpr9
                                        ; implicit-def: $vgpr11
                                        ; implicit-def: $vgpr15
                                        ; implicit-def: $vgpr25
                                        ; implicit-def: $vgpr27
                                        ; implicit-def: $vgpr31
                                        ; implicit-def: $vgpr29
                                        ; implicit-def: $vgpr7
                                        ; implicit-def: $vgpr1
	s_andn2_b64 vcc, exec, s[4:5]
	s_add_i32 s33, s33, s48
	s_cbranch_vccnz .LBB926_34
.LBB926_3:
	v_cmp_gt_u32_e32 vcc, s33, v0
                                        ; implicit-def: $vgpr1
	s_and_saveexec_b64 s[4:5], vcc
	s_cbranch_execz .LBB926_5
; %bb.4:
	v_lshlrev_b32_e32 v1, 1, v0
	global_load_ushort v1, v1, s[6:7]
.LBB926_5:
	s_or_b64 exec, exec, s[4:5]
	v_or_b32_e32 v2, 0x100, v0
	v_cmp_gt_u32_e32 vcc, s33, v2
                                        ; implicit-def: $vgpr2
	s_and_saveexec_b64 s[4:5], vcc
	s_cbranch_execz .LBB926_7
; %bb.6:
	v_lshlrev_b32_e32 v2, 1, v0
	global_load_ushort v2, v2, s[6:7] offset:512
.LBB926_7:
	s_or_b64 exec, exec, s[4:5]
	v_or_b32_e32 v3, 0x200, v0
	v_cmp_gt_u32_e32 vcc, s33, v3
                                        ; implicit-def: $vgpr3
	s_and_saveexec_b64 s[4:5], vcc
	s_cbranch_execz .LBB926_9
; %bb.8:
	v_lshlrev_b32_e32 v3, 1, v0
	global_load_ushort v3, v3, s[6:7] offset:1024
.LBB926_9:
	s_or_b64 exec, exec, s[4:5]
	v_or_b32_e32 v4, 0x300, v0
	v_cmp_gt_u32_e32 vcc, s33, v4
                                        ; implicit-def: $vgpr4
	s_and_saveexec_b64 s[4:5], vcc
	s_cbranch_execz .LBB926_11
; %bb.10:
	v_lshlrev_b32_e32 v4, 1, v0
	global_load_ushort v4, v4, s[6:7] offset:1536
.LBB926_11:
	s_or_b64 exec, exec, s[4:5]
	v_or_b32_e32 v5, 0x400, v0
	v_cmp_gt_u32_e32 vcc, s33, v5
                                        ; implicit-def: $vgpr5
	s_and_saveexec_b64 s[4:5], vcc
	s_cbranch_execz .LBB926_13
; %bb.12:
	v_lshlrev_b32_e32 v5, 1, v0
	global_load_ushort v5, v5, s[6:7] offset:2048
.LBB926_13:
	s_or_b64 exec, exec, s[4:5]
	v_or_b32_e32 v7, 0x500, v0
	v_cmp_gt_u32_e32 vcc, s33, v7
                                        ; implicit-def: $vgpr7
	s_and_saveexec_b64 s[4:5], vcc
	s_cbranch_execz .LBB926_15
; %bb.14:
	v_lshlrev_b32_e32 v7, 1, v0
	global_load_ushort v7, v7, s[6:7] offset:2560
.LBB926_15:
	s_or_b64 exec, exec, s[4:5]
	v_or_b32_e32 v9, 0x600, v0
	v_cmp_gt_u32_e32 vcc, s33, v9
                                        ; implicit-def: $vgpr9
	s_and_saveexec_b64 s[4:5], vcc
	s_cbranch_execz .LBB926_17
; %bb.16:
	v_lshlrev_b32_e32 v9, 1, v0
	global_load_ushort v9, v9, s[6:7] offset:3072
.LBB926_17:
	s_or_b64 exec, exec, s[4:5]
	v_or_b32_e32 v11, 0x700, v0
	v_cmp_gt_u32_e32 vcc, s33, v11
                                        ; implicit-def: $vgpr11
	s_and_saveexec_b64 s[4:5], vcc
	s_cbranch_execz .LBB926_19
; %bb.18:
	v_lshlrev_b32_e32 v11, 1, v0
	global_load_ushort v11, v11, s[6:7] offset:3584
.LBB926_19:
	s_or_b64 exec, exec, s[4:5]
	v_or_b32_e32 v13, 0x800, v0
	v_cmp_gt_u32_e32 vcc, s33, v13
                                        ; implicit-def: $vgpr12
	s_and_saveexec_b64 s[4:5], vcc
	s_cbranch_execz .LBB926_21
; %bb.20:
	v_lshlrev_b32_e32 v12, 1, v13
	global_load_ushort v12, v12, s[6:7]
.LBB926_21:
	s_or_b64 exec, exec, s[4:5]
	v_or_b32_e32 v14, 0x900, v0
	v_cmp_gt_u32_e32 vcc, s33, v14
                                        ; implicit-def: $vgpr13
	s_and_saveexec_b64 s[4:5], vcc
	s_cbranch_execz .LBB926_23
; %bb.22:
	v_lshlrev_b32_e32 v13, 1, v14
	global_load_ushort v13, v13, s[6:7]
.LBB926_23:
	s_or_b64 exec, exec, s[4:5]
	v_or_b32_e32 v15, 0xa00, v0
	v_cmp_gt_u32_e32 vcc, s33, v15
                                        ; implicit-def: $vgpr14
	s_and_saveexec_b64 s[4:5], vcc
	s_cbranch_execz .LBB926_25
; %bb.24:
	v_lshlrev_b32_e32 v14, 1, v15
	global_load_ushort v14, v14, s[6:7]
.LBB926_25:
	s_or_b64 exec, exec, s[4:5]
	v_or_b32_e32 v16, 0xb00, v0
	v_cmp_gt_u32_e32 vcc, s33, v16
                                        ; implicit-def: $vgpr15
	s_and_saveexec_b64 s[4:5], vcc
	s_cbranch_execz .LBB926_27
; %bb.26:
	v_lshlrev_b32_e32 v15, 1, v16
	global_load_ushort v15, v15, s[6:7]
.LBB926_27:
	s_or_b64 exec, exec, s[4:5]
	v_or_b32_e32 v17, 0xc00, v0
	v_cmp_gt_u32_e32 vcc, s33, v17
                                        ; implicit-def: $vgpr16
	s_and_saveexec_b64 s[4:5], vcc
	s_cbranch_execz .LBB926_29
; %bb.28:
	v_lshlrev_b32_e32 v16, 1, v17
	global_load_ushort v16, v16, s[6:7]
.LBB926_29:
	s_or_b64 exec, exec, s[4:5]
	v_or_b32_e32 v18, 0xd00, v0
	v_cmp_gt_u32_e32 vcc, s33, v18
                                        ; implicit-def: $vgpr17
	s_and_saveexec_b64 s[4:5], vcc
	s_cbranch_execz .LBB926_31
; %bb.30:
	v_lshlrev_b32_e32 v17, 1, v18
	global_load_ushort v17, v17, s[6:7]
.LBB926_31:
	s_or_b64 exec, exec, s[4:5]
	v_or_b32_e32 v19, 0xe00, v0
	v_cmp_gt_u32_e32 vcc, s33, v19
                                        ; implicit-def: $vgpr18
	s_and_saveexec_b64 s[4:5], vcc
	s_cbranch_execz .LBB926_33
; %bb.32:
	v_lshlrev_b32_e32 v18, 1, v19
	global_load_ushort v18, v18, s[6:7]
.LBB926_33:
	s_or_b64 exec, exec, s[4:5]
	v_lshlrev_b32_e32 v19, 1, v0
	s_waitcnt vmcnt(0)
	ds_write_b16 v19, v1
	ds_write_b16 v19, v2 offset:512
	ds_write_b16 v19, v3 offset:1024
	;; [unrolled: 1-line block ×14, first 2 shown]
	v_mad_u32_u24 v9, v0, 28, v19
	s_waitcnt lgkmcnt(0)
	s_barrier
	ds_read_u16 v1, v9
	ds_read_b128 v[2:5], v9 offset:2
	ds_read_b96 v[12:14], v9 offset:18
	s_movk_i32 s4, 0xffe6
	v_mad_i32_i24 v9, v0, s4, v9
	v_mov_b32_e32 v11, s3
	v_mul_u32_u24_e32 v7, 15, v0
	s_waitcnt lgkmcnt(0)
	s_barrier
	ds_write2st64_b32 v9, v11, v11 offset1:4
	ds_write2st64_b32 v9, v11, v11 offset0:8 offset1:12
	ds_write2st64_b32 v9, v11, v11 offset0:16 offset1:20
	;; [unrolled: 1-line block ×6, first 2 shown]
	ds_write_b32 v9, v11 offset:14336
	v_mov_b32_e32 v9, v30
	v_mov_b32_e32 v11, v28
	;; [unrolled: 1-line block ×7, first 2 shown]
	s_waitcnt lgkmcnt(0)
	s_barrier
.LBB926_34:
	v_lshlrev_b32_e32 v7, 2, v7
	ds_read2_b32 v[22:23], v7 offset1:2
	ds_read2_b32 v[20:21], v7 offset0:4 offset1:6
	ds_read2_b32 v[18:19], v7 offset0:8 offset1:10
	;; [unrolled: 1-line block ×3, first 2 shown]
	v_lshlrev_b32_e32 v7, 2, v29
	v_lshlrev_b32_e32 v29, 2, v31
	;; [unrolled: 1-line block ×7, first 2 shown]
	ds_read_b32 v76, v7
	ds_read_b32 v75, v29
	;; [unrolled: 1-line block ×7, first 2 shown]
	s_cmp_eq_u64 s[8:9], 0
	s_cselect_b64 s[42:43], -1, 0
	s_cmp_lg_u64 s[8:9], 0
	s_mov_b64 s[10:11], 0
	s_cselect_b64 s[12:13], -1, 0
	s_and_b64 vcc, exec, s[0:1]
	s_waitcnt lgkmcnt(0)
	s_barrier
	s_cbranch_vccz .LBB926_40
; %bb.35:
	s_and_b64 vcc, exec, s[12:13]
	s_cbranch_vccz .LBB926_41
; %bb.36:
	v_mov_b32_e32 v7, 0
	global_load_ushort v7, v7, s[6:7] offset:-2
	v_lshrrev_b32_e32 v11, 16, v14
	v_lshlrev_b32_e32 v9, 1, v0
	v_cmp_neq_f16_e32 vcc, v14, v11
	v_cmp_neq_f16_sdwa s[10:11], v13, v14 src0_sel:WORD_1 src1_sel:DWORD
	v_cmp_neq_f16_sdwa s[14:15], v13, v13 src0_sel:DWORD src1_sel:WORD_1
	v_cmp_neq_f16_sdwa s[16:17], v12, v13 src0_sel:WORD_1 src1_sel:DWORD
	v_cmp_neq_f16_sdwa s[18:19], v12, v12 src0_sel:DWORD src1_sel:WORD_1
	;; [unrolled: 2-line block ×6, first 2 shown]
	v_cmp_neq_f16_e64 s[0:1], v1, v2
	v_cmp_ne_u32_e64 s[4:5], 0, v0
	ds_write_b16 v9, v11
	s_waitcnt lgkmcnt(0)
	s_barrier
	s_and_saveexec_b64 s[58:59], s[4:5]
	s_cbranch_execz .LBB926_38
; %bb.37:
	s_waitcnt vmcnt(0)
	v_add_u32_e32 v7, -2, v9
	ds_read_u16 v7, v7
.LBB926_38:
	s_or_b64 exec, exec, s[58:59]
	v_cndmask_b32_e64 v15, 0, 1, vcc
	v_cndmask_b32_e64 v56, 0, 1, s[10:11]
	v_cndmask_b32_e64 v57, 0, 1, s[14:15]
	;; [unrolled: 1-line block ×13, first 2 shown]
	s_waitcnt vmcnt(0) lgkmcnt(0)
	v_cmp_neq_f16_e64 s[0:1], v1, v7
	s_mov_b64 s[10:11], -1
.LBB926_39:
                                        ; implicit-def: $sgpr3
	s_branch .LBB926_53
.LBB926_40:
                                        ; implicit-def: $sgpr0_sgpr1
                                        ; implicit-def: $vgpr15
                                        ; implicit-def: $vgpr56
                                        ; implicit-def: $vgpr57
                                        ; implicit-def: $vgpr58
                                        ; implicit-def: $vgpr59
                                        ; implicit-def: $vgpr60
                                        ; implicit-def: $vgpr61
                                        ; implicit-def: $vgpr62
                                        ; implicit-def: $vgpr63
                                        ; implicit-def: $vgpr64
                                        ; implicit-def: $vgpr65
                                        ; implicit-def: $vgpr66
                                        ; implicit-def: $vgpr67
                                        ; implicit-def: $vgpr68
                                        ; implicit-def: $sgpr3
	s_cbranch_execnz .LBB926_45
	s_branch .LBB926_53
.LBB926_41:
                                        ; implicit-def: $sgpr0_sgpr1
                                        ; implicit-def: $vgpr15
                                        ; implicit-def: $vgpr56
                                        ; implicit-def: $vgpr57
                                        ; implicit-def: $vgpr58
                                        ; implicit-def: $vgpr59
                                        ; implicit-def: $vgpr60
                                        ; implicit-def: $vgpr61
                                        ; implicit-def: $vgpr62
                                        ; implicit-def: $vgpr63
                                        ; implicit-def: $vgpr64
                                        ; implicit-def: $vgpr65
                                        ; implicit-def: $vgpr66
                                        ; implicit-def: $vgpr67
                                        ; implicit-def: $vgpr68
	s_cbranch_execz .LBB926_39
; %bb.42:
	v_cmp_neq_f16_sdwa s[0:1], v13, v14 src0_sel:WORD_1 src1_sel:DWORD
	v_lshrrev_b32_e32 v9, 16, v14
	v_cmp_neq_f16_e32 vcc, v14, v9
	v_cndmask_b32_e64 v56, 0, 1, s[0:1]
	v_cmp_neq_f16_sdwa s[0:1], v13, v13 src0_sel:DWORD src1_sel:WORD_1
	v_cndmask_b32_e64 v15, 0, 1, vcc
	v_cmp_neq_f16_e32 vcc, v1, v2
	v_cndmask_b32_e64 v57, 0, 1, s[0:1]
	v_cmp_neq_f16_sdwa s[0:1], v12, v13 src0_sel:WORD_1 src1_sel:DWORD
	s_mov_b32 s3, 1
	v_lshlrev_b32_e32 v7, 1, v0
	v_cndmask_b32_e64 v58, 0, 1, s[0:1]
	v_cmp_neq_f16_sdwa s[0:1], v12, v12 src0_sel:DWORD src1_sel:WORD_1
	v_cndmask_b32_e64 v68, 0, 1, vcc
	v_cmp_ne_u32_e32 vcc, 0, v0
	v_cndmask_b32_e64 v59, 0, 1, s[0:1]
	v_cmp_neq_f16_sdwa s[0:1], v5, v12 src0_sel:WORD_1 src1_sel:DWORD
	ds_write_b16 v7, v9
	s_waitcnt lgkmcnt(0)
	v_cndmask_b32_e64 v60, 0, 1, s[0:1]
	v_cmp_neq_f16_sdwa s[0:1], v5, v5 src0_sel:DWORD src1_sel:WORD_1
	s_barrier
	s_nop 0
	v_cndmask_b32_e64 v61, 0, 1, s[0:1]
	v_cmp_neq_f16_sdwa s[0:1], v4, v5 src0_sel:WORD_1 src1_sel:DWORD
	s_nop 1
	v_cndmask_b32_e64 v62, 0, 1, s[0:1]
	v_cmp_neq_f16_sdwa s[0:1], v4, v4 src0_sel:DWORD src1_sel:WORD_1
	s_nop 1
	v_cndmask_b32_e64 v63, 0, 1, s[0:1]
	v_cmp_neq_f16_sdwa s[0:1], v3, v4 src0_sel:WORD_1 src1_sel:DWORD
	s_nop 1
	v_cndmask_b32_e64 v64, 0, 1, s[0:1]
	v_cmp_neq_f16_sdwa s[0:1], v3, v3 src0_sel:DWORD src1_sel:WORD_1
	;; [unrolled: 6-line block ×3, first 2 shown]
	s_nop 1
	v_cndmask_b32_e64 v67, 0, 1, s[0:1]
                                        ; implicit-def: $sgpr0_sgpr1
	s_and_saveexec_b64 s[4:5], vcc
	s_xor_b64 s[4:5], exec, s[4:5]
	s_cbranch_execz .LBB926_44
; %bb.43:
	v_add_u32_e32 v7, -2, v7
	ds_read_u16 v7, v7
	s_or_b64 s[10:11], s[10:11], exec
	s_waitcnt lgkmcnt(0)
	v_cmp_neq_f16_e32 vcc, v7, v1
	s_and_b64 s[0:1], vcc, exec
.LBB926_44:
	s_or_b64 exec, exec, s[4:5]
	s_branch .LBB926_53
.LBB926_45:
	s_mul_hi_u32 s1, s8, 0xfffff100
	s_mul_i32 s0, s9, 0xfffff100
	s_sub_i32 s1, s1, s8
	s_add_i32 s1, s1, s0
	s_mul_i32 s0, s8, 0xfffff100
	s_add_u32 s8, s0, s48
	s_addc_u32 s9, s1, s49
	s_and_b64 vcc, exec, s[12:13]
	v_lshrrev_b32_e32 v48, 16, v14
	v_mad_u32_u24 v32, v0, 15, 14
	v_cmp_neq_f16_sdwa s[54:55], v13, v14 src0_sel:WORD_1 src1_sel:DWORD
	v_mad_u32_u24 v44, v0, 15, 12
	v_cmp_neq_f16_sdwa s[12:13], v13, v13 src0_sel:DWORD src1_sel:WORD_1
	v_cmp_neq_f16_sdwa s[16:17], v12, v13 src0_sel:WORD_1 src1_sel:DWORD
	v_mad_u32_u24 v42, v0, 15, 10
	v_cmp_neq_f16_sdwa s[20:21], v12, v12 src0_sel:DWORD src1_sel:WORD_1
	;; [unrolled: 3-line block ×6, first 2 shown]
	v_cmp_neq_f16_e64 s[4:5], v1, v2
	v_cmp_ne_u32_e64 s[0:1], 0, v0
	s_cbranch_vccz .LBB926_50
; %bb.46:
	v_mov_b32_e32 v33, 0
	global_load_ushort v49, v33, s[6:7] offset:-2
	v_cmp_gt_u64_e32 vcc, s[8:9], v[32:33]
	v_cmp_neq_f16_e64 s[6:7], v14, v48
	v_mov_b32_e32 v31, v33
	s_and_b64 s[6:7], vcc, s[6:7]
	v_cmp_gt_u64_e32 vcc, s[8:9], v[30:31]
	v_mov_b32_e32 v45, v33
	s_and_b64 s[10:11], vcc, s[54:55]
	v_cmp_gt_u64_e32 vcc, s[8:9], v[44:45]
	;; [unrolled: 3-line block ×13, first 2 shown]
	v_lshlrev_b32_e32 v15, 1, v0
	v_mul_u32_u24_e32 v46, 15, v0
	s_and_b64 s[4:5], vcc, s[4:5]
	ds_write_b16 v15, v48
	s_waitcnt lgkmcnt(0)
	s_barrier
	s_and_saveexec_b64 s[54:55], s[0:1]
	s_cbranch_execz .LBB926_48
; %bb.47:
	v_add_u32_e32 v7, -2, v15
	s_waitcnt vmcnt(0)
	ds_read_u16 v49, v7
.LBB926_48:
	s_or_b64 exec, exec, s[54:55]
	v_mov_b32_e32 v47, v33
	v_cmp_gt_u64_e32 vcc, s[8:9], v[46:47]
	s_waitcnt vmcnt(0) lgkmcnt(0)
	v_cmp_neq_f16_e64 s[0:1], v1, v49
	v_cndmask_b32_e64 v15, 0, 1, s[6:7]
	v_cndmask_b32_e64 v56, 0, 1, s[10:11]
	;; [unrolled: 1-line block ×14, first 2 shown]
	s_and_b64 s[0:1], vcc, s[0:1]
	s_mov_b64 s[10:11], -1
.LBB926_49:
                                        ; implicit-def: $sgpr3
	v_mov_b32_e32 v69, s3
	s_and_saveexec_b64 s[4:5], s[10:11]
	s_cbranch_execnz .LBB926_54
	s_branch .LBB926_55
.LBB926_50:
                                        ; implicit-def: $sgpr0_sgpr1
                                        ; implicit-def: $vgpr15
                                        ; implicit-def: $vgpr56
                                        ; implicit-def: $vgpr57
                                        ; implicit-def: $vgpr58
                                        ; implicit-def: $vgpr59
                                        ; implicit-def: $vgpr60
                                        ; implicit-def: $vgpr61
                                        ; implicit-def: $vgpr62
                                        ; implicit-def: $vgpr63
                                        ; implicit-def: $vgpr64
                                        ; implicit-def: $vgpr65
                                        ; implicit-def: $vgpr66
                                        ; implicit-def: $vgpr67
                                        ; implicit-def: $vgpr68
	s_cbranch_execz .LBB926_49
; %bb.51:
	v_mov_b32_e32 v33, 0
	v_cmp_gt_u64_e32 vcc, s[8:9], v[32:33]
	v_cmp_neq_f16_e64 s[0:1], v14, v48
	s_and_b64 s[0:1], vcc, s[0:1]
	v_mov_b32_e32 v31, v33
	v_cndmask_b32_e64 v15, 0, 1, s[0:1]
	v_cmp_gt_u64_e32 vcc, s[8:9], v[30:31]
	v_cmp_neq_f16_sdwa s[0:1], v13, v14 src0_sel:WORD_1 src1_sel:DWORD
	s_and_b64 s[0:1], vcc, s[0:1]
	v_mov_b32_e32 v45, v33
	v_cndmask_b32_e64 v56, 0, 1, s[0:1]
	v_cmp_gt_u64_e32 vcc, s[8:9], v[44:45]
	v_cmp_neq_f16_sdwa s[0:1], v13, v13 src0_sel:DWORD src1_sel:WORD_1
	s_and_b64 s[0:1], vcc, s[0:1]
	v_mov_b32_e32 v29, v33
	v_cndmask_b32_e64 v57, 0, 1, s[0:1]
	v_cmp_gt_u64_e32 vcc, s[8:9], v[28:29]
	v_cmp_neq_f16_sdwa s[0:1], v12, v13 src0_sel:WORD_1 src1_sel:DWORD
	s_and_b64 s[0:1], vcc, s[0:1]
	v_mov_b32_e32 v43, v33
	v_cndmask_b32_e64 v58, 0, 1, s[0:1]
	v_cmp_gt_u64_e32 vcc, s[8:9], v[42:43]
	v_cmp_neq_f16_sdwa s[0:1], v12, v12 src0_sel:DWORD src1_sel:WORD_1
	;; [unrolled: 10-line block ×6, first 2 shown]
	s_and_b64 s[0:1], vcc, s[0:1]
	v_mov_b32_e32 v7, v33
	v_cndmask_b32_e64 v67, 0, 1, s[0:1]
	v_cmp_gt_u64_e32 vcc, s[8:9], v[6:7]
	v_cmp_neq_f16_e64 s[0:1], v1, v2
	s_and_b64 s[0:1], vcc, s[0:1]
	s_mov_b32 s3, 1
	v_lshlrev_b32_e32 v46, 1, v0
	v_cndmask_b32_e64 v68, 0, 1, s[0:1]
	v_cmp_ne_u32_e32 vcc, 0, v0
	ds_write_b16 v46, v48
	s_waitcnt lgkmcnt(0)
	s_barrier
	s_waitcnt lgkmcnt(0)
                                        ; implicit-def: $sgpr0_sgpr1
	s_and_saveexec_b64 s[4:5], vcc
	s_cbranch_execz .LBB926_146
; %bb.52:
	v_add_u32_e32 v6, -2, v46
	ds_read_u16 v6, v6
	v_mul_u32_u24_e32 v32, 15, v0
	v_cmp_gt_u64_e32 vcc, s[8:9], v[32:33]
	s_or_b64 s[10:11], s[10:11], exec
	s_waitcnt lgkmcnt(0)
	v_cmp_neq_f16_e64 s[0:1], v6, v1
	s_and_b64 s[0:1], vcc, s[0:1]
	s_and_b64 s[0:1], s[0:1], exec
	s_or_b64 exec, exec, s[4:5]
.LBB926_53:
	v_mov_b32_e32 v69, s3
	s_and_saveexec_b64 s[4:5], s[10:11]
.LBB926_54:
	v_cndmask_b32_e64 v69, 0, 1, s[0:1]
.LBB926_55:
	s_or_b64 exec, exec, s[4:5]
	s_cmp_eq_u64 s[38:39], 0
	v_add3_u32 v6, v68, v69, v67
	s_cselect_b64 s[38:39], -1, 0
	s_cmp_lg_u32 s2, 0
	v_cmp_eq_u32_e64 s[24:25], 0, v68
	v_cmp_eq_u32_e64 s[22:23], 0, v67
	;; [unrolled: 1-line block ×3, first 2 shown]
	v_add3_u32 v80, v6, v66, v65
	v_cmp_eq_u32_e64 s[18:19], 0, v65
	v_cmp_eq_u32_e64 s[16:17], 0, v64
	;; [unrolled: 1-line block ×10, first 2 shown]
	v_cmp_eq_u32_e32 vcc, 0, v15
	v_mbcnt_lo_u32_b32 v79, -1, 0
	v_lshrrev_b32_e32 v77, 6, v0
	v_or_b32_e32 v78, 63, v0
	s_cbranch_scc0 .LBB926_82
; %bb.56:
	v_cndmask_b32_e64 v6, 0, v22, s[24:25]
	v_add_u32_e32 v6, v6, v76
	v_cndmask_b32_e64 v6, 0, v6, s[22:23]
	v_add_u32_e32 v6, v6, v23
	;; [unrolled: 2-line block ×11, first 2 shown]
	v_cndmask_b32_e64 v6, 0, v6, s[28:29]
	v_add3_u32 v7, v80, v64, v63
	v_add_u32_e32 v6, v6, v16
	v_add3_u32 v7, v7, v62, v61
	v_cndmask_b32_e64 v6, 0, v6, s[0:1]
	v_add3_u32 v7, v7, v60, v59
	v_add_u32_e32 v6, v6, v70
	v_add3_u32 v7, v7, v58, v57
	v_cndmask_b32_e32 v6, 0, v6, vcc
	v_add3_u32 v7, v7, v56, v15
	v_add_u32_e32 v6, v6, v17
	v_mbcnt_hi_u32_b32 v27, -1, v79
	v_and_b32_e32 v8, 15, v27
	v_mov_b32_dpp v10, v6 row_shr:1 row_mask:0xf bank_mask:0xf
	v_cmp_eq_u32_e32 vcc, 0, v7
	v_mov_b32_dpp v9, v7 row_shr:1 row_mask:0xf bank_mask:0xf
	v_cmp_lt_u32_e64 s[26:27], 1, v8
	v_cndmask_b32_e32 v10, 0, v10, vcc
	v_cmp_eq_u32_e32 vcc, 0, v8
	s_nop 1
	v_cndmask_b32_e64 v9, v9, 0, vcc
	v_add_u32_e32 v7, v9, v7
	v_cndmask_b32_e64 v9, v10, 0, vcc
	v_add_u32_e32 v6, v9, v6
	v_cmp_eq_u32_e32 vcc, 0, v7
	v_mov_b32_dpp v9, v7 row_shr:2 row_mask:0xf bank_mask:0xf
	v_mov_b32_dpp v10, v6 row_shr:2 row_mask:0xf bank_mask:0xf
	v_cndmask_b32_e64 v9, 0, v9, s[26:27]
	s_and_b64 vcc, s[26:27], vcc
	v_cndmask_b32_e32 v10, 0, v10, vcc
	v_add_u32_e32 v7, v7, v9
	v_add_u32_e32 v6, v10, v6
	v_cmp_eq_u32_e32 vcc, 0, v7
	v_mov_b32_dpp v9, v7 row_shr:4 row_mask:0xf bank_mask:0xf
	v_cmp_lt_u32_e64 s[26:27], 3, v8
	v_mov_b32_dpp v10, v6 row_shr:4 row_mask:0xf bank_mask:0xf
	s_and_b64 vcc, s[26:27], vcc
	v_cndmask_b32_e64 v9, 0, v9, s[26:27]
	v_cndmask_b32_e32 v10, 0, v10, vcc
	v_add_u32_e32 v7, v9, v7
	v_add_u32_e32 v6, v6, v10
	v_cmp_eq_u32_e32 vcc, 0, v7
	v_cmp_lt_u32_e64 s[26:27], 7, v8
	v_mov_b32_dpp v9, v7 row_shr:8 row_mask:0xf bank_mask:0xf
	v_mov_b32_dpp v10, v6 row_shr:8 row_mask:0xf bank_mask:0xf
	s_and_b64 vcc, s[26:27], vcc
	v_cndmask_b32_e64 v8, 0, v9, s[26:27]
	v_cndmask_b32_e32 v9, 0, v10, vcc
	v_add_u32_e32 v6, v9, v6
	v_add_u32_e32 v7, v8, v7
	v_bfe_i32 v10, v27, 4, 1
	v_mov_b32_dpp v9, v6 row_bcast:15 row_mask:0xf bank_mask:0xf
	v_mov_b32_dpp v8, v7 row_bcast:15 row_mask:0xf bank_mask:0xf
	v_cmp_eq_u32_e32 vcc, 0, v7
	v_and_b32_e32 v8, v10, v8
	v_add_u32_e32 v7, v8, v7
	v_cndmask_b32_e32 v9, 0, v9, vcc
	v_and_b32_e32 v8, v10, v9
	v_add_u32_e32 v8, v8, v6
	v_mov_b32_dpp v6, v7 row_bcast:31 row_mask:0xf bank_mask:0xf
	v_cmp_eq_u32_e32 vcc, 0, v7
	v_cmp_lt_u32_e64 s[26:27], 31, v27
	v_mov_b32_dpp v9, v8 row_bcast:31 row_mask:0xf bank_mask:0xf
	s_and_b64 vcc, s[26:27], vcc
	v_cndmask_b32_e64 v6, 0, v6, s[26:27]
	v_add_u32_e32 v6, v6, v7
	v_cndmask_b32_e32 v7, 0, v9, vcc
	v_add_u32_e32 v7, v7, v8
	v_cmp_eq_u32_e32 vcc, v78, v0
	v_lshlrev_b32_e32 v8, 3, v77
	s_and_saveexec_b64 s[26:27], vcc
	s_cbranch_execz .LBB926_58
; %bb.57:
	ds_write_b64 v8, v[6:7] offset:1040
.LBB926_58:
	s_or_b64 exec, exec, s[26:27]
	v_cmp_gt_u32_e32 vcc, 4, v0
	s_waitcnt lgkmcnt(0)
	s_barrier
	s_and_saveexec_b64 s[30:31], vcc
	s_cbranch_execz .LBB926_60
; %bb.59:
	v_lshlrev_b32_e32 v9, 3, v0
	ds_read_b64 v[10:11], v9 offset:1040
	v_and_b32_e32 v24, 3, v27
	v_cmp_lt_u32_e64 s[26:27], 1, v24
	s_waitcnt lgkmcnt(0)
	v_mov_b32_dpp v26, v11 row_shr:1 row_mask:0xf bank_mask:0xf
	v_cmp_eq_u32_e32 vcc, 0, v10
	v_mov_b32_dpp v25, v10 row_shr:1 row_mask:0xf bank_mask:0xf
	s_nop 0
	v_cndmask_b32_e32 v26, 0, v26, vcc
	v_cmp_eq_u32_e32 vcc, 0, v24
	s_nop 1
	v_cndmask_b32_e64 v25, v25, 0, vcc
	v_add_u32_e32 v10, v25, v10
	v_cndmask_b32_e64 v25, v26, 0, vcc
	v_add_u32_e32 v11, v25, v11
	v_cmp_eq_u32_e32 vcc, 0, v10
	v_mov_b32_dpp v25, v10 row_shr:2 row_mask:0xf bank_mask:0xf
	v_mov_b32_dpp v26, v11 row_shr:2 row_mask:0xf bank_mask:0xf
	v_cndmask_b32_e64 v24, 0, v25, s[26:27]
	s_and_b64 vcc, s[26:27], vcc
	v_add_u32_e32 v10, v24, v10
	v_cndmask_b32_e32 v24, 0, v26, vcc
	v_add_u32_e32 v11, v24, v11
	ds_write_b64 v9, v[10:11] offset:1040
.LBB926_60:
	s_or_b64 exec, exec, s[30:31]
	v_cmp_gt_u32_e32 vcc, 64, v0
	v_cmp_lt_u32_e64 s[26:27], 63, v0
	v_mov_b32_e32 v24, 0
	v_mov_b32_e32 v25, 0
	s_waitcnt lgkmcnt(0)
	s_barrier
	s_and_saveexec_b64 s[30:31], s[26:27]
	s_cbranch_execz .LBB926_62
; %bb.61:
	ds_read_b64 v[24:25], v8 offset:1032
	v_cmp_eq_u32_e64 s[26:27], 0, v6
	s_waitcnt lgkmcnt(0)
	v_add_u32_e32 v8, v24, v6
	v_cndmask_b32_e64 v6, 0, v25, s[26:27]
	v_add_u32_e32 v7, v6, v7
	v_mov_b32_e32 v6, v8
.LBB926_62:
	s_or_b64 exec, exec, s[30:31]
	v_add_u32_e32 v8, -1, v27
	v_and_b32_e32 v9, 64, v27
	v_cmp_lt_i32_e64 s[26:27], v8, v9
	s_nop 1
	v_cndmask_b32_e64 v8, v8, v27, s[26:27]
	v_lshlrev_b32_e32 v8, 2, v8
	ds_bpermute_b32 v32, v8, v6
	ds_bpermute_b32 v33, v8, v7
	v_cmp_eq_u32_e64 s[26:27], 0, v27
	s_and_saveexec_b64 s[48:49], vcc
	s_cbranch_execz .LBB926_81
; %bb.63:
	v_mov_b32_e32 v11, 0
	ds_read_b64 v[6:7], v11 offset:1064
	s_waitcnt lgkmcnt(0)
	v_readfirstlane_b32 s3, v6
	v_readfirstlane_b32 s56, v7
	s_and_saveexec_b64 s[30:31], s[26:27]
	s_cbranch_execz .LBB926_65
; %bb.64:
	s_add_i32 s54, s2, 64
	s_mov_b32 s55, 0
	s_lshl_b64 s[58:59], s[54:55], 4
	s_add_u32 s58, s36, s58
	s_addc_u32 s59, s37, s59
	s_and_b32 s61, s56, 0xff000000
	s_mov_b32 s60, s55
	s_and_b32 s63, s56, 0xff0000
	s_mov_b32 s62, s55
	s_or_b64 s[60:61], s[62:63], s[60:61]
	s_and_b32 s63, s56, 0xff00
	s_or_b64 s[60:61], s[60:61], s[62:63]
	s_and_b32 s63, s56, 0xff
	s_or_b64 s[54:55], s[60:61], s[62:63]
	v_mov_b32_e32 v8, s3
	v_mov_b32_e32 v9, s55
	;; [unrolled: 1-line block ×3, first 2 shown]
	v_mov_b64_e32 v[6:7], s[58:59]
	;;#ASMSTART
	global_store_dwordx4 v[6:7], v[8:11] off sc1	
s_waitcnt vmcnt(0)
	;;#ASMEND
.LBB926_65:
	s_or_b64 exec, exec, s[30:31]
	v_xad_u32 v26, v27, -1, s2
	v_add_u32_e32 v10, 64, v26
	v_lshl_add_u64 v[28:29], v[10:11], 4, s[36:37]
	;;#ASMSTART
	global_load_dwordx4 v[6:9], v[28:29] off sc1	
s_waitcnt vmcnt(0)
	;;#ASMEND
	s_nop 0
	v_and_b32_e32 v9, 0xff, v7
	v_and_b32_e32 v10, 0xff00, v7
	v_or3_b32 v6, v6, 0, 0
	v_and_b32_e32 v30, 0xff000000, v7
	v_or3_b32 v9, 0, v9, v10
	;; [unrolled: 2-line block ×3, first 2 shown]
	v_or3_b32 v6, v6, 0, 0
	v_cmp_eq_u16_sdwa s[54:55], v8, v11 src0_sel:BYTE_0 src1_sel:DWORD
	s_and_saveexec_b64 s[30:31], s[54:55]
	s_cbranch_execz .LBB926_69
; %bb.66:
	s_mov_b64 s[54:55], 0
	v_mov_b32_e32 v10, 0
.LBB926_67:                             ; =>This Inner Loop Header: Depth=1
	;;#ASMSTART
	global_load_dwordx4 v[6:9], v[28:29] off sc1	
s_waitcnt vmcnt(0)
	;;#ASMEND
	s_nop 0
	v_cmp_ne_u16_sdwa s[58:59], v8, v10 src0_sel:BYTE_0 src1_sel:DWORD
	s_or_b64 s[54:55], s[58:59], s[54:55]
	s_andn2_b64 exec, exec, s[54:55]
	s_cbranch_execnz .LBB926_67
; %bb.68:
	s_or_b64 exec, exec, s[54:55]
.LBB926_69:
	s_or_b64 exec, exec, s[30:31]
	v_mov_b32_e32 v34, 2
	v_cmp_eq_u16_sdwa s[30:31], v8, v34 src0_sel:BYTE_0 src1_sel:DWORD
	v_lshlrev_b64 v[28:29], v27, -1
	v_and_b32_e32 v35, 63, v27
	v_and_b32_e32 v9, s31, v29
	v_or_b32_e32 v9, 0x80000000, v9
	v_cmp_ne_u32_e32 vcc, 63, v35
	v_and_b32_e32 v10, s30, v28
	v_ffbl_b32_e32 v9, v9
	v_addc_co_u32_e32 v11, vcc, 0, v27, vcc
	v_add_u32_e32 v9, 32, v9
	v_ffbl_b32_e32 v10, v10
	v_lshlrev_b32_e32 v36, 2, v11
	v_min_u32_e32 v9, v10, v9
	ds_bpermute_b32 v10, v36, v7
	v_cmp_eq_u32_e32 vcc, 0, v6
	v_cmp_lt_u32_e64 s[30:31], v35, v9
	ds_bpermute_b32 v11, v36, v6
	s_and_b64 vcc, s[30:31], vcc
	s_waitcnt lgkmcnt(1)
	v_cndmask_b32_e32 v10, 0, v10, vcc
	v_cmp_gt_u32_e32 vcc, 62, v35
	v_add_u32_e32 v7, v10, v7
	s_waitcnt lgkmcnt(0)
	v_cndmask_b32_e64 v11, 0, v11, s[30:31]
	v_cndmask_b32_e64 v10, 0, 1, vcc
	v_lshlrev_b32_e32 v10, 1, v10
	v_add_lshl_u32 v37, v10, v27, 2
	ds_bpermute_b32 v10, v37, v7
	v_add_u32_e32 v6, v11, v6
	ds_bpermute_b32 v11, v37, v6
	v_add_u32_e32 v38, 2, v35
	v_cmp_eq_u32_e32 vcc, 0, v6
	v_add_u32_e32 v40, 4, v35
	v_add_u32_e32 v42, 8, v35
	s_waitcnt lgkmcnt(1)
	v_cndmask_b32_e32 v10, 0, v10, vcc
	v_cmp_gt_u32_e32 vcc, v38, v9
	v_add_u32_e32 v44, 16, v35
	v_add_u32_e32 v46, 32, v35
	v_cndmask_b32_e64 v10, v10, 0, vcc
	v_add_u32_e32 v7, v10, v7
	s_waitcnt lgkmcnt(0)
	v_cndmask_b32_e64 v10, v11, 0, vcc
	v_cmp_gt_u32_e32 vcc, 60, v35
	v_add_u32_e32 v6, v6, v10
	s_nop 0
	v_cndmask_b32_e64 v11, 0, 1, vcc
	v_lshlrev_b32_e32 v11, 2, v11
	v_add_lshl_u32 v39, v11, v27, 2
	ds_bpermute_b32 v11, v39, v7
	ds_bpermute_b32 v10, v39, v6
	v_cmp_eq_u32_e32 vcc, 0, v6
	s_waitcnt lgkmcnt(1)
	s_nop 0
	v_cndmask_b32_e32 v11, 0, v11, vcc
	v_cmp_gt_u32_e32 vcc, v40, v9
	s_nop 1
	v_cndmask_b32_e64 v11, v11, 0, vcc
	s_waitcnt lgkmcnt(0)
	v_cndmask_b32_e64 v10, v10, 0, vcc
	v_cmp_gt_u32_e32 vcc, 56, v35
	v_add_u32_e32 v7, v7, v11
	v_add_u32_e32 v6, v6, v10
	v_cndmask_b32_e64 v11, 0, 1, vcc
	v_lshlrev_b32_e32 v11, 3, v11
	v_add_lshl_u32 v41, v11, v27, 2
	ds_bpermute_b32 v11, v41, v7
	ds_bpermute_b32 v10, v41, v6
	v_cmp_eq_u32_e32 vcc, 0, v6
	s_waitcnt lgkmcnt(1)
	s_nop 0
	v_cndmask_b32_e32 v11, 0, v11, vcc
	v_cmp_gt_u32_e32 vcc, v42, v9
	s_nop 1
	v_cndmask_b32_e64 v11, v11, 0, vcc
	s_waitcnt lgkmcnt(0)
	v_cndmask_b32_e64 v10, v10, 0, vcc
	v_cmp_gt_u32_e32 vcc, 48, v35
	v_add_u32_e32 v7, v7, v11
	v_add_u32_e32 v6, v6, v10
	;; [unrolled: 17-line block ×3, first 2 shown]
	v_cndmask_b32_e64 v11, 0, 1, vcc
	v_lshlrev_b32_e32 v11, 5, v11
	v_add_lshl_u32 v45, v11, v27, 2
	ds_bpermute_b32 v11, v45, v7
	ds_bpermute_b32 v10, v45, v6
	v_cmp_eq_u32_e32 vcc, 0, v6
	v_mov_b32_e32 v27, 0
	s_waitcnt lgkmcnt(1)
	v_cndmask_b32_e32 v11, 0, v11, vcc
	v_cmp_gt_u32_e32 vcc, v46, v9
	s_nop 1
	v_cndmask_b32_e64 v9, v11, 0, vcc
	v_add_u32_e32 v7, v9, v7
	s_waitcnt lgkmcnt(0)
	v_cndmask_b32_e64 v9, v10, 0, vcc
	v_add_u32_e32 v6, v9, v6
	s_branch .LBB926_71
.LBB926_70:                             ;   in Loop: Header=BB926_71 Depth=1
	s_or_b64 exec, exec, s[30:31]
	v_cmp_eq_u16_sdwa s[30:31], v8, v34 src0_sel:BYTE_0 src1_sel:DWORD
	v_cmp_eq_u32_e32 vcc, 0, v6
	ds_bpermute_b32 v31, v36, v6
	v_and_b32_e32 v9, s31, v29
	v_or_b32_e32 v9, 0x80000000, v9
	v_and_b32_e32 v30, s30, v28
	v_ffbl_b32_e32 v9, v9
	v_add_u32_e32 v9, 32, v9
	v_ffbl_b32_e32 v30, v30
	v_min_u32_e32 v9, v30, v9
	ds_bpermute_b32 v30, v36, v7
	v_cmp_lt_u32_e64 s[30:31], v35, v9
	s_and_b64 vcc, s[30:31], vcc
	v_subrev_u32_e32 v26, 64, v26
	s_waitcnt lgkmcnt(1)
	v_cndmask_b32_e64 v31, 0, v31, s[30:31]
	s_waitcnt lgkmcnt(0)
	v_cndmask_b32_e32 v30, 0, v30, vcc
	v_add_u32_e32 v7, v30, v7
	ds_bpermute_b32 v30, v37, v7
	v_add_u32_e32 v6, v31, v6
	v_cmp_eq_u32_e32 vcc, 0, v6
	ds_bpermute_b32 v31, v37, v6
	s_waitcnt lgkmcnt(1)
	v_cndmask_b32_e32 v30, 0, v30, vcc
	v_cmp_gt_u32_e32 vcc, v38, v9
	s_nop 1
	v_cndmask_b32_e64 v30, v30, 0, vcc
	v_add_u32_e32 v7, v30, v7
	ds_bpermute_b32 v30, v39, v7
	s_waitcnt lgkmcnt(1)
	v_cndmask_b32_e64 v31, v31, 0, vcc
	v_add_u32_e32 v6, v6, v31
	v_cmp_eq_u32_e32 vcc, 0, v6
	ds_bpermute_b32 v31, v39, v6
	s_waitcnt lgkmcnt(1)
	v_cndmask_b32_e32 v30, 0, v30, vcc
	v_cmp_gt_u32_e32 vcc, v40, v9
	s_nop 1
	v_cndmask_b32_e64 v30, v30, 0, vcc
	v_add_u32_e32 v7, v7, v30
	ds_bpermute_b32 v30, v41, v7
	s_waitcnt lgkmcnt(1)
	v_cndmask_b32_e64 v31, v31, 0, vcc
	v_add_u32_e32 v6, v6, v31
	ds_bpermute_b32 v31, v41, v6
	v_cmp_eq_u32_e32 vcc, 0, v6
	s_waitcnt lgkmcnt(1)
	s_nop 0
	v_cndmask_b32_e32 v30, 0, v30, vcc
	v_cmp_gt_u32_e32 vcc, v42, v9
	s_nop 1
	v_cndmask_b32_e64 v30, v30, 0, vcc
	v_add_u32_e32 v7, v7, v30
	ds_bpermute_b32 v30, v43, v7
	s_waitcnt lgkmcnt(1)
	v_cndmask_b32_e64 v31, v31, 0, vcc
	v_add_u32_e32 v6, v6, v31
	ds_bpermute_b32 v31, v43, v6
	v_cmp_eq_u32_e32 vcc, 0, v6
	s_waitcnt lgkmcnt(1)
	s_nop 0
	;; [unrolled: 13-line block ×3, first 2 shown]
	v_cndmask_b32_e32 v30, 0, v30, vcc
	v_cmp_gt_u32_e32 vcc, v46, v9
	s_nop 1
	v_cndmask_b32_e64 v9, v30, 0, vcc
	v_add_u32_e32 v7, v9, v7
	s_waitcnt lgkmcnt(0)
	v_cndmask_b32_e64 v9, v31, 0, vcc
	v_cmp_eq_u32_e32 vcc, 0, v10
	v_add3_u32 v6, v6, v10, v9
	s_nop 0
	v_cndmask_b32_e32 v7, 0, v7, vcc
	v_add_u32_e32 v7, v7, v11
.LBB926_71:                             ; =>This Loop Header: Depth=1
                                        ;     Child Loop BB926_74 Depth 2
	v_cmp_ne_u16_sdwa s[30:31], v8, v34 src0_sel:BYTE_0 src1_sel:DWORD
	v_mov_b32_e32 v11, v7
	v_mov_b32_e32 v10, v6
	v_cndmask_b32_e64 v7, 0, 1, s[30:31]
	;;#ASMSTART
	;;#ASMEND
	s_nop 0
	v_cmp_ne_u32_e32 vcc, 0, v7
	s_cmp_lg_u64 vcc, exec
	s_cbranch_scc1 .LBB926_76
; %bb.72:                               ;   in Loop: Header=BB926_71 Depth=1
	v_lshl_add_u64 v[30:31], v[26:27], 4, s[36:37]
	;;#ASMSTART
	global_load_dwordx4 v[6:9], v[30:31] off sc1	
s_waitcnt vmcnt(0)
	;;#ASMEND
	s_nop 0
	v_and_b32_e32 v9, 0xff, v7
	v_and_b32_e32 v47, 0xff00, v7
	v_or3_b32 v6, v6, 0, 0
	v_and_b32_e32 v48, 0xff000000, v7
	v_or3_b32 v9, 0, v9, v47
	;; [unrolled: 2-line block ×3, first 2 shown]
	v_or3_b32 v6, v6, 0, 0
	v_cmp_eq_u16_sdwa s[54:55], v8, v27 src0_sel:BYTE_0 src1_sel:DWORD
	s_and_saveexec_b64 s[30:31], s[54:55]
	s_cbranch_execz .LBB926_70
; %bb.73:                               ;   in Loop: Header=BB926_71 Depth=1
	s_mov_b64 s[54:55], 0
.LBB926_74:                             ;   Parent Loop BB926_71 Depth=1
                                        ; =>  This Inner Loop Header: Depth=2
	;;#ASMSTART
	global_load_dwordx4 v[6:9], v[30:31] off sc1	
s_waitcnt vmcnt(0)
	;;#ASMEND
	s_nop 0
	v_cmp_ne_u16_sdwa s[58:59], v8, v27 src0_sel:BYTE_0 src1_sel:DWORD
	s_or_b64 s[54:55], s[58:59], s[54:55]
	s_andn2_b64 exec, exec, s[54:55]
	s_cbranch_execnz .LBB926_74
; %bb.75:                               ;   in Loop: Header=BB926_71 Depth=1
	s_or_b64 exec, exec, s[54:55]
	s_branch .LBB926_70
.LBB926_76:                             ;   in Loop: Header=BB926_71 Depth=1
                                        ; implicit-def: $vgpr7
                                        ; implicit-def: $vgpr6
                                        ; implicit-def: $vgpr8
	s_cbranch_execz .LBB926_71
; %bb.77:
	s_and_saveexec_b64 s[30:31], s[26:27]
	s_cbranch_execz .LBB926_79
; %bb.78:
	s_cmp_eq_u32 s3, 0
	s_cselect_b64 vcc, -1, 0
	s_mov_b32 s55, 0
	v_cndmask_b32_e32 v6, 0, v11, vcc
	s_add_i32 s54, s2, 64
	v_add_u32_e32 v6, s56, v6
	s_lshl_b64 s[54:55], s[54:55], 4
	s_add_u32 s54, s36, s54
	v_and_b32_e32 v7, 0xff000000, v6
	v_and_b32_e32 v8, 0xff0000, v6
	s_addc_u32 s55, s37, s55
	v_or_b32_e32 v7, v8, v7
	v_and_b32_e32 v8, 0xff00, v6
	v_and_b32_e32 v6, 0xff, v6
	v_add_u32_e32 v26, s3, v10
	v_mov_b32_e32 v29, 0
	v_or3_b32 v27, v7, v8, v6
	v_mov_b32_e32 v28, 2
	v_mov_b64_e32 v[6:7], s[54:55]
	;;#ASMSTART
	global_store_dwordx4 v[6:7], v[26:29] off sc1	
s_waitcnt vmcnt(0)
	;;#ASMEND
	v_mov_b32_e32 v8, s3
	v_mov_b32_e32 v9, s56
	ds_write_b128 v29, v[8:11] offset:1024
.LBB926_79:
	s_or_b64 exec, exec, s[30:31]
	v_cmp_eq_u32_e32 vcc, 0, v0
	s_and_b64 exec, exec, vcc
	s_cbranch_execz .LBB926_81
; %bb.80:
	v_mov_b32_e32 v6, 0
	ds_write_b64 v6, v[10:11] offset:1064
.LBB926_81:
	s_or_b64 exec, exec, s[48:49]
	v_mov_b32_e32 v8, 0
	s_waitcnt lgkmcnt(0)
	s_barrier
	ds_read_b64 v[6:7], v8 offset:1064
	v_cndmask_b32_e64 v10, v32, v24, s[26:27]
	v_cmp_eq_u32_e32 vcc, 0, v10
	v_cndmask_b32_e64 v9, v33, v25, s[26:27]
	s_waitcnt lgkmcnt(0)
	v_cndmask_b32_e32 v11, 0, v7, vcc
	v_add_u32_e32 v9, v11, v9
	v_cmp_eq_u32_e32 vcc, 0, v0
	s_barrier
	s_nop 0
	v_cndmask_b32_e32 v55, v9, v7, vcc
	v_cndmask_b32_e64 v7, v10, 0, vcc
	v_cmp_eq_u32_e32 vcc, 0, v69
	v_add_u32_e32 v54, v6, v7
	v_add_u32_e32 v52, v54, v69
	v_cndmask_b32_e32 v6, 0, v55, vcc
	v_add_u32_e32 v53, v6, v22
	v_cndmask_b32_e64 v6, 0, v53, s[24:25]
	v_add_u32_e32 v51, v6, v76
	v_cndmask_b32_e64 v6, 0, v51, s[22:23]
	;; [unrolled: 2-line block ×8, first 2 shown]
	v_add_u32_e32 v37, v6, v18
	v_add_u32_e32 v50, v52, v68
	v_cndmask_b32_e64 v6, 0, v37, s[8:9]
	v_add_u32_e32 v48, v50, v67
	v_add_u32_e32 v35, v6, v72
	v_add_u32_e32 v46, v48, v66
	v_cndmask_b32_e64 v6, 0, v35, s[6:7]
	v_add_u32_e32 v44, v46, v65
	;; [unrolled: 4-line block ×3, first 2 shown]
	v_add_u32_e32 v31, v6, v71
	ds_read_b128 v[6:9], v8 offset:1024
	v_add_u32_e32 v38, v40, v62
	v_add_u32_e32 v36, v38, v61
	;; [unrolled: 1-line block ×4, first 2 shown]
	v_cndmask_b32_e64 v10, 0, v31, s[28:29]
	v_add_u32_e32 v30, v32, v58
	v_add_u32_e32 v29, v10, v16
	s_waitcnt lgkmcnt(0)
	v_cmp_eq_u32_e32 vcc, 0, v6
	v_add_u32_e32 v28, v30, v57
	v_cndmask_b32_e64 v10, 0, v29, s[0:1]
	v_cndmask_b32_e32 v9, 0, v9, vcc
	v_add_u32_e32 v26, v28, v56
	v_add_u32_e32 v27, v10, v70
	;; [unrolled: 1-line block ×3, first 2 shown]
	s_branch .LBB926_94
.LBB926_82:
                                        ; implicit-def: $vgpr6
                                        ; implicit-def: $vgpr24
                                        ; implicit-def: $vgpr54_vgpr55
                                        ; implicit-def: $vgpr52_vgpr53
                                        ; implicit-def: $vgpr50_vgpr51
                                        ; implicit-def: $vgpr48_vgpr49
                                        ; implicit-def: $vgpr46_vgpr47
                                        ; implicit-def: $vgpr44_vgpr45
                                        ; implicit-def: $vgpr42_vgpr43
                                        ; implicit-def: $vgpr40_vgpr41
                                        ; implicit-def: $vgpr38_vgpr39
                                        ; implicit-def: $vgpr36_vgpr37
                                        ; implicit-def: $vgpr34_vgpr35
                                        ; implicit-def: $vgpr32_vgpr33
                                        ; implicit-def: $vgpr30_vgpr31
                                        ; implicit-def: $vgpr28_vgpr29
                                        ; implicit-def: $vgpr26_vgpr27
	s_cbranch_execz .LBB926_94
; %bb.83:
	s_and_b64 s[0:1], s[38:39], exec
	s_cselect_b32 s1, 0, s53
	s_cselect_b32 s0, 0, s52
	s_cmp_eq_u64 s[0:1], 0
	v_mov_b32_e32 v10, v22
	s_cbranch_scc1 .LBB926_85
; %bb.84:
	v_mov_b32_e32 v6, 0
	global_load_dword v10, v6, s[0:1]
.LBB926_85:
	v_cmp_eq_u32_e64 s[0:1], 0, v68
	v_cmp_eq_u32_e64 s[2:3], 0, v67
	v_cmp_eq_u32_e64 s[4:5], 0, v66
	v_cndmask_b32_e64 v6, 0, v22, s[0:1]
	v_add_u32_e32 v6, v6, v76
	v_cndmask_b32_e64 v6, 0, v6, s[2:3]
	v_add_u32_e32 v6, v6, v23
	v_cndmask_b32_e64 v6, 0, v6, s[4:5]
	v_add_u32_e32 v6, v6, v75
	v_cmp_eq_u32_e64 s[6:7], 0, v65
	v_cmp_eq_u32_e64 s[8:9], 0, v64
	v_cmp_eq_u32_e64 s[10:11], 0, v63
	v_cndmask_b32_e64 v6, 0, v6, s[6:7]
	v_add_u32_e32 v6, v6, v20
	v_cndmask_b32_e64 v6, 0, v6, s[8:9]
	v_add_u32_e32 v6, v6, v74
	v_cndmask_b32_e64 v6, 0, v6, s[10:11]
	v_add_u32_e32 v6, v6, v21
	;; [unrolled: 9-line block ×3, first 2 shown]
	v_cmp_eq_u32_e64 s[18:19], 0, v59
	v_cmp_eq_u32_e64 s[20:21], 0, v58
	;; [unrolled: 1-line block ×3, first 2 shown]
	v_cndmask_b32_e64 v6, 0, v6, s[18:19]
	v_add_u32_e32 v6, v6, v19
	v_cndmask_b32_e64 v6, 0, v6, s[20:21]
	v_add_u32_e32 v6, v6, v71
	v_cndmask_b32_e64 v6, 0, v6, s[22:23]
	v_add3_u32 v7, v80, v64, v63
	v_add_u32_e32 v6, v6, v16
	v_cmp_eq_u32_e32 vcc, 0, v56
	v_add3_u32 v7, v7, v62, v61
	v_add3_u32 v7, v7, v60, v59
	v_cndmask_b32_e32 v6, 0, v6, vcc
	v_add_u32_e32 v6, v6, v70
	v_cmp_eq_u32_e64 s[24:25], 0, v15
	v_add3_u32 v7, v7, v58, v57
	v_add3_u32 v7, v7, v56, v15
	v_cndmask_b32_e64 v6, 0, v6, s[24:25]
	v_add_u32_e32 v6, v6, v17
	v_mbcnt_hi_u32_b32 v11, -1, v79
	v_and_b32_e32 v8, 15, v11
	v_mov_b32_dpp v17, v6 row_shr:1 row_mask:0xf bank_mask:0xf
	v_cmp_eq_u32_e64 s[24:25], 0, v7
	v_mov_b32_dpp v9, v7 row_shr:1 row_mask:0xf bank_mask:0xf
	v_cmp_lt_u32_e64 s[26:27], 1, v8
	v_cndmask_b32_e64 v17, 0, v17, s[24:25]
	v_cmp_eq_u32_e64 s[24:25], 0, v8
	s_nop 1
	v_cndmask_b32_e64 v9, v9, 0, s[24:25]
	v_add_u32_e32 v7, v9, v7
	v_cndmask_b32_e64 v9, v17, 0, s[24:25]
	v_add_u32_e32 v6, v9, v6
	v_cmp_eq_u32_e64 s[24:25], 0, v7
	v_mov_b32_dpp v9, v7 row_shr:2 row_mask:0xf bank_mask:0xf
	v_mov_b32_dpp v17, v6 row_shr:2 row_mask:0xf bank_mask:0xf
	v_cndmask_b32_e64 v9, 0, v9, s[26:27]
	s_and_b64 s[24:25], s[26:27], s[24:25]
	v_cndmask_b32_e64 v17, 0, v17, s[24:25]
	v_add_u32_e32 v7, v7, v9
	v_add_u32_e32 v6, v17, v6
	v_cmp_eq_u32_e64 s[24:25], 0, v7
	v_mov_b32_dpp v9, v7 row_shr:4 row_mask:0xf bank_mask:0xf
	v_cmp_lt_u32_e64 s[26:27], 3, v8
	v_mov_b32_dpp v17, v6 row_shr:4 row_mask:0xf bank_mask:0xf
	s_and_b64 s[24:25], s[26:27], s[24:25]
	v_cndmask_b32_e64 v9, 0, v9, s[26:27]
	v_cndmask_b32_e64 v17, 0, v17, s[24:25]
	v_add_u32_e32 v7, v9, v7
	v_add_u32_e32 v6, v6, v17
	v_cmp_eq_u32_e64 s[24:25], 0, v7
	v_cmp_lt_u32_e64 s[26:27], 7, v8
	v_mov_b32_dpp v9, v7 row_shr:8 row_mask:0xf bank_mask:0xf
	v_mov_b32_dpp v17, v6 row_shr:8 row_mask:0xf bank_mask:0xf
	s_and_b64 s[24:25], s[26:27], s[24:25]
	v_cndmask_b32_e64 v8, 0, v9, s[26:27]
	v_cndmask_b32_e64 v9, 0, v17, s[24:25]
	v_add_u32_e32 v6, v9, v6
	v_add_u32_e32 v7, v8, v7
	v_bfe_i32 v17, v11, 4, 1
	v_mov_b32_dpp v9, v6 row_bcast:15 row_mask:0xf bank_mask:0xf
	v_mov_b32_dpp v8, v7 row_bcast:15 row_mask:0xf bank_mask:0xf
	v_cmp_eq_u32_e64 s[24:25], 0, v7
	v_and_b32_e32 v8, v17, v8
	v_add_u32_e32 v7, v8, v7
	v_cndmask_b32_e64 v9, 0, v9, s[24:25]
	v_and_b32_e32 v8, v17, v9
	v_add_u32_e32 v8, v8, v6
	v_mov_b32_dpp v6, v7 row_bcast:31 row_mask:0xf bank_mask:0xf
	v_cmp_eq_u32_e64 s[24:25], 0, v7
	v_cmp_lt_u32_e64 s[26:27], 31, v11
	v_mov_b32_dpp v9, v8 row_bcast:31 row_mask:0xf bank_mask:0xf
	s_and_b64 s[24:25], s[26:27], s[24:25]
	v_cndmask_b32_e64 v6, 0, v6, s[26:27]
	v_add_u32_e32 v6, v6, v7
	v_cndmask_b32_e64 v7, 0, v9, s[24:25]
	v_add_u32_e32 v7, v7, v8
	v_cmp_eq_u32_e64 s[24:25], v78, v0
	v_lshlrev_b32_e32 v9, 3, v77
	s_and_saveexec_b64 s[26:27], s[24:25]
	s_cbranch_execz .LBB926_87
; %bb.86:
	ds_write_b64 v9, v[6:7] offset:1040
.LBB926_87:
	s_or_b64 exec, exec, s[26:27]
	v_cmp_gt_u32_e64 s[24:25], 4, v0
	s_waitcnt lgkmcnt(0)
	s_barrier
	s_and_saveexec_b64 s[28:29], s[24:25]
	s_cbranch_execz .LBB926_89
; %bb.88:
	v_lshlrev_b32_e32 v8, 3, v0
	ds_read_b64 v[24:25], v8 offset:1040
	v_and_b32_e32 v17, 3, v11
	v_cmp_lt_u32_e64 s[26:27], 1, v17
	s_waitcnt lgkmcnt(0)
	v_mov_b32_dpp v27, v25 row_shr:1 row_mask:0xf bank_mask:0xf
	v_cmp_eq_u32_e64 s[24:25], 0, v24
	v_mov_b32_dpp v26, v24 row_shr:1 row_mask:0xf bank_mask:0xf
	s_nop 0
	v_cndmask_b32_e64 v27, 0, v27, s[24:25]
	v_cmp_eq_u32_e64 s[24:25], 0, v17
	s_nop 1
	v_cndmask_b32_e64 v26, v26, 0, s[24:25]
	v_add_u32_e32 v24, v26, v24
	v_cndmask_b32_e64 v26, v27, 0, s[24:25]
	v_add_u32_e32 v25, v26, v25
	v_cmp_eq_u32_e64 s[24:25], 0, v24
	v_mov_b32_dpp v26, v24 row_shr:2 row_mask:0xf bank_mask:0xf
	v_mov_b32_dpp v27, v25 row_shr:2 row_mask:0xf bank_mask:0xf
	v_cndmask_b32_e64 v17, 0, v26, s[26:27]
	s_and_b64 s[24:25], s[26:27], s[24:25]
	v_add_u32_e32 v24, v17, v24
	v_cndmask_b32_e64 v17, 0, v27, s[24:25]
	v_add_u32_e32 v25, v17, v25
	ds_write_b64 v8, v[24:25] offset:1040
.LBB926_89:
	s_or_b64 exec, exec, s[28:29]
	v_cmp_lt_u32_e64 s[24:25], 63, v0
	v_mov_b32_e32 v17, 0
	v_mov_b32_e32 v8, 0
	s_waitcnt vmcnt(0)
	v_mov_b32_e32 v24, v10
	s_waitcnt lgkmcnt(0)
	s_barrier
	s_and_saveexec_b64 s[26:27], s[24:25]
	s_cbranch_execz .LBB926_91
; %bb.90:
	ds_read_b64 v[8:9], v9 offset:1032
	s_waitcnt lgkmcnt(0)
	v_cmp_eq_u32_e64 s[24:25], 0, v8
	s_nop 1
	v_cndmask_b32_e64 v24, 0, v10, s[24:25]
	v_add_u32_e32 v24, v24, v9
.LBB926_91:
	s_or_b64 exec, exec, s[26:27]
	v_cmp_eq_u32_e64 s[24:25], 0, v6
	v_add_u32_e32 v9, v8, v6
	v_and_b32_e32 v25, 64, v11
	v_cndmask_b32_e64 v6, 0, v24, s[24:25]
	v_add_u32_e32 v6, v6, v7
	v_add_u32_e32 v7, -1, v11
	v_cmp_lt_i32_e64 s[24:25], v7, v25
	v_cmp_eq_u32_e64 s[26:27], 0, v69
	s_nop 0
	v_cndmask_b32_e64 v7, v7, v11, s[24:25]
	v_lshlrev_b32_e32 v7, 2, v7
	ds_bpermute_b32 v9, v7, v9
	ds_bpermute_b32 v6, v7, v6
	v_cmp_eq_u32_e64 s[24:25], 0, v11
	s_waitcnt lgkmcnt(1)
	s_nop 0
	v_cndmask_b32_e64 v7, v9, v8, s[24:25]
	s_waitcnt lgkmcnt(0)
	v_cndmask_b32_e64 v6, v6, v24, s[24:25]
	v_cmp_eq_u32_e64 s[24:25], 0, v0
	s_nop 1
	v_cndmask_b32_e64 v55, v6, v10, s[24:25]
	v_cndmask_b32_e64 v6, 0, v55, s[26:27]
	v_add_u32_e32 v53, v6, v22
	v_cndmask_b32_e64 v6, 0, v53, s[0:1]
	v_add_u32_e32 v51, v6, v76
	;; [unrolled: 2-line block ×8, first 2 shown]
	v_cndmask_b32_e64 v54, v7, 0, s[24:25]
	v_cndmask_b32_e64 v6, 0, v39, s[14:15]
	v_add_u32_e32 v52, v54, v69
	v_add_u32_e32 v37, v6, v18
	v_add_u32_e32 v50, v52, v68
	v_cndmask_b32_e64 v6, 0, v37, s[16:17]
	v_add_u32_e32 v48, v50, v67
	v_add_u32_e32 v35, v6, v72
	v_add_u32_e32 v46, v48, v66
	;; [unrolled: 4-line block ×3, first 2 shown]
	v_cndmask_b32_e64 v6, 0, v33, s[20:21]
	v_add_u32_e32 v40, v42, v63
	v_add_u32_e32 v31, v6, v71
	ds_read_b64 v[6:7], v17 offset:1064
	v_add_u32_e32 v38, v40, v62
	v_add_u32_e32 v36, v38, v61
	;; [unrolled: 1-line block ×3, first 2 shown]
	v_cndmask_b32_e64 v8, 0, v31, s[22:23]
	v_add_u32_e32 v32, v34, v59
	v_add_u32_e32 v29, v8, v16
	;; [unrolled: 1-line block ×3, first 2 shown]
	v_cndmask_b32_e32 v8, 0, v29, vcc
	s_waitcnt lgkmcnt(0)
	v_cmp_eq_u32_e32 vcc, 0, v6
	v_add_u32_e32 v28, v30, v57
	v_add_u32_e32 v27, v8, v70
	v_cndmask_b32_e32 v8, 0, v10, vcc
	v_add_u32_e32 v26, v28, v56
	v_add_u32_e32 v24, v8, v7
	s_and_saveexec_b64 s[0:1], s[24:25]
	s_cbranch_execz .LBB926_93
; %bb.92:
	s_add_u32 s2, s36, 0x400
	v_and_b32_e32 v7, 0xff000000, v24
	v_and_b32_e32 v8, 0xff0000, v24
	s_addc_u32 s3, s37, 0
	v_or_b32_e32 v7, v8, v7
	v_and_b32_e32 v8, 0xff00, v24
	v_and_b32_e32 v10, 0xff, v24
	v_mov_b32_e32 v9, 0
	v_or3_b32 v7, v7, v8, v10
	v_mov_b32_e32 v8, 2
	v_mov_b64_e32 v[10:11], s[2:3]
	;;#ASMSTART
	global_store_dwordx4 v[10:11], v[6:9] off sc1	
s_waitcnt vmcnt(0)
	;;#ASMEND
.LBB926_93:
	s_or_b64 exec, exec, s[0:1]
	v_mov_b32_e32 v8, 0
.LBB926_94:
	s_and_b64 s[0:1], s[38:39], exec
	s_cselect_b32 s1, 0, s51
	s_cselect_b32 s0, 0, s50
	s_cmp_eq_u64 s[0:1], 0
	v_mov_b64_e32 v[16:17], 0
	s_barrier
	s_cbranch_scc1 .LBB926_96
; %bb.95:
	v_mov_b32_e32 v7, 0
	global_load_dwordx2 v[16:17], v7, s[0:1]
.LBB926_96:
	s_waitcnt vmcnt(0)
	v_lshlrev_b64 v[10:11], 1, v[16:17]
	v_mov_b32_e32 v9, 0
	v_cmp_eq_u32_e32 vcc, 0, v69
	v_lshl_add_u64 v[10:11], s[44:45], 0, v[10:11]
	v_lshlrev_b64 v[18:19], 1, v[8:9]
	v_cndmask_b32_e64 v7, 1, 2, vcc
	v_cmp_eq_u32_e32 vcc, 0, v68
	v_lshl_add_u64 v[18:19], v[10:11], 0, v[18:19]
	s_movk_i32 s30, 0x100
	v_cndmask_b32_e64 v10, 1, 2, vcc
	v_cmp_eq_u32_e32 vcc, 0, v67
	v_and_b32_e32 v7, v10, v7
	v_cmp_ne_u32_e64 s[28:29], 0, v69
	v_cndmask_b32_e64 v10, 1, 2, vcc
	v_cmp_eq_u32_e32 vcc, 0, v66
	v_and_b32_e32 v7, v7, v10
	v_cmp_ne_u32_e64 s[26:27], 0, v68
	;; [unrolled: 4-line block ×13, first 2 shown]
	v_cndmask_b32_e64 v10, 1, 2, vcc
	v_and_b32_e32 v7, v7, v10
	v_cmp_gt_u32_e32 vcc, s30, v6
	v_cmp_ne_u32_e64 s[2:3], 0, v56
	v_cmp_ne_u32_e64 s[0:1], 0, v15
	s_mov_b64 s[36:37], -1
	v_cmp_gt_i16_e64 s[30:31], 2, v7
	s_cbranch_vccz .LBB926_103
; %bb.97:
	s_and_saveexec_b64 s[36:37], s[30:31]
	s_cbranch_execz .LBB926_102
; %bb.98:
	v_cmp_ne_u16_e32 vcc, 1, v7
	s_mov_b64 s[38:39], 0
	s_and_saveexec_b64 s[30:31], vcc
	s_xor_b64 s[30:31], exec, s[30:31]
	s_cbranch_execnz .LBB926_147
; %bb.99:
	s_andn2_saveexec_b64 s[30:31], s[30:31]
	s_cbranch_execnz .LBB926_163
.LBB926_100:
	s_or_b64 exec, exec, s[30:31]
	s_and_b64 exec, exec, s[38:39]
	s_cbranch_execz .LBB926_102
.LBB926_101:
	v_sub_u32_e32 v10, v26, v8
	v_mov_b32_e32 v11, 0
	v_lshl_add_u64 v[10:11], v[10:11], 1, v[18:19]
	global_store_short_d16_hi v[10:11], v14, off
.LBB926_102:
	s_or_b64 exec, exec, s[36:37]
	s_mov_b64 s[36:37], 0
.LBB926_103:
	s_and_b64 vcc, exec, s[36:37]
	s_cbranch_vccz .LBB926_125
; %bb.104:
	v_cmp_gt_i16_e32 vcc, 2, v7
	s_and_saveexec_b64 s[30:31], vcc
	s_cbranch_execz .LBB926_109
; %bb.105:
	v_cmp_ne_u16_e32 vcc, 1, v7
	s_mov_b64 s[38:39], 0
	s_and_saveexec_b64 s[36:37], vcc
	s_xor_b64 s[36:37], exec, s[36:37]
	s_cbranch_execnz .LBB926_164
; %bb.106:
	s_andn2_saveexec_b64 s[0:1], s[36:37]
	s_cbranch_execnz .LBB926_180
.LBB926_107:
	s_or_b64 exec, exec, s[0:1]
	s_and_b64 exec, exec, s[38:39]
	s_cbranch_execz .LBB926_109
.LBB926_108:
	v_sub_u32_e32 v1, v26, v8
	v_lshlrev_b32_e32 v1, 1, v1
	ds_write_b16_d16_hi v1, v14
.LBB926_109:
	s_or_b64 exec, exec, s[30:31]
	v_cmp_lt_u32_e32 vcc, v0, v6
	s_waitcnt lgkmcnt(0)
	s_barrier
	s_and_saveexec_b64 s[0:1], vcc
	s_cbranch_execz .LBB926_124
; %bb.110:
	v_xad_u32 v1, v0, -1, v6
	s_movk_i32 s2, 0x1700
	s_movk_i32 s4, 0x16ff
	v_cmp_gt_u32_e64 s[2:3], s2, v1
	v_cmp_lt_u32_e32 vcc, s4, v1
	v_mov_b32_e32 v2, v0
	s_and_saveexec_b64 s[4:5], vcc
	s_cbranch_execz .LBB926_121
; %bb.111:
	v_sub_u32_e32 v2, v0, v6
	v_or_b32_e32 v2, 0xff, v2
	v_cmp_ge_u32_e32 vcc, v2, v0
	s_mov_b64 s[8:9], -1
	v_mov_b32_e32 v2, v0
	s_and_saveexec_b64 s[6:7], vcc
	s_cbranch_execz .LBB926_120
; %bb.112:
	v_lshrrev_b32_e32 v7, 8, v1
	v_or_b32_e32 v3, 0x300, v0
	v_or_b32_e32 v2, 0x200, v0
	v_add_u32_e32 v4, -3, v7
	v_or_b32_e32 v1, 0x100, v0
	v_lshrrev_b32_e32 v5, 2, v4
	v_mov_b64_e32 v[12:13], v[2:3]
	v_add_u32_e32 v20, 1, v5
	v_cmp_lt_u32_e32 vcc, 11, v4
	v_mov_b32_e32 v23, 0
	v_lshlrev_b32_e32 v14, 1, v0
	v_mov_b64_e32 v[10:11], v[0:1]
	s_and_saveexec_b64 s[8:9], vcc
	s_cbranch_execz .LBB926_116
; %bb.113:
	v_mov_b64_e32 v[12:13], v[2:3]
	v_and_b32_e32 v21, 0x7ffffffc, v20
	s_mov_b32 s12, 0
	s_mov_b64 s[10:11], 0
	v_mov_b32_e32 v5, 0
	v_mov_b32_e32 v22, v14
	v_mov_b64_e32 v[10:11], v[0:1]
.LBB926_114:                            ; =>This Inner Loop Header: Depth=1
	v_mov_b32_e32 v4, v10
	ds_read_u16 v1, v22
	ds_read_u16 v25, v22 offset:512
	ds_read_u16 v94, v22 offset:1024
	;; [unrolled: 1-line block ×7, first 2 shown]
	v_lshl_add_u64 v[86:87], v[4:5], 1, v[18:19]
	v_mov_b32_e32 v4, v11
	v_lshl_add_u64 v[88:89], v[4:5], 1, v[18:19]
	v_mov_b32_e32 v4, v12
	ds_read_u16 v100, v22 offset:4096
	ds_read_u16 v101, v22 offset:4608
	;; [unrolled: 1-line block ×8, first 2 shown]
	v_lshl_add_u64 v[90:91], v[4:5], 1, v[18:19]
	v_mov_b32_e32 v4, v13
	v_add_u32_e32 v2, 0x400, v13
	v_mov_b32_e32 v3, v5
	v_lshl_add_u64 v[92:93], v[4:5], 1, v[18:19]
	v_add_u32_e32 v4, 0x400, v10
	v_add_u32_e32 v70, 0x400, v12
	v_add_u32_e32 v72, 0x400, v11
	v_mov_b32_e32 v73, v5
	v_mov_b32_e32 v71, v5
	v_add_u32_e32 v21, -4, v21
	v_lshl_add_u64 v[2:3], v[2:3], 1, v[18:19]
	s_waitcnt lgkmcnt(14)
	global_store_short v[86:87], v1, off
	global_store_short v[88:89], v25, off
	s_waitcnt lgkmcnt(13)
	global_store_short v[90:91], v94, off
	s_waitcnt lgkmcnt(12)
	global_store_short v[92:93], v95, off
	v_lshl_add_u64 v[86:87], v[4:5], 1, v[18:19]
	v_add_u32_e32 v4, 0x800, v10
	v_add_u32_e32 v74, 0x800, v13
	;; [unrolled: 1-line block ×4, first 2 shown]
	v_mov_b32_e32 v79, v5
	v_mov_b32_e32 v77, v5
	v_mov_b32_e32 v75, v5
	s_add_i32 s12, s12, 16
	v_lshl_add_u64 v[72:73], v[72:73], 1, v[18:19]
	v_lshl_add_u64 v[70:71], v[70:71], 1, v[18:19]
	v_cmp_eq_u32_e32 vcc, 0, v21
	s_waitcnt lgkmcnt(11)
	global_store_short v[86:87], v96, off
	s_waitcnt lgkmcnt(10)
	global_store_short v[72:73], v97, off
	;; [unrolled: 2-line block ×4, first 2 shown]
	v_lshl_add_u64 v[2:3], v[4:5], 1, v[18:19]
	v_add_u32_e32 v4, 0xc00, v10
	v_add_u32_e32 v80, 0xc00, v13
	;; [unrolled: 1-line block ×4, first 2 shown]
	v_mov_b32_e32 v85, v5
	v_mov_b32_e32 v83, v5
	;; [unrolled: 1-line block ×3, first 2 shown]
	v_add_u32_e32 v22, 0x2000, v22
	v_lshl_add_u64 v[78:79], v[78:79], 1, v[18:19]
	v_lshl_add_u64 v[76:77], v[76:77], 1, v[18:19]
	;; [unrolled: 1-line block ×3, first 2 shown]
	v_add_u32_e32 v11, 0x1000, v11
	v_mov_b32_e32 v23, s12
	v_add_u32_e32 v12, 0x1000, v12
	s_or_b64 s[10:11], vcc, s[10:11]
	v_add_u32_e32 v13, 0x1000, v13
	v_add_u32_e32 v10, 0x1000, v10
	s_waitcnt lgkmcnt(7)
	global_store_short v[2:3], v100, off
	s_waitcnt lgkmcnt(6)
	global_store_short v[78:79], v101, off
	s_waitcnt lgkmcnt(5)
	global_store_short v[76:77], v102, off
	s_waitcnt lgkmcnt(4)
	global_store_short v[74:75], v103, off
	v_lshl_add_u64 v[2:3], v[4:5], 1, v[18:19]
	v_lshl_add_u64 v[84:85], v[84:85], 1, v[18:19]
	;; [unrolled: 1-line block ×4, first 2 shown]
	s_waitcnt lgkmcnt(3)
	global_store_short v[2:3], v104, off
	s_waitcnt lgkmcnt(2)
	global_store_short v[84:85], v105, off
	;; [unrolled: 2-line block ×4, first 2 shown]
	s_andn2_b64 exec, exec, s[10:11]
	s_cbranch_execnz .LBB926_114
; %bb.115:
	s_or_b64 exec, exec, s[10:11]
.LBB926_116:
	s_or_b64 exec, exec, s[8:9]
	v_and_b32_e32 v1, 3, v20
	v_cmp_ne_u32_e32 vcc, 0, v1
	s_and_saveexec_b64 s[8:9], vcc
	s_cbranch_execz .LBB926_119
; %bb.117:
	v_lshl_or_b32 v4, v23, 9, v14
	s_mov_b64 s[10:11], 0
	v_mov_b32_e32 v3, 0
.LBB926_118:                            ; =>This Inner Loop Header: Depth=1
	ds_read_u16 v5, v4
	ds_read_u16 v14, v4 offset:512
	ds_read_u16 v25, v4 offset:1024
	;; [unrolled: 1-line block ×3, first 2 shown]
	v_mov_b32_e32 v2, v10
	v_add_u32_e32 v1, -1, v1
	v_lshl_add_u64 v[20:21], v[2:3], 1, v[18:19]
	v_mov_b32_e32 v2, v11
	v_cmp_eq_u32_e32 vcc, 0, v1
	v_lshl_add_u64 v[22:23], v[2:3], 1, v[18:19]
	v_mov_b32_e32 v2, v12
	v_add_u32_e32 v10, 0x400, v10
	v_add_u32_e32 v4, 0x800, v4
	;; [unrolled: 1-line block ×4, first 2 shown]
	s_or_b64 s[10:11], vcc, s[10:11]
	v_lshl_add_u64 v[70:71], v[2:3], 1, v[18:19]
	v_mov_b32_e32 v2, v13
	v_add_u32_e32 v13, 0x400, v13
	v_lshl_add_u64 v[72:73], v[2:3], 1, v[18:19]
	s_waitcnt lgkmcnt(3)
	global_store_short v[20:21], v5, off
	s_waitcnt lgkmcnt(2)
	global_store_short v[22:23], v14, off
	;; [unrolled: 2-line block ×4, first 2 shown]
	s_andn2_b64 exec, exec, s[10:11]
	s_cbranch_execnz .LBB926_118
.LBB926_119:
	s_or_b64 exec, exec, s[8:9]
	v_add_u32_e32 v1, 1, v7
	v_and_b32_e32 v3, 0x1fffffc, v1
	v_cmp_ne_u32_e32 vcc, v1, v3
	v_lshl_or_b32 v2, v3, 8, v0
	s_orn2_b64 s[8:9], vcc, exec
.LBB926_120:
	s_or_b64 exec, exec, s[6:7]
	s_andn2_b64 s[2:3], s[2:3], exec
	s_and_b64 s[6:7], s[8:9], exec
	s_or_b64 s[2:3], s[2:3], s[6:7]
.LBB926_121:
	s_or_b64 exec, exec, s[4:5]
	s_and_b64 exec, exec, s[2:3]
	s_cbranch_execz .LBB926_124
; %bb.122:
	v_lshlrev_b32_e32 v1, 1, v2
	s_mov_b64 s[2:3], 0
	v_mov_b32_e32 v3, 0
.LBB926_123:                            ; =>This Inner Loop Header: Depth=1
	ds_read_u16 v7, v1
	v_lshl_add_u64 v[4:5], v[2:3], 1, v[18:19]
	v_add_u32_e32 v2, 0x100, v2
	v_cmp_ge_u32_e32 vcc, v2, v6
	v_add_u32_e32 v1, 0x200, v1
	s_or_b64 s[2:3], vcc, s[2:3]
	s_waitcnt lgkmcnt(0)
	global_store_short v[4:5], v7, off
	s_andn2_b64 exec, exec, s[2:3]
	s_cbranch_execnz .LBB926_123
.LBB926_124:
	s_or_b64 exec, exec, s[0:1]
.LBB926_125:
	s_cmpk_lg_i32 s33, 0xf00
	s_cselect_b64 s[0:1], -1, 0
	v_cndmask_b32_e64 v7, 0, 1, s[42:43]
	s_and_b64 s[0:1], s[40:41], s[0:1]
	v_cmp_eq_u32_e32 vcc, 0, v0
	v_sub_u32_e32 v1, v6, v7
	v_cndmask_b32_e64 v2, 0, 1, s[0:1]
	s_and_b64 s[0:1], vcc, s[42:43]
	v_add_u32_e32 v1, v1, v2
	v_cndmask_b32_e64 v2, v69, 0, s[0:1]
	s_mul_hi_u32 s0, s33, 0x88888889
	s_lshr_b32 s0, s0, 3
	v_mad_i32_i24 v3, v0, -15, s33
	v_cmp_eq_u32_e32 vcc, s0, v0
	v_cmp_ne_u32_e64 s[0:1], 0, v3
	s_and_b64 vcc, s[40:41], vcc
	s_movk_i32 s30, 0x100
	v_cndmask_b32_e64 v4, 1, v2, s[0:1]
	v_cmp_ne_u32_e64 s[0:1], 1, v3
	s_mov_b64 s[36:37], -1
	s_nop 0
	v_cndmask_b32_e64 v5, 1, v68, s[0:1]
	v_cmp_ne_u32_e64 s[0:1], 2, v3
	s_barrier
	s_nop 0
	v_cndmask_b32_e64 v10, 1, v67, s[0:1]
	v_cmp_ne_u32_e64 s[0:1], 3, v3
	v_cndmask_b32_e32 v10, v67, v10, vcc
	v_cmp_ne_u32_e64 s[24:25], 0, v10
	v_cndmask_b32_e64 v11, 1, v66, s[0:1]
	v_cmp_ne_u32_e64 s[0:1], 4, v3
	v_cndmask_b32_e32 v11, v66, v11, vcc
	v_cmp_ne_u32_e64 s[22:23], 0, v11
	;; [unrolled: 4-line block ×10, first 2 shown]
	v_cndmask_b32_e64 v23, 1, v57, s[0:1]
	v_cmp_ne_u32_e64 s[0:1], 13, v3
	v_cndmask_b32_e32 v23, v57, v23, vcc
	v_cndmask_b32_e32 v57, v2, v4, vcc
	v_cndmask_b32_e64 v25, 1, v56, s[0:1]
	v_cmp_ne_u32_e64 s[0:1], 14, v3
	v_cndmask_b32_e32 v25, v56, v25, vcc
	v_cndmask_b32_e32 v56, v68, v5, vcc
	v_cndmask_b32_e64 v3, 1, v15, s[0:1]
	v_cndmask_b32_e32 v15, v15, v3, vcc
	v_cmp_eq_u32_e32 vcc, 0, v57
	v_cmp_ne_u32_e64 s[28:29], 0, v57
	v_cmp_ne_u32_e64 s[26:27], 0, v56
	v_cndmask_b32_e64 v57, 1, 2, vcc
	v_cmp_eq_u32_e32 vcc, 0, v56
	v_lshlrev_b64 v[2:3], 3, v[16:17]
	v_lshl_add_u64 v[2:3], s[46:47], 0, v[2:3]
	v_cndmask_b32_e64 v56, 1, 2, vcc
	v_cmp_eq_u32_e32 vcc, 0, v10
	v_and_b32_e32 v56, v56, v57
	v_lshlrev_b64 v[4:5], 3, v[8:9]
	v_cndmask_b32_e64 v10, 1, 2, vcc
	v_cmp_eq_u32_e32 vcc, 0, v11
	v_and_b32_e32 v10, v56, v10
	v_lshl_add_u64 v[2:3], v[2:3], 0, v[4:5]
	v_cndmask_b32_e64 v11, 1, 2, vcc
	v_cmp_eq_u32_e32 vcc, 0, v12
	v_and_b32_e32 v10, v10, v11
	v_lshlrev_b32_e32 v4, 3, v7
	v_cndmask_b32_e64 v11, 1, 2, vcc
	v_cmp_eq_u32_e32 vcc, 0, v13
	v_and_b32_e32 v10, v10, v11
	v_mov_b32_e32 v5, 0
	v_cndmask_b32_e64 v11, 1, 2, vcc
	v_cmp_eq_u32_e32 vcc, 0, v14
	v_and_b32_e32 v10, v10, v11
	v_lshl_add_u64 v[4:5], v[4:5], 0, v[2:3]
	v_cndmask_b32_e64 v11, 1, 2, vcc
	v_cmp_eq_u32_e32 vcc, 0, v18
	v_and_b32_e32 v10, v10, v11
	v_lshl_add_u64 v[4:5], v[4:5], 0, -8
	v_cndmask_b32_e64 v11, 1, 2, vcc
	v_cmp_eq_u32_e32 vcc, 0, v19
	v_and_b32_e32 v10, v10, v11
	v_add_u32_e32 v7, v8, v7
	v_cndmask_b32_e64 v11, 1, 2, vcc
	v_cmp_eq_u32_e32 vcc, 0, v20
	v_and_b32_e32 v10, v10, v11
	v_cmp_ne_u32_e64 s[4:5], 0, v23
	v_cndmask_b32_e64 v11, 1, 2, vcc
	v_cmp_eq_u32_e32 vcc, 0, v21
	v_and_b32_e32 v10, v10, v11
	v_cmp_ne_u32_e64 s[2:3], 0, v25
	;; [unrolled: 4-line block ×3, first 2 shown]
	v_cndmask_b32_e64 v11, 1, 2, vcc
	v_cmp_eq_u32_e32 vcc, 0, v23
	v_and_b32_e32 v10, v10, v11
	s_nop 0
	v_cndmask_b32_e64 v11, 1, 2, vcc
	v_cmp_eq_u32_e32 vcc, 0, v25
	v_and_b32_e32 v10, v10, v11
	s_nop 0
	;; [unrolled: 4-line block ×3, first 2 shown]
	v_cndmask_b32_e64 v11, 1, 2, vcc
	v_and_b32_e32 v10, v10, v11
	v_cmp_gt_u32_e32 vcc, s30, v1
	v_cmp_gt_i16_e64 s[30:31], 2, v10
	s_cbranch_vccz .LBB926_132
; %bb.126:
	s_and_saveexec_b64 s[36:37], s[30:31]
	s_cbranch_execz .LBB926_131
; %bb.127:
	v_cmp_ne_u16_e32 vcc, 1, v10
	s_mov_b64 s[38:39], 0
	s_and_saveexec_b64 s[30:31], vcc
	s_xor_b64 s[30:31], exec, s[30:31]
	s_cbranch_execnz .LBB926_181
; %bb.128:
	s_andn2_saveexec_b64 s[30:31], s[30:31]
	s_cbranch_execnz .LBB926_197
.LBB926_129:
	s_or_b64 exec, exec, s[30:31]
	s_and_b64 exec, exec, s[38:39]
	s_cbranch_execz .LBB926_131
.LBB926_130:
	v_mov_b32_e32 v13, 0
	v_sub_u32_e32 v14, v26, v7
	v_mov_b32_e32 v15, v13
	v_mov_b32_e32 v12, v27
	v_lshl_add_u64 v[14:15], v[14:15], 3, v[4:5]
	global_store_dwordx2 v[14:15], v[12:13], off
.LBB926_131:
	s_or_b64 exec, exec, s[36:37]
	s_mov_b64 s[36:37], 0
.LBB926_132:
	s_and_b64 vcc, exec, s[36:37]
	s_cbranch_vccz .LBB926_142
; %bb.133:
	v_cmp_gt_i16_e32 vcc, 2, v10
	s_and_saveexec_b64 s[30:31], vcc
	s_cbranch_execz .LBB926_138
; %bb.134:
	v_cmp_ne_u16_e32 vcc, 1, v10
	s_mov_b64 s[38:39], 0
	s_and_saveexec_b64 s[36:37], vcc
	s_xor_b64 s[36:37], exec, s[36:37]
	s_cbranch_execnz .LBB926_198
; %bb.135:
	s_andn2_saveexec_b64 s[0:1], s[36:37]
	s_cbranch_execnz .LBB926_214
.LBB926_136:
	s_or_b64 exec, exec, s[0:1]
	s_and_b64 exec, exec, s[38:39]
	s_cbranch_execz .LBB926_138
.LBB926_137:
	v_sub_u32_e32 v7, v26, v7
	v_lshlrev_b32_e32 v7, 2, v7
	ds_write_b32 v7, v27
.LBB926_138:
	s_or_b64 exec, exec, s[30:31]
	v_cmp_lt_u32_e32 vcc, v0, v1
	s_waitcnt lgkmcnt(0)
	s_barrier
	s_and_saveexec_b64 s[0:1], vcc
	s_cbranch_execz .LBB926_141
; %bb.139:
	v_lshlrev_b32_e32 v7, 2, v0
	s_mov_b64 s[2:3], 0
	v_mov_b32_e32 v11, 0
	v_mov_b32_e32 v10, v0
.LBB926_140:                            ; =>This Inner Loop Header: Depth=1
	ds_read_b32 v12, v7
	v_lshl_add_u64 v[14:15], v[10:11], 3, v[4:5]
	v_add_u32_e32 v10, 0x100, v10
	v_cmp_ge_u32_e32 vcc, v10, v1
	v_mov_b32_e32 v13, v11
	v_add_u32_e32 v7, 0x400, v7
	s_or_b64 s[2:3], vcc, s[2:3]
	s_waitcnt lgkmcnt(0)
	global_store_dwordx2 v[14:15], v[12:13], off
	s_andn2_b64 exec, exec, s[2:3]
	s_cbranch_execnz .LBB926_140
.LBB926_141:
	s_or_b64 exec, exec, s[0:1]
.LBB926_142:
	s_movk_i32 s0, 0xff
	v_cmp_eq_u32_e32 vcc, s0, v0
	s_and_b64 s[0:1], vcc, s[40:41]
	s_and_saveexec_b64 s[2:3], s[0:1]
	s_cbranch_execz .LBB926_145
; %bb.143:
	v_mov_b32_e32 v7, 0
	v_lshl_add_u64 v[0:1], v[6:7], 0, v[8:9]
	v_lshl_add_u64 v[0:1], v[0:1], 0, v[16:17]
	s_cmpk_lg_i32 s33, 0xf00
	global_store_dwordx2 v7, v[0:1], s[34:35]
	s_cbranch_scc1 .LBB926_145
; %bb.144:
	v_lshlrev_b64 v[0:1], 3, v[6:7]
	v_mov_b32_e32 v25, v7
	v_lshl_add_u64 v[0:1], v[2:3], 0, v[0:1]
	global_store_dwordx2 v[0:1], v[24:25], off offset:-8
.LBB926_145:
	s_endpgm
.LBB926_146:
	s_or_b64 exec, exec, s[4:5]
	v_mov_b32_e32 v69, s3
	s_and_saveexec_b64 s[4:5], s[10:11]
	s_cbranch_execnz .LBB926_54
	s_branch .LBB926_55
.LBB926_147:
	s_and_saveexec_b64 s[38:39], s[28:29]
	s_cbranch_execnz .LBB926_215
; %bb.148:
	s_or_b64 exec, exec, s[38:39]
	s_and_saveexec_b64 s[38:39], s[26:27]
	s_cbranch_execnz .LBB926_216
.LBB926_149:
	s_or_b64 exec, exec, s[38:39]
	s_and_saveexec_b64 s[38:39], s[24:25]
	s_cbranch_execnz .LBB926_217
.LBB926_150:
	s_or_b64 exec, exec, s[38:39]
	s_and_saveexec_b64 s[38:39], s[22:23]
	s_cbranch_execnz .LBB926_218
.LBB926_151:
	s_or_b64 exec, exec, s[38:39]
	s_and_saveexec_b64 s[38:39], s[20:21]
	s_cbranch_execnz .LBB926_219
.LBB926_152:
	s_or_b64 exec, exec, s[38:39]
	s_and_saveexec_b64 s[38:39], s[18:19]
	s_cbranch_execnz .LBB926_220
.LBB926_153:
	s_or_b64 exec, exec, s[38:39]
	s_and_saveexec_b64 s[38:39], s[16:17]
	s_cbranch_execnz .LBB926_221
.LBB926_154:
	s_or_b64 exec, exec, s[38:39]
	s_and_saveexec_b64 s[38:39], s[14:15]
	s_cbranch_execnz .LBB926_222
.LBB926_155:
	s_or_b64 exec, exec, s[38:39]
	s_and_saveexec_b64 s[38:39], s[12:13]
	s_cbranch_execnz .LBB926_223
.LBB926_156:
	s_or_b64 exec, exec, s[38:39]
	s_and_saveexec_b64 s[38:39], s[10:11]
	s_cbranch_execnz .LBB926_224
.LBB926_157:
	s_or_b64 exec, exec, s[38:39]
	s_and_saveexec_b64 s[38:39], s[8:9]
	s_cbranch_execnz .LBB926_225
.LBB926_158:
	s_or_b64 exec, exec, s[38:39]
	s_and_saveexec_b64 s[38:39], s[6:7]
	s_cbranch_execnz .LBB926_226
.LBB926_159:
	s_or_b64 exec, exec, s[38:39]
	s_and_saveexec_b64 s[38:39], s[4:5]
	s_cbranch_execnz .LBB926_227
.LBB926_160:
	s_or_b64 exec, exec, s[38:39]
	s_and_saveexec_b64 s[38:39], s[2:3]
	s_cbranch_execz .LBB926_162
.LBB926_161:
	v_sub_u32_e32 v10, v28, v8
	v_mov_b32_e32 v11, 0
	v_lshl_add_u64 v[10:11], v[10:11], 1, v[18:19]
	global_store_short v[10:11], v14, off
.LBB926_162:
	s_or_b64 exec, exec, s[38:39]
	s_and_b64 s[38:39], s[0:1], exec
	s_andn2_saveexec_b64 s[30:31], s[30:31]
	s_cbranch_execz .LBB926_100
.LBB926_163:
	v_sub_u32_e32 v10, v54, v8
	v_mov_b32_e32 v11, 0
	v_lshl_add_u64 v[20:21], v[10:11], 1, v[18:19]
	v_sub_u32_e32 v10, v52, v8
	global_store_short v[20:21], v1, off
	v_lshl_add_u64 v[20:21], v[10:11], 1, v[18:19]
	v_sub_u32_e32 v10, v50, v8
	global_store_short v[20:21], v2, off
	v_lshl_add_u64 v[20:21], v[10:11], 1, v[18:19]
	v_sub_u32_e32 v10, v48, v8
	global_store_short_d16_hi v[20:21], v2, off
	v_lshl_add_u64 v[20:21], v[10:11], 1, v[18:19]
	v_sub_u32_e32 v10, v46, v8
	global_store_short v[20:21], v3, off
	v_lshl_add_u64 v[20:21], v[10:11], 1, v[18:19]
	v_sub_u32_e32 v10, v44, v8
	global_store_short_d16_hi v[20:21], v3, off
	;; [unrolled: 6-line block ×5, first 2 shown]
	v_lshl_add_u64 v[20:21], v[10:11], 1, v[18:19]
	v_sub_u32_e32 v10, v30, v8
	global_store_short v[20:21], v13, off
	v_lshl_add_u64 v[20:21], v[10:11], 1, v[18:19]
	v_sub_u32_e32 v10, v28, v8
	v_lshl_add_u64 v[10:11], v[10:11], 1, v[18:19]
	s_or_b64 s[38:39], s[38:39], exec
	global_store_short_d16_hi v[20:21], v13, off
	global_store_short v[10:11], v14, off
	s_or_b64 exec, exec, s[30:31]
	s_and_b64 exec, exec, s[38:39]
	s_cbranch_execnz .LBB926_101
	s_branch .LBB926_102
.LBB926_164:
	s_and_saveexec_b64 s[38:39], s[28:29]
	s_cbranch_execnz .LBB926_228
; %bb.165:
	s_or_b64 exec, exec, s[38:39]
	s_and_saveexec_b64 s[28:29], s[26:27]
	s_cbranch_execnz .LBB926_229
.LBB926_166:
	s_or_b64 exec, exec, s[28:29]
	s_and_saveexec_b64 s[26:27], s[24:25]
	s_cbranch_execnz .LBB926_230
.LBB926_167:
	s_or_b64 exec, exec, s[26:27]
	s_and_saveexec_b64 s[24:25], s[22:23]
	s_cbranch_execnz .LBB926_231
.LBB926_168:
	s_or_b64 exec, exec, s[24:25]
	s_and_saveexec_b64 s[22:23], s[20:21]
	s_cbranch_execnz .LBB926_232
.LBB926_169:
	s_or_b64 exec, exec, s[22:23]
	s_and_saveexec_b64 s[20:21], s[18:19]
	s_cbranch_execnz .LBB926_233
.LBB926_170:
	s_or_b64 exec, exec, s[20:21]
	s_and_saveexec_b64 s[18:19], s[16:17]
	s_cbranch_execnz .LBB926_234
.LBB926_171:
	s_or_b64 exec, exec, s[18:19]
	s_and_saveexec_b64 s[16:17], s[14:15]
	s_cbranch_execnz .LBB926_235
.LBB926_172:
	s_or_b64 exec, exec, s[16:17]
	s_and_saveexec_b64 s[14:15], s[12:13]
	s_cbranch_execnz .LBB926_236
.LBB926_173:
	s_or_b64 exec, exec, s[14:15]
	s_and_saveexec_b64 s[12:13], s[10:11]
	s_cbranch_execnz .LBB926_237
.LBB926_174:
	s_or_b64 exec, exec, s[12:13]
	s_and_saveexec_b64 s[10:11], s[8:9]
	s_cbranch_execnz .LBB926_238
.LBB926_175:
	s_or_b64 exec, exec, s[10:11]
	s_and_saveexec_b64 s[8:9], s[6:7]
	s_cbranch_execnz .LBB926_239
.LBB926_176:
	s_or_b64 exec, exec, s[8:9]
	s_and_saveexec_b64 s[6:7], s[4:5]
	s_cbranch_execnz .LBB926_240
.LBB926_177:
	s_or_b64 exec, exec, s[6:7]
	s_and_saveexec_b64 s[4:5], s[2:3]
	s_cbranch_execz .LBB926_179
.LBB926_178:
	v_sub_u32_e32 v1, v28, v8
	v_lshlrev_b32_e32 v1, 1, v1
	ds_write_b16 v1, v14
.LBB926_179:
	s_or_b64 exec, exec, s[4:5]
	s_and_b64 s[38:39], s[0:1], exec
                                        ; implicit-def: $vgpr1
                                        ; implicit-def: $vgpr2
	s_andn2_saveexec_b64 s[0:1], s[36:37]
	s_cbranch_execz .LBB926_107
.LBB926_180:
	v_sub_u32_e32 v7, v54, v8
	v_lshlrev_b32_e32 v7, 1, v7
	ds_write_b16 v7, v1
	v_sub_u32_e32 v1, v52, v8
	v_lshlrev_b32_e32 v1, 1, v1
	ds_write_b16 v1, v2
	v_sub_u32_e32 v1, v50, v8
	v_lshlrev_b32_e32 v1, 1, v1
	ds_write_b16_d16_hi v1, v2
	v_sub_u32_e32 v1, v48, v8
	v_lshlrev_b32_e32 v1, 1, v1
	ds_write_b16 v1, v3
	v_sub_u32_e32 v1, v46, v8
	v_lshlrev_b32_e32 v1, 1, v1
	ds_write_b16_d16_hi v1, v3
	;; [unrolled: 6-line block ×6, first 2 shown]
	v_sub_u32_e32 v1, v28, v8
	v_lshlrev_b32_e32 v1, 1, v1
	s_or_b64 s[38:39], s[38:39], exec
	ds_write_b16 v1, v14
	s_or_b64 exec, exec, s[0:1]
	s_and_b64 exec, exec, s[38:39]
	s_cbranch_execnz .LBB926_108
	s_branch .LBB926_109
.LBB926_181:
	s_and_saveexec_b64 s[38:39], s[28:29]
	s_cbranch_execnz .LBB926_241
; %bb.182:
	s_or_b64 exec, exec, s[38:39]
	s_and_saveexec_b64 s[38:39], s[26:27]
	s_cbranch_execnz .LBB926_242
.LBB926_183:
	s_or_b64 exec, exec, s[38:39]
	s_and_saveexec_b64 s[38:39], s[24:25]
	s_cbranch_execnz .LBB926_243
.LBB926_184:
	s_or_b64 exec, exec, s[38:39]
	s_and_saveexec_b64 s[38:39], s[22:23]
	s_cbranch_execnz .LBB926_244
.LBB926_185:
	s_or_b64 exec, exec, s[38:39]
	s_and_saveexec_b64 s[38:39], s[20:21]
	s_cbranch_execnz .LBB926_245
.LBB926_186:
	s_or_b64 exec, exec, s[38:39]
	s_and_saveexec_b64 s[38:39], s[18:19]
	s_cbranch_execnz .LBB926_246
.LBB926_187:
	s_or_b64 exec, exec, s[38:39]
	s_and_saveexec_b64 s[38:39], s[16:17]
	s_cbranch_execnz .LBB926_247
.LBB926_188:
	s_or_b64 exec, exec, s[38:39]
	s_and_saveexec_b64 s[38:39], s[14:15]
	s_cbranch_execnz .LBB926_248
.LBB926_189:
	s_or_b64 exec, exec, s[38:39]
	s_and_saveexec_b64 s[38:39], s[12:13]
	s_cbranch_execnz .LBB926_249
.LBB926_190:
	s_or_b64 exec, exec, s[38:39]
	s_and_saveexec_b64 s[38:39], s[10:11]
	s_cbranch_execnz .LBB926_250
.LBB926_191:
	s_or_b64 exec, exec, s[38:39]
	s_and_saveexec_b64 s[38:39], s[8:9]
	s_cbranch_execnz .LBB926_251
.LBB926_192:
	s_or_b64 exec, exec, s[38:39]
	s_and_saveexec_b64 s[38:39], s[6:7]
	s_cbranch_execnz .LBB926_252
.LBB926_193:
	s_or_b64 exec, exec, s[38:39]
	s_and_saveexec_b64 s[38:39], s[4:5]
	s_cbranch_execnz .LBB926_253
.LBB926_194:
	s_or_b64 exec, exec, s[38:39]
	s_and_saveexec_b64 s[38:39], s[2:3]
	s_cbranch_execz .LBB926_196
.LBB926_195:
	v_sub_u32_e32 v12, v28, v7
	v_mov_b32_e32 v13, 0
	v_lshl_add_u64 v[14:15], v[12:13], 3, v[4:5]
	v_mov_b32_e32 v12, v29
	global_store_dwordx2 v[14:15], v[12:13], off
.LBB926_196:
	s_or_b64 exec, exec, s[38:39]
	s_and_b64 s[38:39], s[0:1], exec
	s_andn2_saveexec_b64 s[30:31], s[30:31]
	s_cbranch_execz .LBB926_129
.LBB926_197:
	v_mov_b32_e32 v13, 0
	v_sub_u32_e32 v14, v54, v7
	v_mov_b32_e32 v15, v13
	v_mov_b32_e32 v12, v55
	v_lshl_add_u64 v[14:15], v[14:15], 3, v[4:5]
	global_store_dwordx2 v[14:15], v[12:13], off
	v_sub_u32_e32 v14, v52, v7
	v_mov_b32_e32 v15, v13
	v_mov_b32_e32 v12, v53
	v_lshl_add_u64 v[14:15], v[14:15], 3, v[4:5]
	global_store_dwordx2 v[14:15], v[12:13], off
	;; [unrolled: 5-line block ×13, first 2 shown]
	v_sub_u32_e32 v14, v28, v7
	v_mov_b32_e32 v15, v13
	v_mov_b32_e32 v12, v29
	v_lshl_add_u64 v[14:15], v[14:15], 3, v[4:5]
	s_or_b64 s[38:39], s[38:39], exec
	global_store_dwordx2 v[14:15], v[12:13], off
	s_or_b64 exec, exec, s[30:31]
	s_and_b64 exec, exec, s[38:39]
	s_cbranch_execnz .LBB926_130
	s_branch .LBB926_131
.LBB926_198:
	s_and_saveexec_b64 s[38:39], s[28:29]
	s_cbranch_execnz .LBB926_254
; %bb.199:
	s_or_b64 exec, exec, s[38:39]
	s_and_saveexec_b64 s[28:29], s[26:27]
	s_cbranch_execnz .LBB926_255
.LBB926_200:
	s_or_b64 exec, exec, s[28:29]
	s_and_saveexec_b64 s[26:27], s[24:25]
	s_cbranch_execnz .LBB926_256
.LBB926_201:
	s_or_b64 exec, exec, s[26:27]
	s_and_saveexec_b64 s[24:25], s[22:23]
	s_cbranch_execnz .LBB926_257
.LBB926_202:
	s_or_b64 exec, exec, s[24:25]
	s_and_saveexec_b64 s[22:23], s[20:21]
	s_cbranch_execnz .LBB926_258
.LBB926_203:
	s_or_b64 exec, exec, s[22:23]
	s_and_saveexec_b64 s[20:21], s[18:19]
	s_cbranch_execnz .LBB926_259
.LBB926_204:
	s_or_b64 exec, exec, s[20:21]
	s_and_saveexec_b64 s[18:19], s[16:17]
	s_cbranch_execnz .LBB926_260
.LBB926_205:
	s_or_b64 exec, exec, s[18:19]
	s_and_saveexec_b64 s[16:17], s[14:15]
	s_cbranch_execnz .LBB926_261
.LBB926_206:
	s_or_b64 exec, exec, s[16:17]
	s_and_saveexec_b64 s[14:15], s[12:13]
	s_cbranch_execnz .LBB926_262
.LBB926_207:
	s_or_b64 exec, exec, s[14:15]
	s_and_saveexec_b64 s[12:13], s[10:11]
	s_cbranch_execnz .LBB926_263
.LBB926_208:
	s_or_b64 exec, exec, s[12:13]
	s_and_saveexec_b64 s[10:11], s[8:9]
	s_cbranch_execnz .LBB926_264
.LBB926_209:
	s_or_b64 exec, exec, s[10:11]
	s_and_saveexec_b64 s[8:9], s[6:7]
	s_cbranch_execnz .LBB926_265
.LBB926_210:
	s_or_b64 exec, exec, s[8:9]
	s_and_saveexec_b64 s[6:7], s[4:5]
	s_cbranch_execnz .LBB926_266
.LBB926_211:
	s_or_b64 exec, exec, s[6:7]
	s_and_saveexec_b64 s[4:5], s[2:3]
	s_cbranch_execz .LBB926_213
.LBB926_212:
	v_sub_u32_e32 v10, v28, v7
	v_lshlrev_b32_e32 v10, 2, v10
	ds_write_b32 v10, v29
.LBB926_213:
	s_or_b64 exec, exec, s[4:5]
	s_and_b64 s[38:39], s[0:1], exec
                                        ; implicit-def: $vgpr54_vgpr55
                                        ; implicit-def: $vgpr52_vgpr53
                                        ; implicit-def: $vgpr50_vgpr51
                                        ; implicit-def: $vgpr48_vgpr49
                                        ; implicit-def: $vgpr46_vgpr47
                                        ; implicit-def: $vgpr44_vgpr45
                                        ; implicit-def: $vgpr42_vgpr43
                                        ; implicit-def: $vgpr40_vgpr41
                                        ; implicit-def: $vgpr38_vgpr39
                                        ; implicit-def: $vgpr36_vgpr37
                                        ; implicit-def: $vgpr34_vgpr35
                                        ; implicit-def: $vgpr32_vgpr33
                                        ; implicit-def: $vgpr30_vgpr31
                                        ; implicit-def: $vgpr28_vgpr29
	s_andn2_saveexec_b64 s[0:1], s[36:37]
	s_cbranch_execz .LBB926_136
.LBB926_214:
	v_sub_u32_e32 v10, v54, v7
	v_lshlrev_b32_e32 v10, 2, v10
	ds_write_b32 v10, v55
	v_sub_u32_e32 v10, v52, v7
	v_lshlrev_b32_e32 v10, 2, v10
	ds_write_b32 v10, v53
	;; [unrolled: 3-line block ×13, first 2 shown]
	v_sub_u32_e32 v10, v28, v7
	v_lshlrev_b32_e32 v10, 2, v10
	s_or_b64 s[38:39], s[38:39], exec
	ds_write_b32 v10, v29
	s_or_b64 exec, exec, s[0:1]
	s_and_b64 exec, exec, s[38:39]
	s_cbranch_execnz .LBB926_137
	s_branch .LBB926_138
.LBB926_215:
	v_sub_u32_e32 v10, v54, v8
	v_mov_b32_e32 v11, 0
	v_lshl_add_u64 v[10:11], v[10:11], 1, v[18:19]
	global_store_short v[10:11], v1, off
	s_or_b64 exec, exec, s[38:39]
	s_and_saveexec_b64 s[38:39], s[26:27]
	s_cbranch_execz .LBB926_149
.LBB926_216:
	v_sub_u32_e32 v10, v52, v8
	v_mov_b32_e32 v11, 0
	v_lshl_add_u64 v[10:11], v[10:11], 1, v[18:19]
	global_store_short v[10:11], v2, off
	s_or_b64 exec, exec, s[38:39]
	s_and_saveexec_b64 s[38:39], s[24:25]
	s_cbranch_execz .LBB926_150
.LBB926_217:
	v_sub_u32_e32 v10, v50, v8
	v_mov_b32_e32 v11, 0
	v_lshl_add_u64 v[10:11], v[10:11], 1, v[18:19]
	global_store_short_d16_hi v[10:11], v2, off
	s_or_b64 exec, exec, s[38:39]
	s_and_saveexec_b64 s[38:39], s[22:23]
	s_cbranch_execz .LBB926_151
.LBB926_218:
	v_sub_u32_e32 v10, v48, v8
	v_mov_b32_e32 v11, 0
	v_lshl_add_u64 v[10:11], v[10:11], 1, v[18:19]
	global_store_short v[10:11], v3, off
	s_or_b64 exec, exec, s[38:39]
	s_and_saveexec_b64 s[38:39], s[20:21]
	s_cbranch_execz .LBB926_152
.LBB926_219:
	v_sub_u32_e32 v10, v46, v8
	v_mov_b32_e32 v11, 0
	v_lshl_add_u64 v[10:11], v[10:11], 1, v[18:19]
	global_store_short_d16_hi v[10:11], v3, off
	s_or_b64 exec, exec, s[38:39]
	s_and_saveexec_b64 s[38:39], s[18:19]
	s_cbranch_execz .LBB926_153
.LBB926_220:
	v_sub_u32_e32 v10, v44, v8
	v_mov_b32_e32 v11, 0
	v_lshl_add_u64 v[10:11], v[10:11], 1, v[18:19]
	global_store_short v[10:11], v4, off
	s_or_b64 exec, exec, s[38:39]
	s_and_saveexec_b64 s[38:39], s[16:17]
	s_cbranch_execz .LBB926_154
.LBB926_221:
	v_sub_u32_e32 v10, v42, v8
	v_mov_b32_e32 v11, 0
	v_lshl_add_u64 v[10:11], v[10:11], 1, v[18:19]
	global_store_short_d16_hi v[10:11], v4, off
	s_or_b64 exec, exec, s[38:39]
	s_and_saveexec_b64 s[38:39], s[14:15]
	s_cbranch_execz .LBB926_155
.LBB926_222:
	v_sub_u32_e32 v10, v40, v8
	v_mov_b32_e32 v11, 0
	v_lshl_add_u64 v[10:11], v[10:11], 1, v[18:19]
	global_store_short v[10:11], v5, off
	s_or_b64 exec, exec, s[38:39]
	s_and_saveexec_b64 s[38:39], s[12:13]
	s_cbranch_execz .LBB926_156
.LBB926_223:
	v_sub_u32_e32 v10, v38, v8
	v_mov_b32_e32 v11, 0
	v_lshl_add_u64 v[10:11], v[10:11], 1, v[18:19]
	global_store_short_d16_hi v[10:11], v5, off
	s_or_b64 exec, exec, s[38:39]
	s_and_saveexec_b64 s[38:39], s[10:11]
	s_cbranch_execz .LBB926_157
.LBB926_224:
	v_sub_u32_e32 v10, v36, v8
	v_mov_b32_e32 v11, 0
	v_lshl_add_u64 v[10:11], v[10:11], 1, v[18:19]
	global_store_short v[10:11], v12, off
	s_or_b64 exec, exec, s[38:39]
	s_and_saveexec_b64 s[38:39], s[8:9]
	s_cbranch_execz .LBB926_158
.LBB926_225:
	v_sub_u32_e32 v10, v34, v8
	v_mov_b32_e32 v11, 0
	v_lshl_add_u64 v[10:11], v[10:11], 1, v[18:19]
	global_store_short_d16_hi v[10:11], v12, off
	s_or_b64 exec, exec, s[38:39]
	s_and_saveexec_b64 s[38:39], s[6:7]
	s_cbranch_execz .LBB926_159
.LBB926_226:
	v_sub_u32_e32 v10, v32, v8
	v_mov_b32_e32 v11, 0
	v_lshl_add_u64 v[10:11], v[10:11], 1, v[18:19]
	global_store_short v[10:11], v13, off
	s_or_b64 exec, exec, s[38:39]
	s_and_saveexec_b64 s[38:39], s[4:5]
	s_cbranch_execz .LBB926_160
.LBB926_227:
	v_sub_u32_e32 v10, v30, v8
	v_mov_b32_e32 v11, 0
	v_lshl_add_u64 v[10:11], v[10:11], 1, v[18:19]
	global_store_short_d16_hi v[10:11], v13, off
	s_or_b64 exec, exec, s[38:39]
	s_and_saveexec_b64 s[38:39], s[2:3]
	s_cbranch_execnz .LBB926_161
	s_branch .LBB926_162
.LBB926_228:
	v_sub_u32_e32 v7, v54, v8
	v_lshlrev_b32_e32 v7, 1, v7
	ds_write_b16 v7, v1
	s_or_b64 exec, exec, s[38:39]
	s_and_saveexec_b64 s[28:29], s[26:27]
	s_cbranch_execz .LBB926_166
.LBB926_229:
	v_sub_u32_e32 v1, v52, v8
	v_lshlrev_b32_e32 v1, 1, v1
	ds_write_b16 v1, v2
	s_or_b64 exec, exec, s[28:29]
	s_and_saveexec_b64 s[26:27], s[24:25]
	s_cbranch_execz .LBB926_167
.LBB926_230:
	v_sub_u32_e32 v1, v50, v8
	v_lshlrev_b32_e32 v1, 1, v1
	ds_write_b16_d16_hi v1, v2
	s_or_b64 exec, exec, s[26:27]
	s_and_saveexec_b64 s[24:25], s[22:23]
	s_cbranch_execz .LBB926_168
.LBB926_231:
	v_sub_u32_e32 v1, v48, v8
	v_lshlrev_b32_e32 v1, 1, v1
	ds_write_b16 v1, v3
	s_or_b64 exec, exec, s[24:25]
	s_and_saveexec_b64 s[22:23], s[20:21]
	s_cbranch_execz .LBB926_169
.LBB926_232:
	v_sub_u32_e32 v1, v46, v8
	v_lshlrev_b32_e32 v1, 1, v1
	ds_write_b16_d16_hi v1, v3
	s_or_b64 exec, exec, s[22:23]
	s_and_saveexec_b64 s[20:21], s[18:19]
	s_cbranch_execz .LBB926_170
.LBB926_233:
	v_sub_u32_e32 v1, v44, v8
	v_lshlrev_b32_e32 v1, 1, v1
	ds_write_b16 v1, v4
	s_or_b64 exec, exec, s[20:21]
	s_and_saveexec_b64 s[18:19], s[16:17]
	s_cbranch_execz .LBB926_171
.LBB926_234:
	v_sub_u32_e32 v1, v42, v8
	v_lshlrev_b32_e32 v1, 1, v1
	ds_write_b16_d16_hi v1, v4
	s_or_b64 exec, exec, s[18:19]
	s_and_saveexec_b64 s[16:17], s[14:15]
	s_cbranch_execz .LBB926_172
.LBB926_235:
	v_sub_u32_e32 v1, v40, v8
	v_lshlrev_b32_e32 v1, 1, v1
	ds_write_b16 v1, v5
	s_or_b64 exec, exec, s[16:17]
	s_and_saveexec_b64 s[14:15], s[12:13]
	s_cbranch_execz .LBB926_173
.LBB926_236:
	v_sub_u32_e32 v1, v38, v8
	v_lshlrev_b32_e32 v1, 1, v1
	ds_write_b16_d16_hi v1, v5
	s_or_b64 exec, exec, s[14:15]
	s_and_saveexec_b64 s[12:13], s[10:11]
	s_cbranch_execz .LBB926_174
.LBB926_237:
	v_sub_u32_e32 v1, v36, v8
	v_lshlrev_b32_e32 v1, 1, v1
	ds_write_b16 v1, v12
	s_or_b64 exec, exec, s[12:13]
	s_and_saveexec_b64 s[10:11], s[8:9]
	s_cbranch_execz .LBB926_175
.LBB926_238:
	v_sub_u32_e32 v1, v34, v8
	v_lshlrev_b32_e32 v1, 1, v1
	ds_write_b16_d16_hi v1, v12
	s_or_b64 exec, exec, s[10:11]
	s_and_saveexec_b64 s[8:9], s[6:7]
	s_cbranch_execz .LBB926_176
.LBB926_239:
	v_sub_u32_e32 v1, v32, v8
	v_lshlrev_b32_e32 v1, 1, v1
	ds_write_b16 v1, v13
	s_or_b64 exec, exec, s[8:9]
	s_and_saveexec_b64 s[6:7], s[4:5]
	s_cbranch_execz .LBB926_177
.LBB926_240:
	v_sub_u32_e32 v1, v30, v8
	v_lshlrev_b32_e32 v1, 1, v1
	ds_write_b16_d16_hi v1, v13
	s_or_b64 exec, exec, s[6:7]
	s_and_saveexec_b64 s[4:5], s[2:3]
	s_cbranch_execnz .LBB926_178
	s_branch .LBB926_179
.LBB926_241:
	v_sub_u32_e32 v12, v54, v7
	v_mov_b32_e32 v13, 0
	v_lshl_add_u64 v[14:15], v[12:13], 3, v[4:5]
	v_mov_b32_e32 v12, v55
	global_store_dwordx2 v[14:15], v[12:13], off
	s_or_b64 exec, exec, s[38:39]
	s_and_saveexec_b64 s[38:39], s[26:27]
	s_cbranch_execz .LBB926_183
.LBB926_242:
	v_sub_u32_e32 v12, v52, v7
	v_mov_b32_e32 v13, 0
	v_lshl_add_u64 v[14:15], v[12:13], 3, v[4:5]
	v_mov_b32_e32 v12, v53
	global_store_dwordx2 v[14:15], v[12:13], off
	s_or_b64 exec, exec, s[38:39]
	s_and_saveexec_b64 s[38:39], s[24:25]
	s_cbranch_execz .LBB926_184
.LBB926_243:
	v_sub_u32_e32 v12, v50, v7
	v_mov_b32_e32 v13, 0
	v_lshl_add_u64 v[14:15], v[12:13], 3, v[4:5]
	v_mov_b32_e32 v12, v51
	global_store_dwordx2 v[14:15], v[12:13], off
	s_or_b64 exec, exec, s[38:39]
	s_and_saveexec_b64 s[38:39], s[22:23]
	s_cbranch_execz .LBB926_185
.LBB926_244:
	v_sub_u32_e32 v12, v48, v7
	v_mov_b32_e32 v13, 0
	v_lshl_add_u64 v[14:15], v[12:13], 3, v[4:5]
	v_mov_b32_e32 v12, v49
	global_store_dwordx2 v[14:15], v[12:13], off
	s_or_b64 exec, exec, s[38:39]
	s_and_saveexec_b64 s[38:39], s[20:21]
	s_cbranch_execz .LBB926_186
.LBB926_245:
	v_sub_u32_e32 v12, v46, v7
	v_mov_b32_e32 v13, 0
	v_lshl_add_u64 v[14:15], v[12:13], 3, v[4:5]
	v_mov_b32_e32 v12, v47
	global_store_dwordx2 v[14:15], v[12:13], off
	s_or_b64 exec, exec, s[38:39]
	s_and_saveexec_b64 s[38:39], s[18:19]
	s_cbranch_execz .LBB926_187
.LBB926_246:
	v_sub_u32_e32 v12, v44, v7
	v_mov_b32_e32 v13, 0
	v_lshl_add_u64 v[14:15], v[12:13], 3, v[4:5]
	v_mov_b32_e32 v12, v45
	global_store_dwordx2 v[14:15], v[12:13], off
	s_or_b64 exec, exec, s[38:39]
	s_and_saveexec_b64 s[38:39], s[16:17]
	s_cbranch_execz .LBB926_188
.LBB926_247:
	v_sub_u32_e32 v12, v42, v7
	v_mov_b32_e32 v13, 0
	v_lshl_add_u64 v[14:15], v[12:13], 3, v[4:5]
	v_mov_b32_e32 v12, v43
	global_store_dwordx2 v[14:15], v[12:13], off
	s_or_b64 exec, exec, s[38:39]
	s_and_saveexec_b64 s[38:39], s[14:15]
	s_cbranch_execz .LBB926_189
.LBB926_248:
	v_sub_u32_e32 v12, v40, v7
	v_mov_b32_e32 v13, 0
	v_lshl_add_u64 v[14:15], v[12:13], 3, v[4:5]
	v_mov_b32_e32 v12, v41
	global_store_dwordx2 v[14:15], v[12:13], off
	s_or_b64 exec, exec, s[38:39]
	s_and_saveexec_b64 s[38:39], s[12:13]
	s_cbranch_execz .LBB926_190
.LBB926_249:
	v_sub_u32_e32 v12, v38, v7
	v_mov_b32_e32 v13, 0
	v_lshl_add_u64 v[14:15], v[12:13], 3, v[4:5]
	v_mov_b32_e32 v12, v39
	global_store_dwordx2 v[14:15], v[12:13], off
	s_or_b64 exec, exec, s[38:39]
	s_and_saveexec_b64 s[38:39], s[10:11]
	s_cbranch_execz .LBB926_191
.LBB926_250:
	v_sub_u32_e32 v12, v36, v7
	v_mov_b32_e32 v13, 0
	v_lshl_add_u64 v[14:15], v[12:13], 3, v[4:5]
	v_mov_b32_e32 v12, v37
	global_store_dwordx2 v[14:15], v[12:13], off
	s_or_b64 exec, exec, s[38:39]
	s_and_saveexec_b64 s[38:39], s[8:9]
	s_cbranch_execz .LBB926_192
.LBB926_251:
	v_sub_u32_e32 v12, v34, v7
	v_mov_b32_e32 v13, 0
	v_lshl_add_u64 v[14:15], v[12:13], 3, v[4:5]
	v_mov_b32_e32 v12, v35
	global_store_dwordx2 v[14:15], v[12:13], off
	s_or_b64 exec, exec, s[38:39]
	s_and_saveexec_b64 s[38:39], s[6:7]
	s_cbranch_execz .LBB926_193
.LBB926_252:
	v_sub_u32_e32 v12, v32, v7
	v_mov_b32_e32 v13, 0
	v_lshl_add_u64 v[14:15], v[12:13], 3, v[4:5]
	v_mov_b32_e32 v12, v33
	global_store_dwordx2 v[14:15], v[12:13], off
	s_or_b64 exec, exec, s[38:39]
	s_and_saveexec_b64 s[38:39], s[4:5]
	s_cbranch_execz .LBB926_194
.LBB926_253:
	v_sub_u32_e32 v12, v30, v7
	v_mov_b32_e32 v13, 0
	v_lshl_add_u64 v[14:15], v[12:13], 3, v[4:5]
	v_mov_b32_e32 v12, v31
	global_store_dwordx2 v[14:15], v[12:13], off
	s_or_b64 exec, exec, s[38:39]
	s_and_saveexec_b64 s[38:39], s[2:3]
	s_cbranch_execnz .LBB926_195
	s_branch .LBB926_196
.LBB926_254:
	v_sub_u32_e32 v10, v54, v7
	v_lshlrev_b32_e32 v10, 2, v10
	ds_write_b32 v10, v55
	s_or_b64 exec, exec, s[38:39]
	s_and_saveexec_b64 s[28:29], s[26:27]
	s_cbranch_execz .LBB926_200
.LBB926_255:
	v_sub_u32_e32 v10, v52, v7
	v_lshlrev_b32_e32 v10, 2, v10
	ds_write_b32 v10, v53
	s_or_b64 exec, exec, s[28:29]
	s_and_saveexec_b64 s[26:27], s[24:25]
	s_cbranch_execz .LBB926_201
.LBB926_256:
	v_sub_u32_e32 v10, v50, v7
	v_lshlrev_b32_e32 v10, 2, v10
	ds_write_b32 v10, v51
	s_or_b64 exec, exec, s[26:27]
	s_and_saveexec_b64 s[24:25], s[22:23]
	s_cbranch_execz .LBB926_202
.LBB926_257:
	v_sub_u32_e32 v10, v48, v7
	v_lshlrev_b32_e32 v10, 2, v10
	ds_write_b32 v10, v49
	s_or_b64 exec, exec, s[24:25]
	s_and_saveexec_b64 s[22:23], s[20:21]
	s_cbranch_execz .LBB926_203
.LBB926_258:
	v_sub_u32_e32 v10, v46, v7
	v_lshlrev_b32_e32 v10, 2, v10
	ds_write_b32 v10, v47
	s_or_b64 exec, exec, s[22:23]
	s_and_saveexec_b64 s[20:21], s[18:19]
	s_cbranch_execz .LBB926_204
.LBB926_259:
	v_sub_u32_e32 v10, v44, v7
	v_lshlrev_b32_e32 v10, 2, v10
	ds_write_b32 v10, v45
	s_or_b64 exec, exec, s[20:21]
	s_and_saveexec_b64 s[18:19], s[16:17]
	s_cbranch_execz .LBB926_205
.LBB926_260:
	v_sub_u32_e32 v10, v42, v7
	v_lshlrev_b32_e32 v10, 2, v10
	ds_write_b32 v10, v43
	s_or_b64 exec, exec, s[18:19]
	s_and_saveexec_b64 s[16:17], s[14:15]
	s_cbranch_execz .LBB926_206
.LBB926_261:
	v_sub_u32_e32 v10, v40, v7
	v_lshlrev_b32_e32 v10, 2, v10
	ds_write_b32 v10, v41
	s_or_b64 exec, exec, s[16:17]
	s_and_saveexec_b64 s[14:15], s[12:13]
	s_cbranch_execz .LBB926_207
.LBB926_262:
	v_sub_u32_e32 v10, v38, v7
	v_lshlrev_b32_e32 v10, 2, v10
	ds_write_b32 v10, v39
	s_or_b64 exec, exec, s[14:15]
	s_and_saveexec_b64 s[12:13], s[10:11]
	s_cbranch_execz .LBB926_208
.LBB926_263:
	v_sub_u32_e32 v10, v36, v7
	v_lshlrev_b32_e32 v10, 2, v10
	ds_write_b32 v10, v37
	s_or_b64 exec, exec, s[12:13]
	s_and_saveexec_b64 s[10:11], s[8:9]
	s_cbranch_execz .LBB926_209
.LBB926_264:
	v_sub_u32_e32 v10, v34, v7
	v_lshlrev_b32_e32 v10, 2, v10
	ds_write_b32 v10, v35
	s_or_b64 exec, exec, s[10:11]
	s_and_saveexec_b64 s[8:9], s[6:7]
	s_cbranch_execz .LBB926_210
.LBB926_265:
	v_sub_u32_e32 v10, v32, v7
	v_lshlrev_b32_e32 v10, 2, v10
	ds_write_b32 v10, v33
	s_or_b64 exec, exec, s[8:9]
	s_and_saveexec_b64 s[6:7], s[4:5]
	s_cbranch_execz .LBB926_211
.LBB926_266:
	v_sub_u32_e32 v10, v30, v7
	v_lshlrev_b32_e32 v10, 2, v10
	ds_write_b32 v10, v31
	s_or_b64 exec, exec, s[6:7]
	s_and_saveexec_b64 s[4:5], s[2:3]
	s_cbranch_execnz .LBB926_212
	s_branch .LBB926_213
	.section	.rodata,"a",@progbits
	.p2align	6, 0x0
	.amdhsa_kernel _ZN7rocprim17ROCPRIM_400000_NS6detail17trampoline_kernelINS0_14default_configENS1_33run_length_encode_config_selectorIN3c104HalfEjNS0_4plusIjEEEEZZNS1_33reduce_by_key_impl_wrapped_configILNS1_25lookback_scan_determinismE0ES3_S9_PKS6_NS0_17constant_iteratorIjlEEPS6_PlSH_S8_NS0_8equal_toIS6_EEEE10hipError_tPvRmT2_T3_mT4_T5_T6_T7_T8_P12ihipStream_tbENKUlT_T0_E_clISt17integral_constantIbLb0EES11_EEDaSW_SX_EUlSW_E_NS1_11comp_targetILNS1_3genE5ELNS1_11target_archE942ELNS1_3gpuE9ELNS1_3repE0EEENS1_30default_config_static_selectorELNS0_4arch9wavefront6targetE1EEEvT1_
		.amdhsa_group_segment_fixed_size 15360
		.amdhsa_private_segment_fixed_size 0
		.amdhsa_kernarg_size 128
		.amdhsa_user_sgpr_count 2
		.amdhsa_user_sgpr_dispatch_ptr 0
		.amdhsa_user_sgpr_queue_ptr 0
		.amdhsa_user_sgpr_kernarg_segment_ptr 1
		.amdhsa_user_sgpr_dispatch_id 0
		.amdhsa_user_sgpr_kernarg_preload_length 0
		.amdhsa_user_sgpr_kernarg_preload_offset 0
		.amdhsa_user_sgpr_private_segment_size 0
		.amdhsa_uses_dynamic_stack 0
		.amdhsa_enable_private_segment 0
		.amdhsa_system_sgpr_workgroup_id_x 1
		.amdhsa_system_sgpr_workgroup_id_y 0
		.amdhsa_system_sgpr_workgroup_id_z 0
		.amdhsa_system_sgpr_workgroup_info 0
		.amdhsa_system_vgpr_workitem_id 0
		.amdhsa_next_free_vgpr 108
		.amdhsa_next_free_sgpr 64
		.amdhsa_accum_offset 108
		.amdhsa_reserve_vcc 1
		.amdhsa_float_round_mode_32 0
		.amdhsa_float_round_mode_16_64 0
		.amdhsa_float_denorm_mode_32 3
		.amdhsa_float_denorm_mode_16_64 3
		.amdhsa_dx10_clamp 1
		.amdhsa_ieee_mode 1
		.amdhsa_fp16_overflow 0
		.amdhsa_tg_split 0
		.amdhsa_exception_fp_ieee_invalid_op 0
		.amdhsa_exception_fp_denorm_src 0
		.amdhsa_exception_fp_ieee_div_zero 0
		.amdhsa_exception_fp_ieee_overflow 0
		.amdhsa_exception_fp_ieee_underflow 0
		.amdhsa_exception_fp_ieee_inexact 0
		.amdhsa_exception_int_div_zero 0
	.end_amdhsa_kernel
	.section	.text._ZN7rocprim17ROCPRIM_400000_NS6detail17trampoline_kernelINS0_14default_configENS1_33run_length_encode_config_selectorIN3c104HalfEjNS0_4plusIjEEEEZZNS1_33reduce_by_key_impl_wrapped_configILNS1_25lookback_scan_determinismE0ES3_S9_PKS6_NS0_17constant_iteratorIjlEEPS6_PlSH_S8_NS0_8equal_toIS6_EEEE10hipError_tPvRmT2_T3_mT4_T5_T6_T7_T8_P12ihipStream_tbENKUlT_T0_E_clISt17integral_constantIbLb0EES11_EEDaSW_SX_EUlSW_E_NS1_11comp_targetILNS1_3genE5ELNS1_11target_archE942ELNS1_3gpuE9ELNS1_3repE0EEENS1_30default_config_static_selectorELNS0_4arch9wavefront6targetE1EEEvT1_,"axG",@progbits,_ZN7rocprim17ROCPRIM_400000_NS6detail17trampoline_kernelINS0_14default_configENS1_33run_length_encode_config_selectorIN3c104HalfEjNS0_4plusIjEEEEZZNS1_33reduce_by_key_impl_wrapped_configILNS1_25lookback_scan_determinismE0ES3_S9_PKS6_NS0_17constant_iteratorIjlEEPS6_PlSH_S8_NS0_8equal_toIS6_EEEE10hipError_tPvRmT2_T3_mT4_T5_T6_T7_T8_P12ihipStream_tbENKUlT_T0_E_clISt17integral_constantIbLb0EES11_EEDaSW_SX_EUlSW_E_NS1_11comp_targetILNS1_3genE5ELNS1_11target_archE942ELNS1_3gpuE9ELNS1_3repE0EEENS1_30default_config_static_selectorELNS0_4arch9wavefront6targetE1EEEvT1_,comdat
.Lfunc_end926:
	.size	_ZN7rocprim17ROCPRIM_400000_NS6detail17trampoline_kernelINS0_14default_configENS1_33run_length_encode_config_selectorIN3c104HalfEjNS0_4plusIjEEEEZZNS1_33reduce_by_key_impl_wrapped_configILNS1_25lookback_scan_determinismE0ES3_S9_PKS6_NS0_17constant_iteratorIjlEEPS6_PlSH_S8_NS0_8equal_toIS6_EEEE10hipError_tPvRmT2_T3_mT4_T5_T6_T7_T8_P12ihipStream_tbENKUlT_T0_E_clISt17integral_constantIbLb0EES11_EEDaSW_SX_EUlSW_E_NS1_11comp_targetILNS1_3genE5ELNS1_11target_archE942ELNS1_3gpuE9ELNS1_3repE0EEENS1_30default_config_static_selectorELNS0_4arch9wavefront6targetE1EEEvT1_, .Lfunc_end926-_ZN7rocprim17ROCPRIM_400000_NS6detail17trampoline_kernelINS0_14default_configENS1_33run_length_encode_config_selectorIN3c104HalfEjNS0_4plusIjEEEEZZNS1_33reduce_by_key_impl_wrapped_configILNS1_25lookback_scan_determinismE0ES3_S9_PKS6_NS0_17constant_iteratorIjlEEPS6_PlSH_S8_NS0_8equal_toIS6_EEEE10hipError_tPvRmT2_T3_mT4_T5_T6_T7_T8_P12ihipStream_tbENKUlT_T0_E_clISt17integral_constantIbLb0EES11_EEDaSW_SX_EUlSW_E_NS1_11comp_targetILNS1_3genE5ELNS1_11target_archE942ELNS1_3gpuE9ELNS1_3repE0EEENS1_30default_config_static_selectorELNS0_4arch9wavefront6targetE1EEEvT1_
                                        ; -- End function
	.section	.AMDGPU.csdata,"",@progbits
; Kernel info:
; codeLenInByte = 14960
; NumSgprs: 70
; NumVgprs: 108
; NumAgprs: 0
; TotalNumVgprs: 108
; ScratchSize: 0
; MemoryBound: 0
; FloatMode: 240
; IeeeMode: 1
; LDSByteSize: 15360 bytes/workgroup (compile time only)
; SGPRBlocks: 8
; VGPRBlocks: 13
; NumSGPRsForWavesPerEU: 70
; NumVGPRsForWavesPerEU: 108
; AccumOffset: 108
; Occupancy: 4
; WaveLimiterHint : 1
; COMPUTE_PGM_RSRC2:SCRATCH_EN: 0
; COMPUTE_PGM_RSRC2:USER_SGPR: 2
; COMPUTE_PGM_RSRC2:TRAP_HANDLER: 0
; COMPUTE_PGM_RSRC2:TGID_X_EN: 1
; COMPUTE_PGM_RSRC2:TGID_Y_EN: 0
; COMPUTE_PGM_RSRC2:TGID_Z_EN: 0
; COMPUTE_PGM_RSRC2:TIDIG_COMP_CNT: 0
; COMPUTE_PGM_RSRC3_GFX90A:ACCUM_OFFSET: 26
; COMPUTE_PGM_RSRC3_GFX90A:TG_SPLIT: 0
	.section	.text._ZN7rocprim17ROCPRIM_400000_NS6detail17trampoline_kernelINS0_14default_configENS1_33run_length_encode_config_selectorIN3c104HalfEjNS0_4plusIjEEEEZZNS1_33reduce_by_key_impl_wrapped_configILNS1_25lookback_scan_determinismE0ES3_S9_PKS6_NS0_17constant_iteratorIjlEEPS6_PlSH_S8_NS0_8equal_toIS6_EEEE10hipError_tPvRmT2_T3_mT4_T5_T6_T7_T8_P12ihipStream_tbENKUlT_T0_E_clISt17integral_constantIbLb0EES11_EEDaSW_SX_EUlSW_E_NS1_11comp_targetILNS1_3genE4ELNS1_11target_archE910ELNS1_3gpuE8ELNS1_3repE0EEENS1_30default_config_static_selectorELNS0_4arch9wavefront6targetE1EEEvT1_,"axG",@progbits,_ZN7rocprim17ROCPRIM_400000_NS6detail17trampoline_kernelINS0_14default_configENS1_33run_length_encode_config_selectorIN3c104HalfEjNS0_4plusIjEEEEZZNS1_33reduce_by_key_impl_wrapped_configILNS1_25lookback_scan_determinismE0ES3_S9_PKS6_NS0_17constant_iteratorIjlEEPS6_PlSH_S8_NS0_8equal_toIS6_EEEE10hipError_tPvRmT2_T3_mT4_T5_T6_T7_T8_P12ihipStream_tbENKUlT_T0_E_clISt17integral_constantIbLb0EES11_EEDaSW_SX_EUlSW_E_NS1_11comp_targetILNS1_3genE4ELNS1_11target_archE910ELNS1_3gpuE8ELNS1_3repE0EEENS1_30default_config_static_selectorELNS0_4arch9wavefront6targetE1EEEvT1_,comdat
	.protected	_ZN7rocprim17ROCPRIM_400000_NS6detail17trampoline_kernelINS0_14default_configENS1_33run_length_encode_config_selectorIN3c104HalfEjNS0_4plusIjEEEEZZNS1_33reduce_by_key_impl_wrapped_configILNS1_25lookback_scan_determinismE0ES3_S9_PKS6_NS0_17constant_iteratorIjlEEPS6_PlSH_S8_NS0_8equal_toIS6_EEEE10hipError_tPvRmT2_T3_mT4_T5_T6_T7_T8_P12ihipStream_tbENKUlT_T0_E_clISt17integral_constantIbLb0EES11_EEDaSW_SX_EUlSW_E_NS1_11comp_targetILNS1_3genE4ELNS1_11target_archE910ELNS1_3gpuE8ELNS1_3repE0EEENS1_30default_config_static_selectorELNS0_4arch9wavefront6targetE1EEEvT1_ ; -- Begin function _ZN7rocprim17ROCPRIM_400000_NS6detail17trampoline_kernelINS0_14default_configENS1_33run_length_encode_config_selectorIN3c104HalfEjNS0_4plusIjEEEEZZNS1_33reduce_by_key_impl_wrapped_configILNS1_25lookback_scan_determinismE0ES3_S9_PKS6_NS0_17constant_iteratorIjlEEPS6_PlSH_S8_NS0_8equal_toIS6_EEEE10hipError_tPvRmT2_T3_mT4_T5_T6_T7_T8_P12ihipStream_tbENKUlT_T0_E_clISt17integral_constantIbLb0EES11_EEDaSW_SX_EUlSW_E_NS1_11comp_targetILNS1_3genE4ELNS1_11target_archE910ELNS1_3gpuE8ELNS1_3repE0EEENS1_30default_config_static_selectorELNS0_4arch9wavefront6targetE1EEEvT1_
	.globl	_ZN7rocprim17ROCPRIM_400000_NS6detail17trampoline_kernelINS0_14default_configENS1_33run_length_encode_config_selectorIN3c104HalfEjNS0_4plusIjEEEEZZNS1_33reduce_by_key_impl_wrapped_configILNS1_25lookback_scan_determinismE0ES3_S9_PKS6_NS0_17constant_iteratorIjlEEPS6_PlSH_S8_NS0_8equal_toIS6_EEEE10hipError_tPvRmT2_T3_mT4_T5_T6_T7_T8_P12ihipStream_tbENKUlT_T0_E_clISt17integral_constantIbLb0EES11_EEDaSW_SX_EUlSW_E_NS1_11comp_targetILNS1_3genE4ELNS1_11target_archE910ELNS1_3gpuE8ELNS1_3repE0EEENS1_30default_config_static_selectorELNS0_4arch9wavefront6targetE1EEEvT1_
	.p2align	8
	.type	_ZN7rocprim17ROCPRIM_400000_NS6detail17trampoline_kernelINS0_14default_configENS1_33run_length_encode_config_selectorIN3c104HalfEjNS0_4plusIjEEEEZZNS1_33reduce_by_key_impl_wrapped_configILNS1_25lookback_scan_determinismE0ES3_S9_PKS6_NS0_17constant_iteratorIjlEEPS6_PlSH_S8_NS0_8equal_toIS6_EEEE10hipError_tPvRmT2_T3_mT4_T5_T6_T7_T8_P12ihipStream_tbENKUlT_T0_E_clISt17integral_constantIbLb0EES11_EEDaSW_SX_EUlSW_E_NS1_11comp_targetILNS1_3genE4ELNS1_11target_archE910ELNS1_3gpuE8ELNS1_3repE0EEENS1_30default_config_static_selectorELNS0_4arch9wavefront6targetE1EEEvT1_,@function
_ZN7rocprim17ROCPRIM_400000_NS6detail17trampoline_kernelINS0_14default_configENS1_33run_length_encode_config_selectorIN3c104HalfEjNS0_4plusIjEEEEZZNS1_33reduce_by_key_impl_wrapped_configILNS1_25lookback_scan_determinismE0ES3_S9_PKS6_NS0_17constant_iteratorIjlEEPS6_PlSH_S8_NS0_8equal_toIS6_EEEE10hipError_tPvRmT2_T3_mT4_T5_T6_T7_T8_P12ihipStream_tbENKUlT_T0_E_clISt17integral_constantIbLb0EES11_EEDaSW_SX_EUlSW_E_NS1_11comp_targetILNS1_3genE4ELNS1_11target_archE910ELNS1_3gpuE8ELNS1_3repE0EEENS1_30default_config_static_selectorELNS0_4arch9wavefront6targetE1EEEvT1_: ; @_ZN7rocprim17ROCPRIM_400000_NS6detail17trampoline_kernelINS0_14default_configENS1_33run_length_encode_config_selectorIN3c104HalfEjNS0_4plusIjEEEEZZNS1_33reduce_by_key_impl_wrapped_configILNS1_25lookback_scan_determinismE0ES3_S9_PKS6_NS0_17constant_iteratorIjlEEPS6_PlSH_S8_NS0_8equal_toIS6_EEEE10hipError_tPvRmT2_T3_mT4_T5_T6_T7_T8_P12ihipStream_tbENKUlT_T0_E_clISt17integral_constantIbLb0EES11_EEDaSW_SX_EUlSW_E_NS1_11comp_targetILNS1_3genE4ELNS1_11target_archE910ELNS1_3gpuE8ELNS1_3repE0EEENS1_30default_config_static_selectorELNS0_4arch9wavefront6targetE1EEEvT1_
; %bb.0:
	.section	.rodata,"a",@progbits
	.p2align	6, 0x0
	.amdhsa_kernel _ZN7rocprim17ROCPRIM_400000_NS6detail17trampoline_kernelINS0_14default_configENS1_33run_length_encode_config_selectorIN3c104HalfEjNS0_4plusIjEEEEZZNS1_33reduce_by_key_impl_wrapped_configILNS1_25lookback_scan_determinismE0ES3_S9_PKS6_NS0_17constant_iteratorIjlEEPS6_PlSH_S8_NS0_8equal_toIS6_EEEE10hipError_tPvRmT2_T3_mT4_T5_T6_T7_T8_P12ihipStream_tbENKUlT_T0_E_clISt17integral_constantIbLb0EES11_EEDaSW_SX_EUlSW_E_NS1_11comp_targetILNS1_3genE4ELNS1_11target_archE910ELNS1_3gpuE8ELNS1_3repE0EEENS1_30default_config_static_selectorELNS0_4arch9wavefront6targetE1EEEvT1_
		.amdhsa_group_segment_fixed_size 0
		.amdhsa_private_segment_fixed_size 0
		.amdhsa_kernarg_size 128
		.amdhsa_user_sgpr_count 2
		.amdhsa_user_sgpr_dispatch_ptr 0
		.amdhsa_user_sgpr_queue_ptr 0
		.amdhsa_user_sgpr_kernarg_segment_ptr 1
		.amdhsa_user_sgpr_dispatch_id 0
		.amdhsa_user_sgpr_kernarg_preload_length 0
		.amdhsa_user_sgpr_kernarg_preload_offset 0
		.amdhsa_user_sgpr_private_segment_size 0
		.amdhsa_uses_dynamic_stack 0
		.amdhsa_enable_private_segment 0
		.amdhsa_system_sgpr_workgroup_id_x 1
		.amdhsa_system_sgpr_workgroup_id_y 0
		.amdhsa_system_sgpr_workgroup_id_z 0
		.amdhsa_system_sgpr_workgroup_info 0
		.amdhsa_system_vgpr_workitem_id 0
		.amdhsa_next_free_vgpr 1
		.amdhsa_next_free_sgpr 0
		.amdhsa_accum_offset 4
		.amdhsa_reserve_vcc 0
		.amdhsa_float_round_mode_32 0
		.amdhsa_float_round_mode_16_64 0
		.amdhsa_float_denorm_mode_32 3
		.amdhsa_float_denorm_mode_16_64 3
		.amdhsa_dx10_clamp 1
		.amdhsa_ieee_mode 1
		.amdhsa_fp16_overflow 0
		.amdhsa_tg_split 0
		.amdhsa_exception_fp_ieee_invalid_op 0
		.amdhsa_exception_fp_denorm_src 0
		.amdhsa_exception_fp_ieee_div_zero 0
		.amdhsa_exception_fp_ieee_overflow 0
		.amdhsa_exception_fp_ieee_underflow 0
		.amdhsa_exception_fp_ieee_inexact 0
		.amdhsa_exception_int_div_zero 0
	.end_amdhsa_kernel
	.section	.text._ZN7rocprim17ROCPRIM_400000_NS6detail17trampoline_kernelINS0_14default_configENS1_33run_length_encode_config_selectorIN3c104HalfEjNS0_4plusIjEEEEZZNS1_33reduce_by_key_impl_wrapped_configILNS1_25lookback_scan_determinismE0ES3_S9_PKS6_NS0_17constant_iteratorIjlEEPS6_PlSH_S8_NS0_8equal_toIS6_EEEE10hipError_tPvRmT2_T3_mT4_T5_T6_T7_T8_P12ihipStream_tbENKUlT_T0_E_clISt17integral_constantIbLb0EES11_EEDaSW_SX_EUlSW_E_NS1_11comp_targetILNS1_3genE4ELNS1_11target_archE910ELNS1_3gpuE8ELNS1_3repE0EEENS1_30default_config_static_selectorELNS0_4arch9wavefront6targetE1EEEvT1_,"axG",@progbits,_ZN7rocprim17ROCPRIM_400000_NS6detail17trampoline_kernelINS0_14default_configENS1_33run_length_encode_config_selectorIN3c104HalfEjNS0_4plusIjEEEEZZNS1_33reduce_by_key_impl_wrapped_configILNS1_25lookback_scan_determinismE0ES3_S9_PKS6_NS0_17constant_iteratorIjlEEPS6_PlSH_S8_NS0_8equal_toIS6_EEEE10hipError_tPvRmT2_T3_mT4_T5_T6_T7_T8_P12ihipStream_tbENKUlT_T0_E_clISt17integral_constantIbLb0EES11_EEDaSW_SX_EUlSW_E_NS1_11comp_targetILNS1_3genE4ELNS1_11target_archE910ELNS1_3gpuE8ELNS1_3repE0EEENS1_30default_config_static_selectorELNS0_4arch9wavefront6targetE1EEEvT1_,comdat
.Lfunc_end927:
	.size	_ZN7rocprim17ROCPRIM_400000_NS6detail17trampoline_kernelINS0_14default_configENS1_33run_length_encode_config_selectorIN3c104HalfEjNS0_4plusIjEEEEZZNS1_33reduce_by_key_impl_wrapped_configILNS1_25lookback_scan_determinismE0ES3_S9_PKS6_NS0_17constant_iteratorIjlEEPS6_PlSH_S8_NS0_8equal_toIS6_EEEE10hipError_tPvRmT2_T3_mT4_T5_T6_T7_T8_P12ihipStream_tbENKUlT_T0_E_clISt17integral_constantIbLb0EES11_EEDaSW_SX_EUlSW_E_NS1_11comp_targetILNS1_3genE4ELNS1_11target_archE910ELNS1_3gpuE8ELNS1_3repE0EEENS1_30default_config_static_selectorELNS0_4arch9wavefront6targetE1EEEvT1_, .Lfunc_end927-_ZN7rocprim17ROCPRIM_400000_NS6detail17trampoline_kernelINS0_14default_configENS1_33run_length_encode_config_selectorIN3c104HalfEjNS0_4plusIjEEEEZZNS1_33reduce_by_key_impl_wrapped_configILNS1_25lookback_scan_determinismE0ES3_S9_PKS6_NS0_17constant_iteratorIjlEEPS6_PlSH_S8_NS0_8equal_toIS6_EEEE10hipError_tPvRmT2_T3_mT4_T5_T6_T7_T8_P12ihipStream_tbENKUlT_T0_E_clISt17integral_constantIbLb0EES11_EEDaSW_SX_EUlSW_E_NS1_11comp_targetILNS1_3genE4ELNS1_11target_archE910ELNS1_3gpuE8ELNS1_3repE0EEENS1_30default_config_static_selectorELNS0_4arch9wavefront6targetE1EEEvT1_
                                        ; -- End function
	.section	.AMDGPU.csdata,"",@progbits
; Kernel info:
; codeLenInByte = 0
; NumSgprs: 6
; NumVgprs: 0
; NumAgprs: 0
; TotalNumVgprs: 0
; ScratchSize: 0
; MemoryBound: 0
; FloatMode: 240
; IeeeMode: 1
; LDSByteSize: 0 bytes/workgroup (compile time only)
; SGPRBlocks: 0
; VGPRBlocks: 0
; NumSGPRsForWavesPerEU: 6
; NumVGPRsForWavesPerEU: 1
; AccumOffset: 4
; Occupancy: 8
; WaveLimiterHint : 0
; COMPUTE_PGM_RSRC2:SCRATCH_EN: 0
; COMPUTE_PGM_RSRC2:USER_SGPR: 2
; COMPUTE_PGM_RSRC2:TRAP_HANDLER: 0
; COMPUTE_PGM_RSRC2:TGID_X_EN: 1
; COMPUTE_PGM_RSRC2:TGID_Y_EN: 0
; COMPUTE_PGM_RSRC2:TGID_Z_EN: 0
; COMPUTE_PGM_RSRC2:TIDIG_COMP_CNT: 0
; COMPUTE_PGM_RSRC3_GFX90A:ACCUM_OFFSET: 0
; COMPUTE_PGM_RSRC3_GFX90A:TG_SPLIT: 0
	.section	.text._ZN7rocprim17ROCPRIM_400000_NS6detail17trampoline_kernelINS0_14default_configENS1_33run_length_encode_config_selectorIN3c104HalfEjNS0_4plusIjEEEEZZNS1_33reduce_by_key_impl_wrapped_configILNS1_25lookback_scan_determinismE0ES3_S9_PKS6_NS0_17constant_iteratorIjlEEPS6_PlSH_S8_NS0_8equal_toIS6_EEEE10hipError_tPvRmT2_T3_mT4_T5_T6_T7_T8_P12ihipStream_tbENKUlT_T0_E_clISt17integral_constantIbLb0EES11_EEDaSW_SX_EUlSW_E_NS1_11comp_targetILNS1_3genE3ELNS1_11target_archE908ELNS1_3gpuE7ELNS1_3repE0EEENS1_30default_config_static_selectorELNS0_4arch9wavefront6targetE1EEEvT1_,"axG",@progbits,_ZN7rocprim17ROCPRIM_400000_NS6detail17trampoline_kernelINS0_14default_configENS1_33run_length_encode_config_selectorIN3c104HalfEjNS0_4plusIjEEEEZZNS1_33reduce_by_key_impl_wrapped_configILNS1_25lookback_scan_determinismE0ES3_S9_PKS6_NS0_17constant_iteratorIjlEEPS6_PlSH_S8_NS0_8equal_toIS6_EEEE10hipError_tPvRmT2_T3_mT4_T5_T6_T7_T8_P12ihipStream_tbENKUlT_T0_E_clISt17integral_constantIbLb0EES11_EEDaSW_SX_EUlSW_E_NS1_11comp_targetILNS1_3genE3ELNS1_11target_archE908ELNS1_3gpuE7ELNS1_3repE0EEENS1_30default_config_static_selectorELNS0_4arch9wavefront6targetE1EEEvT1_,comdat
	.protected	_ZN7rocprim17ROCPRIM_400000_NS6detail17trampoline_kernelINS0_14default_configENS1_33run_length_encode_config_selectorIN3c104HalfEjNS0_4plusIjEEEEZZNS1_33reduce_by_key_impl_wrapped_configILNS1_25lookback_scan_determinismE0ES3_S9_PKS6_NS0_17constant_iteratorIjlEEPS6_PlSH_S8_NS0_8equal_toIS6_EEEE10hipError_tPvRmT2_T3_mT4_T5_T6_T7_T8_P12ihipStream_tbENKUlT_T0_E_clISt17integral_constantIbLb0EES11_EEDaSW_SX_EUlSW_E_NS1_11comp_targetILNS1_3genE3ELNS1_11target_archE908ELNS1_3gpuE7ELNS1_3repE0EEENS1_30default_config_static_selectorELNS0_4arch9wavefront6targetE1EEEvT1_ ; -- Begin function _ZN7rocprim17ROCPRIM_400000_NS6detail17trampoline_kernelINS0_14default_configENS1_33run_length_encode_config_selectorIN3c104HalfEjNS0_4plusIjEEEEZZNS1_33reduce_by_key_impl_wrapped_configILNS1_25lookback_scan_determinismE0ES3_S9_PKS6_NS0_17constant_iteratorIjlEEPS6_PlSH_S8_NS0_8equal_toIS6_EEEE10hipError_tPvRmT2_T3_mT4_T5_T6_T7_T8_P12ihipStream_tbENKUlT_T0_E_clISt17integral_constantIbLb0EES11_EEDaSW_SX_EUlSW_E_NS1_11comp_targetILNS1_3genE3ELNS1_11target_archE908ELNS1_3gpuE7ELNS1_3repE0EEENS1_30default_config_static_selectorELNS0_4arch9wavefront6targetE1EEEvT1_
	.globl	_ZN7rocprim17ROCPRIM_400000_NS6detail17trampoline_kernelINS0_14default_configENS1_33run_length_encode_config_selectorIN3c104HalfEjNS0_4plusIjEEEEZZNS1_33reduce_by_key_impl_wrapped_configILNS1_25lookback_scan_determinismE0ES3_S9_PKS6_NS0_17constant_iteratorIjlEEPS6_PlSH_S8_NS0_8equal_toIS6_EEEE10hipError_tPvRmT2_T3_mT4_T5_T6_T7_T8_P12ihipStream_tbENKUlT_T0_E_clISt17integral_constantIbLb0EES11_EEDaSW_SX_EUlSW_E_NS1_11comp_targetILNS1_3genE3ELNS1_11target_archE908ELNS1_3gpuE7ELNS1_3repE0EEENS1_30default_config_static_selectorELNS0_4arch9wavefront6targetE1EEEvT1_
	.p2align	8
	.type	_ZN7rocprim17ROCPRIM_400000_NS6detail17trampoline_kernelINS0_14default_configENS1_33run_length_encode_config_selectorIN3c104HalfEjNS0_4plusIjEEEEZZNS1_33reduce_by_key_impl_wrapped_configILNS1_25lookback_scan_determinismE0ES3_S9_PKS6_NS0_17constant_iteratorIjlEEPS6_PlSH_S8_NS0_8equal_toIS6_EEEE10hipError_tPvRmT2_T3_mT4_T5_T6_T7_T8_P12ihipStream_tbENKUlT_T0_E_clISt17integral_constantIbLb0EES11_EEDaSW_SX_EUlSW_E_NS1_11comp_targetILNS1_3genE3ELNS1_11target_archE908ELNS1_3gpuE7ELNS1_3repE0EEENS1_30default_config_static_selectorELNS0_4arch9wavefront6targetE1EEEvT1_,@function
_ZN7rocprim17ROCPRIM_400000_NS6detail17trampoline_kernelINS0_14default_configENS1_33run_length_encode_config_selectorIN3c104HalfEjNS0_4plusIjEEEEZZNS1_33reduce_by_key_impl_wrapped_configILNS1_25lookback_scan_determinismE0ES3_S9_PKS6_NS0_17constant_iteratorIjlEEPS6_PlSH_S8_NS0_8equal_toIS6_EEEE10hipError_tPvRmT2_T3_mT4_T5_T6_T7_T8_P12ihipStream_tbENKUlT_T0_E_clISt17integral_constantIbLb0EES11_EEDaSW_SX_EUlSW_E_NS1_11comp_targetILNS1_3genE3ELNS1_11target_archE908ELNS1_3gpuE7ELNS1_3repE0EEENS1_30default_config_static_selectorELNS0_4arch9wavefront6targetE1EEEvT1_: ; @_ZN7rocprim17ROCPRIM_400000_NS6detail17trampoline_kernelINS0_14default_configENS1_33run_length_encode_config_selectorIN3c104HalfEjNS0_4plusIjEEEEZZNS1_33reduce_by_key_impl_wrapped_configILNS1_25lookback_scan_determinismE0ES3_S9_PKS6_NS0_17constant_iteratorIjlEEPS6_PlSH_S8_NS0_8equal_toIS6_EEEE10hipError_tPvRmT2_T3_mT4_T5_T6_T7_T8_P12ihipStream_tbENKUlT_T0_E_clISt17integral_constantIbLb0EES11_EEDaSW_SX_EUlSW_E_NS1_11comp_targetILNS1_3genE3ELNS1_11target_archE908ELNS1_3gpuE7ELNS1_3repE0EEENS1_30default_config_static_selectorELNS0_4arch9wavefront6targetE1EEEvT1_
; %bb.0:
	.section	.rodata,"a",@progbits
	.p2align	6, 0x0
	.amdhsa_kernel _ZN7rocprim17ROCPRIM_400000_NS6detail17trampoline_kernelINS0_14default_configENS1_33run_length_encode_config_selectorIN3c104HalfEjNS0_4plusIjEEEEZZNS1_33reduce_by_key_impl_wrapped_configILNS1_25lookback_scan_determinismE0ES3_S9_PKS6_NS0_17constant_iteratorIjlEEPS6_PlSH_S8_NS0_8equal_toIS6_EEEE10hipError_tPvRmT2_T3_mT4_T5_T6_T7_T8_P12ihipStream_tbENKUlT_T0_E_clISt17integral_constantIbLb0EES11_EEDaSW_SX_EUlSW_E_NS1_11comp_targetILNS1_3genE3ELNS1_11target_archE908ELNS1_3gpuE7ELNS1_3repE0EEENS1_30default_config_static_selectorELNS0_4arch9wavefront6targetE1EEEvT1_
		.amdhsa_group_segment_fixed_size 0
		.amdhsa_private_segment_fixed_size 0
		.amdhsa_kernarg_size 128
		.amdhsa_user_sgpr_count 2
		.amdhsa_user_sgpr_dispatch_ptr 0
		.amdhsa_user_sgpr_queue_ptr 0
		.amdhsa_user_sgpr_kernarg_segment_ptr 1
		.amdhsa_user_sgpr_dispatch_id 0
		.amdhsa_user_sgpr_kernarg_preload_length 0
		.amdhsa_user_sgpr_kernarg_preload_offset 0
		.amdhsa_user_sgpr_private_segment_size 0
		.amdhsa_uses_dynamic_stack 0
		.amdhsa_enable_private_segment 0
		.amdhsa_system_sgpr_workgroup_id_x 1
		.amdhsa_system_sgpr_workgroup_id_y 0
		.amdhsa_system_sgpr_workgroup_id_z 0
		.amdhsa_system_sgpr_workgroup_info 0
		.amdhsa_system_vgpr_workitem_id 0
		.amdhsa_next_free_vgpr 1
		.amdhsa_next_free_sgpr 0
		.amdhsa_accum_offset 4
		.amdhsa_reserve_vcc 0
		.amdhsa_float_round_mode_32 0
		.amdhsa_float_round_mode_16_64 0
		.amdhsa_float_denorm_mode_32 3
		.amdhsa_float_denorm_mode_16_64 3
		.amdhsa_dx10_clamp 1
		.amdhsa_ieee_mode 1
		.amdhsa_fp16_overflow 0
		.amdhsa_tg_split 0
		.amdhsa_exception_fp_ieee_invalid_op 0
		.amdhsa_exception_fp_denorm_src 0
		.amdhsa_exception_fp_ieee_div_zero 0
		.amdhsa_exception_fp_ieee_overflow 0
		.amdhsa_exception_fp_ieee_underflow 0
		.amdhsa_exception_fp_ieee_inexact 0
		.amdhsa_exception_int_div_zero 0
	.end_amdhsa_kernel
	.section	.text._ZN7rocprim17ROCPRIM_400000_NS6detail17trampoline_kernelINS0_14default_configENS1_33run_length_encode_config_selectorIN3c104HalfEjNS0_4plusIjEEEEZZNS1_33reduce_by_key_impl_wrapped_configILNS1_25lookback_scan_determinismE0ES3_S9_PKS6_NS0_17constant_iteratorIjlEEPS6_PlSH_S8_NS0_8equal_toIS6_EEEE10hipError_tPvRmT2_T3_mT4_T5_T6_T7_T8_P12ihipStream_tbENKUlT_T0_E_clISt17integral_constantIbLb0EES11_EEDaSW_SX_EUlSW_E_NS1_11comp_targetILNS1_3genE3ELNS1_11target_archE908ELNS1_3gpuE7ELNS1_3repE0EEENS1_30default_config_static_selectorELNS0_4arch9wavefront6targetE1EEEvT1_,"axG",@progbits,_ZN7rocprim17ROCPRIM_400000_NS6detail17trampoline_kernelINS0_14default_configENS1_33run_length_encode_config_selectorIN3c104HalfEjNS0_4plusIjEEEEZZNS1_33reduce_by_key_impl_wrapped_configILNS1_25lookback_scan_determinismE0ES3_S9_PKS6_NS0_17constant_iteratorIjlEEPS6_PlSH_S8_NS0_8equal_toIS6_EEEE10hipError_tPvRmT2_T3_mT4_T5_T6_T7_T8_P12ihipStream_tbENKUlT_T0_E_clISt17integral_constantIbLb0EES11_EEDaSW_SX_EUlSW_E_NS1_11comp_targetILNS1_3genE3ELNS1_11target_archE908ELNS1_3gpuE7ELNS1_3repE0EEENS1_30default_config_static_selectorELNS0_4arch9wavefront6targetE1EEEvT1_,comdat
.Lfunc_end928:
	.size	_ZN7rocprim17ROCPRIM_400000_NS6detail17trampoline_kernelINS0_14default_configENS1_33run_length_encode_config_selectorIN3c104HalfEjNS0_4plusIjEEEEZZNS1_33reduce_by_key_impl_wrapped_configILNS1_25lookback_scan_determinismE0ES3_S9_PKS6_NS0_17constant_iteratorIjlEEPS6_PlSH_S8_NS0_8equal_toIS6_EEEE10hipError_tPvRmT2_T3_mT4_T5_T6_T7_T8_P12ihipStream_tbENKUlT_T0_E_clISt17integral_constantIbLb0EES11_EEDaSW_SX_EUlSW_E_NS1_11comp_targetILNS1_3genE3ELNS1_11target_archE908ELNS1_3gpuE7ELNS1_3repE0EEENS1_30default_config_static_selectorELNS0_4arch9wavefront6targetE1EEEvT1_, .Lfunc_end928-_ZN7rocprim17ROCPRIM_400000_NS6detail17trampoline_kernelINS0_14default_configENS1_33run_length_encode_config_selectorIN3c104HalfEjNS0_4plusIjEEEEZZNS1_33reduce_by_key_impl_wrapped_configILNS1_25lookback_scan_determinismE0ES3_S9_PKS6_NS0_17constant_iteratorIjlEEPS6_PlSH_S8_NS0_8equal_toIS6_EEEE10hipError_tPvRmT2_T3_mT4_T5_T6_T7_T8_P12ihipStream_tbENKUlT_T0_E_clISt17integral_constantIbLb0EES11_EEDaSW_SX_EUlSW_E_NS1_11comp_targetILNS1_3genE3ELNS1_11target_archE908ELNS1_3gpuE7ELNS1_3repE0EEENS1_30default_config_static_selectorELNS0_4arch9wavefront6targetE1EEEvT1_
                                        ; -- End function
	.section	.AMDGPU.csdata,"",@progbits
; Kernel info:
; codeLenInByte = 0
; NumSgprs: 6
; NumVgprs: 0
; NumAgprs: 0
; TotalNumVgprs: 0
; ScratchSize: 0
; MemoryBound: 0
; FloatMode: 240
; IeeeMode: 1
; LDSByteSize: 0 bytes/workgroup (compile time only)
; SGPRBlocks: 0
; VGPRBlocks: 0
; NumSGPRsForWavesPerEU: 6
; NumVGPRsForWavesPerEU: 1
; AccumOffset: 4
; Occupancy: 8
; WaveLimiterHint : 0
; COMPUTE_PGM_RSRC2:SCRATCH_EN: 0
; COMPUTE_PGM_RSRC2:USER_SGPR: 2
; COMPUTE_PGM_RSRC2:TRAP_HANDLER: 0
; COMPUTE_PGM_RSRC2:TGID_X_EN: 1
; COMPUTE_PGM_RSRC2:TGID_Y_EN: 0
; COMPUTE_PGM_RSRC2:TGID_Z_EN: 0
; COMPUTE_PGM_RSRC2:TIDIG_COMP_CNT: 0
; COMPUTE_PGM_RSRC3_GFX90A:ACCUM_OFFSET: 0
; COMPUTE_PGM_RSRC3_GFX90A:TG_SPLIT: 0
	.section	.text._ZN7rocprim17ROCPRIM_400000_NS6detail17trampoline_kernelINS0_14default_configENS1_33run_length_encode_config_selectorIN3c104HalfEjNS0_4plusIjEEEEZZNS1_33reduce_by_key_impl_wrapped_configILNS1_25lookback_scan_determinismE0ES3_S9_PKS6_NS0_17constant_iteratorIjlEEPS6_PlSH_S8_NS0_8equal_toIS6_EEEE10hipError_tPvRmT2_T3_mT4_T5_T6_T7_T8_P12ihipStream_tbENKUlT_T0_E_clISt17integral_constantIbLb0EES11_EEDaSW_SX_EUlSW_E_NS1_11comp_targetILNS1_3genE2ELNS1_11target_archE906ELNS1_3gpuE6ELNS1_3repE0EEENS1_30default_config_static_selectorELNS0_4arch9wavefront6targetE1EEEvT1_,"axG",@progbits,_ZN7rocprim17ROCPRIM_400000_NS6detail17trampoline_kernelINS0_14default_configENS1_33run_length_encode_config_selectorIN3c104HalfEjNS0_4plusIjEEEEZZNS1_33reduce_by_key_impl_wrapped_configILNS1_25lookback_scan_determinismE0ES3_S9_PKS6_NS0_17constant_iteratorIjlEEPS6_PlSH_S8_NS0_8equal_toIS6_EEEE10hipError_tPvRmT2_T3_mT4_T5_T6_T7_T8_P12ihipStream_tbENKUlT_T0_E_clISt17integral_constantIbLb0EES11_EEDaSW_SX_EUlSW_E_NS1_11comp_targetILNS1_3genE2ELNS1_11target_archE906ELNS1_3gpuE6ELNS1_3repE0EEENS1_30default_config_static_selectorELNS0_4arch9wavefront6targetE1EEEvT1_,comdat
	.protected	_ZN7rocprim17ROCPRIM_400000_NS6detail17trampoline_kernelINS0_14default_configENS1_33run_length_encode_config_selectorIN3c104HalfEjNS0_4plusIjEEEEZZNS1_33reduce_by_key_impl_wrapped_configILNS1_25lookback_scan_determinismE0ES3_S9_PKS6_NS0_17constant_iteratorIjlEEPS6_PlSH_S8_NS0_8equal_toIS6_EEEE10hipError_tPvRmT2_T3_mT4_T5_T6_T7_T8_P12ihipStream_tbENKUlT_T0_E_clISt17integral_constantIbLb0EES11_EEDaSW_SX_EUlSW_E_NS1_11comp_targetILNS1_3genE2ELNS1_11target_archE906ELNS1_3gpuE6ELNS1_3repE0EEENS1_30default_config_static_selectorELNS0_4arch9wavefront6targetE1EEEvT1_ ; -- Begin function _ZN7rocprim17ROCPRIM_400000_NS6detail17trampoline_kernelINS0_14default_configENS1_33run_length_encode_config_selectorIN3c104HalfEjNS0_4plusIjEEEEZZNS1_33reduce_by_key_impl_wrapped_configILNS1_25lookback_scan_determinismE0ES3_S9_PKS6_NS0_17constant_iteratorIjlEEPS6_PlSH_S8_NS0_8equal_toIS6_EEEE10hipError_tPvRmT2_T3_mT4_T5_T6_T7_T8_P12ihipStream_tbENKUlT_T0_E_clISt17integral_constantIbLb0EES11_EEDaSW_SX_EUlSW_E_NS1_11comp_targetILNS1_3genE2ELNS1_11target_archE906ELNS1_3gpuE6ELNS1_3repE0EEENS1_30default_config_static_selectorELNS0_4arch9wavefront6targetE1EEEvT1_
	.globl	_ZN7rocprim17ROCPRIM_400000_NS6detail17trampoline_kernelINS0_14default_configENS1_33run_length_encode_config_selectorIN3c104HalfEjNS0_4plusIjEEEEZZNS1_33reduce_by_key_impl_wrapped_configILNS1_25lookback_scan_determinismE0ES3_S9_PKS6_NS0_17constant_iteratorIjlEEPS6_PlSH_S8_NS0_8equal_toIS6_EEEE10hipError_tPvRmT2_T3_mT4_T5_T6_T7_T8_P12ihipStream_tbENKUlT_T0_E_clISt17integral_constantIbLb0EES11_EEDaSW_SX_EUlSW_E_NS1_11comp_targetILNS1_3genE2ELNS1_11target_archE906ELNS1_3gpuE6ELNS1_3repE0EEENS1_30default_config_static_selectorELNS0_4arch9wavefront6targetE1EEEvT1_
	.p2align	8
	.type	_ZN7rocprim17ROCPRIM_400000_NS6detail17trampoline_kernelINS0_14default_configENS1_33run_length_encode_config_selectorIN3c104HalfEjNS0_4plusIjEEEEZZNS1_33reduce_by_key_impl_wrapped_configILNS1_25lookback_scan_determinismE0ES3_S9_PKS6_NS0_17constant_iteratorIjlEEPS6_PlSH_S8_NS0_8equal_toIS6_EEEE10hipError_tPvRmT2_T3_mT4_T5_T6_T7_T8_P12ihipStream_tbENKUlT_T0_E_clISt17integral_constantIbLb0EES11_EEDaSW_SX_EUlSW_E_NS1_11comp_targetILNS1_3genE2ELNS1_11target_archE906ELNS1_3gpuE6ELNS1_3repE0EEENS1_30default_config_static_selectorELNS0_4arch9wavefront6targetE1EEEvT1_,@function
_ZN7rocprim17ROCPRIM_400000_NS6detail17trampoline_kernelINS0_14default_configENS1_33run_length_encode_config_selectorIN3c104HalfEjNS0_4plusIjEEEEZZNS1_33reduce_by_key_impl_wrapped_configILNS1_25lookback_scan_determinismE0ES3_S9_PKS6_NS0_17constant_iteratorIjlEEPS6_PlSH_S8_NS0_8equal_toIS6_EEEE10hipError_tPvRmT2_T3_mT4_T5_T6_T7_T8_P12ihipStream_tbENKUlT_T0_E_clISt17integral_constantIbLb0EES11_EEDaSW_SX_EUlSW_E_NS1_11comp_targetILNS1_3genE2ELNS1_11target_archE906ELNS1_3gpuE6ELNS1_3repE0EEENS1_30default_config_static_selectorELNS0_4arch9wavefront6targetE1EEEvT1_: ; @_ZN7rocprim17ROCPRIM_400000_NS6detail17trampoline_kernelINS0_14default_configENS1_33run_length_encode_config_selectorIN3c104HalfEjNS0_4plusIjEEEEZZNS1_33reduce_by_key_impl_wrapped_configILNS1_25lookback_scan_determinismE0ES3_S9_PKS6_NS0_17constant_iteratorIjlEEPS6_PlSH_S8_NS0_8equal_toIS6_EEEE10hipError_tPvRmT2_T3_mT4_T5_T6_T7_T8_P12ihipStream_tbENKUlT_T0_E_clISt17integral_constantIbLb0EES11_EEDaSW_SX_EUlSW_E_NS1_11comp_targetILNS1_3genE2ELNS1_11target_archE906ELNS1_3gpuE6ELNS1_3repE0EEENS1_30default_config_static_selectorELNS0_4arch9wavefront6targetE1EEEvT1_
; %bb.0:
	.section	.rodata,"a",@progbits
	.p2align	6, 0x0
	.amdhsa_kernel _ZN7rocprim17ROCPRIM_400000_NS6detail17trampoline_kernelINS0_14default_configENS1_33run_length_encode_config_selectorIN3c104HalfEjNS0_4plusIjEEEEZZNS1_33reduce_by_key_impl_wrapped_configILNS1_25lookback_scan_determinismE0ES3_S9_PKS6_NS0_17constant_iteratorIjlEEPS6_PlSH_S8_NS0_8equal_toIS6_EEEE10hipError_tPvRmT2_T3_mT4_T5_T6_T7_T8_P12ihipStream_tbENKUlT_T0_E_clISt17integral_constantIbLb0EES11_EEDaSW_SX_EUlSW_E_NS1_11comp_targetILNS1_3genE2ELNS1_11target_archE906ELNS1_3gpuE6ELNS1_3repE0EEENS1_30default_config_static_selectorELNS0_4arch9wavefront6targetE1EEEvT1_
		.amdhsa_group_segment_fixed_size 0
		.amdhsa_private_segment_fixed_size 0
		.amdhsa_kernarg_size 128
		.amdhsa_user_sgpr_count 2
		.amdhsa_user_sgpr_dispatch_ptr 0
		.amdhsa_user_sgpr_queue_ptr 0
		.amdhsa_user_sgpr_kernarg_segment_ptr 1
		.amdhsa_user_sgpr_dispatch_id 0
		.amdhsa_user_sgpr_kernarg_preload_length 0
		.amdhsa_user_sgpr_kernarg_preload_offset 0
		.amdhsa_user_sgpr_private_segment_size 0
		.amdhsa_uses_dynamic_stack 0
		.amdhsa_enable_private_segment 0
		.amdhsa_system_sgpr_workgroup_id_x 1
		.amdhsa_system_sgpr_workgroup_id_y 0
		.amdhsa_system_sgpr_workgroup_id_z 0
		.amdhsa_system_sgpr_workgroup_info 0
		.amdhsa_system_vgpr_workitem_id 0
		.amdhsa_next_free_vgpr 1
		.amdhsa_next_free_sgpr 0
		.amdhsa_accum_offset 4
		.amdhsa_reserve_vcc 0
		.amdhsa_float_round_mode_32 0
		.amdhsa_float_round_mode_16_64 0
		.amdhsa_float_denorm_mode_32 3
		.amdhsa_float_denorm_mode_16_64 3
		.amdhsa_dx10_clamp 1
		.amdhsa_ieee_mode 1
		.amdhsa_fp16_overflow 0
		.amdhsa_tg_split 0
		.amdhsa_exception_fp_ieee_invalid_op 0
		.amdhsa_exception_fp_denorm_src 0
		.amdhsa_exception_fp_ieee_div_zero 0
		.amdhsa_exception_fp_ieee_overflow 0
		.amdhsa_exception_fp_ieee_underflow 0
		.amdhsa_exception_fp_ieee_inexact 0
		.amdhsa_exception_int_div_zero 0
	.end_amdhsa_kernel
	.section	.text._ZN7rocprim17ROCPRIM_400000_NS6detail17trampoline_kernelINS0_14default_configENS1_33run_length_encode_config_selectorIN3c104HalfEjNS0_4plusIjEEEEZZNS1_33reduce_by_key_impl_wrapped_configILNS1_25lookback_scan_determinismE0ES3_S9_PKS6_NS0_17constant_iteratorIjlEEPS6_PlSH_S8_NS0_8equal_toIS6_EEEE10hipError_tPvRmT2_T3_mT4_T5_T6_T7_T8_P12ihipStream_tbENKUlT_T0_E_clISt17integral_constantIbLb0EES11_EEDaSW_SX_EUlSW_E_NS1_11comp_targetILNS1_3genE2ELNS1_11target_archE906ELNS1_3gpuE6ELNS1_3repE0EEENS1_30default_config_static_selectorELNS0_4arch9wavefront6targetE1EEEvT1_,"axG",@progbits,_ZN7rocprim17ROCPRIM_400000_NS6detail17trampoline_kernelINS0_14default_configENS1_33run_length_encode_config_selectorIN3c104HalfEjNS0_4plusIjEEEEZZNS1_33reduce_by_key_impl_wrapped_configILNS1_25lookback_scan_determinismE0ES3_S9_PKS6_NS0_17constant_iteratorIjlEEPS6_PlSH_S8_NS0_8equal_toIS6_EEEE10hipError_tPvRmT2_T3_mT4_T5_T6_T7_T8_P12ihipStream_tbENKUlT_T0_E_clISt17integral_constantIbLb0EES11_EEDaSW_SX_EUlSW_E_NS1_11comp_targetILNS1_3genE2ELNS1_11target_archE906ELNS1_3gpuE6ELNS1_3repE0EEENS1_30default_config_static_selectorELNS0_4arch9wavefront6targetE1EEEvT1_,comdat
.Lfunc_end929:
	.size	_ZN7rocprim17ROCPRIM_400000_NS6detail17trampoline_kernelINS0_14default_configENS1_33run_length_encode_config_selectorIN3c104HalfEjNS0_4plusIjEEEEZZNS1_33reduce_by_key_impl_wrapped_configILNS1_25lookback_scan_determinismE0ES3_S9_PKS6_NS0_17constant_iteratorIjlEEPS6_PlSH_S8_NS0_8equal_toIS6_EEEE10hipError_tPvRmT2_T3_mT4_T5_T6_T7_T8_P12ihipStream_tbENKUlT_T0_E_clISt17integral_constantIbLb0EES11_EEDaSW_SX_EUlSW_E_NS1_11comp_targetILNS1_3genE2ELNS1_11target_archE906ELNS1_3gpuE6ELNS1_3repE0EEENS1_30default_config_static_selectorELNS0_4arch9wavefront6targetE1EEEvT1_, .Lfunc_end929-_ZN7rocprim17ROCPRIM_400000_NS6detail17trampoline_kernelINS0_14default_configENS1_33run_length_encode_config_selectorIN3c104HalfEjNS0_4plusIjEEEEZZNS1_33reduce_by_key_impl_wrapped_configILNS1_25lookback_scan_determinismE0ES3_S9_PKS6_NS0_17constant_iteratorIjlEEPS6_PlSH_S8_NS0_8equal_toIS6_EEEE10hipError_tPvRmT2_T3_mT4_T5_T6_T7_T8_P12ihipStream_tbENKUlT_T0_E_clISt17integral_constantIbLb0EES11_EEDaSW_SX_EUlSW_E_NS1_11comp_targetILNS1_3genE2ELNS1_11target_archE906ELNS1_3gpuE6ELNS1_3repE0EEENS1_30default_config_static_selectorELNS0_4arch9wavefront6targetE1EEEvT1_
                                        ; -- End function
	.section	.AMDGPU.csdata,"",@progbits
; Kernel info:
; codeLenInByte = 0
; NumSgprs: 6
; NumVgprs: 0
; NumAgprs: 0
; TotalNumVgprs: 0
; ScratchSize: 0
; MemoryBound: 0
; FloatMode: 240
; IeeeMode: 1
; LDSByteSize: 0 bytes/workgroup (compile time only)
; SGPRBlocks: 0
; VGPRBlocks: 0
; NumSGPRsForWavesPerEU: 6
; NumVGPRsForWavesPerEU: 1
; AccumOffset: 4
; Occupancy: 8
; WaveLimiterHint : 0
; COMPUTE_PGM_RSRC2:SCRATCH_EN: 0
; COMPUTE_PGM_RSRC2:USER_SGPR: 2
; COMPUTE_PGM_RSRC2:TRAP_HANDLER: 0
; COMPUTE_PGM_RSRC2:TGID_X_EN: 1
; COMPUTE_PGM_RSRC2:TGID_Y_EN: 0
; COMPUTE_PGM_RSRC2:TGID_Z_EN: 0
; COMPUTE_PGM_RSRC2:TIDIG_COMP_CNT: 0
; COMPUTE_PGM_RSRC3_GFX90A:ACCUM_OFFSET: 0
; COMPUTE_PGM_RSRC3_GFX90A:TG_SPLIT: 0
	.section	.text._ZN7rocprim17ROCPRIM_400000_NS6detail17trampoline_kernelINS0_14default_configENS1_33run_length_encode_config_selectorIN3c104HalfEjNS0_4plusIjEEEEZZNS1_33reduce_by_key_impl_wrapped_configILNS1_25lookback_scan_determinismE0ES3_S9_PKS6_NS0_17constant_iteratorIjlEEPS6_PlSH_S8_NS0_8equal_toIS6_EEEE10hipError_tPvRmT2_T3_mT4_T5_T6_T7_T8_P12ihipStream_tbENKUlT_T0_E_clISt17integral_constantIbLb0EES11_EEDaSW_SX_EUlSW_E_NS1_11comp_targetILNS1_3genE10ELNS1_11target_archE1201ELNS1_3gpuE5ELNS1_3repE0EEENS1_30default_config_static_selectorELNS0_4arch9wavefront6targetE1EEEvT1_,"axG",@progbits,_ZN7rocprim17ROCPRIM_400000_NS6detail17trampoline_kernelINS0_14default_configENS1_33run_length_encode_config_selectorIN3c104HalfEjNS0_4plusIjEEEEZZNS1_33reduce_by_key_impl_wrapped_configILNS1_25lookback_scan_determinismE0ES3_S9_PKS6_NS0_17constant_iteratorIjlEEPS6_PlSH_S8_NS0_8equal_toIS6_EEEE10hipError_tPvRmT2_T3_mT4_T5_T6_T7_T8_P12ihipStream_tbENKUlT_T0_E_clISt17integral_constantIbLb0EES11_EEDaSW_SX_EUlSW_E_NS1_11comp_targetILNS1_3genE10ELNS1_11target_archE1201ELNS1_3gpuE5ELNS1_3repE0EEENS1_30default_config_static_selectorELNS0_4arch9wavefront6targetE1EEEvT1_,comdat
	.protected	_ZN7rocprim17ROCPRIM_400000_NS6detail17trampoline_kernelINS0_14default_configENS1_33run_length_encode_config_selectorIN3c104HalfEjNS0_4plusIjEEEEZZNS1_33reduce_by_key_impl_wrapped_configILNS1_25lookback_scan_determinismE0ES3_S9_PKS6_NS0_17constant_iteratorIjlEEPS6_PlSH_S8_NS0_8equal_toIS6_EEEE10hipError_tPvRmT2_T3_mT4_T5_T6_T7_T8_P12ihipStream_tbENKUlT_T0_E_clISt17integral_constantIbLb0EES11_EEDaSW_SX_EUlSW_E_NS1_11comp_targetILNS1_3genE10ELNS1_11target_archE1201ELNS1_3gpuE5ELNS1_3repE0EEENS1_30default_config_static_selectorELNS0_4arch9wavefront6targetE1EEEvT1_ ; -- Begin function _ZN7rocprim17ROCPRIM_400000_NS6detail17trampoline_kernelINS0_14default_configENS1_33run_length_encode_config_selectorIN3c104HalfEjNS0_4plusIjEEEEZZNS1_33reduce_by_key_impl_wrapped_configILNS1_25lookback_scan_determinismE0ES3_S9_PKS6_NS0_17constant_iteratorIjlEEPS6_PlSH_S8_NS0_8equal_toIS6_EEEE10hipError_tPvRmT2_T3_mT4_T5_T6_T7_T8_P12ihipStream_tbENKUlT_T0_E_clISt17integral_constantIbLb0EES11_EEDaSW_SX_EUlSW_E_NS1_11comp_targetILNS1_3genE10ELNS1_11target_archE1201ELNS1_3gpuE5ELNS1_3repE0EEENS1_30default_config_static_selectorELNS0_4arch9wavefront6targetE1EEEvT1_
	.globl	_ZN7rocprim17ROCPRIM_400000_NS6detail17trampoline_kernelINS0_14default_configENS1_33run_length_encode_config_selectorIN3c104HalfEjNS0_4plusIjEEEEZZNS1_33reduce_by_key_impl_wrapped_configILNS1_25lookback_scan_determinismE0ES3_S9_PKS6_NS0_17constant_iteratorIjlEEPS6_PlSH_S8_NS0_8equal_toIS6_EEEE10hipError_tPvRmT2_T3_mT4_T5_T6_T7_T8_P12ihipStream_tbENKUlT_T0_E_clISt17integral_constantIbLb0EES11_EEDaSW_SX_EUlSW_E_NS1_11comp_targetILNS1_3genE10ELNS1_11target_archE1201ELNS1_3gpuE5ELNS1_3repE0EEENS1_30default_config_static_selectorELNS0_4arch9wavefront6targetE1EEEvT1_
	.p2align	8
	.type	_ZN7rocprim17ROCPRIM_400000_NS6detail17trampoline_kernelINS0_14default_configENS1_33run_length_encode_config_selectorIN3c104HalfEjNS0_4plusIjEEEEZZNS1_33reduce_by_key_impl_wrapped_configILNS1_25lookback_scan_determinismE0ES3_S9_PKS6_NS0_17constant_iteratorIjlEEPS6_PlSH_S8_NS0_8equal_toIS6_EEEE10hipError_tPvRmT2_T3_mT4_T5_T6_T7_T8_P12ihipStream_tbENKUlT_T0_E_clISt17integral_constantIbLb0EES11_EEDaSW_SX_EUlSW_E_NS1_11comp_targetILNS1_3genE10ELNS1_11target_archE1201ELNS1_3gpuE5ELNS1_3repE0EEENS1_30default_config_static_selectorELNS0_4arch9wavefront6targetE1EEEvT1_,@function
_ZN7rocprim17ROCPRIM_400000_NS6detail17trampoline_kernelINS0_14default_configENS1_33run_length_encode_config_selectorIN3c104HalfEjNS0_4plusIjEEEEZZNS1_33reduce_by_key_impl_wrapped_configILNS1_25lookback_scan_determinismE0ES3_S9_PKS6_NS0_17constant_iteratorIjlEEPS6_PlSH_S8_NS0_8equal_toIS6_EEEE10hipError_tPvRmT2_T3_mT4_T5_T6_T7_T8_P12ihipStream_tbENKUlT_T0_E_clISt17integral_constantIbLb0EES11_EEDaSW_SX_EUlSW_E_NS1_11comp_targetILNS1_3genE10ELNS1_11target_archE1201ELNS1_3gpuE5ELNS1_3repE0EEENS1_30default_config_static_selectorELNS0_4arch9wavefront6targetE1EEEvT1_: ; @_ZN7rocprim17ROCPRIM_400000_NS6detail17trampoline_kernelINS0_14default_configENS1_33run_length_encode_config_selectorIN3c104HalfEjNS0_4plusIjEEEEZZNS1_33reduce_by_key_impl_wrapped_configILNS1_25lookback_scan_determinismE0ES3_S9_PKS6_NS0_17constant_iteratorIjlEEPS6_PlSH_S8_NS0_8equal_toIS6_EEEE10hipError_tPvRmT2_T3_mT4_T5_T6_T7_T8_P12ihipStream_tbENKUlT_T0_E_clISt17integral_constantIbLb0EES11_EEDaSW_SX_EUlSW_E_NS1_11comp_targetILNS1_3genE10ELNS1_11target_archE1201ELNS1_3gpuE5ELNS1_3repE0EEENS1_30default_config_static_selectorELNS0_4arch9wavefront6targetE1EEEvT1_
; %bb.0:
	.section	.rodata,"a",@progbits
	.p2align	6, 0x0
	.amdhsa_kernel _ZN7rocprim17ROCPRIM_400000_NS6detail17trampoline_kernelINS0_14default_configENS1_33run_length_encode_config_selectorIN3c104HalfEjNS0_4plusIjEEEEZZNS1_33reduce_by_key_impl_wrapped_configILNS1_25lookback_scan_determinismE0ES3_S9_PKS6_NS0_17constant_iteratorIjlEEPS6_PlSH_S8_NS0_8equal_toIS6_EEEE10hipError_tPvRmT2_T3_mT4_T5_T6_T7_T8_P12ihipStream_tbENKUlT_T0_E_clISt17integral_constantIbLb0EES11_EEDaSW_SX_EUlSW_E_NS1_11comp_targetILNS1_3genE10ELNS1_11target_archE1201ELNS1_3gpuE5ELNS1_3repE0EEENS1_30default_config_static_selectorELNS0_4arch9wavefront6targetE1EEEvT1_
		.amdhsa_group_segment_fixed_size 0
		.amdhsa_private_segment_fixed_size 0
		.amdhsa_kernarg_size 128
		.amdhsa_user_sgpr_count 2
		.amdhsa_user_sgpr_dispatch_ptr 0
		.amdhsa_user_sgpr_queue_ptr 0
		.amdhsa_user_sgpr_kernarg_segment_ptr 1
		.amdhsa_user_sgpr_dispatch_id 0
		.amdhsa_user_sgpr_kernarg_preload_length 0
		.amdhsa_user_sgpr_kernarg_preload_offset 0
		.amdhsa_user_sgpr_private_segment_size 0
		.amdhsa_uses_dynamic_stack 0
		.amdhsa_enable_private_segment 0
		.amdhsa_system_sgpr_workgroup_id_x 1
		.amdhsa_system_sgpr_workgroup_id_y 0
		.amdhsa_system_sgpr_workgroup_id_z 0
		.amdhsa_system_sgpr_workgroup_info 0
		.amdhsa_system_vgpr_workitem_id 0
		.amdhsa_next_free_vgpr 1
		.amdhsa_next_free_sgpr 0
		.amdhsa_accum_offset 4
		.amdhsa_reserve_vcc 0
		.amdhsa_float_round_mode_32 0
		.amdhsa_float_round_mode_16_64 0
		.amdhsa_float_denorm_mode_32 3
		.amdhsa_float_denorm_mode_16_64 3
		.amdhsa_dx10_clamp 1
		.amdhsa_ieee_mode 1
		.amdhsa_fp16_overflow 0
		.amdhsa_tg_split 0
		.amdhsa_exception_fp_ieee_invalid_op 0
		.amdhsa_exception_fp_denorm_src 0
		.amdhsa_exception_fp_ieee_div_zero 0
		.amdhsa_exception_fp_ieee_overflow 0
		.amdhsa_exception_fp_ieee_underflow 0
		.amdhsa_exception_fp_ieee_inexact 0
		.amdhsa_exception_int_div_zero 0
	.end_amdhsa_kernel
	.section	.text._ZN7rocprim17ROCPRIM_400000_NS6detail17trampoline_kernelINS0_14default_configENS1_33run_length_encode_config_selectorIN3c104HalfEjNS0_4plusIjEEEEZZNS1_33reduce_by_key_impl_wrapped_configILNS1_25lookback_scan_determinismE0ES3_S9_PKS6_NS0_17constant_iteratorIjlEEPS6_PlSH_S8_NS0_8equal_toIS6_EEEE10hipError_tPvRmT2_T3_mT4_T5_T6_T7_T8_P12ihipStream_tbENKUlT_T0_E_clISt17integral_constantIbLb0EES11_EEDaSW_SX_EUlSW_E_NS1_11comp_targetILNS1_3genE10ELNS1_11target_archE1201ELNS1_3gpuE5ELNS1_3repE0EEENS1_30default_config_static_selectorELNS0_4arch9wavefront6targetE1EEEvT1_,"axG",@progbits,_ZN7rocprim17ROCPRIM_400000_NS6detail17trampoline_kernelINS0_14default_configENS1_33run_length_encode_config_selectorIN3c104HalfEjNS0_4plusIjEEEEZZNS1_33reduce_by_key_impl_wrapped_configILNS1_25lookback_scan_determinismE0ES3_S9_PKS6_NS0_17constant_iteratorIjlEEPS6_PlSH_S8_NS0_8equal_toIS6_EEEE10hipError_tPvRmT2_T3_mT4_T5_T6_T7_T8_P12ihipStream_tbENKUlT_T0_E_clISt17integral_constantIbLb0EES11_EEDaSW_SX_EUlSW_E_NS1_11comp_targetILNS1_3genE10ELNS1_11target_archE1201ELNS1_3gpuE5ELNS1_3repE0EEENS1_30default_config_static_selectorELNS0_4arch9wavefront6targetE1EEEvT1_,comdat
.Lfunc_end930:
	.size	_ZN7rocprim17ROCPRIM_400000_NS6detail17trampoline_kernelINS0_14default_configENS1_33run_length_encode_config_selectorIN3c104HalfEjNS0_4plusIjEEEEZZNS1_33reduce_by_key_impl_wrapped_configILNS1_25lookback_scan_determinismE0ES3_S9_PKS6_NS0_17constant_iteratorIjlEEPS6_PlSH_S8_NS0_8equal_toIS6_EEEE10hipError_tPvRmT2_T3_mT4_T5_T6_T7_T8_P12ihipStream_tbENKUlT_T0_E_clISt17integral_constantIbLb0EES11_EEDaSW_SX_EUlSW_E_NS1_11comp_targetILNS1_3genE10ELNS1_11target_archE1201ELNS1_3gpuE5ELNS1_3repE0EEENS1_30default_config_static_selectorELNS0_4arch9wavefront6targetE1EEEvT1_, .Lfunc_end930-_ZN7rocprim17ROCPRIM_400000_NS6detail17trampoline_kernelINS0_14default_configENS1_33run_length_encode_config_selectorIN3c104HalfEjNS0_4plusIjEEEEZZNS1_33reduce_by_key_impl_wrapped_configILNS1_25lookback_scan_determinismE0ES3_S9_PKS6_NS0_17constant_iteratorIjlEEPS6_PlSH_S8_NS0_8equal_toIS6_EEEE10hipError_tPvRmT2_T3_mT4_T5_T6_T7_T8_P12ihipStream_tbENKUlT_T0_E_clISt17integral_constantIbLb0EES11_EEDaSW_SX_EUlSW_E_NS1_11comp_targetILNS1_3genE10ELNS1_11target_archE1201ELNS1_3gpuE5ELNS1_3repE0EEENS1_30default_config_static_selectorELNS0_4arch9wavefront6targetE1EEEvT1_
                                        ; -- End function
	.section	.AMDGPU.csdata,"",@progbits
; Kernel info:
; codeLenInByte = 0
; NumSgprs: 6
; NumVgprs: 0
; NumAgprs: 0
; TotalNumVgprs: 0
; ScratchSize: 0
; MemoryBound: 0
; FloatMode: 240
; IeeeMode: 1
; LDSByteSize: 0 bytes/workgroup (compile time only)
; SGPRBlocks: 0
; VGPRBlocks: 0
; NumSGPRsForWavesPerEU: 6
; NumVGPRsForWavesPerEU: 1
; AccumOffset: 4
; Occupancy: 8
; WaveLimiterHint : 0
; COMPUTE_PGM_RSRC2:SCRATCH_EN: 0
; COMPUTE_PGM_RSRC2:USER_SGPR: 2
; COMPUTE_PGM_RSRC2:TRAP_HANDLER: 0
; COMPUTE_PGM_RSRC2:TGID_X_EN: 1
; COMPUTE_PGM_RSRC2:TGID_Y_EN: 0
; COMPUTE_PGM_RSRC2:TGID_Z_EN: 0
; COMPUTE_PGM_RSRC2:TIDIG_COMP_CNT: 0
; COMPUTE_PGM_RSRC3_GFX90A:ACCUM_OFFSET: 0
; COMPUTE_PGM_RSRC3_GFX90A:TG_SPLIT: 0
	.section	.text._ZN7rocprim17ROCPRIM_400000_NS6detail17trampoline_kernelINS0_14default_configENS1_33run_length_encode_config_selectorIN3c104HalfEjNS0_4plusIjEEEEZZNS1_33reduce_by_key_impl_wrapped_configILNS1_25lookback_scan_determinismE0ES3_S9_PKS6_NS0_17constant_iteratorIjlEEPS6_PlSH_S8_NS0_8equal_toIS6_EEEE10hipError_tPvRmT2_T3_mT4_T5_T6_T7_T8_P12ihipStream_tbENKUlT_T0_E_clISt17integral_constantIbLb0EES11_EEDaSW_SX_EUlSW_E_NS1_11comp_targetILNS1_3genE10ELNS1_11target_archE1200ELNS1_3gpuE4ELNS1_3repE0EEENS1_30default_config_static_selectorELNS0_4arch9wavefront6targetE1EEEvT1_,"axG",@progbits,_ZN7rocprim17ROCPRIM_400000_NS6detail17trampoline_kernelINS0_14default_configENS1_33run_length_encode_config_selectorIN3c104HalfEjNS0_4plusIjEEEEZZNS1_33reduce_by_key_impl_wrapped_configILNS1_25lookback_scan_determinismE0ES3_S9_PKS6_NS0_17constant_iteratorIjlEEPS6_PlSH_S8_NS0_8equal_toIS6_EEEE10hipError_tPvRmT2_T3_mT4_T5_T6_T7_T8_P12ihipStream_tbENKUlT_T0_E_clISt17integral_constantIbLb0EES11_EEDaSW_SX_EUlSW_E_NS1_11comp_targetILNS1_3genE10ELNS1_11target_archE1200ELNS1_3gpuE4ELNS1_3repE0EEENS1_30default_config_static_selectorELNS0_4arch9wavefront6targetE1EEEvT1_,comdat
	.protected	_ZN7rocprim17ROCPRIM_400000_NS6detail17trampoline_kernelINS0_14default_configENS1_33run_length_encode_config_selectorIN3c104HalfEjNS0_4plusIjEEEEZZNS1_33reduce_by_key_impl_wrapped_configILNS1_25lookback_scan_determinismE0ES3_S9_PKS6_NS0_17constant_iteratorIjlEEPS6_PlSH_S8_NS0_8equal_toIS6_EEEE10hipError_tPvRmT2_T3_mT4_T5_T6_T7_T8_P12ihipStream_tbENKUlT_T0_E_clISt17integral_constantIbLb0EES11_EEDaSW_SX_EUlSW_E_NS1_11comp_targetILNS1_3genE10ELNS1_11target_archE1200ELNS1_3gpuE4ELNS1_3repE0EEENS1_30default_config_static_selectorELNS0_4arch9wavefront6targetE1EEEvT1_ ; -- Begin function _ZN7rocprim17ROCPRIM_400000_NS6detail17trampoline_kernelINS0_14default_configENS1_33run_length_encode_config_selectorIN3c104HalfEjNS0_4plusIjEEEEZZNS1_33reduce_by_key_impl_wrapped_configILNS1_25lookback_scan_determinismE0ES3_S9_PKS6_NS0_17constant_iteratorIjlEEPS6_PlSH_S8_NS0_8equal_toIS6_EEEE10hipError_tPvRmT2_T3_mT4_T5_T6_T7_T8_P12ihipStream_tbENKUlT_T0_E_clISt17integral_constantIbLb0EES11_EEDaSW_SX_EUlSW_E_NS1_11comp_targetILNS1_3genE10ELNS1_11target_archE1200ELNS1_3gpuE4ELNS1_3repE0EEENS1_30default_config_static_selectorELNS0_4arch9wavefront6targetE1EEEvT1_
	.globl	_ZN7rocprim17ROCPRIM_400000_NS6detail17trampoline_kernelINS0_14default_configENS1_33run_length_encode_config_selectorIN3c104HalfEjNS0_4plusIjEEEEZZNS1_33reduce_by_key_impl_wrapped_configILNS1_25lookback_scan_determinismE0ES3_S9_PKS6_NS0_17constant_iteratorIjlEEPS6_PlSH_S8_NS0_8equal_toIS6_EEEE10hipError_tPvRmT2_T3_mT4_T5_T6_T7_T8_P12ihipStream_tbENKUlT_T0_E_clISt17integral_constantIbLb0EES11_EEDaSW_SX_EUlSW_E_NS1_11comp_targetILNS1_3genE10ELNS1_11target_archE1200ELNS1_3gpuE4ELNS1_3repE0EEENS1_30default_config_static_selectorELNS0_4arch9wavefront6targetE1EEEvT1_
	.p2align	8
	.type	_ZN7rocprim17ROCPRIM_400000_NS6detail17trampoline_kernelINS0_14default_configENS1_33run_length_encode_config_selectorIN3c104HalfEjNS0_4plusIjEEEEZZNS1_33reduce_by_key_impl_wrapped_configILNS1_25lookback_scan_determinismE0ES3_S9_PKS6_NS0_17constant_iteratorIjlEEPS6_PlSH_S8_NS0_8equal_toIS6_EEEE10hipError_tPvRmT2_T3_mT4_T5_T6_T7_T8_P12ihipStream_tbENKUlT_T0_E_clISt17integral_constantIbLb0EES11_EEDaSW_SX_EUlSW_E_NS1_11comp_targetILNS1_3genE10ELNS1_11target_archE1200ELNS1_3gpuE4ELNS1_3repE0EEENS1_30default_config_static_selectorELNS0_4arch9wavefront6targetE1EEEvT1_,@function
_ZN7rocprim17ROCPRIM_400000_NS6detail17trampoline_kernelINS0_14default_configENS1_33run_length_encode_config_selectorIN3c104HalfEjNS0_4plusIjEEEEZZNS1_33reduce_by_key_impl_wrapped_configILNS1_25lookback_scan_determinismE0ES3_S9_PKS6_NS0_17constant_iteratorIjlEEPS6_PlSH_S8_NS0_8equal_toIS6_EEEE10hipError_tPvRmT2_T3_mT4_T5_T6_T7_T8_P12ihipStream_tbENKUlT_T0_E_clISt17integral_constantIbLb0EES11_EEDaSW_SX_EUlSW_E_NS1_11comp_targetILNS1_3genE10ELNS1_11target_archE1200ELNS1_3gpuE4ELNS1_3repE0EEENS1_30default_config_static_selectorELNS0_4arch9wavefront6targetE1EEEvT1_: ; @_ZN7rocprim17ROCPRIM_400000_NS6detail17trampoline_kernelINS0_14default_configENS1_33run_length_encode_config_selectorIN3c104HalfEjNS0_4plusIjEEEEZZNS1_33reduce_by_key_impl_wrapped_configILNS1_25lookback_scan_determinismE0ES3_S9_PKS6_NS0_17constant_iteratorIjlEEPS6_PlSH_S8_NS0_8equal_toIS6_EEEE10hipError_tPvRmT2_T3_mT4_T5_T6_T7_T8_P12ihipStream_tbENKUlT_T0_E_clISt17integral_constantIbLb0EES11_EEDaSW_SX_EUlSW_E_NS1_11comp_targetILNS1_3genE10ELNS1_11target_archE1200ELNS1_3gpuE4ELNS1_3repE0EEENS1_30default_config_static_selectorELNS0_4arch9wavefront6targetE1EEEvT1_
; %bb.0:
	.section	.rodata,"a",@progbits
	.p2align	6, 0x0
	.amdhsa_kernel _ZN7rocprim17ROCPRIM_400000_NS6detail17trampoline_kernelINS0_14default_configENS1_33run_length_encode_config_selectorIN3c104HalfEjNS0_4plusIjEEEEZZNS1_33reduce_by_key_impl_wrapped_configILNS1_25lookback_scan_determinismE0ES3_S9_PKS6_NS0_17constant_iteratorIjlEEPS6_PlSH_S8_NS0_8equal_toIS6_EEEE10hipError_tPvRmT2_T3_mT4_T5_T6_T7_T8_P12ihipStream_tbENKUlT_T0_E_clISt17integral_constantIbLb0EES11_EEDaSW_SX_EUlSW_E_NS1_11comp_targetILNS1_3genE10ELNS1_11target_archE1200ELNS1_3gpuE4ELNS1_3repE0EEENS1_30default_config_static_selectorELNS0_4arch9wavefront6targetE1EEEvT1_
		.amdhsa_group_segment_fixed_size 0
		.amdhsa_private_segment_fixed_size 0
		.amdhsa_kernarg_size 128
		.amdhsa_user_sgpr_count 2
		.amdhsa_user_sgpr_dispatch_ptr 0
		.amdhsa_user_sgpr_queue_ptr 0
		.amdhsa_user_sgpr_kernarg_segment_ptr 1
		.amdhsa_user_sgpr_dispatch_id 0
		.amdhsa_user_sgpr_kernarg_preload_length 0
		.amdhsa_user_sgpr_kernarg_preload_offset 0
		.amdhsa_user_sgpr_private_segment_size 0
		.amdhsa_uses_dynamic_stack 0
		.amdhsa_enable_private_segment 0
		.amdhsa_system_sgpr_workgroup_id_x 1
		.amdhsa_system_sgpr_workgroup_id_y 0
		.amdhsa_system_sgpr_workgroup_id_z 0
		.amdhsa_system_sgpr_workgroup_info 0
		.amdhsa_system_vgpr_workitem_id 0
		.amdhsa_next_free_vgpr 1
		.amdhsa_next_free_sgpr 0
		.amdhsa_accum_offset 4
		.amdhsa_reserve_vcc 0
		.amdhsa_float_round_mode_32 0
		.amdhsa_float_round_mode_16_64 0
		.amdhsa_float_denorm_mode_32 3
		.amdhsa_float_denorm_mode_16_64 3
		.amdhsa_dx10_clamp 1
		.amdhsa_ieee_mode 1
		.amdhsa_fp16_overflow 0
		.amdhsa_tg_split 0
		.amdhsa_exception_fp_ieee_invalid_op 0
		.amdhsa_exception_fp_denorm_src 0
		.amdhsa_exception_fp_ieee_div_zero 0
		.amdhsa_exception_fp_ieee_overflow 0
		.amdhsa_exception_fp_ieee_underflow 0
		.amdhsa_exception_fp_ieee_inexact 0
		.amdhsa_exception_int_div_zero 0
	.end_amdhsa_kernel
	.section	.text._ZN7rocprim17ROCPRIM_400000_NS6detail17trampoline_kernelINS0_14default_configENS1_33run_length_encode_config_selectorIN3c104HalfEjNS0_4plusIjEEEEZZNS1_33reduce_by_key_impl_wrapped_configILNS1_25lookback_scan_determinismE0ES3_S9_PKS6_NS0_17constant_iteratorIjlEEPS6_PlSH_S8_NS0_8equal_toIS6_EEEE10hipError_tPvRmT2_T3_mT4_T5_T6_T7_T8_P12ihipStream_tbENKUlT_T0_E_clISt17integral_constantIbLb0EES11_EEDaSW_SX_EUlSW_E_NS1_11comp_targetILNS1_3genE10ELNS1_11target_archE1200ELNS1_3gpuE4ELNS1_3repE0EEENS1_30default_config_static_selectorELNS0_4arch9wavefront6targetE1EEEvT1_,"axG",@progbits,_ZN7rocprim17ROCPRIM_400000_NS6detail17trampoline_kernelINS0_14default_configENS1_33run_length_encode_config_selectorIN3c104HalfEjNS0_4plusIjEEEEZZNS1_33reduce_by_key_impl_wrapped_configILNS1_25lookback_scan_determinismE0ES3_S9_PKS6_NS0_17constant_iteratorIjlEEPS6_PlSH_S8_NS0_8equal_toIS6_EEEE10hipError_tPvRmT2_T3_mT4_T5_T6_T7_T8_P12ihipStream_tbENKUlT_T0_E_clISt17integral_constantIbLb0EES11_EEDaSW_SX_EUlSW_E_NS1_11comp_targetILNS1_3genE10ELNS1_11target_archE1200ELNS1_3gpuE4ELNS1_3repE0EEENS1_30default_config_static_selectorELNS0_4arch9wavefront6targetE1EEEvT1_,comdat
.Lfunc_end931:
	.size	_ZN7rocprim17ROCPRIM_400000_NS6detail17trampoline_kernelINS0_14default_configENS1_33run_length_encode_config_selectorIN3c104HalfEjNS0_4plusIjEEEEZZNS1_33reduce_by_key_impl_wrapped_configILNS1_25lookback_scan_determinismE0ES3_S9_PKS6_NS0_17constant_iteratorIjlEEPS6_PlSH_S8_NS0_8equal_toIS6_EEEE10hipError_tPvRmT2_T3_mT4_T5_T6_T7_T8_P12ihipStream_tbENKUlT_T0_E_clISt17integral_constantIbLb0EES11_EEDaSW_SX_EUlSW_E_NS1_11comp_targetILNS1_3genE10ELNS1_11target_archE1200ELNS1_3gpuE4ELNS1_3repE0EEENS1_30default_config_static_selectorELNS0_4arch9wavefront6targetE1EEEvT1_, .Lfunc_end931-_ZN7rocprim17ROCPRIM_400000_NS6detail17trampoline_kernelINS0_14default_configENS1_33run_length_encode_config_selectorIN3c104HalfEjNS0_4plusIjEEEEZZNS1_33reduce_by_key_impl_wrapped_configILNS1_25lookback_scan_determinismE0ES3_S9_PKS6_NS0_17constant_iteratorIjlEEPS6_PlSH_S8_NS0_8equal_toIS6_EEEE10hipError_tPvRmT2_T3_mT4_T5_T6_T7_T8_P12ihipStream_tbENKUlT_T0_E_clISt17integral_constantIbLb0EES11_EEDaSW_SX_EUlSW_E_NS1_11comp_targetILNS1_3genE10ELNS1_11target_archE1200ELNS1_3gpuE4ELNS1_3repE0EEENS1_30default_config_static_selectorELNS0_4arch9wavefront6targetE1EEEvT1_
                                        ; -- End function
	.section	.AMDGPU.csdata,"",@progbits
; Kernel info:
; codeLenInByte = 0
; NumSgprs: 6
; NumVgprs: 0
; NumAgprs: 0
; TotalNumVgprs: 0
; ScratchSize: 0
; MemoryBound: 0
; FloatMode: 240
; IeeeMode: 1
; LDSByteSize: 0 bytes/workgroup (compile time only)
; SGPRBlocks: 0
; VGPRBlocks: 0
; NumSGPRsForWavesPerEU: 6
; NumVGPRsForWavesPerEU: 1
; AccumOffset: 4
; Occupancy: 8
; WaveLimiterHint : 0
; COMPUTE_PGM_RSRC2:SCRATCH_EN: 0
; COMPUTE_PGM_RSRC2:USER_SGPR: 2
; COMPUTE_PGM_RSRC2:TRAP_HANDLER: 0
; COMPUTE_PGM_RSRC2:TGID_X_EN: 1
; COMPUTE_PGM_RSRC2:TGID_Y_EN: 0
; COMPUTE_PGM_RSRC2:TGID_Z_EN: 0
; COMPUTE_PGM_RSRC2:TIDIG_COMP_CNT: 0
; COMPUTE_PGM_RSRC3_GFX90A:ACCUM_OFFSET: 0
; COMPUTE_PGM_RSRC3_GFX90A:TG_SPLIT: 0
	.section	.text._ZN7rocprim17ROCPRIM_400000_NS6detail17trampoline_kernelINS0_14default_configENS1_33run_length_encode_config_selectorIN3c104HalfEjNS0_4plusIjEEEEZZNS1_33reduce_by_key_impl_wrapped_configILNS1_25lookback_scan_determinismE0ES3_S9_PKS6_NS0_17constant_iteratorIjlEEPS6_PlSH_S8_NS0_8equal_toIS6_EEEE10hipError_tPvRmT2_T3_mT4_T5_T6_T7_T8_P12ihipStream_tbENKUlT_T0_E_clISt17integral_constantIbLb0EES11_EEDaSW_SX_EUlSW_E_NS1_11comp_targetILNS1_3genE9ELNS1_11target_archE1100ELNS1_3gpuE3ELNS1_3repE0EEENS1_30default_config_static_selectorELNS0_4arch9wavefront6targetE1EEEvT1_,"axG",@progbits,_ZN7rocprim17ROCPRIM_400000_NS6detail17trampoline_kernelINS0_14default_configENS1_33run_length_encode_config_selectorIN3c104HalfEjNS0_4plusIjEEEEZZNS1_33reduce_by_key_impl_wrapped_configILNS1_25lookback_scan_determinismE0ES3_S9_PKS6_NS0_17constant_iteratorIjlEEPS6_PlSH_S8_NS0_8equal_toIS6_EEEE10hipError_tPvRmT2_T3_mT4_T5_T6_T7_T8_P12ihipStream_tbENKUlT_T0_E_clISt17integral_constantIbLb0EES11_EEDaSW_SX_EUlSW_E_NS1_11comp_targetILNS1_3genE9ELNS1_11target_archE1100ELNS1_3gpuE3ELNS1_3repE0EEENS1_30default_config_static_selectorELNS0_4arch9wavefront6targetE1EEEvT1_,comdat
	.protected	_ZN7rocprim17ROCPRIM_400000_NS6detail17trampoline_kernelINS0_14default_configENS1_33run_length_encode_config_selectorIN3c104HalfEjNS0_4plusIjEEEEZZNS1_33reduce_by_key_impl_wrapped_configILNS1_25lookback_scan_determinismE0ES3_S9_PKS6_NS0_17constant_iteratorIjlEEPS6_PlSH_S8_NS0_8equal_toIS6_EEEE10hipError_tPvRmT2_T3_mT4_T5_T6_T7_T8_P12ihipStream_tbENKUlT_T0_E_clISt17integral_constantIbLb0EES11_EEDaSW_SX_EUlSW_E_NS1_11comp_targetILNS1_3genE9ELNS1_11target_archE1100ELNS1_3gpuE3ELNS1_3repE0EEENS1_30default_config_static_selectorELNS0_4arch9wavefront6targetE1EEEvT1_ ; -- Begin function _ZN7rocprim17ROCPRIM_400000_NS6detail17trampoline_kernelINS0_14default_configENS1_33run_length_encode_config_selectorIN3c104HalfEjNS0_4plusIjEEEEZZNS1_33reduce_by_key_impl_wrapped_configILNS1_25lookback_scan_determinismE0ES3_S9_PKS6_NS0_17constant_iteratorIjlEEPS6_PlSH_S8_NS0_8equal_toIS6_EEEE10hipError_tPvRmT2_T3_mT4_T5_T6_T7_T8_P12ihipStream_tbENKUlT_T0_E_clISt17integral_constantIbLb0EES11_EEDaSW_SX_EUlSW_E_NS1_11comp_targetILNS1_3genE9ELNS1_11target_archE1100ELNS1_3gpuE3ELNS1_3repE0EEENS1_30default_config_static_selectorELNS0_4arch9wavefront6targetE1EEEvT1_
	.globl	_ZN7rocprim17ROCPRIM_400000_NS6detail17trampoline_kernelINS0_14default_configENS1_33run_length_encode_config_selectorIN3c104HalfEjNS0_4plusIjEEEEZZNS1_33reduce_by_key_impl_wrapped_configILNS1_25lookback_scan_determinismE0ES3_S9_PKS6_NS0_17constant_iteratorIjlEEPS6_PlSH_S8_NS0_8equal_toIS6_EEEE10hipError_tPvRmT2_T3_mT4_T5_T6_T7_T8_P12ihipStream_tbENKUlT_T0_E_clISt17integral_constantIbLb0EES11_EEDaSW_SX_EUlSW_E_NS1_11comp_targetILNS1_3genE9ELNS1_11target_archE1100ELNS1_3gpuE3ELNS1_3repE0EEENS1_30default_config_static_selectorELNS0_4arch9wavefront6targetE1EEEvT1_
	.p2align	8
	.type	_ZN7rocprim17ROCPRIM_400000_NS6detail17trampoline_kernelINS0_14default_configENS1_33run_length_encode_config_selectorIN3c104HalfEjNS0_4plusIjEEEEZZNS1_33reduce_by_key_impl_wrapped_configILNS1_25lookback_scan_determinismE0ES3_S9_PKS6_NS0_17constant_iteratorIjlEEPS6_PlSH_S8_NS0_8equal_toIS6_EEEE10hipError_tPvRmT2_T3_mT4_T5_T6_T7_T8_P12ihipStream_tbENKUlT_T0_E_clISt17integral_constantIbLb0EES11_EEDaSW_SX_EUlSW_E_NS1_11comp_targetILNS1_3genE9ELNS1_11target_archE1100ELNS1_3gpuE3ELNS1_3repE0EEENS1_30default_config_static_selectorELNS0_4arch9wavefront6targetE1EEEvT1_,@function
_ZN7rocprim17ROCPRIM_400000_NS6detail17trampoline_kernelINS0_14default_configENS1_33run_length_encode_config_selectorIN3c104HalfEjNS0_4plusIjEEEEZZNS1_33reduce_by_key_impl_wrapped_configILNS1_25lookback_scan_determinismE0ES3_S9_PKS6_NS0_17constant_iteratorIjlEEPS6_PlSH_S8_NS0_8equal_toIS6_EEEE10hipError_tPvRmT2_T3_mT4_T5_T6_T7_T8_P12ihipStream_tbENKUlT_T0_E_clISt17integral_constantIbLb0EES11_EEDaSW_SX_EUlSW_E_NS1_11comp_targetILNS1_3genE9ELNS1_11target_archE1100ELNS1_3gpuE3ELNS1_3repE0EEENS1_30default_config_static_selectorELNS0_4arch9wavefront6targetE1EEEvT1_: ; @_ZN7rocprim17ROCPRIM_400000_NS6detail17trampoline_kernelINS0_14default_configENS1_33run_length_encode_config_selectorIN3c104HalfEjNS0_4plusIjEEEEZZNS1_33reduce_by_key_impl_wrapped_configILNS1_25lookback_scan_determinismE0ES3_S9_PKS6_NS0_17constant_iteratorIjlEEPS6_PlSH_S8_NS0_8equal_toIS6_EEEE10hipError_tPvRmT2_T3_mT4_T5_T6_T7_T8_P12ihipStream_tbENKUlT_T0_E_clISt17integral_constantIbLb0EES11_EEDaSW_SX_EUlSW_E_NS1_11comp_targetILNS1_3genE9ELNS1_11target_archE1100ELNS1_3gpuE3ELNS1_3repE0EEENS1_30default_config_static_selectorELNS0_4arch9wavefront6targetE1EEEvT1_
; %bb.0:
	.section	.rodata,"a",@progbits
	.p2align	6, 0x0
	.amdhsa_kernel _ZN7rocprim17ROCPRIM_400000_NS6detail17trampoline_kernelINS0_14default_configENS1_33run_length_encode_config_selectorIN3c104HalfEjNS0_4plusIjEEEEZZNS1_33reduce_by_key_impl_wrapped_configILNS1_25lookback_scan_determinismE0ES3_S9_PKS6_NS0_17constant_iteratorIjlEEPS6_PlSH_S8_NS0_8equal_toIS6_EEEE10hipError_tPvRmT2_T3_mT4_T5_T6_T7_T8_P12ihipStream_tbENKUlT_T0_E_clISt17integral_constantIbLb0EES11_EEDaSW_SX_EUlSW_E_NS1_11comp_targetILNS1_3genE9ELNS1_11target_archE1100ELNS1_3gpuE3ELNS1_3repE0EEENS1_30default_config_static_selectorELNS0_4arch9wavefront6targetE1EEEvT1_
		.amdhsa_group_segment_fixed_size 0
		.amdhsa_private_segment_fixed_size 0
		.amdhsa_kernarg_size 128
		.amdhsa_user_sgpr_count 2
		.amdhsa_user_sgpr_dispatch_ptr 0
		.amdhsa_user_sgpr_queue_ptr 0
		.amdhsa_user_sgpr_kernarg_segment_ptr 1
		.amdhsa_user_sgpr_dispatch_id 0
		.amdhsa_user_sgpr_kernarg_preload_length 0
		.amdhsa_user_sgpr_kernarg_preload_offset 0
		.amdhsa_user_sgpr_private_segment_size 0
		.amdhsa_uses_dynamic_stack 0
		.amdhsa_enable_private_segment 0
		.amdhsa_system_sgpr_workgroup_id_x 1
		.amdhsa_system_sgpr_workgroup_id_y 0
		.amdhsa_system_sgpr_workgroup_id_z 0
		.amdhsa_system_sgpr_workgroup_info 0
		.amdhsa_system_vgpr_workitem_id 0
		.amdhsa_next_free_vgpr 1
		.amdhsa_next_free_sgpr 0
		.amdhsa_accum_offset 4
		.amdhsa_reserve_vcc 0
		.amdhsa_float_round_mode_32 0
		.amdhsa_float_round_mode_16_64 0
		.amdhsa_float_denorm_mode_32 3
		.amdhsa_float_denorm_mode_16_64 3
		.amdhsa_dx10_clamp 1
		.amdhsa_ieee_mode 1
		.amdhsa_fp16_overflow 0
		.amdhsa_tg_split 0
		.amdhsa_exception_fp_ieee_invalid_op 0
		.amdhsa_exception_fp_denorm_src 0
		.amdhsa_exception_fp_ieee_div_zero 0
		.amdhsa_exception_fp_ieee_overflow 0
		.amdhsa_exception_fp_ieee_underflow 0
		.amdhsa_exception_fp_ieee_inexact 0
		.amdhsa_exception_int_div_zero 0
	.end_amdhsa_kernel
	.section	.text._ZN7rocprim17ROCPRIM_400000_NS6detail17trampoline_kernelINS0_14default_configENS1_33run_length_encode_config_selectorIN3c104HalfEjNS0_4plusIjEEEEZZNS1_33reduce_by_key_impl_wrapped_configILNS1_25lookback_scan_determinismE0ES3_S9_PKS6_NS0_17constant_iteratorIjlEEPS6_PlSH_S8_NS0_8equal_toIS6_EEEE10hipError_tPvRmT2_T3_mT4_T5_T6_T7_T8_P12ihipStream_tbENKUlT_T0_E_clISt17integral_constantIbLb0EES11_EEDaSW_SX_EUlSW_E_NS1_11comp_targetILNS1_3genE9ELNS1_11target_archE1100ELNS1_3gpuE3ELNS1_3repE0EEENS1_30default_config_static_selectorELNS0_4arch9wavefront6targetE1EEEvT1_,"axG",@progbits,_ZN7rocprim17ROCPRIM_400000_NS6detail17trampoline_kernelINS0_14default_configENS1_33run_length_encode_config_selectorIN3c104HalfEjNS0_4plusIjEEEEZZNS1_33reduce_by_key_impl_wrapped_configILNS1_25lookback_scan_determinismE0ES3_S9_PKS6_NS0_17constant_iteratorIjlEEPS6_PlSH_S8_NS0_8equal_toIS6_EEEE10hipError_tPvRmT2_T3_mT4_T5_T6_T7_T8_P12ihipStream_tbENKUlT_T0_E_clISt17integral_constantIbLb0EES11_EEDaSW_SX_EUlSW_E_NS1_11comp_targetILNS1_3genE9ELNS1_11target_archE1100ELNS1_3gpuE3ELNS1_3repE0EEENS1_30default_config_static_selectorELNS0_4arch9wavefront6targetE1EEEvT1_,comdat
.Lfunc_end932:
	.size	_ZN7rocprim17ROCPRIM_400000_NS6detail17trampoline_kernelINS0_14default_configENS1_33run_length_encode_config_selectorIN3c104HalfEjNS0_4plusIjEEEEZZNS1_33reduce_by_key_impl_wrapped_configILNS1_25lookback_scan_determinismE0ES3_S9_PKS6_NS0_17constant_iteratorIjlEEPS6_PlSH_S8_NS0_8equal_toIS6_EEEE10hipError_tPvRmT2_T3_mT4_T5_T6_T7_T8_P12ihipStream_tbENKUlT_T0_E_clISt17integral_constantIbLb0EES11_EEDaSW_SX_EUlSW_E_NS1_11comp_targetILNS1_3genE9ELNS1_11target_archE1100ELNS1_3gpuE3ELNS1_3repE0EEENS1_30default_config_static_selectorELNS0_4arch9wavefront6targetE1EEEvT1_, .Lfunc_end932-_ZN7rocprim17ROCPRIM_400000_NS6detail17trampoline_kernelINS0_14default_configENS1_33run_length_encode_config_selectorIN3c104HalfEjNS0_4plusIjEEEEZZNS1_33reduce_by_key_impl_wrapped_configILNS1_25lookback_scan_determinismE0ES3_S9_PKS6_NS0_17constant_iteratorIjlEEPS6_PlSH_S8_NS0_8equal_toIS6_EEEE10hipError_tPvRmT2_T3_mT4_T5_T6_T7_T8_P12ihipStream_tbENKUlT_T0_E_clISt17integral_constantIbLb0EES11_EEDaSW_SX_EUlSW_E_NS1_11comp_targetILNS1_3genE9ELNS1_11target_archE1100ELNS1_3gpuE3ELNS1_3repE0EEENS1_30default_config_static_selectorELNS0_4arch9wavefront6targetE1EEEvT1_
                                        ; -- End function
	.section	.AMDGPU.csdata,"",@progbits
; Kernel info:
; codeLenInByte = 0
; NumSgprs: 6
; NumVgprs: 0
; NumAgprs: 0
; TotalNumVgprs: 0
; ScratchSize: 0
; MemoryBound: 0
; FloatMode: 240
; IeeeMode: 1
; LDSByteSize: 0 bytes/workgroup (compile time only)
; SGPRBlocks: 0
; VGPRBlocks: 0
; NumSGPRsForWavesPerEU: 6
; NumVGPRsForWavesPerEU: 1
; AccumOffset: 4
; Occupancy: 8
; WaveLimiterHint : 0
; COMPUTE_PGM_RSRC2:SCRATCH_EN: 0
; COMPUTE_PGM_RSRC2:USER_SGPR: 2
; COMPUTE_PGM_RSRC2:TRAP_HANDLER: 0
; COMPUTE_PGM_RSRC2:TGID_X_EN: 1
; COMPUTE_PGM_RSRC2:TGID_Y_EN: 0
; COMPUTE_PGM_RSRC2:TGID_Z_EN: 0
; COMPUTE_PGM_RSRC2:TIDIG_COMP_CNT: 0
; COMPUTE_PGM_RSRC3_GFX90A:ACCUM_OFFSET: 0
; COMPUTE_PGM_RSRC3_GFX90A:TG_SPLIT: 0
	.section	.text._ZN7rocprim17ROCPRIM_400000_NS6detail17trampoline_kernelINS0_14default_configENS1_33run_length_encode_config_selectorIN3c104HalfEjNS0_4plusIjEEEEZZNS1_33reduce_by_key_impl_wrapped_configILNS1_25lookback_scan_determinismE0ES3_S9_PKS6_NS0_17constant_iteratorIjlEEPS6_PlSH_S8_NS0_8equal_toIS6_EEEE10hipError_tPvRmT2_T3_mT4_T5_T6_T7_T8_P12ihipStream_tbENKUlT_T0_E_clISt17integral_constantIbLb0EES11_EEDaSW_SX_EUlSW_E_NS1_11comp_targetILNS1_3genE8ELNS1_11target_archE1030ELNS1_3gpuE2ELNS1_3repE0EEENS1_30default_config_static_selectorELNS0_4arch9wavefront6targetE1EEEvT1_,"axG",@progbits,_ZN7rocprim17ROCPRIM_400000_NS6detail17trampoline_kernelINS0_14default_configENS1_33run_length_encode_config_selectorIN3c104HalfEjNS0_4plusIjEEEEZZNS1_33reduce_by_key_impl_wrapped_configILNS1_25lookback_scan_determinismE0ES3_S9_PKS6_NS0_17constant_iteratorIjlEEPS6_PlSH_S8_NS0_8equal_toIS6_EEEE10hipError_tPvRmT2_T3_mT4_T5_T6_T7_T8_P12ihipStream_tbENKUlT_T0_E_clISt17integral_constantIbLb0EES11_EEDaSW_SX_EUlSW_E_NS1_11comp_targetILNS1_3genE8ELNS1_11target_archE1030ELNS1_3gpuE2ELNS1_3repE0EEENS1_30default_config_static_selectorELNS0_4arch9wavefront6targetE1EEEvT1_,comdat
	.protected	_ZN7rocprim17ROCPRIM_400000_NS6detail17trampoline_kernelINS0_14default_configENS1_33run_length_encode_config_selectorIN3c104HalfEjNS0_4plusIjEEEEZZNS1_33reduce_by_key_impl_wrapped_configILNS1_25lookback_scan_determinismE0ES3_S9_PKS6_NS0_17constant_iteratorIjlEEPS6_PlSH_S8_NS0_8equal_toIS6_EEEE10hipError_tPvRmT2_T3_mT4_T5_T6_T7_T8_P12ihipStream_tbENKUlT_T0_E_clISt17integral_constantIbLb0EES11_EEDaSW_SX_EUlSW_E_NS1_11comp_targetILNS1_3genE8ELNS1_11target_archE1030ELNS1_3gpuE2ELNS1_3repE0EEENS1_30default_config_static_selectorELNS0_4arch9wavefront6targetE1EEEvT1_ ; -- Begin function _ZN7rocprim17ROCPRIM_400000_NS6detail17trampoline_kernelINS0_14default_configENS1_33run_length_encode_config_selectorIN3c104HalfEjNS0_4plusIjEEEEZZNS1_33reduce_by_key_impl_wrapped_configILNS1_25lookback_scan_determinismE0ES3_S9_PKS6_NS0_17constant_iteratorIjlEEPS6_PlSH_S8_NS0_8equal_toIS6_EEEE10hipError_tPvRmT2_T3_mT4_T5_T6_T7_T8_P12ihipStream_tbENKUlT_T0_E_clISt17integral_constantIbLb0EES11_EEDaSW_SX_EUlSW_E_NS1_11comp_targetILNS1_3genE8ELNS1_11target_archE1030ELNS1_3gpuE2ELNS1_3repE0EEENS1_30default_config_static_selectorELNS0_4arch9wavefront6targetE1EEEvT1_
	.globl	_ZN7rocprim17ROCPRIM_400000_NS6detail17trampoline_kernelINS0_14default_configENS1_33run_length_encode_config_selectorIN3c104HalfEjNS0_4plusIjEEEEZZNS1_33reduce_by_key_impl_wrapped_configILNS1_25lookback_scan_determinismE0ES3_S9_PKS6_NS0_17constant_iteratorIjlEEPS6_PlSH_S8_NS0_8equal_toIS6_EEEE10hipError_tPvRmT2_T3_mT4_T5_T6_T7_T8_P12ihipStream_tbENKUlT_T0_E_clISt17integral_constantIbLb0EES11_EEDaSW_SX_EUlSW_E_NS1_11comp_targetILNS1_3genE8ELNS1_11target_archE1030ELNS1_3gpuE2ELNS1_3repE0EEENS1_30default_config_static_selectorELNS0_4arch9wavefront6targetE1EEEvT1_
	.p2align	8
	.type	_ZN7rocprim17ROCPRIM_400000_NS6detail17trampoline_kernelINS0_14default_configENS1_33run_length_encode_config_selectorIN3c104HalfEjNS0_4plusIjEEEEZZNS1_33reduce_by_key_impl_wrapped_configILNS1_25lookback_scan_determinismE0ES3_S9_PKS6_NS0_17constant_iteratorIjlEEPS6_PlSH_S8_NS0_8equal_toIS6_EEEE10hipError_tPvRmT2_T3_mT4_T5_T6_T7_T8_P12ihipStream_tbENKUlT_T0_E_clISt17integral_constantIbLb0EES11_EEDaSW_SX_EUlSW_E_NS1_11comp_targetILNS1_3genE8ELNS1_11target_archE1030ELNS1_3gpuE2ELNS1_3repE0EEENS1_30default_config_static_selectorELNS0_4arch9wavefront6targetE1EEEvT1_,@function
_ZN7rocprim17ROCPRIM_400000_NS6detail17trampoline_kernelINS0_14default_configENS1_33run_length_encode_config_selectorIN3c104HalfEjNS0_4plusIjEEEEZZNS1_33reduce_by_key_impl_wrapped_configILNS1_25lookback_scan_determinismE0ES3_S9_PKS6_NS0_17constant_iteratorIjlEEPS6_PlSH_S8_NS0_8equal_toIS6_EEEE10hipError_tPvRmT2_T3_mT4_T5_T6_T7_T8_P12ihipStream_tbENKUlT_T0_E_clISt17integral_constantIbLb0EES11_EEDaSW_SX_EUlSW_E_NS1_11comp_targetILNS1_3genE8ELNS1_11target_archE1030ELNS1_3gpuE2ELNS1_3repE0EEENS1_30default_config_static_selectorELNS0_4arch9wavefront6targetE1EEEvT1_: ; @_ZN7rocprim17ROCPRIM_400000_NS6detail17trampoline_kernelINS0_14default_configENS1_33run_length_encode_config_selectorIN3c104HalfEjNS0_4plusIjEEEEZZNS1_33reduce_by_key_impl_wrapped_configILNS1_25lookback_scan_determinismE0ES3_S9_PKS6_NS0_17constant_iteratorIjlEEPS6_PlSH_S8_NS0_8equal_toIS6_EEEE10hipError_tPvRmT2_T3_mT4_T5_T6_T7_T8_P12ihipStream_tbENKUlT_T0_E_clISt17integral_constantIbLb0EES11_EEDaSW_SX_EUlSW_E_NS1_11comp_targetILNS1_3genE8ELNS1_11target_archE1030ELNS1_3gpuE2ELNS1_3repE0EEENS1_30default_config_static_selectorELNS0_4arch9wavefront6targetE1EEEvT1_
; %bb.0:
	.section	.rodata,"a",@progbits
	.p2align	6, 0x0
	.amdhsa_kernel _ZN7rocprim17ROCPRIM_400000_NS6detail17trampoline_kernelINS0_14default_configENS1_33run_length_encode_config_selectorIN3c104HalfEjNS0_4plusIjEEEEZZNS1_33reduce_by_key_impl_wrapped_configILNS1_25lookback_scan_determinismE0ES3_S9_PKS6_NS0_17constant_iteratorIjlEEPS6_PlSH_S8_NS0_8equal_toIS6_EEEE10hipError_tPvRmT2_T3_mT4_T5_T6_T7_T8_P12ihipStream_tbENKUlT_T0_E_clISt17integral_constantIbLb0EES11_EEDaSW_SX_EUlSW_E_NS1_11comp_targetILNS1_3genE8ELNS1_11target_archE1030ELNS1_3gpuE2ELNS1_3repE0EEENS1_30default_config_static_selectorELNS0_4arch9wavefront6targetE1EEEvT1_
		.amdhsa_group_segment_fixed_size 0
		.amdhsa_private_segment_fixed_size 0
		.amdhsa_kernarg_size 128
		.amdhsa_user_sgpr_count 2
		.amdhsa_user_sgpr_dispatch_ptr 0
		.amdhsa_user_sgpr_queue_ptr 0
		.amdhsa_user_sgpr_kernarg_segment_ptr 1
		.amdhsa_user_sgpr_dispatch_id 0
		.amdhsa_user_sgpr_kernarg_preload_length 0
		.amdhsa_user_sgpr_kernarg_preload_offset 0
		.amdhsa_user_sgpr_private_segment_size 0
		.amdhsa_uses_dynamic_stack 0
		.amdhsa_enable_private_segment 0
		.amdhsa_system_sgpr_workgroup_id_x 1
		.amdhsa_system_sgpr_workgroup_id_y 0
		.amdhsa_system_sgpr_workgroup_id_z 0
		.amdhsa_system_sgpr_workgroup_info 0
		.amdhsa_system_vgpr_workitem_id 0
		.amdhsa_next_free_vgpr 1
		.amdhsa_next_free_sgpr 0
		.amdhsa_accum_offset 4
		.amdhsa_reserve_vcc 0
		.amdhsa_float_round_mode_32 0
		.amdhsa_float_round_mode_16_64 0
		.amdhsa_float_denorm_mode_32 3
		.amdhsa_float_denorm_mode_16_64 3
		.amdhsa_dx10_clamp 1
		.amdhsa_ieee_mode 1
		.amdhsa_fp16_overflow 0
		.amdhsa_tg_split 0
		.amdhsa_exception_fp_ieee_invalid_op 0
		.amdhsa_exception_fp_denorm_src 0
		.amdhsa_exception_fp_ieee_div_zero 0
		.amdhsa_exception_fp_ieee_overflow 0
		.amdhsa_exception_fp_ieee_underflow 0
		.amdhsa_exception_fp_ieee_inexact 0
		.amdhsa_exception_int_div_zero 0
	.end_amdhsa_kernel
	.section	.text._ZN7rocprim17ROCPRIM_400000_NS6detail17trampoline_kernelINS0_14default_configENS1_33run_length_encode_config_selectorIN3c104HalfEjNS0_4plusIjEEEEZZNS1_33reduce_by_key_impl_wrapped_configILNS1_25lookback_scan_determinismE0ES3_S9_PKS6_NS0_17constant_iteratorIjlEEPS6_PlSH_S8_NS0_8equal_toIS6_EEEE10hipError_tPvRmT2_T3_mT4_T5_T6_T7_T8_P12ihipStream_tbENKUlT_T0_E_clISt17integral_constantIbLb0EES11_EEDaSW_SX_EUlSW_E_NS1_11comp_targetILNS1_3genE8ELNS1_11target_archE1030ELNS1_3gpuE2ELNS1_3repE0EEENS1_30default_config_static_selectorELNS0_4arch9wavefront6targetE1EEEvT1_,"axG",@progbits,_ZN7rocprim17ROCPRIM_400000_NS6detail17trampoline_kernelINS0_14default_configENS1_33run_length_encode_config_selectorIN3c104HalfEjNS0_4plusIjEEEEZZNS1_33reduce_by_key_impl_wrapped_configILNS1_25lookback_scan_determinismE0ES3_S9_PKS6_NS0_17constant_iteratorIjlEEPS6_PlSH_S8_NS0_8equal_toIS6_EEEE10hipError_tPvRmT2_T3_mT4_T5_T6_T7_T8_P12ihipStream_tbENKUlT_T0_E_clISt17integral_constantIbLb0EES11_EEDaSW_SX_EUlSW_E_NS1_11comp_targetILNS1_3genE8ELNS1_11target_archE1030ELNS1_3gpuE2ELNS1_3repE0EEENS1_30default_config_static_selectorELNS0_4arch9wavefront6targetE1EEEvT1_,comdat
.Lfunc_end933:
	.size	_ZN7rocprim17ROCPRIM_400000_NS6detail17trampoline_kernelINS0_14default_configENS1_33run_length_encode_config_selectorIN3c104HalfEjNS0_4plusIjEEEEZZNS1_33reduce_by_key_impl_wrapped_configILNS1_25lookback_scan_determinismE0ES3_S9_PKS6_NS0_17constant_iteratorIjlEEPS6_PlSH_S8_NS0_8equal_toIS6_EEEE10hipError_tPvRmT2_T3_mT4_T5_T6_T7_T8_P12ihipStream_tbENKUlT_T0_E_clISt17integral_constantIbLb0EES11_EEDaSW_SX_EUlSW_E_NS1_11comp_targetILNS1_3genE8ELNS1_11target_archE1030ELNS1_3gpuE2ELNS1_3repE0EEENS1_30default_config_static_selectorELNS0_4arch9wavefront6targetE1EEEvT1_, .Lfunc_end933-_ZN7rocprim17ROCPRIM_400000_NS6detail17trampoline_kernelINS0_14default_configENS1_33run_length_encode_config_selectorIN3c104HalfEjNS0_4plusIjEEEEZZNS1_33reduce_by_key_impl_wrapped_configILNS1_25lookback_scan_determinismE0ES3_S9_PKS6_NS0_17constant_iteratorIjlEEPS6_PlSH_S8_NS0_8equal_toIS6_EEEE10hipError_tPvRmT2_T3_mT4_T5_T6_T7_T8_P12ihipStream_tbENKUlT_T0_E_clISt17integral_constantIbLb0EES11_EEDaSW_SX_EUlSW_E_NS1_11comp_targetILNS1_3genE8ELNS1_11target_archE1030ELNS1_3gpuE2ELNS1_3repE0EEENS1_30default_config_static_selectorELNS0_4arch9wavefront6targetE1EEEvT1_
                                        ; -- End function
	.section	.AMDGPU.csdata,"",@progbits
; Kernel info:
; codeLenInByte = 0
; NumSgprs: 6
; NumVgprs: 0
; NumAgprs: 0
; TotalNumVgprs: 0
; ScratchSize: 0
; MemoryBound: 0
; FloatMode: 240
; IeeeMode: 1
; LDSByteSize: 0 bytes/workgroup (compile time only)
; SGPRBlocks: 0
; VGPRBlocks: 0
; NumSGPRsForWavesPerEU: 6
; NumVGPRsForWavesPerEU: 1
; AccumOffset: 4
; Occupancy: 8
; WaveLimiterHint : 0
; COMPUTE_PGM_RSRC2:SCRATCH_EN: 0
; COMPUTE_PGM_RSRC2:USER_SGPR: 2
; COMPUTE_PGM_RSRC2:TRAP_HANDLER: 0
; COMPUTE_PGM_RSRC2:TGID_X_EN: 1
; COMPUTE_PGM_RSRC2:TGID_Y_EN: 0
; COMPUTE_PGM_RSRC2:TGID_Z_EN: 0
; COMPUTE_PGM_RSRC2:TIDIG_COMP_CNT: 0
; COMPUTE_PGM_RSRC3_GFX90A:ACCUM_OFFSET: 0
; COMPUTE_PGM_RSRC3_GFX90A:TG_SPLIT: 0
	.section	.text._ZN7rocprim17ROCPRIM_400000_NS6detail17trampoline_kernelINS0_14default_configENS1_33run_length_encode_config_selectorIN3c104HalfEjNS0_4plusIjEEEEZZNS1_33reduce_by_key_impl_wrapped_configILNS1_25lookback_scan_determinismE0ES3_S9_PKS6_NS0_17constant_iteratorIjlEEPS6_PlSH_S8_NS0_8equal_toIS6_EEEE10hipError_tPvRmT2_T3_mT4_T5_T6_T7_T8_P12ihipStream_tbENKUlT_T0_E_clISt17integral_constantIbLb1EES11_EEDaSW_SX_EUlSW_E_NS1_11comp_targetILNS1_3genE0ELNS1_11target_archE4294967295ELNS1_3gpuE0ELNS1_3repE0EEENS1_30default_config_static_selectorELNS0_4arch9wavefront6targetE1EEEvT1_,"axG",@progbits,_ZN7rocprim17ROCPRIM_400000_NS6detail17trampoline_kernelINS0_14default_configENS1_33run_length_encode_config_selectorIN3c104HalfEjNS0_4plusIjEEEEZZNS1_33reduce_by_key_impl_wrapped_configILNS1_25lookback_scan_determinismE0ES3_S9_PKS6_NS0_17constant_iteratorIjlEEPS6_PlSH_S8_NS0_8equal_toIS6_EEEE10hipError_tPvRmT2_T3_mT4_T5_T6_T7_T8_P12ihipStream_tbENKUlT_T0_E_clISt17integral_constantIbLb1EES11_EEDaSW_SX_EUlSW_E_NS1_11comp_targetILNS1_3genE0ELNS1_11target_archE4294967295ELNS1_3gpuE0ELNS1_3repE0EEENS1_30default_config_static_selectorELNS0_4arch9wavefront6targetE1EEEvT1_,comdat
	.protected	_ZN7rocprim17ROCPRIM_400000_NS6detail17trampoline_kernelINS0_14default_configENS1_33run_length_encode_config_selectorIN3c104HalfEjNS0_4plusIjEEEEZZNS1_33reduce_by_key_impl_wrapped_configILNS1_25lookback_scan_determinismE0ES3_S9_PKS6_NS0_17constant_iteratorIjlEEPS6_PlSH_S8_NS0_8equal_toIS6_EEEE10hipError_tPvRmT2_T3_mT4_T5_T6_T7_T8_P12ihipStream_tbENKUlT_T0_E_clISt17integral_constantIbLb1EES11_EEDaSW_SX_EUlSW_E_NS1_11comp_targetILNS1_3genE0ELNS1_11target_archE4294967295ELNS1_3gpuE0ELNS1_3repE0EEENS1_30default_config_static_selectorELNS0_4arch9wavefront6targetE1EEEvT1_ ; -- Begin function _ZN7rocprim17ROCPRIM_400000_NS6detail17trampoline_kernelINS0_14default_configENS1_33run_length_encode_config_selectorIN3c104HalfEjNS0_4plusIjEEEEZZNS1_33reduce_by_key_impl_wrapped_configILNS1_25lookback_scan_determinismE0ES3_S9_PKS6_NS0_17constant_iteratorIjlEEPS6_PlSH_S8_NS0_8equal_toIS6_EEEE10hipError_tPvRmT2_T3_mT4_T5_T6_T7_T8_P12ihipStream_tbENKUlT_T0_E_clISt17integral_constantIbLb1EES11_EEDaSW_SX_EUlSW_E_NS1_11comp_targetILNS1_3genE0ELNS1_11target_archE4294967295ELNS1_3gpuE0ELNS1_3repE0EEENS1_30default_config_static_selectorELNS0_4arch9wavefront6targetE1EEEvT1_
	.globl	_ZN7rocprim17ROCPRIM_400000_NS6detail17trampoline_kernelINS0_14default_configENS1_33run_length_encode_config_selectorIN3c104HalfEjNS0_4plusIjEEEEZZNS1_33reduce_by_key_impl_wrapped_configILNS1_25lookback_scan_determinismE0ES3_S9_PKS6_NS0_17constant_iteratorIjlEEPS6_PlSH_S8_NS0_8equal_toIS6_EEEE10hipError_tPvRmT2_T3_mT4_T5_T6_T7_T8_P12ihipStream_tbENKUlT_T0_E_clISt17integral_constantIbLb1EES11_EEDaSW_SX_EUlSW_E_NS1_11comp_targetILNS1_3genE0ELNS1_11target_archE4294967295ELNS1_3gpuE0ELNS1_3repE0EEENS1_30default_config_static_selectorELNS0_4arch9wavefront6targetE1EEEvT1_
	.p2align	8
	.type	_ZN7rocprim17ROCPRIM_400000_NS6detail17trampoline_kernelINS0_14default_configENS1_33run_length_encode_config_selectorIN3c104HalfEjNS0_4plusIjEEEEZZNS1_33reduce_by_key_impl_wrapped_configILNS1_25lookback_scan_determinismE0ES3_S9_PKS6_NS0_17constant_iteratorIjlEEPS6_PlSH_S8_NS0_8equal_toIS6_EEEE10hipError_tPvRmT2_T3_mT4_T5_T6_T7_T8_P12ihipStream_tbENKUlT_T0_E_clISt17integral_constantIbLb1EES11_EEDaSW_SX_EUlSW_E_NS1_11comp_targetILNS1_3genE0ELNS1_11target_archE4294967295ELNS1_3gpuE0ELNS1_3repE0EEENS1_30default_config_static_selectorELNS0_4arch9wavefront6targetE1EEEvT1_,@function
_ZN7rocprim17ROCPRIM_400000_NS6detail17trampoline_kernelINS0_14default_configENS1_33run_length_encode_config_selectorIN3c104HalfEjNS0_4plusIjEEEEZZNS1_33reduce_by_key_impl_wrapped_configILNS1_25lookback_scan_determinismE0ES3_S9_PKS6_NS0_17constant_iteratorIjlEEPS6_PlSH_S8_NS0_8equal_toIS6_EEEE10hipError_tPvRmT2_T3_mT4_T5_T6_T7_T8_P12ihipStream_tbENKUlT_T0_E_clISt17integral_constantIbLb1EES11_EEDaSW_SX_EUlSW_E_NS1_11comp_targetILNS1_3genE0ELNS1_11target_archE4294967295ELNS1_3gpuE0ELNS1_3repE0EEENS1_30default_config_static_selectorELNS0_4arch9wavefront6targetE1EEEvT1_: ; @_ZN7rocprim17ROCPRIM_400000_NS6detail17trampoline_kernelINS0_14default_configENS1_33run_length_encode_config_selectorIN3c104HalfEjNS0_4plusIjEEEEZZNS1_33reduce_by_key_impl_wrapped_configILNS1_25lookback_scan_determinismE0ES3_S9_PKS6_NS0_17constant_iteratorIjlEEPS6_PlSH_S8_NS0_8equal_toIS6_EEEE10hipError_tPvRmT2_T3_mT4_T5_T6_T7_T8_P12ihipStream_tbENKUlT_T0_E_clISt17integral_constantIbLb1EES11_EEDaSW_SX_EUlSW_E_NS1_11comp_targetILNS1_3genE0ELNS1_11target_archE4294967295ELNS1_3gpuE0ELNS1_3repE0EEENS1_30default_config_static_selectorELNS0_4arch9wavefront6targetE1EEEvT1_
; %bb.0:
	.section	.rodata,"a",@progbits
	.p2align	6, 0x0
	.amdhsa_kernel _ZN7rocprim17ROCPRIM_400000_NS6detail17trampoline_kernelINS0_14default_configENS1_33run_length_encode_config_selectorIN3c104HalfEjNS0_4plusIjEEEEZZNS1_33reduce_by_key_impl_wrapped_configILNS1_25lookback_scan_determinismE0ES3_S9_PKS6_NS0_17constant_iteratorIjlEEPS6_PlSH_S8_NS0_8equal_toIS6_EEEE10hipError_tPvRmT2_T3_mT4_T5_T6_T7_T8_P12ihipStream_tbENKUlT_T0_E_clISt17integral_constantIbLb1EES11_EEDaSW_SX_EUlSW_E_NS1_11comp_targetILNS1_3genE0ELNS1_11target_archE4294967295ELNS1_3gpuE0ELNS1_3repE0EEENS1_30default_config_static_selectorELNS0_4arch9wavefront6targetE1EEEvT1_
		.amdhsa_group_segment_fixed_size 0
		.amdhsa_private_segment_fixed_size 0
		.amdhsa_kernarg_size 128
		.amdhsa_user_sgpr_count 2
		.amdhsa_user_sgpr_dispatch_ptr 0
		.amdhsa_user_sgpr_queue_ptr 0
		.amdhsa_user_sgpr_kernarg_segment_ptr 1
		.amdhsa_user_sgpr_dispatch_id 0
		.amdhsa_user_sgpr_kernarg_preload_length 0
		.amdhsa_user_sgpr_kernarg_preload_offset 0
		.amdhsa_user_sgpr_private_segment_size 0
		.amdhsa_uses_dynamic_stack 0
		.amdhsa_enable_private_segment 0
		.amdhsa_system_sgpr_workgroup_id_x 1
		.amdhsa_system_sgpr_workgroup_id_y 0
		.amdhsa_system_sgpr_workgroup_id_z 0
		.amdhsa_system_sgpr_workgroup_info 0
		.amdhsa_system_vgpr_workitem_id 0
		.amdhsa_next_free_vgpr 1
		.amdhsa_next_free_sgpr 0
		.amdhsa_accum_offset 4
		.amdhsa_reserve_vcc 0
		.amdhsa_float_round_mode_32 0
		.amdhsa_float_round_mode_16_64 0
		.amdhsa_float_denorm_mode_32 3
		.amdhsa_float_denorm_mode_16_64 3
		.amdhsa_dx10_clamp 1
		.amdhsa_ieee_mode 1
		.amdhsa_fp16_overflow 0
		.amdhsa_tg_split 0
		.amdhsa_exception_fp_ieee_invalid_op 0
		.amdhsa_exception_fp_denorm_src 0
		.amdhsa_exception_fp_ieee_div_zero 0
		.amdhsa_exception_fp_ieee_overflow 0
		.amdhsa_exception_fp_ieee_underflow 0
		.amdhsa_exception_fp_ieee_inexact 0
		.amdhsa_exception_int_div_zero 0
	.end_amdhsa_kernel
	.section	.text._ZN7rocprim17ROCPRIM_400000_NS6detail17trampoline_kernelINS0_14default_configENS1_33run_length_encode_config_selectorIN3c104HalfEjNS0_4plusIjEEEEZZNS1_33reduce_by_key_impl_wrapped_configILNS1_25lookback_scan_determinismE0ES3_S9_PKS6_NS0_17constant_iteratorIjlEEPS6_PlSH_S8_NS0_8equal_toIS6_EEEE10hipError_tPvRmT2_T3_mT4_T5_T6_T7_T8_P12ihipStream_tbENKUlT_T0_E_clISt17integral_constantIbLb1EES11_EEDaSW_SX_EUlSW_E_NS1_11comp_targetILNS1_3genE0ELNS1_11target_archE4294967295ELNS1_3gpuE0ELNS1_3repE0EEENS1_30default_config_static_selectorELNS0_4arch9wavefront6targetE1EEEvT1_,"axG",@progbits,_ZN7rocprim17ROCPRIM_400000_NS6detail17trampoline_kernelINS0_14default_configENS1_33run_length_encode_config_selectorIN3c104HalfEjNS0_4plusIjEEEEZZNS1_33reduce_by_key_impl_wrapped_configILNS1_25lookback_scan_determinismE0ES3_S9_PKS6_NS0_17constant_iteratorIjlEEPS6_PlSH_S8_NS0_8equal_toIS6_EEEE10hipError_tPvRmT2_T3_mT4_T5_T6_T7_T8_P12ihipStream_tbENKUlT_T0_E_clISt17integral_constantIbLb1EES11_EEDaSW_SX_EUlSW_E_NS1_11comp_targetILNS1_3genE0ELNS1_11target_archE4294967295ELNS1_3gpuE0ELNS1_3repE0EEENS1_30default_config_static_selectorELNS0_4arch9wavefront6targetE1EEEvT1_,comdat
.Lfunc_end934:
	.size	_ZN7rocprim17ROCPRIM_400000_NS6detail17trampoline_kernelINS0_14default_configENS1_33run_length_encode_config_selectorIN3c104HalfEjNS0_4plusIjEEEEZZNS1_33reduce_by_key_impl_wrapped_configILNS1_25lookback_scan_determinismE0ES3_S9_PKS6_NS0_17constant_iteratorIjlEEPS6_PlSH_S8_NS0_8equal_toIS6_EEEE10hipError_tPvRmT2_T3_mT4_T5_T6_T7_T8_P12ihipStream_tbENKUlT_T0_E_clISt17integral_constantIbLb1EES11_EEDaSW_SX_EUlSW_E_NS1_11comp_targetILNS1_3genE0ELNS1_11target_archE4294967295ELNS1_3gpuE0ELNS1_3repE0EEENS1_30default_config_static_selectorELNS0_4arch9wavefront6targetE1EEEvT1_, .Lfunc_end934-_ZN7rocprim17ROCPRIM_400000_NS6detail17trampoline_kernelINS0_14default_configENS1_33run_length_encode_config_selectorIN3c104HalfEjNS0_4plusIjEEEEZZNS1_33reduce_by_key_impl_wrapped_configILNS1_25lookback_scan_determinismE0ES3_S9_PKS6_NS0_17constant_iteratorIjlEEPS6_PlSH_S8_NS0_8equal_toIS6_EEEE10hipError_tPvRmT2_T3_mT4_T5_T6_T7_T8_P12ihipStream_tbENKUlT_T0_E_clISt17integral_constantIbLb1EES11_EEDaSW_SX_EUlSW_E_NS1_11comp_targetILNS1_3genE0ELNS1_11target_archE4294967295ELNS1_3gpuE0ELNS1_3repE0EEENS1_30default_config_static_selectorELNS0_4arch9wavefront6targetE1EEEvT1_
                                        ; -- End function
	.section	.AMDGPU.csdata,"",@progbits
; Kernel info:
; codeLenInByte = 0
; NumSgprs: 6
; NumVgprs: 0
; NumAgprs: 0
; TotalNumVgprs: 0
; ScratchSize: 0
; MemoryBound: 0
; FloatMode: 240
; IeeeMode: 1
; LDSByteSize: 0 bytes/workgroup (compile time only)
; SGPRBlocks: 0
; VGPRBlocks: 0
; NumSGPRsForWavesPerEU: 6
; NumVGPRsForWavesPerEU: 1
; AccumOffset: 4
; Occupancy: 8
; WaveLimiterHint : 0
; COMPUTE_PGM_RSRC2:SCRATCH_EN: 0
; COMPUTE_PGM_RSRC2:USER_SGPR: 2
; COMPUTE_PGM_RSRC2:TRAP_HANDLER: 0
; COMPUTE_PGM_RSRC2:TGID_X_EN: 1
; COMPUTE_PGM_RSRC2:TGID_Y_EN: 0
; COMPUTE_PGM_RSRC2:TGID_Z_EN: 0
; COMPUTE_PGM_RSRC2:TIDIG_COMP_CNT: 0
; COMPUTE_PGM_RSRC3_GFX90A:ACCUM_OFFSET: 0
; COMPUTE_PGM_RSRC3_GFX90A:TG_SPLIT: 0
	.section	.text._ZN7rocprim17ROCPRIM_400000_NS6detail17trampoline_kernelINS0_14default_configENS1_33run_length_encode_config_selectorIN3c104HalfEjNS0_4plusIjEEEEZZNS1_33reduce_by_key_impl_wrapped_configILNS1_25lookback_scan_determinismE0ES3_S9_PKS6_NS0_17constant_iteratorIjlEEPS6_PlSH_S8_NS0_8equal_toIS6_EEEE10hipError_tPvRmT2_T3_mT4_T5_T6_T7_T8_P12ihipStream_tbENKUlT_T0_E_clISt17integral_constantIbLb1EES11_EEDaSW_SX_EUlSW_E_NS1_11comp_targetILNS1_3genE5ELNS1_11target_archE942ELNS1_3gpuE9ELNS1_3repE0EEENS1_30default_config_static_selectorELNS0_4arch9wavefront6targetE1EEEvT1_,"axG",@progbits,_ZN7rocprim17ROCPRIM_400000_NS6detail17trampoline_kernelINS0_14default_configENS1_33run_length_encode_config_selectorIN3c104HalfEjNS0_4plusIjEEEEZZNS1_33reduce_by_key_impl_wrapped_configILNS1_25lookback_scan_determinismE0ES3_S9_PKS6_NS0_17constant_iteratorIjlEEPS6_PlSH_S8_NS0_8equal_toIS6_EEEE10hipError_tPvRmT2_T3_mT4_T5_T6_T7_T8_P12ihipStream_tbENKUlT_T0_E_clISt17integral_constantIbLb1EES11_EEDaSW_SX_EUlSW_E_NS1_11comp_targetILNS1_3genE5ELNS1_11target_archE942ELNS1_3gpuE9ELNS1_3repE0EEENS1_30default_config_static_selectorELNS0_4arch9wavefront6targetE1EEEvT1_,comdat
	.protected	_ZN7rocprim17ROCPRIM_400000_NS6detail17trampoline_kernelINS0_14default_configENS1_33run_length_encode_config_selectorIN3c104HalfEjNS0_4plusIjEEEEZZNS1_33reduce_by_key_impl_wrapped_configILNS1_25lookback_scan_determinismE0ES3_S9_PKS6_NS0_17constant_iteratorIjlEEPS6_PlSH_S8_NS0_8equal_toIS6_EEEE10hipError_tPvRmT2_T3_mT4_T5_T6_T7_T8_P12ihipStream_tbENKUlT_T0_E_clISt17integral_constantIbLb1EES11_EEDaSW_SX_EUlSW_E_NS1_11comp_targetILNS1_3genE5ELNS1_11target_archE942ELNS1_3gpuE9ELNS1_3repE0EEENS1_30default_config_static_selectorELNS0_4arch9wavefront6targetE1EEEvT1_ ; -- Begin function _ZN7rocprim17ROCPRIM_400000_NS6detail17trampoline_kernelINS0_14default_configENS1_33run_length_encode_config_selectorIN3c104HalfEjNS0_4plusIjEEEEZZNS1_33reduce_by_key_impl_wrapped_configILNS1_25lookback_scan_determinismE0ES3_S9_PKS6_NS0_17constant_iteratorIjlEEPS6_PlSH_S8_NS0_8equal_toIS6_EEEE10hipError_tPvRmT2_T3_mT4_T5_T6_T7_T8_P12ihipStream_tbENKUlT_T0_E_clISt17integral_constantIbLb1EES11_EEDaSW_SX_EUlSW_E_NS1_11comp_targetILNS1_3genE5ELNS1_11target_archE942ELNS1_3gpuE9ELNS1_3repE0EEENS1_30default_config_static_selectorELNS0_4arch9wavefront6targetE1EEEvT1_
	.globl	_ZN7rocprim17ROCPRIM_400000_NS6detail17trampoline_kernelINS0_14default_configENS1_33run_length_encode_config_selectorIN3c104HalfEjNS0_4plusIjEEEEZZNS1_33reduce_by_key_impl_wrapped_configILNS1_25lookback_scan_determinismE0ES3_S9_PKS6_NS0_17constant_iteratorIjlEEPS6_PlSH_S8_NS0_8equal_toIS6_EEEE10hipError_tPvRmT2_T3_mT4_T5_T6_T7_T8_P12ihipStream_tbENKUlT_T0_E_clISt17integral_constantIbLb1EES11_EEDaSW_SX_EUlSW_E_NS1_11comp_targetILNS1_3genE5ELNS1_11target_archE942ELNS1_3gpuE9ELNS1_3repE0EEENS1_30default_config_static_selectorELNS0_4arch9wavefront6targetE1EEEvT1_
	.p2align	8
	.type	_ZN7rocprim17ROCPRIM_400000_NS6detail17trampoline_kernelINS0_14default_configENS1_33run_length_encode_config_selectorIN3c104HalfEjNS0_4plusIjEEEEZZNS1_33reduce_by_key_impl_wrapped_configILNS1_25lookback_scan_determinismE0ES3_S9_PKS6_NS0_17constant_iteratorIjlEEPS6_PlSH_S8_NS0_8equal_toIS6_EEEE10hipError_tPvRmT2_T3_mT4_T5_T6_T7_T8_P12ihipStream_tbENKUlT_T0_E_clISt17integral_constantIbLb1EES11_EEDaSW_SX_EUlSW_E_NS1_11comp_targetILNS1_3genE5ELNS1_11target_archE942ELNS1_3gpuE9ELNS1_3repE0EEENS1_30default_config_static_selectorELNS0_4arch9wavefront6targetE1EEEvT1_,@function
_ZN7rocprim17ROCPRIM_400000_NS6detail17trampoline_kernelINS0_14default_configENS1_33run_length_encode_config_selectorIN3c104HalfEjNS0_4plusIjEEEEZZNS1_33reduce_by_key_impl_wrapped_configILNS1_25lookback_scan_determinismE0ES3_S9_PKS6_NS0_17constant_iteratorIjlEEPS6_PlSH_S8_NS0_8equal_toIS6_EEEE10hipError_tPvRmT2_T3_mT4_T5_T6_T7_T8_P12ihipStream_tbENKUlT_T0_E_clISt17integral_constantIbLb1EES11_EEDaSW_SX_EUlSW_E_NS1_11comp_targetILNS1_3genE5ELNS1_11target_archE942ELNS1_3gpuE9ELNS1_3repE0EEENS1_30default_config_static_selectorELNS0_4arch9wavefront6targetE1EEEvT1_: ; @_ZN7rocprim17ROCPRIM_400000_NS6detail17trampoline_kernelINS0_14default_configENS1_33run_length_encode_config_selectorIN3c104HalfEjNS0_4plusIjEEEEZZNS1_33reduce_by_key_impl_wrapped_configILNS1_25lookback_scan_determinismE0ES3_S9_PKS6_NS0_17constant_iteratorIjlEEPS6_PlSH_S8_NS0_8equal_toIS6_EEEE10hipError_tPvRmT2_T3_mT4_T5_T6_T7_T8_P12ihipStream_tbENKUlT_T0_E_clISt17integral_constantIbLb1EES11_EEDaSW_SX_EUlSW_E_NS1_11comp_targetILNS1_3genE5ELNS1_11target_archE942ELNS1_3gpuE9ELNS1_3repE0EEENS1_30default_config_static_selectorELNS0_4arch9wavefront6targetE1EEEvT1_
; %bb.0:
	s_load_dword s10, s[0:1], 0x10
	s_load_dwordx4 s[44:47], s[0:1], 0x20
	s_load_dwordx2 s[48:49], s[0:1], 0x30
	s_load_dwordx2 s[50:51], s[0:1], 0x70
	s_load_dwordx4 s[28:31], s[0:1], 0x60
	s_load_dwordx8 s[36:43], s[0:1], 0x40
	v_cmp_ne_u32_e64 s[2:3], 0, v0
	v_cmp_eq_u32_e64 s[34:35], 0, v0
	s_and_saveexec_b64 s[4:5], s[34:35]
	s_cbranch_execz .LBB935_4
; %bb.1:
	s_mov_b64 s[8:9], exec
	v_mbcnt_lo_u32_b32 v1, s8, 0
	v_mbcnt_hi_u32_b32 v1, s9, v1
	v_cmp_eq_u32_e32 vcc, 0, v1
                                        ; implicit-def: $vgpr2
	s_and_saveexec_b64 s[6:7], vcc
	s_cbranch_execz .LBB935_3
; %bb.2:
	s_load_dwordx2 s[12:13], s[0:1], 0x78
	s_bcnt1_i32_b64 s8, s[8:9]
	v_mov_b32_e32 v2, 0
	v_mov_b32_e32 v3, s8
	s_waitcnt lgkmcnt(0)
	global_atomic_add v2, v2, v3, s[12:13] sc0
.LBB935_3:
	s_or_b64 exec, exec, s[6:7]
	s_waitcnt vmcnt(0)
	v_readfirstlane_b32 s6, v2
	v_mov_b32_e32 v2, 0
	s_nop 0
	v_add_u32_e32 v1, s6, v1
	ds_write_b32 v2, v1
.LBB935_4:
	s_or_b64 exec, exec, s[4:5]
	s_load_dwordx4 s[4:7], s[0:1], 0x0
	v_mov_b32_e32 v3, 0
	s_waitcnt lgkmcnt(0)
	s_barrier
	ds_read_b32 v1, v3
	s_mul_i32 s0, s40, s39
	s_mul_hi_u32 s1, s40, s38
	s_add_i32 s0, s1, s0
	s_mul_i32 s1, s41, s38
	s_add_i32 s8, s0, s1
	s_lshl_b64 s[0:1], s[6:7], 1
	s_add_u32 s0, s4, s0
	s_mul_i32 s9, s40, s38
	s_addc_u32 s1, s5, s1
	s_waitcnt lgkmcnt(0)
	v_readfirstlane_b32 s58, v1
	s_movk_i32 s4, 0xf00
	v_mul_lo_u32 v2, v1, s4
	s_add_u32 s4, s9, s58
	s_addc_u32 s5, s8, 0
	s_add_u32 s8, s42, -1
	s_addc_u32 s9, s43, -1
	s_cmp_eq_u64 s[4:5], s[8:9]
	v_lshlrev_b64 v[4:5], 1, v[2:3]
	s_cselect_b64 s[40:41], -1, 0
	s_cmp_lg_u64 s[4:5], s[8:9]
	v_lshl_add_u64 v[6:7], s[0:1], 0, v[4:5]
	s_mov_b64 s[6:7], -1
	s_cselect_b64 s[0:1], -1, 0
	s_mul_i32 s33, s8, 0xfffff100
	s_and_b64 vcc, exec, s[40:41]
	s_barrier
	s_cbranch_vccnz .LBB935_6
; %bb.5:
	v_lshlrev_b32_e32 v2, 1, v0
	v_lshl_add_u64 v[4:5], v[6:7], 0, v[2:3]
	v_add_co_u32_e32 v4, vcc, 0x1000, v4
	v_readfirstlane_b32 s6, v6
	v_readfirstlane_b32 s7, v7
	v_addc_co_u32_e32 v5, vcc, 0, v5, vcc
	s_nop 3
	global_load_ushort v1, v2, s[6:7]
	global_load_ushort v3, v2, s[6:7] offset:512
	global_load_ushort v12, v2, s[6:7] offset:1024
	;; [unrolled: 1-line block ×7, first 2 shown]
	global_load_ushort v19, v[4:5], off
	global_load_ushort v20, v[4:5], off offset:512
	global_load_ushort v21, v[4:5], off offset:1024
	;; [unrolled: 1-line block ×6, first 2 shown]
	v_mad_u32_u24 v30, v0, 28, v2
	s_movk_i32 s6, 0xffe6
	v_mul_u32_u24_e32 v8, 15, v0
	v_mad_u32_u24 v9, v0, 15, 1
	v_mad_u32_u24 v24, v0, 15, 3
	v_mad_u32_u24 v15, v0, 15, 5
	v_mad_u32_u24 v11, v0, 15, 7
	v_mad_u32_u24 v10, v0, 15, 9
	v_mad_u32_u24 v26, v0, 15, 11
	v_mad_u32_u24 v25, v0, 15, 13
	v_mov_b32_e32 v29, s10
	v_mad_i32_i24 v31, v0, s6, v30
	s_waitcnt vmcnt(14)
	ds_write_b16 v2, v1
	s_waitcnt vmcnt(13)
	ds_write_b16 v2, v3 offset:512
	s_waitcnt vmcnt(12)
	ds_write_b16 v2, v12 offset:1024
	;; [unrolled: 2-line block ×14, first 2 shown]
	s_waitcnt lgkmcnt(0)
	s_barrier
	ds_read_u16 v1, v30
	ds_read_b128 v[2:5], v30 offset:2
	ds_read_b96 v[12:14], v30 offset:18
	s_waitcnt lgkmcnt(0)
	s_barrier
	ds_write2st64_b32 v31, v29, v29 offset1:4
	ds_write2st64_b32 v31, v29, v29 offset0:8 offset1:12
	ds_write2st64_b32 v31, v29, v29 offset0:16 offset1:20
	;; [unrolled: 1-line block ×6, first 2 shown]
	ds_write_b32 v31, v29 offset:14336
	s_waitcnt lgkmcnt(0)
	s_barrier
	s_add_i32 s33, s33, s28
	s_cbranch_execz .LBB935_7
	s_branch .LBB935_38
.LBB935_6:
                                        ; implicit-def: $vgpr2
                                        ; implicit-def: $vgpr12
                                        ; implicit-def: $vgpr25
                                        ; implicit-def: $vgpr26
                                        ; implicit-def: $vgpr10
                                        ; implicit-def: $vgpr11
                                        ; implicit-def: $vgpr15
                                        ; implicit-def: $vgpr24
                                        ; implicit-def: $vgpr9
                                        ; implicit-def: $vgpr8
                                        ; implicit-def: $vgpr1
	s_andn2_b64 vcc, exec, s[6:7]
	s_add_i32 s33, s33, s28
	s_cbranch_vccnz .LBB935_38
.LBB935_7:
	v_cmp_gt_u32_e32 vcc, s33, v0
                                        ; implicit-def: $vgpr1
	s_and_saveexec_b64 s[6:7], vcc
	s_cbranch_execz .LBB935_9
; %bb.8:
	v_lshlrev_b32_e32 v1, 1, v0
	v_readfirstlane_b32 s8, v6
	v_readfirstlane_b32 s9, v7
	s_nop 4
	global_load_ushort v1, v1, s[8:9]
.LBB935_9:
	s_or_b64 exec, exec, s[6:7]
	v_or_b32_e32 v2, 0x100, v0
	v_cmp_gt_u32_e32 vcc, s33, v2
                                        ; implicit-def: $vgpr2
	s_and_saveexec_b64 s[6:7], vcc
	s_cbranch_execz .LBB935_11
; %bb.10:
	v_lshlrev_b32_e32 v2, 1, v0
	v_readfirstlane_b32 s8, v6
	v_readfirstlane_b32 s9, v7
	s_nop 4
	global_load_ushort v2, v2, s[8:9] offset:512
.LBB935_11:
	s_or_b64 exec, exec, s[6:7]
	v_or_b32_e32 v3, 0x200, v0
	v_cmp_gt_u32_e32 vcc, s33, v3
                                        ; implicit-def: $vgpr3
	s_and_saveexec_b64 s[6:7], vcc
	s_cbranch_execz .LBB935_13
; %bb.12:
	v_lshlrev_b32_e32 v3, 1, v0
	v_readfirstlane_b32 s8, v6
	v_readfirstlane_b32 s9, v7
	s_nop 4
	global_load_ushort v3, v3, s[8:9] offset:1024
.LBB935_13:
	s_or_b64 exec, exec, s[6:7]
	v_or_b32_e32 v4, 0x300, v0
	v_cmp_gt_u32_e32 vcc, s33, v4
                                        ; implicit-def: $vgpr4
	s_and_saveexec_b64 s[6:7], vcc
	s_cbranch_execz .LBB935_15
; %bb.14:
	v_lshlrev_b32_e32 v4, 1, v0
	v_readfirstlane_b32 s8, v6
	v_readfirstlane_b32 s9, v7
	s_nop 4
	global_load_ushort v4, v4, s[8:9] offset:1536
.LBB935_15:
	s_or_b64 exec, exec, s[6:7]
	v_or_b32_e32 v5, 0x400, v0
	v_cmp_gt_u32_e32 vcc, s33, v5
                                        ; implicit-def: $vgpr5
	s_and_saveexec_b64 s[6:7], vcc
	s_cbranch_execz .LBB935_17
; %bb.16:
	v_lshlrev_b32_e32 v5, 1, v0
	v_readfirstlane_b32 s8, v6
	v_readfirstlane_b32 s9, v7
	s_nop 4
	global_load_ushort v5, v5, s[8:9] offset:2048
.LBB935_17:
	s_or_b64 exec, exec, s[6:7]
	v_or_b32_e32 v8, 0x500, v0
	v_cmp_gt_u32_e32 vcc, s33, v8
                                        ; implicit-def: $vgpr8
	s_and_saveexec_b64 s[6:7], vcc
	s_cbranch_execz .LBB935_19
; %bb.18:
	v_lshlrev_b32_e32 v8, 1, v0
	v_readfirstlane_b32 s8, v6
	v_readfirstlane_b32 s9, v7
	s_nop 4
	global_load_ushort v8, v8, s[8:9] offset:2560
.LBB935_19:
	s_or_b64 exec, exec, s[6:7]
	v_or_b32_e32 v9, 0x600, v0
	v_cmp_gt_u32_e32 vcc, s33, v9
                                        ; implicit-def: $vgpr9
	s_and_saveexec_b64 s[6:7], vcc
	s_cbranch_execz .LBB935_21
; %bb.20:
	v_lshlrev_b32_e32 v9, 1, v0
	v_readfirstlane_b32 s8, v6
	v_readfirstlane_b32 s9, v7
	s_nop 4
	global_load_ushort v9, v9, s[8:9] offset:3072
.LBB935_21:
	s_or_b64 exec, exec, s[6:7]
	v_or_b32_e32 v10, 0x700, v0
	v_cmp_gt_u32_e32 vcc, s33, v10
                                        ; implicit-def: $vgpr10
	s_and_saveexec_b64 s[6:7], vcc
	s_cbranch_execz .LBB935_23
; %bb.22:
	v_lshlrev_b32_e32 v10, 1, v0
	v_readfirstlane_b32 s8, v6
	v_readfirstlane_b32 s9, v7
	s_nop 4
	global_load_ushort v10, v10, s[8:9] offset:3584
.LBB935_23:
	s_or_b64 exec, exec, s[6:7]
	v_or_b32_e32 v12, 0x800, v0
	v_cmp_gt_u32_e32 vcc, s33, v12
                                        ; implicit-def: $vgpr11
	s_and_saveexec_b64 s[6:7], vcc
	s_cbranch_execz .LBB935_25
; %bb.24:
	v_lshlrev_b32_e32 v11, 1, v12
	v_readfirstlane_b32 s8, v6
	v_readfirstlane_b32 s9, v7
	s_nop 4
	global_load_ushort v11, v11, s[8:9]
.LBB935_25:
	s_or_b64 exec, exec, s[6:7]
	v_or_b32_e32 v13, 0x900, v0
	v_cmp_gt_u32_e32 vcc, s33, v13
                                        ; implicit-def: $vgpr12
	s_and_saveexec_b64 s[6:7], vcc
	s_cbranch_execz .LBB935_27
; %bb.26:
	v_lshlrev_b32_e32 v12, 1, v13
	v_readfirstlane_b32 s8, v6
	v_readfirstlane_b32 s9, v7
	s_nop 4
	global_load_ushort v12, v12, s[8:9]
.LBB935_27:
	s_or_b64 exec, exec, s[6:7]
	v_or_b32_e32 v14, 0xa00, v0
	v_cmp_gt_u32_e32 vcc, s33, v14
                                        ; implicit-def: $vgpr13
	s_and_saveexec_b64 s[6:7], vcc
	s_cbranch_execz .LBB935_29
; %bb.28:
	v_lshlrev_b32_e32 v13, 1, v14
	v_readfirstlane_b32 s8, v6
	v_readfirstlane_b32 s9, v7
	s_nop 4
	global_load_ushort v13, v13, s[8:9]
.LBB935_29:
	s_or_b64 exec, exec, s[6:7]
	v_or_b32_e32 v15, 0xb00, v0
	v_cmp_gt_u32_e32 vcc, s33, v15
                                        ; implicit-def: $vgpr14
	s_and_saveexec_b64 s[6:7], vcc
	s_cbranch_execz .LBB935_31
; %bb.30:
	v_lshlrev_b32_e32 v14, 1, v15
	v_readfirstlane_b32 s8, v6
	v_readfirstlane_b32 s9, v7
	s_nop 4
	global_load_ushort v14, v14, s[8:9]
.LBB935_31:
	s_or_b64 exec, exec, s[6:7]
	v_or_b32_e32 v16, 0xc00, v0
	v_cmp_gt_u32_e32 vcc, s33, v16
                                        ; implicit-def: $vgpr15
	s_and_saveexec_b64 s[6:7], vcc
	s_cbranch_execz .LBB935_33
; %bb.32:
	v_lshlrev_b32_e32 v15, 1, v16
	v_readfirstlane_b32 s8, v6
	v_readfirstlane_b32 s9, v7
	s_nop 4
	global_load_ushort v15, v15, s[8:9]
.LBB935_33:
	s_or_b64 exec, exec, s[6:7]
	v_or_b32_e32 v17, 0xd00, v0
	v_cmp_gt_u32_e32 vcc, s33, v17
                                        ; implicit-def: $vgpr16
	s_and_saveexec_b64 s[6:7], vcc
	s_cbranch_execz .LBB935_35
; %bb.34:
	v_lshlrev_b32_e32 v16, 1, v17
	v_readfirstlane_b32 s8, v6
	v_readfirstlane_b32 s9, v7
	s_nop 4
	global_load_ushort v16, v16, s[8:9]
.LBB935_35:
	s_or_b64 exec, exec, s[6:7]
	v_or_b32_e32 v18, 0xe00, v0
	v_cmp_gt_u32_e32 vcc, s33, v18
                                        ; implicit-def: $vgpr17
	s_and_saveexec_b64 s[6:7], vcc
	s_cbranch_execz .LBB935_37
; %bb.36:
	v_lshlrev_b32_e32 v17, 1, v18
	v_readfirstlane_b32 s8, v6
	v_readfirstlane_b32 s9, v7
	s_nop 4
	global_load_ushort v17, v17, s[8:9]
.LBB935_37:
	s_or_b64 exec, exec, s[6:7]
	v_lshlrev_b32_e32 v18, 1, v0
	s_waitcnt vmcnt(0)
	ds_write_b16 v18, v1
	ds_write_b16 v18, v2 offset:512
	ds_write_b16 v18, v3 offset:1024
	;; [unrolled: 1-line block ×14, first 2 shown]
	v_mad_u32_u24 v16, v0, 28, v18
	s_waitcnt lgkmcnt(0)
	s_barrier
	ds_read_u16 v1, v16
	ds_read_b128 v[2:5], v16 offset:2
	ds_read_b96 v[12:14], v16 offset:18
	s_movk_i32 s6, 0xffe6
	v_mul_u32_u24_e32 v8, 15, v0
	v_mad_u32_u24 v9, v0, 15, 1
	v_mad_u32_u24 v24, v0, 15, 3
	;; [unrolled: 1-line block ×7, first 2 shown]
	v_mad_i32_i24 v16, v0, s6, v16
	v_mov_b32_e32 v17, s10
	s_waitcnt lgkmcnt(0)
	s_barrier
	ds_write2st64_b32 v16, v17, v17 offset1:4
	ds_write2st64_b32 v16, v17, v17 offset0:8 offset1:12
	ds_write2st64_b32 v16, v17, v17 offset0:16 offset1:20
	;; [unrolled: 1-line block ×6, first 2 shown]
	ds_write_b32 v16, v17 offset:14336
	s_waitcnt lgkmcnt(0)
	s_barrier
.LBB935_38:
	v_lshlrev_b32_e32 v8, 2, v8
	ds_read2_b32 v[22:23], v8 offset1:2
	ds_read2_b32 v[20:21], v8 offset0:4 offset1:6
	ds_read2_b32 v[18:19], v8 offset0:8 offset1:10
	;; [unrolled: 1-line block ×3, first 2 shown]
	v_lshlrev_b32_e32 v8, 2, v9
	v_lshlrev_b32_e32 v9, 2, v24
	;; [unrolled: 1-line block ×7, first 2 shown]
	ds_read_b32 v76, v8
	ds_read_b32 v75, v9
	;; [unrolled: 1-line block ×7, first 2 shown]
	s_cmp_eq_u64 s[4:5], 0
	s_cselect_b64 s[42:43], -1, 0
	s_cmp_lg_u64 s[4:5], 0
	s_mov_b64 s[6:7], 0
	s_cselect_b64 s[8:9], -1, 0
	s_and_b64 vcc, exec, s[0:1]
	s_waitcnt lgkmcnt(0)
	s_barrier
	s_cbranch_vccz .LBB935_44
; %bb.39:
	s_and_b64 vcc, exec, s[8:9]
	s_cbranch_vccz .LBB935_45
; %bb.40:
	global_load_ushort v8, v[6:7], off offset:-2
	v_lshrrev_b32_e32 v10, 16, v14
	v_lshlrev_b32_e32 v9, 1, v0
	v_cmp_neq_f16_e32 vcc, v14, v10
	v_cmp_neq_f16_sdwa s[6:7], v13, v14 src0_sel:WORD_1 src1_sel:DWORD
	v_cmp_neq_f16_sdwa s[10:11], v13, v13 src0_sel:DWORD src1_sel:WORD_1
	v_cmp_neq_f16_sdwa s[12:13], v12, v13 src0_sel:WORD_1 src1_sel:DWORD
	v_cmp_neq_f16_sdwa s[14:15], v12, v12 src0_sel:DWORD src1_sel:WORD_1
	;; [unrolled: 2-line block ×6, first 2 shown]
	v_cmp_neq_f16_e64 s[0:1], v1, v2
	ds_write_b16 v9, v10
	s_waitcnt lgkmcnt(0)
	s_barrier
	s_and_saveexec_b64 s[56:57], s[2:3]
	s_cbranch_execz .LBB935_42
; %bb.41:
	s_waitcnt vmcnt(0)
	v_add_u32_e32 v8, -2, v9
	ds_read_u16 v8, v8
.LBB935_42:
	s_or_b64 exec, exec, s[56:57]
	v_cndmask_b32_e64 v15, 0, 1, vcc
	v_cndmask_b32_e64 v56, 0, 1, s[6:7]
	v_cndmask_b32_e64 v57, 0, 1, s[10:11]
	v_cndmask_b32_e64 v58, 0, 1, s[12:13]
	v_cndmask_b32_e64 v59, 0, 1, s[14:15]
	v_cndmask_b32_e64 v60, 0, 1, s[16:17]
	v_cndmask_b32_e64 v61, 0, 1, s[18:19]
	v_cndmask_b32_e64 v62, 0, 1, s[20:21]
	v_cndmask_b32_e64 v63, 0, 1, s[22:23]
	v_cndmask_b32_e64 v64, 0, 1, s[24:25]
	v_cndmask_b32_e64 v65, 0, 1, s[26:27]
	v_cndmask_b32_e64 v66, 0, 1, s[52:53]
	v_cndmask_b32_e64 v67, 0, 1, s[54:55]
	v_cndmask_b32_e64 v68, 0, 1, s[0:1]
	s_waitcnt vmcnt(0) lgkmcnt(0)
	v_cmp_neq_f16_e64 s[0:1], v1, v8
	s_mov_b64 s[6:7], -1
.LBB935_43:
                                        ; implicit-def: $sgpr12
	s_branch .LBB935_57
.LBB935_44:
                                        ; implicit-def: $sgpr0_sgpr1
                                        ; implicit-def: $vgpr15
                                        ; implicit-def: $vgpr56
                                        ; implicit-def: $vgpr57
                                        ; implicit-def: $vgpr58
                                        ; implicit-def: $vgpr59
                                        ; implicit-def: $vgpr60
                                        ; implicit-def: $vgpr61
                                        ; implicit-def: $vgpr62
                                        ; implicit-def: $vgpr63
                                        ; implicit-def: $vgpr64
                                        ; implicit-def: $vgpr65
                                        ; implicit-def: $vgpr66
                                        ; implicit-def: $vgpr67
                                        ; implicit-def: $vgpr68
                                        ; implicit-def: $sgpr12
	s_cbranch_execnz .LBB935_49
	s_branch .LBB935_57
.LBB935_45:
                                        ; implicit-def: $sgpr0_sgpr1
                                        ; implicit-def: $vgpr15
                                        ; implicit-def: $vgpr56
                                        ; implicit-def: $vgpr57
                                        ; implicit-def: $vgpr58
                                        ; implicit-def: $vgpr59
                                        ; implicit-def: $vgpr60
                                        ; implicit-def: $vgpr61
                                        ; implicit-def: $vgpr62
                                        ; implicit-def: $vgpr63
                                        ; implicit-def: $vgpr64
                                        ; implicit-def: $vgpr65
                                        ; implicit-def: $vgpr66
                                        ; implicit-def: $vgpr67
                                        ; implicit-def: $vgpr68
	s_cbranch_execz .LBB935_43
; %bb.46:
	v_cmp_neq_f16_sdwa s[0:1], v13, v14 src0_sel:WORD_1 src1_sel:DWORD
	v_lshrrev_b32_e32 v9, 16, v14
	v_cmp_neq_f16_e32 vcc, v14, v9
	v_cndmask_b32_e64 v56, 0, 1, s[0:1]
	v_cmp_neq_f16_sdwa s[0:1], v13, v13 src0_sel:DWORD src1_sel:WORD_1
	v_cndmask_b32_e64 v15, 0, 1, vcc
	v_cmp_neq_f16_e32 vcc, v1, v2
	v_cndmask_b32_e64 v57, 0, 1, s[0:1]
	v_cmp_neq_f16_sdwa s[0:1], v12, v13 src0_sel:WORD_1 src1_sel:DWORD
	s_mov_b32 s12, 1
	v_lshlrev_b32_e32 v8, 1, v0
	v_cndmask_b32_e64 v58, 0, 1, s[0:1]
	v_cmp_neq_f16_sdwa s[0:1], v12, v12 src0_sel:DWORD src1_sel:WORD_1
	v_cndmask_b32_e64 v68, 0, 1, vcc
	ds_write_b16 v8, v9
	v_cndmask_b32_e64 v59, 0, 1, s[0:1]
	v_cmp_neq_f16_sdwa s[0:1], v5, v12 src0_sel:WORD_1 src1_sel:DWORD
	s_waitcnt lgkmcnt(0)
	s_barrier
	v_cndmask_b32_e64 v60, 0, 1, s[0:1]
	v_cmp_neq_f16_sdwa s[0:1], v5, v5 src0_sel:DWORD src1_sel:WORD_1
	s_nop 1
	v_cndmask_b32_e64 v61, 0, 1, s[0:1]
	v_cmp_neq_f16_sdwa s[0:1], v4, v5 src0_sel:WORD_1 src1_sel:DWORD
	s_nop 1
	v_cndmask_b32_e64 v62, 0, 1, s[0:1]
	v_cmp_neq_f16_sdwa s[0:1], v4, v4 src0_sel:DWORD src1_sel:WORD_1
	s_nop 1
	v_cndmask_b32_e64 v63, 0, 1, s[0:1]
	v_cmp_neq_f16_sdwa s[0:1], v3, v4 src0_sel:WORD_1 src1_sel:DWORD
	s_nop 1
	;; [unrolled: 6-line block ×3, first 2 shown]
	v_cndmask_b32_e64 v66, 0, 1, s[0:1]
	v_cmp_neq_f16_sdwa s[0:1], v2, v2 src0_sel:DWORD src1_sel:WORD_1
	s_nop 1
	v_cndmask_b32_e64 v67, 0, 1, s[0:1]
                                        ; implicit-def: $sgpr0_sgpr1
	s_and_saveexec_b64 s[10:11], s[2:3]
	s_xor_b64 s[10:11], exec, s[10:11]
	s_cbranch_execz .LBB935_48
; %bb.47:
	v_add_u32_e32 v8, -2, v8
	ds_read_u16 v8, v8
	s_or_b64 s[6:7], s[6:7], exec
	s_waitcnt lgkmcnt(0)
	v_cmp_neq_f16_e32 vcc, v8, v1
	s_and_b64 s[0:1], vcc, exec
.LBB935_48:
	s_or_b64 exec, exec, s[10:11]
	s_branch .LBB935_57
.LBB935_49:
	s_mul_hi_u32 s1, s4, 0xfffff100
	s_mul_i32 s0, s5, 0xfffff100
	s_sub_i32 s1, s1, s4
	s_add_i32 s1, s1, s0
	s_mul_i32 s0, s4, 0xfffff100
	s_add_u32 s4, s0, s28
	s_addc_u32 s5, s1, s29
	s_and_b64 vcc, exec, s[8:9]
	s_cbranch_vccz .LBB935_54
; %bb.50:
	global_load_ushort v10, v[6:7], off offset:-2
	v_lshrrev_b32_e32 v11, 16, v14
	v_mad_u32_u24 v8, v0, 15, 14
	v_mov_b32_e32 v9, 0
	v_cmp_gt_u64_e32 vcc, s[4:5], v[8:9]
	v_cmp_neq_f16_e64 s[0:1], v14, v11
	v_mad_u32_u24 v8, v0, 15, 13
	s_and_b64 s[6:7], vcc, s[0:1]
	v_cmp_gt_u64_e32 vcc, s[4:5], v[8:9]
	v_cmp_neq_f16_sdwa s[0:1], v13, v14 src0_sel:WORD_1 src1_sel:DWORD
	v_mad_u32_u24 v8, v0, 15, 12
	s_and_b64 s[8:9], vcc, s[0:1]
	v_cmp_gt_u64_e32 vcc, s[4:5], v[8:9]
	v_cmp_neq_f16_sdwa s[0:1], v13, v13 src0_sel:DWORD src1_sel:WORD_1
	v_mad_u32_u24 v8, v0, 15, 11
	s_and_b64 s[10:11], vcc, s[0:1]
	v_cmp_gt_u64_e32 vcc, s[4:5], v[8:9]
	v_cmp_neq_f16_sdwa s[0:1], v12, v13 src0_sel:WORD_1 src1_sel:DWORD
	v_mad_u32_u24 v8, v0, 15, 10
	s_and_b64 s[12:13], vcc, s[0:1]
	v_cmp_gt_u64_e32 vcc, s[4:5], v[8:9]
	v_cmp_neq_f16_sdwa s[0:1], v12, v12 src0_sel:DWORD src1_sel:WORD_1
	;; [unrolled: 8-line block ×6, first 2 shown]
	v_mad_u32_u24 v8, v0, 15, 1
	s_and_b64 s[52:53], vcc, s[0:1]
	v_cmp_gt_u64_e32 vcc, s[4:5], v[8:9]
	v_cmp_neq_f16_e64 s[0:1], v1, v2
	v_lshlrev_b32_e32 v7, 1, v0
	v_mul_u32_u24_e32 v6, 15, v0
	s_and_b64 s[0:1], vcc, s[0:1]
	ds_write_b16 v7, v11
	s_waitcnt lgkmcnt(0)
	s_barrier
	s_and_saveexec_b64 s[54:55], s[2:3]
	s_cbranch_execz .LBB935_52
; %bb.51:
	v_add_u32_e32 v7, -2, v7
	s_waitcnt vmcnt(0)
	ds_read_u16 v10, v7
.LBB935_52:
	s_or_b64 exec, exec, s[54:55]
	v_mov_b32_e32 v7, v9
	v_cndmask_b32_e64 v68, 0, 1, s[0:1]
	v_cmp_gt_u64_e32 vcc, s[4:5], v[6:7]
	s_waitcnt vmcnt(0) lgkmcnt(0)
	v_cmp_neq_f16_e64 s[0:1], v1, v10
	v_cndmask_b32_e64 v15, 0, 1, s[6:7]
	v_cndmask_b32_e64 v56, 0, 1, s[8:9]
	;; [unrolled: 1-line block ×13, first 2 shown]
	s_and_b64 s[0:1], vcc, s[0:1]
	s_mov_b64 s[6:7], -1
.LBB935_53:
                                        ; implicit-def: $sgpr12
	v_mov_b32_e32 v69, s12
	s_and_saveexec_b64 s[2:3], s[6:7]
	s_cbranch_execnz .LBB935_58
	s_branch .LBB935_59
.LBB935_54:
                                        ; implicit-def: $sgpr0_sgpr1
                                        ; implicit-def: $vgpr15
                                        ; implicit-def: $vgpr56
                                        ; implicit-def: $vgpr57
                                        ; implicit-def: $vgpr58
                                        ; implicit-def: $vgpr59
                                        ; implicit-def: $vgpr60
                                        ; implicit-def: $vgpr61
                                        ; implicit-def: $vgpr62
                                        ; implicit-def: $vgpr63
                                        ; implicit-def: $vgpr64
                                        ; implicit-def: $vgpr65
                                        ; implicit-def: $vgpr66
                                        ; implicit-def: $vgpr67
                                        ; implicit-def: $vgpr68
	s_cbranch_execz .LBB935_53
; %bb.55:
	v_lshrrev_b32_e32 v9, 16, v14
	v_mad_u32_u24 v6, v0, 15, 14
	v_mov_b32_e32 v7, 0
	v_cmp_gt_u64_e32 vcc, s[4:5], v[6:7]
	v_cmp_neq_f16_e64 s[0:1], v14, v9
	s_and_b64 s[0:1], vcc, s[0:1]
	v_mad_u32_u24 v6, v0, 15, 13
	v_cndmask_b32_e64 v15, 0, 1, s[0:1]
	v_cmp_gt_u64_e32 vcc, s[4:5], v[6:7]
	v_cmp_neq_f16_sdwa s[0:1], v13, v14 src0_sel:WORD_1 src1_sel:DWORD
	s_and_b64 s[0:1], vcc, s[0:1]
	v_mad_u32_u24 v6, v0, 15, 12
	v_cndmask_b32_e64 v56, 0, 1, s[0:1]
	v_cmp_gt_u64_e32 vcc, s[4:5], v[6:7]
	v_cmp_neq_f16_sdwa s[0:1], v13, v13 src0_sel:DWORD src1_sel:WORD_1
	s_and_b64 s[0:1], vcc, s[0:1]
	v_mad_u32_u24 v6, v0, 15, 11
	v_cndmask_b32_e64 v57, 0, 1, s[0:1]
	v_cmp_gt_u64_e32 vcc, s[4:5], v[6:7]
	v_cmp_neq_f16_sdwa s[0:1], v12, v13 src0_sel:WORD_1 src1_sel:DWORD
	s_and_b64 s[0:1], vcc, s[0:1]
	v_mad_u32_u24 v6, v0, 15, 10
	v_cndmask_b32_e64 v58, 0, 1, s[0:1]
	v_cmp_gt_u64_e32 vcc, s[4:5], v[6:7]
	v_cmp_neq_f16_sdwa s[0:1], v12, v12 src0_sel:DWORD src1_sel:WORD_1
	;; [unrolled: 10-line block ×6, first 2 shown]
	s_and_b64 s[0:1], vcc, s[0:1]
	v_mad_u32_u24 v6, v0, 15, 1
	v_cndmask_b32_e64 v67, 0, 1, s[0:1]
	v_cmp_gt_u64_e32 vcc, s[4:5], v[6:7]
	v_cmp_neq_f16_e64 s[0:1], v1, v2
	s_and_b64 s[0:1], vcc, s[0:1]
	s_mov_b32 s12, 1
	v_lshlrev_b32_e32 v8, 1, v0
	v_cndmask_b32_e64 v68, 0, 1, s[0:1]
	ds_write_b16 v8, v9
	s_waitcnt lgkmcnt(0)
	s_barrier
	s_waitcnt lgkmcnt(0)
                                        ; implicit-def: $sgpr0_sgpr1
	s_and_saveexec_b64 s[8:9], s[2:3]
	s_cbranch_execz .LBB935_154
; %bb.56:
	v_add_u32_e32 v6, -2, v8
	ds_read_u16 v8, v6
	v_mul_u32_u24_e32 v6, 15, v0
	v_cmp_gt_u64_e32 vcc, s[4:5], v[6:7]
	s_or_b64 s[6:7], s[6:7], exec
	s_waitcnt lgkmcnt(0)
	v_cmp_neq_f16_e64 s[0:1], v8, v1
	s_and_b64 s[0:1], vcc, s[0:1]
	s_and_b64 s[0:1], s[0:1], exec
	s_or_b64 exec, exec, s[8:9]
.LBB935_57:
	v_mov_b32_e32 v69, s12
	s_and_saveexec_b64 s[2:3], s[6:7]
.LBB935_58:
	v_cndmask_b32_e64 v69, 0, 1, s[0:1]
.LBB935_59:
	s_or_b64 exec, exec, s[2:3]
	s_cmp_eq_u64 s[38:39], 0
	v_add3_u32 v6, v68, v69, v67
	s_cselect_b64 s[38:39], -1, 0
	s_cmp_lg_u32 s58, 0
	v_cmp_eq_u32_e64 s[26:27], 0, v68
	v_cmp_eq_u32_e64 s[24:25], 0, v67
	;; [unrolled: 1-line block ×3, first 2 shown]
	v_add3_u32 v80, v6, v66, v65
	v_cmp_eq_u32_e64 s[20:21], 0, v65
	v_cmp_eq_u32_e64 s[18:19], 0, v64
	;; [unrolled: 1-line block ×10, first 2 shown]
	v_cmp_eq_u32_e32 vcc, 0, v15
	v_mbcnt_lo_u32_b32 v79, -1, 0
	v_lshrrev_b32_e32 v77, 6, v0
	v_or_b32_e32 v78, 63, v0
	s_cbranch_scc0 .LBB935_90
; %bb.60:
	v_cndmask_b32_e64 v6, 0, v22, s[26:27]
	v_add_u32_e32 v6, v6, v76
	v_cndmask_b32_e64 v6, 0, v6, s[24:25]
	v_add_u32_e32 v6, v6, v23
	;; [unrolled: 2-line block ×11, first 2 shown]
	v_cndmask_b32_e64 v6, 0, v6, s[4:5]
	v_add3_u32 v7, v80, v64, v63
	v_add_u32_e32 v6, v6, v16
	v_add3_u32 v7, v7, v62, v61
	v_cndmask_b32_e64 v6, 0, v6, s[2:3]
	v_add3_u32 v7, v7, v60, v59
	v_add_u32_e32 v6, v6, v70
	v_add3_u32 v7, v7, v58, v57
	v_cndmask_b32_e32 v6, 0, v6, vcc
	v_add3_u32 v7, v7, v56, v15
	v_add_u32_e32 v6, v6, v17
	v_mbcnt_hi_u32_b32 v27, -1, v79
	v_and_b32_e32 v8, 15, v27
	v_mov_b32_dpp v10, v6 row_shr:1 row_mask:0xf bank_mask:0xf
	v_cmp_eq_u32_e32 vcc, 0, v7
	v_mov_b32_dpp v9, v7 row_shr:1 row_mask:0xf bank_mask:0xf
	v_cmp_lt_u32_e64 s[0:1], 1, v8
	v_cndmask_b32_e32 v10, 0, v10, vcc
	v_cmp_eq_u32_e32 vcc, 0, v8
	s_nop 1
	v_cndmask_b32_e64 v9, v9, 0, vcc
	v_add_u32_e32 v7, v9, v7
	v_cndmask_b32_e64 v9, v10, 0, vcc
	v_add_u32_e32 v6, v9, v6
	v_cmp_eq_u32_e32 vcc, 0, v7
	v_mov_b32_dpp v9, v7 row_shr:2 row_mask:0xf bank_mask:0xf
	v_mov_b32_dpp v10, v6 row_shr:2 row_mask:0xf bank_mask:0xf
	v_cndmask_b32_e64 v9, 0, v9, s[0:1]
	s_and_b64 vcc, s[0:1], vcc
	v_cndmask_b32_e32 v10, 0, v10, vcc
	v_add_u32_e32 v7, v7, v9
	v_add_u32_e32 v6, v10, v6
	v_cmp_eq_u32_e32 vcc, 0, v7
	v_mov_b32_dpp v9, v7 row_shr:4 row_mask:0xf bank_mask:0xf
	v_cmp_lt_u32_e64 s[0:1], 3, v8
	v_mov_b32_dpp v10, v6 row_shr:4 row_mask:0xf bank_mask:0xf
	s_and_b64 vcc, s[0:1], vcc
	v_cndmask_b32_e64 v9, 0, v9, s[0:1]
	v_cndmask_b32_e32 v10, 0, v10, vcc
	v_add_u32_e32 v7, v9, v7
	v_add_u32_e32 v6, v6, v10
	v_cmp_eq_u32_e32 vcc, 0, v7
	v_cmp_lt_u32_e64 s[0:1], 7, v8
	v_mov_b32_dpp v9, v7 row_shr:8 row_mask:0xf bank_mask:0xf
	v_mov_b32_dpp v10, v6 row_shr:8 row_mask:0xf bank_mask:0xf
	s_and_b64 vcc, s[0:1], vcc
	v_cndmask_b32_e64 v8, 0, v9, s[0:1]
	v_cndmask_b32_e32 v9, 0, v10, vcc
	v_add_u32_e32 v6, v9, v6
	v_add_u32_e32 v7, v8, v7
	v_bfe_i32 v10, v27, 4, 1
	v_mov_b32_dpp v9, v6 row_bcast:15 row_mask:0xf bank_mask:0xf
	v_mov_b32_dpp v8, v7 row_bcast:15 row_mask:0xf bank_mask:0xf
	v_cmp_eq_u32_e32 vcc, 0, v7
	v_and_b32_e32 v8, v10, v8
	v_add_u32_e32 v7, v8, v7
	v_cndmask_b32_e32 v9, 0, v9, vcc
	v_and_b32_e32 v8, v10, v9
	v_add_u32_e32 v8, v8, v6
	v_mov_b32_dpp v6, v7 row_bcast:31 row_mask:0xf bank_mask:0xf
	v_cmp_eq_u32_e32 vcc, 0, v7
	v_cmp_lt_u32_e64 s[0:1], 31, v27
	v_mov_b32_dpp v9, v8 row_bcast:31 row_mask:0xf bank_mask:0xf
	s_and_b64 vcc, s[0:1], vcc
	v_cndmask_b32_e64 v6, 0, v6, s[0:1]
	v_add_u32_e32 v6, v6, v7
	v_cndmask_b32_e32 v7, 0, v9, vcc
	v_add_u32_e32 v7, v7, v8
	v_cmp_eq_u32_e32 vcc, v78, v0
	v_lshlrev_b32_e32 v8, 3, v77
	s_and_saveexec_b64 s[0:1], vcc
	s_cbranch_execz .LBB935_62
; %bb.61:
	ds_write_b64 v8, v[6:7] offset:1040
.LBB935_62:
	s_or_b64 exec, exec, s[0:1]
	v_cmp_gt_u32_e32 vcc, 4, v0
	s_waitcnt lgkmcnt(0)
	s_barrier
	s_and_saveexec_b64 s[28:29], vcc
	s_cbranch_execz .LBB935_64
; %bb.63:
	v_lshlrev_b32_e32 v9, 3, v0
	ds_read_b64 v[10:11], v9 offset:1040
	v_and_b32_e32 v24, 3, v27
	v_cmp_lt_u32_e64 s[0:1], 1, v24
	s_waitcnt lgkmcnt(0)
	v_mov_b32_dpp v26, v11 row_shr:1 row_mask:0xf bank_mask:0xf
	v_cmp_eq_u32_e32 vcc, 0, v10
	v_mov_b32_dpp v25, v10 row_shr:1 row_mask:0xf bank_mask:0xf
	s_nop 0
	v_cndmask_b32_e32 v26, 0, v26, vcc
	v_cmp_eq_u32_e32 vcc, 0, v24
	s_nop 1
	v_cndmask_b32_e64 v25, v25, 0, vcc
	v_add_u32_e32 v10, v25, v10
	v_cndmask_b32_e64 v25, v26, 0, vcc
	v_add_u32_e32 v11, v25, v11
	v_cmp_eq_u32_e32 vcc, 0, v10
	v_mov_b32_dpp v25, v10 row_shr:2 row_mask:0xf bank_mask:0xf
	v_mov_b32_dpp v26, v11 row_shr:2 row_mask:0xf bank_mask:0xf
	v_cndmask_b32_e64 v24, 0, v25, s[0:1]
	s_and_b64 vcc, s[0:1], vcc
	v_add_u32_e32 v10, v24, v10
	v_cndmask_b32_e32 v24, 0, v26, vcc
	v_add_u32_e32 v11, v24, v11
	ds_write_b64 v9, v[10:11] offset:1040
.LBB935_64:
	s_or_b64 exec, exec, s[28:29]
	v_cmp_gt_u32_e32 vcc, 64, v0
	v_cmp_lt_u32_e64 s[0:1], 63, v0
	v_mov_b32_e32 v24, 0
	v_mov_b32_e32 v25, 0
	s_waitcnt lgkmcnt(0)
	s_barrier
	s_and_saveexec_b64 s[28:29], s[0:1]
	s_cbranch_execz .LBB935_66
; %bb.65:
	ds_read_b64 v[24:25], v8 offset:1032
	v_cmp_eq_u32_e64 s[0:1], 0, v6
	s_waitcnt lgkmcnt(0)
	v_add_u32_e32 v8, v24, v6
	v_cndmask_b32_e64 v6, 0, v25, s[0:1]
	v_add_u32_e32 v7, v6, v7
	v_mov_b32_e32 v6, v8
.LBB935_66:
	s_or_b64 exec, exec, s[28:29]
	v_add_u32_e32 v8, -1, v27
	v_and_b32_e32 v9, 64, v27
	v_cmp_lt_i32_e64 s[0:1], v8, v9
	v_cmp_eq_u32_e64 s[28:29], 0, v27
	s_nop 0
	v_cndmask_b32_e64 v8, v8, v27, s[0:1]
	v_lshlrev_b32_e32 v8, 2, v8
	ds_bpermute_b32 v32, v8, v6
	ds_bpermute_b32 v33, v8, v7
	s_and_saveexec_b64 s[52:53], vcc
	s_cbranch_execz .LBB935_89
; %bb.67:
	v_mov_b32_e32 v11, 0
	ds_read_b64 v[6:7], v11 offset:1064
	s_waitcnt lgkmcnt(0)
	v_readfirstlane_b32 s56, v6
	v_readfirstlane_b32 s57, v7
	s_and_saveexec_b64 s[0:1], s[28:29]
	s_cbranch_execz .LBB935_69
; %bb.68:
	s_add_i32 s54, s58, 64
	s_mov_b32 s55, 0
	s_lshl_b64 s[60:61], s[54:55], 4
	s_add_u32 s60, s36, s60
	s_addc_u32 s61, s37, s61
	s_and_b32 s63, s57, 0xff000000
	s_mov_b32 s62, s55
	s_and_b32 s65, s57, 0xff0000
	s_mov_b32 s64, s55
	s_or_b64 s[62:63], s[64:65], s[62:63]
	s_and_b32 s65, s57, 0xff00
	s_or_b64 s[62:63], s[62:63], s[64:65]
	s_and_b32 s65, s57, 0xff
	s_or_b64 s[54:55], s[62:63], s[64:65]
	v_mov_b32_e32 v8, s56
	v_mov_b32_e32 v9, s55
	;; [unrolled: 1-line block ×3, first 2 shown]
	v_mov_b64_e32 v[6:7], s[60:61]
	;;#ASMSTART
	global_store_dwordx4 v[6:7], v[8:11] off sc1	
s_waitcnt vmcnt(0)
	;;#ASMEND
.LBB935_69:
	s_or_b64 exec, exec, s[0:1]
	v_xad_u32 v26, v27, -1, s58
	v_add_u32_e32 v10, 64, v26
	v_lshl_add_u64 v[28:29], v[10:11], 4, s[36:37]
	;;#ASMSTART
	global_load_dwordx4 v[6:9], v[28:29] off sc1	
s_waitcnt vmcnt(0)
	;;#ASMEND
	s_nop 0
	v_and_b32_e32 v9, 0xff, v7
	v_and_b32_e32 v10, 0xff00, v7
	v_or3_b32 v6, v6, 0, 0
	v_and_b32_e32 v30, 0xff000000, v7
	v_or3_b32 v9, 0, v9, v10
	;; [unrolled: 2-line block ×3, first 2 shown]
	v_or3_b32 v6, v6, 0, 0
	v_cmp_eq_u16_sdwa s[54:55], v8, v11 src0_sel:BYTE_0 src1_sel:DWORD
	s_and_saveexec_b64 s[0:1], s[54:55]
	s_cbranch_execz .LBB935_75
; %bb.70:
	s_mov_b32 s59, 1
	s_mov_b64 s[54:55], 0
	v_mov_b32_e32 v10, 0
.LBB935_71:                             ; =>This Loop Header: Depth=1
                                        ;     Child Loop BB935_72 Depth 2
	s_max_u32 s60, s59, 1
.LBB935_72:                             ;   Parent Loop BB935_71 Depth=1
                                        ; =>  This Inner Loop Header: Depth=2
	s_add_i32 s60, s60, -1
	s_cmp_eq_u32 s60, 0
	s_sleep 1
	s_cbranch_scc0 .LBB935_72
; %bb.73:                               ;   in Loop: Header=BB935_71 Depth=1
	s_cmp_lt_u32 s59, 32
	s_cselect_b64 s[60:61], -1, 0
	s_cmp_lg_u64 s[60:61], 0
	s_addc_u32 s59, s59, 0
	;;#ASMSTART
	global_load_dwordx4 v[6:9], v[28:29] off sc1	
s_waitcnt vmcnt(0)
	;;#ASMEND
	s_nop 0
	v_cmp_ne_u16_sdwa s[60:61], v8, v10 src0_sel:BYTE_0 src1_sel:DWORD
	s_or_b64 s[54:55], s[60:61], s[54:55]
	s_andn2_b64 exec, exec, s[54:55]
	s_cbranch_execnz .LBB935_71
; %bb.74:
	s_or_b64 exec, exec, s[54:55]
.LBB935_75:
	s_or_b64 exec, exec, s[0:1]
	v_mov_b32_e32 v34, 2
	v_cmp_eq_u16_sdwa s[0:1], v8, v34 src0_sel:BYTE_0 src1_sel:DWORD
	v_lshlrev_b64 v[28:29], v27, -1
	v_and_b32_e32 v35, 63, v27
	v_and_b32_e32 v9, s1, v29
	v_or_b32_e32 v9, 0x80000000, v9
	v_cmp_ne_u32_e32 vcc, 63, v35
	v_and_b32_e32 v10, s0, v28
	v_ffbl_b32_e32 v9, v9
	v_addc_co_u32_e32 v11, vcc, 0, v27, vcc
	v_add_u32_e32 v9, 32, v9
	v_ffbl_b32_e32 v10, v10
	v_lshlrev_b32_e32 v36, 2, v11
	v_min_u32_e32 v9, v10, v9
	ds_bpermute_b32 v10, v36, v7
	v_cmp_eq_u32_e32 vcc, 0, v6
	v_cmp_lt_u32_e64 s[0:1], v35, v9
	ds_bpermute_b32 v11, v36, v6
	s_and_b64 vcc, s[0:1], vcc
	s_waitcnt lgkmcnt(1)
	v_cndmask_b32_e32 v10, 0, v10, vcc
	v_cmp_gt_u32_e32 vcc, 62, v35
	v_add_u32_e32 v7, v10, v7
	s_waitcnt lgkmcnt(0)
	v_cndmask_b32_e64 v11, 0, v11, s[0:1]
	v_cndmask_b32_e64 v10, 0, 1, vcc
	v_lshlrev_b32_e32 v10, 1, v10
	v_add_lshl_u32 v37, v10, v27, 2
	ds_bpermute_b32 v10, v37, v7
	v_add_u32_e32 v6, v11, v6
	ds_bpermute_b32 v11, v37, v6
	v_add_u32_e32 v38, 2, v35
	v_cmp_eq_u32_e32 vcc, 0, v6
	v_add_u32_e32 v40, 4, v35
	v_add_u32_e32 v42, 8, v35
	s_waitcnt lgkmcnt(1)
	v_cndmask_b32_e32 v10, 0, v10, vcc
	v_cmp_gt_u32_e32 vcc, v38, v9
	v_add_u32_e32 v44, 16, v35
	v_add_u32_e32 v46, 32, v35
	v_cndmask_b32_e64 v10, v10, 0, vcc
	v_add_u32_e32 v7, v10, v7
	s_waitcnt lgkmcnt(0)
	v_cndmask_b32_e64 v10, v11, 0, vcc
	v_cmp_gt_u32_e32 vcc, 60, v35
	v_add_u32_e32 v6, v6, v10
	s_nop 0
	v_cndmask_b32_e64 v11, 0, 1, vcc
	v_lshlrev_b32_e32 v11, 2, v11
	v_add_lshl_u32 v39, v11, v27, 2
	ds_bpermute_b32 v11, v39, v7
	ds_bpermute_b32 v10, v39, v6
	v_cmp_eq_u32_e32 vcc, 0, v6
	s_waitcnt lgkmcnt(1)
	s_nop 0
	v_cndmask_b32_e32 v11, 0, v11, vcc
	v_cmp_gt_u32_e32 vcc, v40, v9
	s_nop 1
	v_cndmask_b32_e64 v11, v11, 0, vcc
	s_waitcnt lgkmcnt(0)
	v_cndmask_b32_e64 v10, v10, 0, vcc
	v_cmp_gt_u32_e32 vcc, 56, v35
	v_add_u32_e32 v7, v7, v11
	v_add_u32_e32 v6, v6, v10
	v_cndmask_b32_e64 v11, 0, 1, vcc
	v_lshlrev_b32_e32 v11, 3, v11
	v_add_lshl_u32 v41, v11, v27, 2
	ds_bpermute_b32 v11, v41, v7
	ds_bpermute_b32 v10, v41, v6
	v_cmp_eq_u32_e32 vcc, 0, v6
	s_waitcnt lgkmcnt(1)
	s_nop 0
	v_cndmask_b32_e32 v11, 0, v11, vcc
	v_cmp_gt_u32_e32 vcc, v42, v9
	s_nop 1
	v_cndmask_b32_e64 v11, v11, 0, vcc
	s_waitcnt lgkmcnt(0)
	v_cndmask_b32_e64 v10, v10, 0, vcc
	v_cmp_gt_u32_e32 vcc, 48, v35
	v_add_u32_e32 v7, v7, v11
	v_add_u32_e32 v6, v6, v10
	;; [unrolled: 17-line block ×3, first 2 shown]
	v_cndmask_b32_e64 v11, 0, 1, vcc
	v_lshlrev_b32_e32 v11, 5, v11
	v_add_lshl_u32 v45, v11, v27, 2
	ds_bpermute_b32 v11, v45, v7
	ds_bpermute_b32 v10, v45, v6
	v_cmp_eq_u32_e32 vcc, 0, v6
	v_mov_b32_e32 v27, 0
	s_waitcnt lgkmcnt(1)
	v_cndmask_b32_e32 v11, 0, v11, vcc
	v_cmp_gt_u32_e32 vcc, v46, v9
	s_nop 1
	v_cndmask_b32_e64 v9, v11, 0, vcc
	v_add_u32_e32 v7, v9, v7
	s_waitcnt lgkmcnt(0)
	v_cndmask_b32_e64 v9, v10, 0, vcc
	v_add_u32_e32 v6, v9, v6
	s_branch .LBB935_77
.LBB935_76:                             ;   in Loop: Header=BB935_77 Depth=1
	s_or_b64 exec, exec, s[0:1]
	v_cmp_eq_u16_sdwa s[0:1], v8, v34 src0_sel:BYTE_0 src1_sel:DWORD
	v_cmp_eq_u32_e32 vcc, 0, v6
	ds_bpermute_b32 v31, v36, v6
	v_and_b32_e32 v9, s1, v29
	v_or_b32_e32 v9, 0x80000000, v9
	v_and_b32_e32 v30, s0, v28
	v_ffbl_b32_e32 v9, v9
	v_add_u32_e32 v9, 32, v9
	v_ffbl_b32_e32 v30, v30
	v_min_u32_e32 v9, v30, v9
	ds_bpermute_b32 v30, v36, v7
	v_cmp_lt_u32_e64 s[0:1], v35, v9
	s_and_b64 vcc, s[0:1], vcc
	v_subrev_u32_e32 v26, 64, v26
	s_waitcnt lgkmcnt(1)
	v_cndmask_b32_e64 v31, 0, v31, s[0:1]
	s_waitcnt lgkmcnt(0)
	v_cndmask_b32_e32 v30, 0, v30, vcc
	v_add_u32_e32 v7, v30, v7
	ds_bpermute_b32 v30, v37, v7
	v_add_u32_e32 v6, v31, v6
	v_cmp_eq_u32_e32 vcc, 0, v6
	ds_bpermute_b32 v31, v37, v6
	s_waitcnt lgkmcnt(1)
	v_cndmask_b32_e32 v30, 0, v30, vcc
	v_cmp_gt_u32_e32 vcc, v38, v9
	s_nop 1
	v_cndmask_b32_e64 v30, v30, 0, vcc
	v_add_u32_e32 v7, v30, v7
	ds_bpermute_b32 v30, v39, v7
	s_waitcnt lgkmcnt(1)
	v_cndmask_b32_e64 v31, v31, 0, vcc
	v_add_u32_e32 v6, v6, v31
	v_cmp_eq_u32_e32 vcc, 0, v6
	ds_bpermute_b32 v31, v39, v6
	s_waitcnt lgkmcnt(1)
	v_cndmask_b32_e32 v30, 0, v30, vcc
	v_cmp_gt_u32_e32 vcc, v40, v9
	s_nop 1
	v_cndmask_b32_e64 v30, v30, 0, vcc
	v_add_u32_e32 v7, v7, v30
	ds_bpermute_b32 v30, v41, v7
	s_waitcnt lgkmcnt(1)
	v_cndmask_b32_e64 v31, v31, 0, vcc
	v_add_u32_e32 v6, v6, v31
	ds_bpermute_b32 v31, v41, v6
	v_cmp_eq_u32_e32 vcc, 0, v6
	s_waitcnt lgkmcnt(1)
	s_nop 0
	v_cndmask_b32_e32 v30, 0, v30, vcc
	v_cmp_gt_u32_e32 vcc, v42, v9
	s_nop 1
	v_cndmask_b32_e64 v30, v30, 0, vcc
	v_add_u32_e32 v7, v7, v30
	ds_bpermute_b32 v30, v43, v7
	s_waitcnt lgkmcnt(1)
	v_cndmask_b32_e64 v31, v31, 0, vcc
	v_add_u32_e32 v6, v6, v31
	ds_bpermute_b32 v31, v43, v6
	v_cmp_eq_u32_e32 vcc, 0, v6
	s_waitcnt lgkmcnt(1)
	s_nop 0
	;; [unrolled: 13-line block ×3, first 2 shown]
	v_cndmask_b32_e32 v30, 0, v30, vcc
	v_cmp_gt_u32_e32 vcc, v46, v9
	s_nop 1
	v_cndmask_b32_e64 v9, v30, 0, vcc
	v_add_u32_e32 v7, v9, v7
	s_waitcnt lgkmcnt(0)
	v_cndmask_b32_e64 v9, v31, 0, vcc
	v_cmp_eq_u32_e32 vcc, 0, v10
	v_add3_u32 v6, v6, v10, v9
	s_nop 0
	v_cndmask_b32_e32 v7, 0, v7, vcc
	v_add_u32_e32 v7, v7, v11
.LBB935_77:                             ; =>This Loop Header: Depth=1
                                        ;     Child Loop BB935_80 Depth 2
                                        ;       Child Loop BB935_81 Depth 3
	v_cmp_ne_u16_sdwa s[0:1], v8, v34 src0_sel:BYTE_0 src1_sel:DWORD
	v_mov_b32_e32 v11, v7
	v_mov_b32_e32 v10, v6
	v_cndmask_b32_e64 v7, 0, 1, s[0:1]
	;;#ASMSTART
	;;#ASMEND
	s_nop 0
	v_cmp_ne_u32_e32 vcc, 0, v7
	s_cmp_lg_u64 vcc, exec
	s_cbranch_scc1 .LBB935_84
; %bb.78:                               ;   in Loop: Header=BB935_77 Depth=1
	v_lshl_add_u64 v[30:31], v[26:27], 4, s[36:37]
	;;#ASMSTART
	global_load_dwordx4 v[6:9], v[30:31] off sc1	
s_waitcnt vmcnt(0)
	;;#ASMEND
	s_nop 0
	v_and_b32_e32 v9, 0xff, v7
	v_and_b32_e32 v47, 0xff00, v7
	v_or3_b32 v6, v6, 0, 0
	v_and_b32_e32 v48, 0xff000000, v7
	v_or3_b32 v9, 0, v9, v47
	;; [unrolled: 2-line block ×3, first 2 shown]
	v_or3_b32 v6, v6, 0, 0
	v_cmp_eq_u16_sdwa s[54:55], v8, v27 src0_sel:BYTE_0 src1_sel:DWORD
	s_and_saveexec_b64 s[0:1], s[54:55]
	s_cbranch_execz .LBB935_76
; %bb.79:                               ;   in Loop: Header=BB935_77 Depth=1
	s_mov_b32 s59, 1
	s_mov_b64 s[54:55], 0
.LBB935_80:                             ;   Parent Loop BB935_77 Depth=1
                                        ; =>  This Loop Header: Depth=2
                                        ;       Child Loop BB935_81 Depth 3
	s_max_u32 s60, s59, 1
.LBB935_81:                             ;   Parent Loop BB935_77 Depth=1
                                        ;     Parent Loop BB935_80 Depth=2
                                        ; =>    This Inner Loop Header: Depth=3
	s_add_i32 s60, s60, -1
	s_cmp_eq_u32 s60, 0
	s_sleep 1
	s_cbranch_scc0 .LBB935_81
; %bb.82:                               ;   in Loop: Header=BB935_80 Depth=2
	s_cmp_lt_u32 s59, 32
	s_cselect_b64 s[60:61], -1, 0
	s_cmp_lg_u64 s[60:61], 0
	s_addc_u32 s59, s59, 0
	;;#ASMSTART
	global_load_dwordx4 v[6:9], v[30:31] off sc1	
s_waitcnt vmcnt(0)
	;;#ASMEND
	s_nop 0
	v_cmp_ne_u16_sdwa s[60:61], v8, v27 src0_sel:BYTE_0 src1_sel:DWORD
	s_or_b64 s[54:55], s[60:61], s[54:55]
	s_andn2_b64 exec, exec, s[54:55]
	s_cbranch_execnz .LBB935_80
; %bb.83:                               ;   in Loop: Header=BB935_77 Depth=1
	s_or_b64 exec, exec, s[54:55]
	s_branch .LBB935_76
.LBB935_84:                             ;   in Loop: Header=BB935_77 Depth=1
                                        ; implicit-def: $vgpr7
                                        ; implicit-def: $vgpr6
                                        ; implicit-def: $vgpr8
	s_cbranch_execz .LBB935_77
; %bb.85:
	s_and_saveexec_b64 s[0:1], s[28:29]
	s_cbranch_execz .LBB935_87
; %bb.86:
	s_cmp_eq_u32 s56, 0
	s_cselect_b64 vcc, -1, 0
	s_mov_b32 s55, 0
	v_cndmask_b32_e32 v6, 0, v11, vcc
	s_add_i32 s54, s58, 64
	v_add_u32_e32 v6, s57, v6
	s_lshl_b64 s[54:55], s[54:55], 4
	s_add_u32 s54, s36, s54
	v_and_b32_e32 v7, 0xff000000, v6
	v_and_b32_e32 v8, 0xff0000, v6
	s_addc_u32 s55, s37, s55
	v_or_b32_e32 v7, v8, v7
	v_and_b32_e32 v8, 0xff00, v6
	v_and_b32_e32 v6, 0xff, v6
	v_add_u32_e32 v26, s56, v10
	v_mov_b32_e32 v29, 0
	v_or3_b32 v27, v7, v8, v6
	v_mov_b32_e32 v28, 2
	v_mov_b64_e32 v[6:7], s[54:55]
	;;#ASMSTART
	global_store_dwordx4 v[6:7], v[26:29] off sc1	
s_waitcnt vmcnt(0)
	;;#ASMEND
	v_mov_b32_e32 v8, s56
	v_mov_b32_e32 v9, s57
	ds_write_b128 v29, v[8:11] offset:1024
.LBB935_87:
	s_or_b64 exec, exec, s[0:1]
	s_and_b64 exec, exec, s[34:35]
	s_cbranch_execz .LBB935_89
; %bb.88:
	v_mov_b32_e32 v6, 0
	ds_write_b64 v6, v[10:11] offset:1064
.LBB935_89:
	s_or_b64 exec, exec, s[52:53]
	v_mov_b32_e32 v8, 0
	s_waitcnt lgkmcnt(0)
	s_barrier
	ds_read_b64 v[6:7], v8 offset:1064
	v_cndmask_b32_e64 v10, v32, v24, s[28:29]
	v_cmp_eq_u32_e32 vcc, 0, v10
	v_cndmask_b32_e64 v9, v33, v25, s[28:29]
	s_waitcnt lgkmcnt(0)
	v_cndmask_b32_e32 v11, 0, v7, vcc
	v_add_u32_e32 v9, v11, v9
	v_cndmask_b32_e64 v55, v9, v7, s[34:35]
	v_cndmask_b32_e64 v7, v10, 0, s[34:35]
	v_cmp_eq_u32_e32 vcc, 0, v69
	v_add_u32_e32 v54, v6, v7
	v_add_u32_e32 v52, v54, v69
	v_cndmask_b32_e32 v6, 0, v55, vcc
	v_add_u32_e32 v53, v6, v22
	v_cndmask_b32_e64 v6, 0, v53, s[26:27]
	v_add_u32_e32 v51, v6, v76
	v_cndmask_b32_e64 v6, 0, v51, s[24:25]
	v_add_u32_e32 v49, v6, v23
	v_cndmask_b32_e64 v6, 0, v49, s[22:23]
	v_add_u32_e32 v47, v6, v75
	v_cndmask_b32_e64 v6, 0, v47, s[20:21]
	v_add_u32_e32 v45, v6, v20
	v_cndmask_b32_e64 v6, 0, v45, s[18:19]
	v_add_u32_e32 v43, v6, v74
	v_cndmask_b32_e64 v6, 0, v43, s[16:17]
	v_add_u32_e32 v41, v6, v21
	v_cndmask_b32_e64 v6, 0, v41, s[14:15]
	v_add_u32_e32 v39, v6, v73
	v_cndmask_b32_e64 v6, 0, v39, s[12:13]
	v_add_u32_e32 v37, v6, v18
	v_add_u32_e32 v50, v52, v68
	v_cndmask_b32_e64 v6, 0, v37, s[10:11]
	v_add_u32_e32 v48, v50, v67
	v_add_u32_e32 v35, v6, v72
	v_add_u32_e32 v46, v48, v66
	v_cndmask_b32_e64 v6, 0, v35, s[8:9]
	v_add_u32_e32 v44, v46, v65
	v_add_u32_e32 v33, v6, v19
	v_add_u32_e32 v42, v44, v64
	v_cndmask_b32_e64 v6, 0, v33, s[6:7]
	v_add_u32_e32 v40, v42, v63
	v_add_u32_e32 v31, v6, v71
	s_barrier
	ds_read_b128 v[6:9], v8 offset:1024
	v_add_u32_e32 v38, v40, v62
	v_add_u32_e32 v36, v38, v61
	;; [unrolled: 1-line block ×4, first 2 shown]
	v_cndmask_b32_e64 v10, 0, v31, s[4:5]
	v_add_u32_e32 v30, v32, v58
	v_add_u32_e32 v29, v10, v16
	s_waitcnt lgkmcnt(0)
	v_cmp_eq_u32_e32 vcc, 0, v6
	v_add_u32_e32 v28, v30, v57
	v_cndmask_b32_e64 v10, 0, v29, s[2:3]
	v_cndmask_b32_e32 v9, 0, v9, vcc
	v_add_u32_e32 v26, v28, v56
	v_add_u32_e32 v27, v10, v70
	;; [unrolled: 1-line block ×3, first 2 shown]
	s_branch .LBB935_102
.LBB935_90:
                                        ; implicit-def: $vgpr6
                                        ; implicit-def: $vgpr24
                                        ; implicit-def: $vgpr54_vgpr55
                                        ; implicit-def: $vgpr52_vgpr53
                                        ; implicit-def: $vgpr50_vgpr51
                                        ; implicit-def: $vgpr48_vgpr49
                                        ; implicit-def: $vgpr46_vgpr47
                                        ; implicit-def: $vgpr44_vgpr45
                                        ; implicit-def: $vgpr42_vgpr43
                                        ; implicit-def: $vgpr40_vgpr41
                                        ; implicit-def: $vgpr38_vgpr39
                                        ; implicit-def: $vgpr36_vgpr37
                                        ; implicit-def: $vgpr34_vgpr35
                                        ; implicit-def: $vgpr32_vgpr33
                                        ; implicit-def: $vgpr30_vgpr31
                                        ; implicit-def: $vgpr28_vgpr29
                                        ; implicit-def: $vgpr26_vgpr27
	s_cbranch_execz .LBB935_102
; %bb.91:
	s_and_b64 s[0:1], s[38:39], exec
	s_cselect_b32 s1, 0, s51
	s_cselect_b32 s0, 0, s50
	s_cmp_eq_u64 s[0:1], 0
	v_mov_b32_e32 v10, v22
	s_cbranch_scc1 .LBB935_93
; %bb.92:
	v_mov_b32_e32 v6, 0
	global_load_dword v10, v6, s[0:1]
.LBB935_93:
	v_cmp_eq_u32_e64 s[2:3], 0, v68
	v_cmp_eq_u32_e64 s[4:5], 0, v67
	v_cmp_eq_u32_e64 s[6:7], 0, v66
	v_cndmask_b32_e64 v6, 0, v22, s[2:3]
	v_add_u32_e32 v6, v6, v76
	v_cndmask_b32_e64 v6, 0, v6, s[4:5]
	v_add_u32_e32 v6, v6, v23
	v_cndmask_b32_e64 v6, 0, v6, s[6:7]
	v_add_u32_e32 v6, v6, v75
	v_cmp_eq_u32_e64 s[8:9], 0, v65
	v_cmp_eq_u32_e64 s[10:11], 0, v64
	v_cmp_eq_u32_e64 s[12:13], 0, v63
	v_cndmask_b32_e64 v6, 0, v6, s[8:9]
	v_add_u32_e32 v6, v6, v20
	v_cndmask_b32_e64 v6, 0, v6, s[10:11]
	v_add_u32_e32 v6, v6, v74
	v_cndmask_b32_e64 v6, 0, v6, s[12:13]
	v_add_u32_e32 v6, v6, v21
	;; [unrolled: 9-line block ×3, first 2 shown]
	v_cmp_eq_u32_e64 s[20:21], 0, v59
	v_cmp_eq_u32_e64 s[22:23], 0, v58
	;; [unrolled: 1-line block ×3, first 2 shown]
	v_cndmask_b32_e64 v6, 0, v6, s[20:21]
	v_add_u32_e32 v6, v6, v19
	v_cndmask_b32_e64 v6, 0, v6, s[22:23]
	v_add_u32_e32 v6, v6, v71
	v_cndmask_b32_e64 v6, 0, v6, s[24:25]
	v_add3_u32 v7, v80, v64, v63
	v_add_u32_e32 v6, v6, v16
	v_cmp_eq_u32_e32 vcc, 0, v56
	v_add3_u32 v7, v7, v62, v61
	v_add3_u32 v7, v7, v60, v59
	v_cndmask_b32_e32 v6, 0, v6, vcc
	v_add_u32_e32 v6, v6, v70
	v_cmp_eq_u32_e64 s[0:1], 0, v15
	v_add3_u32 v7, v7, v58, v57
	v_add3_u32 v7, v7, v56, v15
	v_cndmask_b32_e64 v6, 0, v6, s[0:1]
	v_add_u32_e32 v6, v6, v17
	v_mbcnt_hi_u32_b32 v11, -1, v79
	v_and_b32_e32 v8, 15, v11
	v_mov_b32_dpp v17, v6 row_shr:1 row_mask:0xf bank_mask:0xf
	v_cmp_eq_u32_e64 s[0:1], 0, v7
	v_mov_b32_dpp v9, v7 row_shr:1 row_mask:0xf bank_mask:0xf
	v_cmp_lt_u32_e64 s[26:27], 1, v8
	v_cndmask_b32_e64 v17, 0, v17, s[0:1]
	v_cmp_eq_u32_e64 s[0:1], 0, v8
	s_nop 1
	v_cndmask_b32_e64 v9, v9, 0, s[0:1]
	v_add_u32_e32 v7, v9, v7
	v_cndmask_b32_e64 v9, v17, 0, s[0:1]
	v_add_u32_e32 v6, v9, v6
	v_cmp_eq_u32_e64 s[0:1], 0, v7
	v_mov_b32_dpp v9, v7 row_shr:2 row_mask:0xf bank_mask:0xf
	v_mov_b32_dpp v17, v6 row_shr:2 row_mask:0xf bank_mask:0xf
	v_cndmask_b32_e64 v9, 0, v9, s[26:27]
	s_and_b64 s[0:1], s[26:27], s[0:1]
	v_cndmask_b32_e64 v17, 0, v17, s[0:1]
	v_add_u32_e32 v7, v7, v9
	v_add_u32_e32 v6, v17, v6
	v_cmp_eq_u32_e64 s[0:1], 0, v7
	v_mov_b32_dpp v9, v7 row_shr:4 row_mask:0xf bank_mask:0xf
	v_cmp_lt_u32_e64 s[26:27], 3, v8
	v_mov_b32_dpp v17, v6 row_shr:4 row_mask:0xf bank_mask:0xf
	s_and_b64 s[0:1], s[26:27], s[0:1]
	v_cndmask_b32_e64 v9, 0, v9, s[26:27]
	v_cndmask_b32_e64 v17, 0, v17, s[0:1]
	v_add_u32_e32 v7, v9, v7
	v_add_u32_e32 v6, v6, v17
	v_cmp_eq_u32_e64 s[0:1], 0, v7
	v_cmp_lt_u32_e64 s[26:27], 7, v8
	v_mov_b32_dpp v9, v7 row_shr:8 row_mask:0xf bank_mask:0xf
	v_mov_b32_dpp v17, v6 row_shr:8 row_mask:0xf bank_mask:0xf
	s_and_b64 s[0:1], s[26:27], s[0:1]
	v_cndmask_b32_e64 v8, 0, v9, s[26:27]
	v_cndmask_b32_e64 v9, 0, v17, s[0:1]
	v_add_u32_e32 v6, v9, v6
	v_add_u32_e32 v7, v8, v7
	v_bfe_i32 v17, v11, 4, 1
	v_mov_b32_dpp v9, v6 row_bcast:15 row_mask:0xf bank_mask:0xf
	v_mov_b32_dpp v8, v7 row_bcast:15 row_mask:0xf bank_mask:0xf
	v_cmp_eq_u32_e64 s[0:1], 0, v7
	v_and_b32_e32 v8, v17, v8
	v_add_u32_e32 v7, v8, v7
	v_cndmask_b32_e64 v9, 0, v9, s[0:1]
	v_and_b32_e32 v8, v17, v9
	v_add_u32_e32 v8, v8, v6
	v_mov_b32_dpp v6, v7 row_bcast:31 row_mask:0xf bank_mask:0xf
	v_cmp_eq_u32_e64 s[0:1], 0, v7
	v_cmp_lt_u32_e64 s[26:27], 31, v11
	v_mov_b32_dpp v9, v8 row_bcast:31 row_mask:0xf bank_mask:0xf
	s_and_b64 s[0:1], s[26:27], s[0:1]
	v_cndmask_b32_e64 v6, 0, v6, s[26:27]
	v_add_u32_e32 v6, v6, v7
	v_cndmask_b32_e64 v7, 0, v9, s[0:1]
	v_add_u32_e32 v7, v7, v8
	v_cmp_eq_u32_e64 s[0:1], v78, v0
	s_and_saveexec_b64 s[26:27], s[0:1]
	s_cbranch_execz .LBB935_95
; %bb.94:
	v_lshlrev_b32_e32 v8, 3, v77
	ds_write_b64 v8, v[6:7] offset:1040
.LBB935_95:
	s_or_b64 exec, exec, s[26:27]
	v_cmp_gt_u32_e64 s[0:1], 4, v0
	s_waitcnt lgkmcnt(0)
	s_barrier
	s_and_saveexec_b64 s[28:29], s[0:1]
	s_cbranch_execz .LBB935_97
; %bb.96:
	v_lshlrev_b32_e32 v17, 3, v0
	ds_read_b64 v[8:9], v17 offset:1040
	v_and_b32_e32 v24, 3, v11
	v_cmp_lt_u32_e64 s[26:27], 1, v24
	s_waitcnt lgkmcnt(0)
	v_mov_b32_dpp v26, v9 row_shr:1 row_mask:0xf bank_mask:0xf
	v_cmp_eq_u32_e64 s[0:1], 0, v8
	v_mov_b32_dpp v25, v8 row_shr:1 row_mask:0xf bank_mask:0xf
	s_nop 0
	v_cndmask_b32_e64 v26, 0, v26, s[0:1]
	v_cmp_eq_u32_e64 s[0:1], 0, v24
	s_nop 1
	v_cndmask_b32_e64 v25, v25, 0, s[0:1]
	v_add_u32_e32 v8, v25, v8
	v_cndmask_b32_e64 v25, v26, 0, s[0:1]
	v_add_u32_e32 v9, v25, v9
	v_cmp_eq_u32_e64 s[0:1], 0, v8
	v_mov_b32_dpp v25, v8 row_shr:2 row_mask:0xf bank_mask:0xf
	v_mov_b32_dpp v26, v9 row_shr:2 row_mask:0xf bank_mask:0xf
	v_cndmask_b32_e64 v24, 0, v25, s[26:27]
	s_and_b64 s[0:1], s[26:27], s[0:1]
	v_add_u32_e32 v8, v24, v8
	v_cndmask_b32_e64 v24, 0, v26, s[0:1]
	v_add_u32_e32 v9, v24, v9
	ds_write_b64 v17, v[8:9] offset:1040
.LBB935_97:
	s_or_b64 exec, exec, s[28:29]
	v_cmp_lt_u32_e64 s[0:1], 63, v0
	v_mov_b32_e32 v17, 0
	v_mov_b32_e32 v8, 0
	s_waitcnt vmcnt(0)
	v_mov_b32_e32 v9, v10
	s_waitcnt lgkmcnt(0)
	s_barrier
	s_and_saveexec_b64 s[26:27], s[0:1]
	s_cbranch_execz .LBB935_99
; %bb.98:
	v_lshlrev_b32_e32 v8, 3, v77
	ds_read_b64 v[8:9], v8 offset:1032
	s_waitcnt lgkmcnt(0)
	v_cmp_eq_u32_e64 s[0:1], 0, v8
	s_nop 1
	v_cndmask_b32_e64 v24, 0, v10, s[0:1]
	v_add_u32_e32 v9, v24, v9
.LBB935_99:
	s_or_b64 exec, exec, s[26:27]
	v_cmp_eq_u32_e64 s[0:1], 0, v6
	v_add_u32_e32 v24, v8, v6
	v_and_b32_e32 v25, 64, v11
	v_cndmask_b32_e64 v6, 0, v9, s[0:1]
	v_add_u32_e32 v6, v6, v7
	v_add_u32_e32 v7, -1, v11
	v_cmp_lt_i32_e64 s[0:1], v7, v25
	s_nop 1
	v_cndmask_b32_e64 v7, v7, v11, s[0:1]
	v_lshlrev_b32_e32 v7, 2, v7
	ds_bpermute_b32 v6, v7, v6
	ds_bpermute_b32 v24, v7, v24
	v_cmp_eq_u32_e64 s[0:1], 0, v11
	s_waitcnt lgkmcnt(1)
	s_nop 0
	v_cndmask_b32_e64 v6, v6, v9, s[0:1]
	s_waitcnt lgkmcnt(0)
	v_cndmask_b32_e64 v7, v24, v8, s[0:1]
	v_cndmask_b32_e64 v55, v6, v10, s[34:35]
	v_cmp_eq_u32_e64 s[0:1], 0, v69
	v_cndmask_b32_e64 v54, v7, 0, s[34:35]
	v_add_u32_e32 v52, v54, v69
	v_cndmask_b32_e64 v6, 0, v55, s[0:1]
	v_add_u32_e32 v53, v6, v22
	;; [unrolled: 2-line block ×10, first 2 shown]
	v_add_u32_e32 v50, v52, v68
	v_cndmask_b32_e64 v6, 0, v37, s[18:19]
	v_add_u32_e32 v48, v50, v67
	v_add_u32_e32 v35, v6, v72
	v_add_u32_e32 v46, v48, v66
	v_cndmask_b32_e64 v6, 0, v35, s[20:21]
	v_add_u32_e32 v44, v46, v65
	v_add_u32_e32 v33, v6, v19
	;; [unrolled: 4-line block ×3, first 2 shown]
	ds_read_b64 v[6:7], v17 offset:1064
	v_add_u32_e32 v38, v40, v62
	v_add_u32_e32 v36, v38, v61
	;; [unrolled: 1-line block ×3, first 2 shown]
	v_cndmask_b32_e64 v8, 0, v31, s[24:25]
	v_add_u32_e32 v32, v34, v59
	v_add_u32_e32 v29, v8, v16
	;; [unrolled: 1-line block ×3, first 2 shown]
	v_cndmask_b32_e32 v8, 0, v29, vcc
	s_waitcnt lgkmcnt(0)
	v_cmp_eq_u32_e32 vcc, 0, v6
	v_add_u32_e32 v28, v30, v57
	v_add_u32_e32 v27, v8, v70
	v_cndmask_b32_e32 v8, 0, v10, vcc
	v_add_u32_e32 v26, v28, v56
	v_add_u32_e32 v24, v8, v7
	s_and_saveexec_b64 s[0:1], s[34:35]
	s_cbranch_execz .LBB935_101
; %bb.100:
	s_add_u32 s2, s36, 0x400
	v_and_b32_e32 v7, 0xff000000, v24
	v_and_b32_e32 v8, 0xff0000, v24
	s_addc_u32 s3, s37, 0
	v_or_b32_e32 v7, v8, v7
	v_and_b32_e32 v8, 0xff00, v24
	v_and_b32_e32 v10, 0xff, v24
	v_mov_b32_e32 v9, 0
	v_or3_b32 v7, v7, v8, v10
	v_mov_b32_e32 v8, 2
	v_mov_b64_e32 v[10:11], s[2:3]
	;;#ASMSTART
	global_store_dwordx4 v[10:11], v[6:9] off sc1	
s_waitcnt vmcnt(0)
	;;#ASMEND
.LBB935_101:
	s_or_b64 exec, exec, s[0:1]
	v_mov_b32_e32 v8, 0
.LBB935_102:
	s_and_b64 s[0:1], s[38:39], exec
	s_cselect_b32 s1, 0, s31
	s_cselect_b32 s0, 0, s30
	s_cmp_eq_u64 s[0:1], 0
	v_mov_b64_e32 v[16:17], 0
	s_barrier
	s_cbranch_scc1 .LBB935_104
; %bb.103:
	v_mov_b32_e32 v7, 0
	global_load_dwordx2 v[16:17], v7, s[0:1]
.LBB935_104:
	s_waitcnt vmcnt(0)
	v_lshlrev_b64 v[10:11], 1, v[16:17]
	v_mov_b32_e32 v9, 0
	v_cmp_eq_u32_e32 vcc, 0, v69
	v_lshl_add_u64 v[10:11], s[44:45], 0, v[10:11]
	v_lshlrev_b64 v[18:19], 1, v[8:9]
	v_cndmask_b32_e64 v7, 1, 2, vcc
	v_cmp_eq_u32_e32 vcc, 0, v68
	v_lshl_add_u64 v[18:19], v[10:11], 0, v[18:19]
	s_movk_i32 s0, 0x100
	v_cndmask_b32_e64 v10, 1, 2, vcc
	v_cmp_eq_u32_e32 vcc, 0, v67
	v_and_b32_e32 v7, v10, v7
	v_cmp_ne_u32_e64 s[30:31], 0, v69
	v_cndmask_b32_e64 v10, 1, 2, vcc
	v_cmp_eq_u32_e32 vcc, 0, v66
	v_and_b32_e32 v7, v7, v10
	v_cmp_ne_u32_e64 s[28:29], 0, v68
	;; [unrolled: 4-line block ×13, first 2 shown]
	v_cndmask_b32_e64 v10, 1, 2, vcc
	v_and_b32_e32 v7, v7, v10
	v_cmp_gt_u32_e32 vcc, s0, v6
	v_cmp_ne_u32_e64 s[4:5], 0, v56
	v_cmp_ne_u32_e64 s[2:3], 0, v15
	s_mov_b64 s[36:37], -1
	v_cmp_gt_i16_e64 s[0:1], 2, v7
	s_cbranch_vccz .LBB935_111
; %bb.105:
	s_and_saveexec_b64 s[36:37], s[0:1]
	s_cbranch_execz .LBB935_110
; %bb.106:
	v_cmp_ne_u16_e32 vcc, 1, v7
	s_mov_b64 s[38:39], 0
	s_and_saveexec_b64 s[0:1], vcc
	s_xor_b64 s[0:1], exec, s[0:1]
	s_cbranch_execnz .LBB935_155
; %bb.107:
	s_andn2_saveexec_b64 s[0:1], s[0:1]
	s_cbranch_execnz .LBB935_171
.LBB935_108:
	s_or_b64 exec, exec, s[0:1]
	s_and_b64 exec, exec, s[38:39]
	s_cbranch_execz .LBB935_110
.LBB935_109:
	v_sub_u32_e32 v10, v26, v8
	v_mov_b32_e32 v11, 0
	v_lshl_add_u64 v[10:11], v[10:11], 1, v[18:19]
	global_store_short_d16_hi v[10:11], v14, off
.LBB935_110:
	s_or_b64 exec, exec, s[36:37]
	s_mov_b64 s[36:37], 0
.LBB935_111:
	s_and_b64 vcc, exec, s[36:37]
	s_cbranch_vccz .LBB935_133
; %bb.112:
	v_cmp_gt_i16_e32 vcc, 2, v7
	s_and_saveexec_b64 s[0:1], vcc
	s_cbranch_execz .LBB935_117
; %bb.113:
	v_cmp_ne_u16_e32 vcc, 1, v7
	s_mov_b64 s[38:39], 0
	s_and_saveexec_b64 s[36:37], vcc
	s_xor_b64 s[36:37], exec, s[36:37]
	s_cbranch_execnz .LBB935_172
; %bb.114:
	s_andn2_saveexec_b64 s[2:3], s[36:37]
	s_cbranch_execnz .LBB935_188
.LBB935_115:
	s_or_b64 exec, exec, s[2:3]
	s_and_b64 exec, exec, s[38:39]
	s_cbranch_execz .LBB935_117
.LBB935_116:
	v_sub_u32_e32 v1, v26, v8
	v_lshlrev_b32_e32 v1, 1, v1
	ds_write_b16_d16_hi v1, v14
.LBB935_117:
	s_or_b64 exec, exec, s[0:1]
	v_cmp_lt_u32_e32 vcc, v0, v6
	s_waitcnt lgkmcnt(0)
	s_barrier
	s_and_saveexec_b64 s[0:1], vcc
	s_cbranch_execz .LBB935_132
; %bb.118:
	v_xad_u32 v1, v0, -1, v6
	s_movk_i32 s2, 0x1700
	s_movk_i32 s4, 0x16ff
	v_cmp_gt_u32_e64 s[2:3], s2, v1
	v_cmp_lt_u32_e32 vcc, s4, v1
	v_mov_b32_e32 v2, v0
	s_and_saveexec_b64 s[4:5], vcc
	s_cbranch_execz .LBB935_129
; %bb.119:
	v_sub_u32_e32 v2, v0, v6
	v_or_b32_e32 v2, 0xff, v2
	v_cmp_ge_u32_e32 vcc, v2, v0
	s_mov_b64 s[8:9], -1
	v_mov_b32_e32 v2, v0
	s_and_saveexec_b64 s[6:7], vcc
	s_cbranch_execz .LBB935_128
; %bb.120:
	v_lshrrev_b32_e32 v7, 8, v1
	v_or_b32_e32 v3, 0x300, v0
	v_or_b32_e32 v2, 0x200, v0
	v_add_u32_e32 v4, -3, v7
	v_or_b32_e32 v1, 0x100, v0
	v_lshrrev_b32_e32 v5, 2, v4
	v_mov_b64_e32 v[12:13], v[2:3]
	v_add_u32_e32 v20, 1, v5
	v_cmp_lt_u32_e32 vcc, 11, v4
	v_mov_b32_e32 v23, 0
	v_lshlrev_b32_e32 v14, 1, v0
	v_mov_b64_e32 v[10:11], v[0:1]
	s_and_saveexec_b64 s[8:9], vcc
	s_cbranch_execz .LBB935_124
; %bb.121:
	v_mov_b64_e32 v[12:13], v[2:3]
	v_and_b32_e32 v21, 0x7ffffffc, v20
	s_mov_b32 s12, 0
	s_mov_b64 s[10:11], 0
	v_mov_b32_e32 v5, 0
	v_mov_b32_e32 v22, v14
	v_mov_b64_e32 v[10:11], v[0:1]
.LBB935_122:                            ; =>This Inner Loop Header: Depth=1
	v_mov_b32_e32 v4, v10
	ds_read_u16 v1, v22
	ds_read_u16 v25, v22 offset:512
	ds_read_u16 v94, v22 offset:1024
	;; [unrolled: 1-line block ×7, first 2 shown]
	v_lshl_add_u64 v[86:87], v[4:5], 1, v[18:19]
	v_mov_b32_e32 v4, v11
	v_lshl_add_u64 v[88:89], v[4:5], 1, v[18:19]
	v_mov_b32_e32 v4, v12
	ds_read_u16 v100, v22 offset:4096
	ds_read_u16 v101, v22 offset:4608
	;; [unrolled: 1-line block ×8, first 2 shown]
	v_lshl_add_u64 v[90:91], v[4:5], 1, v[18:19]
	v_mov_b32_e32 v4, v13
	v_add_u32_e32 v2, 0x400, v13
	v_mov_b32_e32 v3, v5
	v_lshl_add_u64 v[92:93], v[4:5], 1, v[18:19]
	v_add_u32_e32 v4, 0x400, v10
	v_add_u32_e32 v70, 0x400, v12
	;; [unrolled: 1-line block ×3, first 2 shown]
	v_mov_b32_e32 v73, v5
	v_mov_b32_e32 v71, v5
	v_add_u32_e32 v21, -4, v21
	v_lshl_add_u64 v[2:3], v[2:3], 1, v[18:19]
	s_waitcnt lgkmcnt(14)
	global_store_short v[86:87], v1, off
	global_store_short v[88:89], v25, off
	s_waitcnt lgkmcnt(13)
	global_store_short v[90:91], v94, off
	s_waitcnt lgkmcnt(12)
	global_store_short v[92:93], v95, off
	v_lshl_add_u64 v[86:87], v[4:5], 1, v[18:19]
	v_add_u32_e32 v4, 0x800, v10
	v_add_u32_e32 v74, 0x800, v13
	;; [unrolled: 1-line block ×4, first 2 shown]
	v_mov_b32_e32 v79, v5
	v_mov_b32_e32 v77, v5
	;; [unrolled: 1-line block ×3, first 2 shown]
	s_add_i32 s12, s12, 16
	v_lshl_add_u64 v[72:73], v[72:73], 1, v[18:19]
	v_lshl_add_u64 v[70:71], v[70:71], 1, v[18:19]
	v_cmp_eq_u32_e32 vcc, 0, v21
	s_waitcnt lgkmcnt(11)
	global_store_short v[86:87], v96, off
	s_waitcnt lgkmcnt(10)
	global_store_short v[72:73], v97, off
	;; [unrolled: 2-line block ×4, first 2 shown]
	v_lshl_add_u64 v[2:3], v[4:5], 1, v[18:19]
	v_add_u32_e32 v4, 0xc00, v10
	v_add_u32_e32 v80, 0xc00, v13
	;; [unrolled: 1-line block ×4, first 2 shown]
	v_mov_b32_e32 v85, v5
	v_mov_b32_e32 v83, v5
	;; [unrolled: 1-line block ×3, first 2 shown]
	v_add_u32_e32 v22, 0x2000, v22
	v_lshl_add_u64 v[78:79], v[78:79], 1, v[18:19]
	v_lshl_add_u64 v[76:77], v[76:77], 1, v[18:19]
	;; [unrolled: 1-line block ×3, first 2 shown]
	v_add_u32_e32 v11, 0x1000, v11
	v_mov_b32_e32 v23, s12
	v_add_u32_e32 v12, 0x1000, v12
	s_or_b64 s[10:11], vcc, s[10:11]
	v_add_u32_e32 v13, 0x1000, v13
	v_add_u32_e32 v10, 0x1000, v10
	s_waitcnt lgkmcnt(7)
	global_store_short v[2:3], v100, off
	s_waitcnt lgkmcnt(6)
	global_store_short v[78:79], v101, off
	;; [unrolled: 2-line block ×4, first 2 shown]
	v_lshl_add_u64 v[2:3], v[4:5], 1, v[18:19]
	v_lshl_add_u64 v[84:85], v[84:85], 1, v[18:19]
	;; [unrolled: 1-line block ×4, first 2 shown]
	s_waitcnt lgkmcnt(3)
	global_store_short v[2:3], v104, off
	s_waitcnt lgkmcnt(2)
	global_store_short v[84:85], v105, off
	;; [unrolled: 2-line block ×4, first 2 shown]
	s_andn2_b64 exec, exec, s[10:11]
	s_cbranch_execnz .LBB935_122
; %bb.123:
	s_or_b64 exec, exec, s[10:11]
.LBB935_124:
	s_or_b64 exec, exec, s[8:9]
	v_and_b32_e32 v1, 3, v20
	v_cmp_ne_u32_e32 vcc, 0, v1
	s_and_saveexec_b64 s[8:9], vcc
	s_cbranch_execz .LBB935_127
; %bb.125:
	v_lshl_or_b32 v4, v23, 9, v14
	s_mov_b64 s[10:11], 0
	v_mov_b32_e32 v3, 0
.LBB935_126:                            ; =>This Inner Loop Header: Depth=1
	ds_read_u16 v5, v4
	ds_read_u16 v14, v4 offset:512
	ds_read_u16 v25, v4 offset:1024
	;; [unrolled: 1-line block ×3, first 2 shown]
	v_mov_b32_e32 v2, v10
	v_add_u32_e32 v1, -1, v1
	v_lshl_add_u64 v[20:21], v[2:3], 1, v[18:19]
	v_mov_b32_e32 v2, v11
	v_cmp_eq_u32_e32 vcc, 0, v1
	v_lshl_add_u64 v[22:23], v[2:3], 1, v[18:19]
	v_mov_b32_e32 v2, v12
	v_add_u32_e32 v10, 0x400, v10
	v_add_u32_e32 v4, 0x800, v4
	;; [unrolled: 1-line block ×4, first 2 shown]
	s_or_b64 s[10:11], vcc, s[10:11]
	v_lshl_add_u64 v[70:71], v[2:3], 1, v[18:19]
	v_mov_b32_e32 v2, v13
	v_add_u32_e32 v13, 0x400, v13
	v_lshl_add_u64 v[72:73], v[2:3], 1, v[18:19]
	s_waitcnt lgkmcnt(3)
	global_store_short v[20:21], v5, off
	s_waitcnt lgkmcnt(2)
	global_store_short v[22:23], v14, off
	;; [unrolled: 2-line block ×4, first 2 shown]
	s_andn2_b64 exec, exec, s[10:11]
	s_cbranch_execnz .LBB935_126
.LBB935_127:
	s_or_b64 exec, exec, s[8:9]
	v_add_u32_e32 v1, 1, v7
	v_and_b32_e32 v3, 0x1fffffc, v1
	v_cmp_ne_u32_e32 vcc, v1, v3
	v_lshl_or_b32 v2, v3, 8, v0
	s_orn2_b64 s[8:9], vcc, exec
.LBB935_128:
	s_or_b64 exec, exec, s[6:7]
	s_andn2_b64 s[2:3], s[2:3], exec
	s_and_b64 s[6:7], s[8:9], exec
	s_or_b64 s[2:3], s[2:3], s[6:7]
.LBB935_129:
	s_or_b64 exec, exec, s[4:5]
	s_and_b64 exec, exec, s[2:3]
	s_cbranch_execz .LBB935_132
; %bb.130:
	v_lshlrev_b32_e32 v1, 1, v2
	s_mov_b64 s[2:3], 0
	v_mov_b32_e32 v3, 0
.LBB935_131:                            ; =>This Inner Loop Header: Depth=1
	ds_read_u16 v7, v1
	v_lshl_add_u64 v[4:5], v[2:3], 1, v[18:19]
	v_add_u32_e32 v2, 0x100, v2
	v_cmp_ge_u32_e32 vcc, v2, v6
	v_add_u32_e32 v1, 0x200, v1
	s_or_b64 s[2:3], vcc, s[2:3]
	s_waitcnt lgkmcnt(0)
	global_store_short v[4:5], v7, off
	s_andn2_b64 exec, exec, s[2:3]
	s_cbranch_execnz .LBB935_131
.LBB935_132:
	s_or_b64 exec, exec, s[0:1]
.LBB935_133:
	s_cmpk_lg_i32 s33, 0xf00
	s_cselect_b64 s[0:1], -1, 0
	v_cndmask_b32_e64 v7, 0, 1, s[42:43]
	s_and_b64 s[0:1], s[0:1], s[40:41]
	v_sub_u32_e32 v1, v6, v7
	v_cndmask_b32_e64 v2, 0, 1, s[0:1]
	s_and_b64 s[0:1], s[34:35], s[42:43]
	v_add_u32_e32 v1, v1, v2
	v_cndmask_b32_e64 v2, v69, 0, s[0:1]
	s_mul_hi_u32 s0, s33, 0x88888889
	s_lshr_b32 s0, s0, 3
	v_mad_i32_i24 v3, v0, -15, s33
	v_cmp_eq_u32_e32 vcc, s0, v0
	v_cmp_ne_u32_e64 s[0:1], 0, v3
	s_and_b64 vcc, vcc, s[40:41]
	s_movk_i32 s30, 0x100
	v_cndmask_b32_e64 v4, 1, v2, s[0:1]
	v_cmp_ne_u32_e64 s[0:1], 1, v3
	s_mov_b64 s[34:35], -1
	s_nop 0
	v_cndmask_b32_e64 v5, 1, v68, s[0:1]
	v_cmp_ne_u32_e64 s[0:1], 2, v3
	s_barrier
	s_nop 0
	v_cndmask_b32_e64 v10, 1, v67, s[0:1]
	v_cmp_ne_u32_e64 s[0:1], 3, v3
	v_cndmask_b32_e32 v10, v67, v10, vcc
	v_cmp_ne_u32_e64 s[24:25], 0, v10
	v_cndmask_b32_e64 v11, 1, v66, s[0:1]
	v_cmp_ne_u32_e64 s[0:1], 4, v3
	v_cndmask_b32_e32 v11, v66, v11, vcc
	v_cmp_ne_u32_e64 s[22:23], 0, v11
	;; [unrolled: 4-line block ×10, first 2 shown]
	v_cndmask_b32_e64 v23, 1, v57, s[0:1]
	v_cmp_ne_u32_e64 s[0:1], 13, v3
	v_cndmask_b32_e32 v23, v57, v23, vcc
	v_cndmask_b32_e32 v57, v2, v4, vcc
	v_cndmask_b32_e64 v25, 1, v56, s[0:1]
	v_cmp_ne_u32_e64 s[0:1], 14, v3
	v_cndmask_b32_e32 v25, v56, v25, vcc
	v_cndmask_b32_e32 v56, v68, v5, vcc
	v_cndmask_b32_e64 v3, 1, v15, s[0:1]
	v_cndmask_b32_e32 v15, v15, v3, vcc
	v_cmp_eq_u32_e32 vcc, 0, v57
	v_cmp_ne_u32_e64 s[28:29], 0, v57
	v_cmp_ne_u32_e64 s[26:27], 0, v56
	v_cndmask_b32_e64 v57, 1, 2, vcc
	v_cmp_eq_u32_e32 vcc, 0, v56
	v_lshlrev_b64 v[2:3], 3, v[16:17]
	v_lshl_add_u64 v[2:3], s[46:47], 0, v[2:3]
	v_cndmask_b32_e64 v56, 1, 2, vcc
	v_cmp_eq_u32_e32 vcc, 0, v10
	v_and_b32_e32 v56, v56, v57
	v_lshlrev_b64 v[4:5], 3, v[8:9]
	v_cndmask_b32_e64 v10, 1, 2, vcc
	v_cmp_eq_u32_e32 vcc, 0, v11
	v_and_b32_e32 v10, v56, v10
	v_lshl_add_u64 v[2:3], v[2:3], 0, v[4:5]
	v_cndmask_b32_e64 v11, 1, 2, vcc
	v_cmp_eq_u32_e32 vcc, 0, v12
	v_and_b32_e32 v10, v10, v11
	v_lshlrev_b32_e32 v4, 3, v7
	v_cndmask_b32_e64 v11, 1, 2, vcc
	v_cmp_eq_u32_e32 vcc, 0, v13
	v_and_b32_e32 v10, v10, v11
	v_mov_b32_e32 v5, 0
	v_cndmask_b32_e64 v11, 1, 2, vcc
	v_cmp_eq_u32_e32 vcc, 0, v14
	v_and_b32_e32 v10, v10, v11
	v_lshl_add_u64 v[4:5], v[4:5], 0, v[2:3]
	v_cndmask_b32_e64 v11, 1, 2, vcc
	v_cmp_eq_u32_e32 vcc, 0, v18
	v_and_b32_e32 v10, v10, v11
	v_lshl_add_u64 v[4:5], v[4:5], 0, -8
	v_cndmask_b32_e64 v11, 1, 2, vcc
	v_cmp_eq_u32_e32 vcc, 0, v19
	v_and_b32_e32 v10, v10, v11
	v_add_u32_e32 v7, v8, v7
	v_cndmask_b32_e64 v11, 1, 2, vcc
	v_cmp_eq_u32_e32 vcc, 0, v20
	v_and_b32_e32 v10, v10, v11
	v_cmp_ne_u32_e64 s[4:5], 0, v23
	v_cndmask_b32_e64 v11, 1, 2, vcc
	v_cmp_eq_u32_e32 vcc, 0, v21
	v_and_b32_e32 v10, v10, v11
	v_cmp_ne_u32_e64 s[2:3], 0, v25
	;; [unrolled: 4-line block ×3, first 2 shown]
	v_cndmask_b32_e64 v11, 1, 2, vcc
	v_cmp_eq_u32_e32 vcc, 0, v23
	v_and_b32_e32 v10, v10, v11
	s_nop 0
	v_cndmask_b32_e64 v11, 1, 2, vcc
	v_cmp_eq_u32_e32 vcc, 0, v25
	v_and_b32_e32 v10, v10, v11
	s_nop 0
	;; [unrolled: 4-line block ×3, first 2 shown]
	v_cndmask_b32_e64 v11, 1, 2, vcc
	v_and_b32_e32 v10, v10, v11
	v_cmp_gt_u32_e32 vcc, s30, v1
	v_cmp_gt_i16_e64 s[30:31], 2, v10
	s_cbranch_vccz .LBB935_140
; %bb.134:
	s_and_saveexec_b64 s[34:35], s[30:31]
	s_cbranch_execz .LBB935_139
; %bb.135:
	v_cmp_ne_u16_e32 vcc, 1, v10
	s_mov_b64 s[36:37], 0
	s_and_saveexec_b64 s[30:31], vcc
	s_xor_b64 s[30:31], exec, s[30:31]
	s_cbranch_execnz .LBB935_189
; %bb.136:
	s_andn2_saveexec_b64 s[30:31], s[30:31]
	s_cbranch_execnz .LBB935_205
.LBB935_137:
	s_or_b64 exec, exec, s[30:31]
	s_and_b64 exec, exec, s[36:37]
	s_cbranch_execz .LBB935_139
.LBB935_138:
	v_mov_b32_e32 v13, 0
	v_sub_u32_e32 v14, v26, v7
	v_mov_b32_e32 v15, v13
	v_mov_b32_e32 v12, v27
	v_lshl_add_u64 v[14:15], v[14:15], 3, v[4:5]
	global_store_dwordx2 v[14:15], v[12:13], off
.LBB935_139:
	s_or_b64 exec, exec, s[34:35]
	s_mov_b64 s[34:35], 0
.LBB935_140:
	s_and_b64 vcc, exec, s[34:35]
	s_cbranch_vccz .LBB935_150
; %bb.141:
	v_cmp_gt_i16_e32 vcc, 2, v10
	s_and_saveexec_b64 s[30:31], vcc
	s_cbranch_execz .LBB935_146
; %bb.142:
	v_cmp_ne_u16_e32 vcc, 1, v10
	s_mov_b64 s[36:37], 0
	s_and_saveexec_b64 s[34:35], vcc
	s_xor_b64 s[34:35], exec, s[34:35]
	s_cbranch_execnz .LBB935_206
; %bb.143:
	s_andn2_saveexec_b64 s[0:1], s[34:35]
	s_cbranch_execnz .LBB935_222
.LBB935_144:
	s_or_b64 exec, exec, s[0:1]
	s_and_b64 exec, exec, s[36:37]
	s_cbranch_execz .LBB935_146
.LBB935_145:
	v_sub_u32_e32 v7, v26, v7
	v_lshlrev_b32_e32 v7, 2, v7
	ds_write_b32 v7, v27
.LBB935_146:
	s_or_b64 exec, exec, s[30:31]
	v_cmp_lt_u32_e32 vcc, v0, v1
	s_waitcnt lgkmcnt(0)
	s_barrier
	s_and_saveexec_b64 s[0:1], vcc
	s_cbranch_execz .LBB935_149
; %bb.147:
	v_lshlrev_b32_e32 v7, 2, v0
	s_mov_b64 s[2:3], 0
	v_mov_b32_e32 v11, 0
	v_mov_b32_e32 v10, v0
.LBB935_148:                            ; =>This Inner Loop Header: Depth=1
	ds_read_b32 v12, v7
	v_lshl_add_u64 v[14:15], v[10:11], 3, v[4:5]
	v_add_u32_e32 v10, 0x100, v10
	v_cmp_ge_u32_e32 vcc, v10, v1
	v_mov_b32_e32 v13, v11
	v_add_u32_e32 v7, 0x400, v7
	s_or_b64 s[2:3], vcc, s[2:3]
	s_waitcnt lgkmcnt(0)
	global_store_dwordx2 v[14:15], v[12:13], off
	s_andn2_b64 exec, exec, s[2:3]
	s_cbranch_execnz .LBB935_148
.LBB935_149:
	s_or_b64 exec, exec, s[0:1]
.LBB935_150:
	s_movk_i32 s0, 0xff
	v_cmp_eq_u32_e32 vcc, s0, v0
	s_and_b64 s[0:1], vcc, s[40:41]
	s_and_saveexec_b64 s[2:3], s[0:1]
	s_cbranch_execz .LBB935_153
; %bb.151:
	v_mov_b32_e32 v7, 0
	v_lshl_add_u64 v[0:1], v[6:7], 0, v[8:9]
	v_lshl_add_u64 v[0:1], v[0:1], 0, v[16:17]
	s_cmpk_lg_i32 s33, 0xf00
	global_store_dwordx2 v7, v[0:1], s[48:49]
	s_cbranch_scc1 .LBB935_153
; %bb.152:
	v_lshlrev_b64 v[0:1], 3, v[6:7]
	v_mov_b32_e32 v25, v7
	v_lshl_add_u64 v[0:1], v[2:3], 0, v[0:1]
	global_store_dwordx2 v[0:1], v[24:25], off offset:-8
.LBB935_153:
	s_endpgm
.LBB935_154:
	s_or_b64 exec, exec, s[8:9]
	v_mov_b32_e32 v69, s12
	s_and_saveexec_b64 s[2:3], s[6:7]
	s_cbranch_execnz .LBB935_58
	s_branch .LBB935_59
.LBB935_155:
	s_and_saveexec_b64 s[38:39], s[30:31]
	s_cbranch_execnz .LBB935_223
; %bb.156:
	s_or_b64 exec, exec, s[38:39]
	s_and_saveexec_b64 s[38:39], s[28:29]
	s_cbranch_execnz .LBB935_224
.LBB935_157:
	s_or_b64 exec, exec, s[38:39]
	s_and_saveexec_b64 s[38:39], s[26:27]
	s_cbranch_execnz .LBB935_225
.LBB935_158:
	s_or_b64 exec, exec, s[38:39]
	s_and_saveexec_b64 s[38:39], s[24:25]
	s_cbranch_execnz .LBB935_226
.LBB935_159:
	s_or_b64 exec, exec, s[38:39]
	s_and_saveexec_b64 s[38:39], s[22:23]
	s_cbranch_execnz .LBB935_227
.LBB935_160:
	s_or_b64 exec, exec, s[38:39]
	s_and_saveexec_b64 s[38:39], s[20:21]
	s_cbranch_execnz .LBB935_228
.LBB935_161:
	s_or_b64 exec, exec, s[38:39]
	s_and_saveexec_b64 s[38:39], s[18:19]
	s_cbranch_execnz .LBB935_229
.LBB935_162:
	s_or_b64 exec, exec, s[38:39]
	s_and_saveexec_b64 s[38:39], s[16:17]
	s_cbranch_execnz .LBB935_230
.LBB935_163:
	s_or_b64 exec, exec, s[38:39]
	s_and_saveexec_b64 s[38:39], s[14:15]
	s_cbranch_execnz .LBB935_231
.LBB935_164:
	s_or_b64 exec, exec, s[38:39]
	s_and_saveexec_b64 s[38:39], s[12:13]
	s_cbranch_execnz .LBB935_232
.LBB935_165:
	s_or_b64 exec, exec, s[38:39]
	s_and_saveexec_b64 s[38:39], s[10:11]
	s_cbranch_execnz .LBB935_233
.LBB935_166:
	s_or_b64 exec, exec, s[38:39]
	s_and_saveexec_b64 s[38:39], s[8:9]
	s_cbranch_execnz .LBB935_234
.LBB935_167:
	s_or_b64 exec, exec, s[38:39]
	s_and_saveexec_b64 s[38:39], s[6:7]
	s_cbranch_execnz .LBB935_235
.LBB935_168:
	s_or_b64 exec, exec, s[38:39]
	s_and_saveexec_b64 s[38:39], s[4:5]
	s_cbranch_execz .LBB935_170
.LBB935_169:
	v_sub_u32_e32 v10, v28, v8
	v_mov_b32_e32 v11, 0
	v_lshl_add_u64 v[10:11], v[10:11], 1, v[18:19]
	global_store_short v[10:11], v14, off
.LBB935_170:
	s_or_b64 exec, exec, s[38:39]
	s_and_b64 s[38:39], s[2:3], exec
	s_andn2_saveexec_b64 s[0:1], s[0:1]
	s_cbranch_execz .LBB935_108
.LBB935_171:
	v_sub_u32_e32 v10, v54, v8
	v_mov_b32_e32 v11, 0
	v_lshl_add_u64 v[20:21], v[10:11], 1, v[18:19]
	v_sub_u32_e32 v10, v52, v8
	global_store_short v[20:21], v1, off
	v_lshl_add_u64 v[20:21], v[10:11], 1, v[18:19]
	v_sub_u32_e32 v10, v50, v8
	global_store_short v[20:21], v2, off
	v_lshl_add_u64 v[20:21], v[10:11], 1, v[18:19]
	v_sub_u32_e32 v10, v48, v8
	global_store_short_d16_hi v[20:21], v2, off
	v_lshl_add_u64 v[20:21], v[10:11], 1, v[18:19]
	v_sub_u32_e32 v10, v46, v8
	global_store_short v[20:21], v3, off
	v_lshl_add_u64 v[20:21], v[10:11], 1, v[18:19]
	v_sub_u32_e32 v10, v44, v8
	global_store_short_d16_hi v[20:21], v3, off
	;; [unrolled: 6-line block ×5, first 2 shown]
	v_lshl_add_u64 v[20:21], v[10:11], 1, v[18:19]
	v_sub_u32_e32 v10, v30, v8
	global_store_short v[20:21], v13, off
	v_lshl_add_u64 v[20:21], v[10:11], 1, v[18:19]
	v_sub_u32_e32 v10, v28, v8
	v_lshl_add_u64 v[10:11], v[10:11], 1, v[18:19]
	s_or_b64 s[38:39], s[38:39], exec
	global_store_short_d16_hi v[20:21], v13, off
	global_store_short v[10:11], v14, off
	s_or_b64 exec, exec, s[0:1]
	s_and_b64 exec, exec, s[38:39]
	s_cbranch_execnz .LBB935_109
	s_branch .LBB935_110
.LBB935_172:
	s_and_saveexec_b64 s[38:39], s[30:31]
	s_cbranch_execnz .LBB935_236
; %bb.173:
	s_or_b64 exec, exec, s[38:39]
	s_and_saveexec_b64 s[30:31], s[28:29]
	s_cbranch_execnz .LBB935_237
.LBB935_174:
	s_or_b64 exec, exec, s[30:31]
	s_and_saveexec_b64 s[28:29], s[26:27]
	s_cbranch_execnz .LBB935_238
.LBB935_175:
	s_or_b64 exec, exec, s[28:29]
	s_and_saveexec_b64 s[26:27], s[24:25]
	s_cbranch_execnz .LBB935_239
.LBB935_176:
	s_or_b64 exec, exec, s[26:27]
	s_and_saveexec_b64 s[24:25], s[22:23]
	s_cbranch_execnz .LBB935_240
.LBB935_177:
	s_or_b64 exec, exec, s[24:25]
	s_and_saveexec_b64 s[22:23], s[20:21]
	s_cbranch_execnz .LBB935_241
.LBB935_178:
	s_or_b64 exec, exec, s[22:23]
	s_and_saveexec_b64 s[20:21], s[18:19]
	s_cbranch_execnz .LBB935_242
.LBB935_179:
	s_or_b64 exec, exec, s[20:21]
	s_and_saveexec_b64 s[18:19], s[16:17]
	s_cbranch_execnz .LBB935_243
.LBB935_180:
	s_or_b64 exec, exec, s[18:19]
	s_and_saveexec_b64 s[16:17], s[14:15]
	s_cbranch_execnz .LBB935_244
.LBB935_181:
	s_or_b64 exec, exec, s[16:17]
	s_and_saveexec_b64 s[14:15], s[12:13]
	s_cbranch_execnz .LBB935_245
.LBB935_182:
	s_or_b64 exec, exec, s[14:15]
	s_and_saveexec_b64 s[12:13], s[10:11]
	s_cbranch_execnz .LBB935_246
.LBB935_183:
	s_or_b64 exec, exec, s[12:13]
	s_and_saveexec_b64 s[10:11], s[8:9]
	s_cbranch_execnz .LBB935_247
.LBB935_184:
	s_or_b64 exec, exec, s[10:11]
	s_and_saveexec_b64 s[8:9], s[6:7]
	s_cbranch_execnz .LBB935_248
.LBB935_185:
	s_or_b64 exec, exec, s[8:9]
	s_and_saveexec_b64 s[6:7], s[4:5]
	s_cbranch_execz .LBB935_187
.LBB935_186:
	v_sub_u32_e32 v1, v28, v8
	v_lshlrev_b32_e32 v1, 1, v1
	ds_write_b16 v1, v14
.LBB935_187:
	s_or_b64 exec, exec, s[6:7]
	s_and_b64 s[38:39], s[2:3], exec
                                        ; implicit-def: $vgpr1
                                        ; implicit-def: $vgpr2
	s_andn2_saveexec_b64 s[2:3], s[36:37]
	s_cbranch_execz .LBB935_115
.LBB935_188:
	v_sub_u32_e32 v7, v54, v8
	v_lshlrev_b32_e32 v7, 1, v7
	ds_write_b16 v7, v1
	v_sub_u32_e32 v1, v52, v8
	v_lshlrev_b32_e32 v1, 1, v1
	ds_write_b16 v1, v2
	v_sub_u32_e32 v1, v50, v8
	v_lshlrev_b32_e32 v1, 1, v1
	ds_write_b16_d16_hi v1, v2
	v_sub_u32_e32 v1, v48, v8
	v_lshlrev_b32_e32 v1, 1, v1
	ds_write_b16 v1, v3
	v_sub_u32_e32 v1, v46, v8
	v_lshlrev_b32_e32 v1, 1, v1
	ds_write_b16_d16_hi v1, v3
	;; [unrolled: 6-line block ×6, first 2 shown]
	v_sub_u32_e32 v1, v28, v8
	v_lshlrev_b32_e32 v1, 1, v1
	s_or_b64 s[38:39], s[38:39], exec
	ds_write_b16 v1, v14
	s_or_b64 exec, exec, s[2:3]
	s_and_b64 exec, exec, s[38:39]
	s_cbranch_execnz .LBB935_116
	s_branch .LBB935_117
.LBB935_189:
	s_and_saveexec_b64 s[36:37], s[28:29]
	s_cbranch_execnz .LBB935_249
; %bb.190:
	s_or_b64 exec, exec, s[36:37]
	s_and_saveexec_b64 s[36:37], s[26:27]
	s_cbranch_execnz .LBB935_250
.LBB935_191:
	s_or_b64 exec, exec, s[36:37]
	s_and_saveexec_b64 s[36:37], s[24:25]
	s_cbranch_execnz .LBB935_251
.LBB935_192:
	s_or_b64 exec, exec, s[36:37]
	s_and_saveexec_b64 s[36:37], s[22:23]
	s_cbranch_execnz .LBB935_252
.LBB935_193:
	s_or_b64 exec, exec, s[36:37]
	s_and_saveexec_b64 s[36:37], s[20:21]
	s_cbranch_execnz .LBB935_253
.LBB935_194:
	s_or_b64 exec, exec, s[36:37]
	s_and_saveexec_b64 s[36:37], s[18:19]
	s_cbranch_execnz .LBB935_254
.LBB935_195:
	s_or_b64 exec, exec, s[36:37]
	s_and_saveexec_b64 s[36:37], s[16:17]
	s_cbranch_execnz .LBB935_255
.LBB935_196:
	s_or_b64 exec, exec, s[36:37]
	s_and_saveexec_b64 s[36:37], s[14:15]
	s_cbranch_execnz .LBB935_256
.LBB935_197:
	s_or_b64 exec, exec, s[36:37]
	s_and_saveexec_b64 s[36:37], s[12:13]
	s_cbranch_execnz .LBB935_257
.LBB935_198:
	s_or_b64 exec, exec, s[36:37]
	s_and_saveexec_b64 s[36:37], s[10:11]
	s_cbranch_execnz .LBB935_258
.LBB935_199:
	s_or_b64 exec, exec, s[36:37]
	s_and_saveexec_b64 s[36:37], s[8:9]
	s_cbranch_execnz .LBB935_259
.LBB935_200:
	s_or_b64 exec, exec, s[36:37]
	s_and_saveexec_b64 s[36:37], s[6:7]
	s_cbranch_execnz .LBB935_260
.LBB935_201:
	s_or_b64 exec, exec, s[36:37]
	s_and_saveexec_b64 s[36:37], s[4:5]
	s_cbranch_execnz .LBB935_261
.LBB935_202:
	s_or_b64 exec, exec, s[36:37]
	s_and_saveexec_b64 s[36:37], s[2:3]
	s_cbranch_execz .LBB935_204
.LBB935_203:
	v_sub_u32_e32 v12, v28, v7
	v_mov_b32_e32 v13, 0
	v_lshl_add_u64 v[14:15], v[12:13], 3, v[4:5]
	v_mov_b32_e32 v12, v29
	global_store_dwordx2 v[14:15], v[12:13], off
.LBB935_204:
	s_or_b64 exec, exec, s[36:37]
	s_and_b64 s[36:37], s[0:1], exec
	s_andn2_saveexec_b64 s[30:31], s[30:31]
	s_cbranch_execz .LBB935_137
.LBB935_205:
	v_mov_b32_e32 v13, 0
	v_sub_u32_e32 v14, v54, v7
	v_mov_b32_e32 v15, v13
	v_mov_b32_e32 v12, v55
	v_lshl_add_u64 v[14:15], v[14:15], 3, v[4:5]
	global_store_dwordx2 v[14:15], v[12:13], off
	v_sub_u32_e32 v14, v52, v7
	v_mov_b32_e32 v15, v13
	v_mov_b32_e32 v12, v53
	v_lshl_add_u64 v[14:15], v[14:15], 3, v[4:5]
	global_store_dwordx2 v[14:15], v[12:13], off
	;; [unrolled: 5-line block ×13, first 2 shown]
	v_sub_u32_e32 v14, v28, v7
	v_mov_b32_e32 v15, v13
	v_mov_b32_e32 v12, v29
	v_lshl_add_u64 v[14:15], v[14:15], 3, v[4:5]
	s_or_b64 s[36:37], s[36:37], exec
	global_store_dwordx2 v[14:15], v[12:13], off
	s_or_b64 exec, exec, s[30:31]
	s_and_b64 exec, exec, s[36:37]
	s_cbranch_execnz .LBB935_138
	s_branch .LBB935_139
.LBB935_206:
	s_and_saveexec_b64 s[36:37], s[28:29]
	s_cbranch_execnz .LBB935_262
; %bb.207:
	s_or_b64 exec, exec, s[36:37]
	s_and_saveexec_b64 s[28:29], s[26:27]
	s_cbranch_execnz .LBB935_263
.LBB935_208:
	s_or_b64 exec, exec, s[28:29]
	s_and_saveexec_b64 s[26:27], s[24:25]
	s_cbranch_execnz .LBB935_264
.LBB935_209:
	s_or_b64 exec, exec, s[26:27]
	s_and_saveexec_b64 s[24:25], s[22:23]
	s_cbranch_execnz .LBB935_265
.LBB935_210:
	s_or_b64 exec, exec, s[24:25]
	s_and_saveexec_b64 s[22:23], s[20:21]
	s_cbranch_execnz .LBB935_266
.LBB935_211:
	s_or_b64 exec, exec, s[22:23]
	s_and_saveexec_b64 s[20:21], s[18:19]
	s_cbranch_execnz .LBB935_267
.LBB935_212:
	s_or_b64 exec, exec, s[20:21]
	s_and_saveexec_b64 s[18:19], s[16:17]
	s_cbranch_execnz .LBB935_268
.LBB935_213:
	s_or_b64 exec, exec, s[18:19]
	s_and_saveexec_b64 s[16:17], s[14:15]
	s_cbranch_execnz .LBB935_269
.LBB935_214:
	s_or_b64 exec, exec, s[16:17]
	s_and_saveexec_b64 s[14:15], s[12:13]
	s_cbranch_execnz .LBB935_270
.LBB935_215:
	s_or_b64 exec, exec, s[14:15]
	s_and_saveexec_b64 s[12:13], s[10:11]
	s_cbranch_execnz .LBB935_271
.LBB935_216:
	s_or_b64 exec, exec, s[12:13]
	s_and_saveexec_b64 s[10:11], s[8:9]
	s_cbranch_execnz .LBB935_272
.LBB935_217:
	s_or_b64 exec, exec, s[10:11]
	s_and_saveexec_b64 s[8:9], s[6:7]
	s_cbranch_execnz .LBB935_273
.LBB935_218:
	s_or_b64 exec, exec, s[8:9]
	s_and_saveexec_b64 s[6:7], s[4:5]
	s_cbranch_execnz .LBB935_274
.LBB935_219:
	s_or_b64 exec, exec, s[6:7]
	s_and_saveexec_b64 s[4:5], s[2:3]
	s_cbranch_execz .LBB935_221
.LBB935_220:
	v_sub_u32_e32 v10, v28, v7
	v_lshlrev_b32_e32 v10, 2, v10
	ds_write_b32 v10, v29
.LBB935_221:
	s_or_b64 exec, exec, s[4:5]
	s_and_b64 s[36:37], s[0:1], exec
                                        ; implicit-def: $vgpr54_vgpr55
                                        ; implicit-def: $vgpr52_vgpr53
                                        ; implicit-def: $vgpr50_vgpr51
                                        ; implicit-def: $vgpr48_vgpr49
                                        ; implicit-def: $vgpr46_vgpr47
                                        ; implicit-def: $vgpr44_vgpr45
                                        ; implicit-def: $vgpr42_vgpr43
                                        ; implicit-def: $vgpr40_vgpr41
                                        ; implicit-def: $vgpr38_vgpr39
                                        ; implicit-def: $vgpr36_vgpr37
                                        ; implicit-def: $vgpr34_vgpr35
                                        ; implicit-def: $vgpr32_vgpr33
                                        ; implicit-def: $vgpr30_vgpr31
                                        ; implicit-def: $vgpr28_vgpr29
	s_andn2_saveexec_b64 s[0:1], s[34:35]
	s_cbranch_execz .LBB935_144
.LBB935_222:
	v_sub_u32_e32 v10, v54, v7
	v_lshlrev_b32_e32 v10, 2, v10
	ds_write_b32 v10, v55
	v_sub_u32_e32 v10, v52, v7
	v_lshlrev_b32_e32 v10, 2, v10
	ds_write_b32 v10, v53
	;; [unrolled: 3-line block ×13, first 2 shown]
	v_sub_u32_e32 v10, v28, v7
	v_lshlrev_b32_e32 v10, 2, v10
	s_or_b64 s[36:37], s[36:37], exec
	ds_write_b32 v10, v29
	s_or_b64 exec, exec, s[0:1]
	s_and_b64 exec, exec, s[36:37]
	s_cbranch_execnz .LBB935_145
	s_branch .LBB935_146
.LBB935_223:
	v_sub_u32_e32 v10, v54, v8
	v_mov_b32_e32 v11, 0
	v_lshl_add_u64 v[10:11], v[10:11], 1, v[18:19]
	global_store_short v[10:11], v1, off
	s_or_b64 exec, exec, s[38:39]
	s_and_saveexec_b64 s[38:39], s[28:29]
	s_cbranch_execz .LBB935_157
.LBB935_224:
	v_sub_u32_e32 v10, v52, v8
	v_mov_b32_e32 v11, 0
	v_lshl_add_u64 v[10:11], v[10:11], 1, v[18:19]
	global_store_short v[10:11], v2, off
	s_or_b64 exec, exec, s[38:39]
	s_and_saveexec_b64 s[38:39], s[26:27]
	s_cbranch_execz .LBB935_158
.LBB935_225:
	v_sub_u32_e32 v10, v50, v8
	v_mov_b32_e32 v11, 0
	v_lshl_add_u64 v[10:11], v[10:11], 1, v[18:19]
	global_store_short_d16_hi v[10:11], v2, off
	s_or_b64 exec, exec, s[38:39]
	s_and_saveexec_b64 s[38:39], s[24:25]
	s_cbranch_execz .LBB935_159
.LBB935_226:
	v_sub_u32_e32 v10, v48, v8
	v_mov_b32_e32 v11, 0
	v_lshl_add_u64 v[10:11], v[10:11], 1, v[18:19]
	global_store_short v[10:11], v3, off
	s_or_b64 exec, exec, s[38:39]
	s_and_saveexec_b64 s[38:39], s[22:23]
	s_cbranch_execz .LBB935_160
.LBB935_227:
	v_sub_u32_e32 v10, v46, v8
	v_mov_b32_e32 v11, 0
	v_lshl_add_u64 v[10:11], v[10:11], 1, v[18:19]
	global_store_short_d16_hi v[10:11], v3, off
	s_or_b64 exec, exec, s[38:39]
	s_and_saveexec_b64 s[38:39], s[20:21]
	s_cbranch_execz .LBB935_161
.LBB935_228:
	v_sub_u32_e32 v10, v44, v8
	v_mov_b32_e32 v11, 0
	v_lshl_add_u64 v[10:11], v[10:11], 1, v[18:19]
	global_store_short v[10:11], v4, off
	s_or_b64 exec, exec, s[38:39]
	s_and_saveexec_b64 s[38:39], s[18:19]
	s_cbranch_execz .LBB935_162
.LBB935_229:
	v_sub_u32_e32 v10, v42, v8
	v_mov_b32_e32 v11, 0
	v_lshl_add_u64 v[10:11], v[10:11], 1, v[18:19]
	global_store_short_d16_hi v[10:11], v4, off
	s_or_b64 exec, exec, s[38:39]
	s_and_saveexec_b64 s[38:39], s[16:17]
	s_cbranch_execz .LBB935_163
.LBB935_230:
	v_sub_u32_e32 v10, v40, v8
	v_mov_b32_e32 v11, 0
	v_lshl_add_u64 v[10:11], v[10:11], 1, v[18:19]
	global_store_short v[10:11], v5, off
	s_or_b64 exec, exec, s[38:39]
	s_and_saveexec_b64 s[38:39], s[14:15]
	s_cbranch_execz .LBB935_164
.LBB935_231:
	v_sub_u32_e32 v10, v38, v8
	v_mov_b32_e32 v11, 0
	v_lshl_add_u64 v[10:11], v[10:11], 1, v[18:19]
	global_store_short_d16_hi v[10:11], v5, off
	s_or_b64 exec, exec, s[38:39]
	s_and_saveexec_b64 s[38:39], s[12:13]
	s_cbranch_execz .LBB935_165
.LBB935_232:
	v_sub_u32_e32 v10, v36, v8
	v_mov_b32_e32 v11, 0
	v_lshl_add_u64 v[10:11], v[10:11], 1, v[18:19]
	global_store_short v[10:11], v12, off
	s_or_b64 exec, exec, s[38:39]
	s_and_saveexec_b64 s[38:39], s[10:11]
	s_cbranch_execz .LBB935_166
.LBB935_233:
	v_sub_u32_e32 v10, v34, v8
	v_mov_b32_e32 v11, 0
	v_lshl_add_u64 v[10:11], v[10:11], 1, v[18:19]
	global_store_short_d16_hi v[10:11], v12, off
	s_or_b64 exec, exec, s[38:39]
	s_and_saveexec_b64 s[38:39], s[8:9]
	s_cbranch_execz .LBB935_167
.LBB935_234:
	v_sub_u32_e32 v10, v32, v8
	v_mov_b32_e32 v11, 0
	v_lshl_add_u64 v[10:11], v[10:11], 1, v[18:19]
	global_store_short v[10:11], v13, off
	s_or_b64 exec, exec, s[38:39]
	s_and_saveexec_b64 s[38:39], s[6:7]
	s_cbranch_execz .LBB935_168
.LBB935_235:
	v_sub_u32_e32 v10, v30, v8
	v_mov_b32_e32 v11, 0
	v_lshl_add_u64 v[10:11], v[10:11], 1, v[18:19]
	global_store_short_d16_hi v[10:11], v13, off
	s_or_b64 exec, exec, s[38:39]
	s_and_saveexec_b64 s[38:39], s[4:5]
	s_cbranch_execnz .LBB935_169
	s_branch .LBB935_170
.LBB935_236:
	v_sub_u32_e32 v7, v54, v8
	v_lshlrev_b32_e32 v7, 1, v7
	ds_write_b16 v7, v1
	s_or_b64 exec, exec, s[38:39]
	s_and_saveexec_b64 s[30:31], s[28:29]
	s_cbranch_execz .LBB935_174
.LBB935_237:
	v_sub_u32_e32 v1, v52, v8
	v_lshlrev_b32_e32 v1, 1, v1
	ds_write_b16 v1, v2
	s_or_b64 exec, exec, s[30:31]
	s_and_saveexec_b64 s[28:29], s[26:27]
	s_cbranch_execz .LBB935_175
.LBB935_238:
	v_sub_u32_e32 v1, v50, v8
	v_lshlrev_b32_e32 v1, 1, v1
	ds_write_b16_d16_hi v1, v2
	s_or_b64 exec, exec, s[28:29]
	s_and_saveexec_b64 s[26:27], s[24:25]
	s_cbranch_execz .LBB935_176
.LBB935_239:
	v_sub_u32_e32 v1, v48, v8
	v_lshlrev_b32_e32 v1, 1, v1
	ds_write_b16 v1, v3
	s_or_b64 exec, exec, s[26:27]
	s_and_saveexec_b64 s[24:25], s[22:23]
	s_cbranch_execz .LBB935_177
.LBB935_240:
	v_sub_u32_e32 v1, v46, v8
	v_lshlrev_b32_e32 v1, 1, v1
	ds_write_b16_d16_hi v1, v3
	s_or_b64 exec, exec, s[24:25]
	s_and_saveexec_b64 s[22:23], s[20:21]
	s_cbranch_execz .LBB935_178
.LBB935_241:
	v_sub_u32_e32 v1, v44, v8
	v_lshlrev_b32_e32 v1, 1, v1
	ds_write_b16 v1, v4
	s_or_b64 exec, exec, s[22:23]
	s_and_saveexec_b64 s[20:21], s[18:19]
	s_cbranch_execz .LBB935_179
.LBB935_242:
	v_sub_u32_e32 v1, v42, v8
	v_lshlrev_b32_e32 v1, 1, v1
	ds_write_b16_d16_hi v1, v4
	s_or_b64 exec, exec, s[20:21]
	s_and_saveexec_b64 s[18:19], s[16:17]
	s_cbranch_execz .LBB935_180
.LBB935_243:
	v_sub_u32_e32 v1, v40, v8
	v_lshlrev_b32_e32 v1, 1, v1
	ds_write_b16 v1, v5
	s_or_b64 exec, exec, s[18:19]
	s_and_saveexec_b64 s[16:17], s[14:15]
	s_cbranch_execz .LBB935_181
.LBB935_244:
	v_sub_u32_e32 v1, v38, v8
	v_lshlrev_b32_e32 v1, 1, v1
	ds_write_b16_d16_hi v1, v5
	s_or_b64 exec, exec, s[16:17]
	s_and_saveexec_b64 s[14:15], s[12:13]
	s_cbranch_execz .LBB935_182
.LBB935_245:
	v_sub_u32_e32 v1, v36, v8
	v_lshlrev_b32_e32 v1, 1, v1
	ds_write_b16 v1, v12
	s_or_b64 exec, exec, s[14:15]
	s_and_saveexec_b64 s[12:13], s[10:11]
	s_cbranch_execz .LBB935_183
.LBB935_246:
	v_sub_u32_e32 v1, v34, v8
	v_lshlrev_b32_e32 v1, 1, v1
	ds_write_b16_d16_hi v1, v12
	s_or_b64 exec, exec, s[12:13]
	s_and_saveexec_b64 s[10:11], s[8:9]
	s_cbranch_execz .LBB935_184
.LBB935_247:
	v_sub_u32_e32 v1, v32, v8
	v_lshlrev_b32_e32 v1, 1, v1
	ds_write_b16 v1, v13
	s_or_b64 exec, exec, s[10:11]
	s_and_saveexec_b64 s[8:9], s[6:7]
	s_cbranch_execz .LBB935_185
.LBB935_248:
	v_sub_u32_e32 v1, v30, v8
	v_lshlrev_b32_e32 v1, 1, v1
	ds_write_b16_d16_hi v1, v13
	s_or_b64 exec, exec, s[8:9]
	s_and_saveexec_b64 s[6:7], s[4:5]
	s_cbranch_execnz .LBB935_186
	s_branch .LBB935_187
.LBB935_249:
	v_sub_u32_e32 v12, v54, v7
	v_mov_b32_e32 v13, 0
	v_lshl_add_u64 v[14:15], v[12:13], 3, v[4:5]
	v_mov_b32_e32 v12, v55
	global_store_dwordx2 v[14:15], v[12:13], off
	s_or_b64 exec, exec, s[36:37]
	s_and_saveexec_b64 s[36:37], s[26:27]
	s_cbranch_execz .LBB935_191
.LBB935_250:
	v_sub_u32_e32 v12, v52, v7
	v_mov_b32_e32 v13, 0
	v_lshl_add_u64 v[14:15], v[12:13], 3, v[4:5]
	v_mov_b32_e32 v12, v53
	global_store_dwordx2 v[14:15], v[12:13], off
	s_or_b64 exec, exec, s[36:37]
	s_and_saveexec_b64 s[36:37], s[24:25]
	s_cbranch_execz .LBB935_192
.LBB935_251:
	v_sub_u32_e32 v12, v50, v7
	v_mov_b32_e32 v13, 0
	v_lshl_add_u64 v[14:15], v[12:13], 3, v[4:5]
	v_mov_b32_e32 v12, v51
	global_store_dwordx2 v[14:15], v[12:13], off
	s_or_b64 exec, exec, s[36:37]
	s_and_saveexec_b64 s[36:37], s[22:23]
	s_cbranch_execz .LBB935_193
.LBB935_252:
	v_sub_u32_e32 v12, v48, v7
	v_mov_b32_e32 v13, 0
	v_lshl_add_u64 v[14:15], v[12:13], 3, v[4:5]
	v_mov_b32_e32 v12, v49
	global_store_dwordx2 v[14:15], v[12:13], off
	s_or_b64 exec, exec, s[36:37]
	s_and_saveexec_b64 s[36:37], s[20:21]
	s_cbranch_execz .LBB935_194
.LBB935_253:
	v_sub_u32_e32 v12, v46, v7
	v_mov_b32_e32 v13, 0
	v_lshl_add_u64 v[14:15], v[12:13], 3, v[4:5]
	v_mov_b32_e32 v12, v47
	global_store_dwordx2 v[14:15], v[12:13], off
	s_or_b64 exec, exec, s[36:37]
	s_and_saveexec_b64 s[36:37], s[18:19]
	s_cbranch_execz .LBB935_195
.LBB935_254:
	v_sub_u32_e32 v12, v44, v7
	v_mov_b32_e32 v13, 0
	v_lshl_add_u64 v[14:15], v[12:13], 3, v[4:5]
	v_mov_b32_e32 v12, v45
	global_store_dwordx2 v[14:15], v[12:13], off
	s_or_b64 exec, exec, s[36:37]
	s_and_saveexec_b64 s[36:37], s[16:17]
	s_cbranch_execz .LBB935_196
.LBB935_255:
	v_sub_u32_e32 v12, v42, v7
	v_mov_b32_e32 v13, 0
	v_lshl_add_u64 v[14:15], v[12:13], 3, v[4:5]
	v_mov_b32_e32 v12, v43
	global_store_dwordx2 v[14:15], v[12:13], off
	s_or_b64 exec, exec, s[36:37]
	s_and_saveexec_b64 s[36:37], s[14:15]
	s_cbranch_execz .LBB935_197
.LBB935_256:
	v_sub_u32_e32 v12, v40, v7
	v_mov_b32_e32 v13, 0
	v_lshl_add_u64 v[14:15], v[12:13], 3, v[4:5]
	v_mov_b32_e32 v12, v41
	global_store_dwordx2 v[14:15], v[12:13], off
	s_or_b64 exec, exec, s[36:37]
	s_and_saveexec_b64 s[36:37], s[12:13]
	s_cbranch_execz .LBB935_198
.LBB935_257:
	v_sub_u32_e32 v12, v38, v7
	v_mov_b32_e32 v13, 0
	v_lshl_add_u64 v[14:15], v[12:13], 3, v[4:5]
	v_mov_b32_e32 v12, v39
	global_store_dwordx2 v[14:15], v[12:13], off
	s_or_b64 exec, exec, s[36:37]
	s_and_saveexec_b64 s[36:37], s[10:11]
	s_cbranch_execz .LBB935_199
.LBB935_258:
	v_sub_u32_e32 v12, v36, v7
	v_mov_b32_e32 v13, 0
	v_lshl_add_u64 v[14:15], v[12:13], 3, v[4:5]
	v_mov_b32_e32 v12, v37
	global_store_dwordx2 v[14:15], v[12:13], off
	s_or_b64 exec, exec, s[36:37]
	s_and_saveexec_b64 s[36:37], s[8:9]
	s_cbranch_execz .LBB935_200
.LBB935_259:
	v_sub_u32_e32 v12, v34, v7
	v_mov_b32_e32 v13, 0
	v_lshl_add_u64 v[14:15], v[12:13], 3, v[4:5]
	v_mov_b32_e32 v12, v35
	global_store_dwordx2 v[14:15], v[12:13], off
	s_or_b64 exec, exec, s[36:37]
	s_and_saveexec_b64 s[36:37], s[6:7]
	s_cbranch_execz .LBB935_201
.LBB935_260:
	v_sub_u32_e32 v12, v32, v7
	v_mov_b32_e32 v13, 0
	v_lshl_add_u64 v[14:15], v[12:13], 3, v[4:5]
	v_mov_b32_e32 v12, v33
	global_store_dwordx2 v[14:15], v[12:13], off
	s_or_b64 exec, exec, s[36:37]
	s_and_saveexec_b64 s[36:37], s[4:5]
	s_cbranch_execz .LBB935_202
.LBB935_261:
	v_sub_u32_e32 v12, v30, v7
	v_mov_b32_e32 v13, 0
	v_lshl_add_u64 v[14:15], v[12:13], 3, v[4:5]
	v_mov_b32_e32 v12, v31
	global_store_dwordx2 v[14:15], v[12:13], off
	s_or_b64 exec, exec, s[36:37]
	s_and_saveexec_b64 s[36:37], s[2:3]
	s_cbranch_execnz .LBB935_203
	s_branch .LBB935_204
.LBB935_262:
	v_sub_u32_e32 v10, v54, v7
	v_lshlrev_b32_e32 v10, 2, v10
	ds_write_b32 v10, v55
	s_or_b64 exec, exec, s[36:37]
	s_and_saveexec_b64 s[28:29], s[26:27]
	s_cbranch_execz .LBB935_208
.LBB935_263:
	v_sub_u32_e32 v10, v52, v7
	v_lshlrev_b32_e32 v10, 2, v10
	ds_write_b32 v10, v53
	s_or_b64 exec, exec, s[28:29]
	s_and_saveexec_b64 s[26:27], s[24:25]
	s_cbranch_execz .LBB935_209
.LBB935_264:
	v_sub_u32_e32 v10, v50, v7
	v_lshlrev_b32_e32 v10, 2, v10
	ds_write_b32 v10, v51
	s_or_b64 exec, exec, s[26:27]
	s_and_saveexec_b64 s[24:25], s[22:23]
	s_cbranch_execz .LBB935_210
.LBB935_265:
	v_sub_u32_e32 v10, v48, v7
	v_lshlrev_b32_e32 v10, 2, v10
	ds_write_b32 v10, v49
	s_or_b64 exec, exec, s[24:25]
	s_and_saveexec_b64 s[22:23], s[20:21]
	s_cbranch_execz .LBB935_211
.LBB935_266:
	v_sub_u32_e32 v10, v46, v7
	v_lshlrev_b32_e32 v10, 2, v10
	ds_write_b32 v10, v47
	s_or_b64 exec, exec, s[22:23]
	s_and_saveexec_b64 s[20:21], s[18:19]
	s_cbranch_execz .LBB935_212
.LBB935_267:
	v_sub_u32_e32 v10, v44, v7
	v_lshlrev_b32_e32 v10, 2, v10
	ds_write_b32 v10, v45
	s_or_b64 exec, exec, s[20:21]
	s_and_saveexec_b64 s[18:19], s[16:17]
	s_cbranch_execz .LBB935_213
.LBB935_268:
	v_sub_u32_e32 v10, v42, v7
	v_lshlrev_b32_e32 v10, 2, v10
	ds_write_b32 v10, v43
	s_or_b64 exec, exec, s[18:19]
	s_and_saveexec_b64 s[16:17], s[14:15]
	s_cbranch_execz .LBB935_214
.LBB935_269:
	v_sub_u32_e32 v10, v40, v7
	v_lshlrev_b32_e32 v10, 2, v10
	ds_write_b32 v10, v41
	s_or_b64 exec, exec, s[16:17]
	s_and_saveexec_b64 s[14:15], s[12:13]
	s_cbranch_execz .LBB935_215
.LBB935_270:
	v_sub_u32_e32 v10, v38, v7
	v_lshlrev_b32_e32 v10, 2, v10
	ds_write_b32 v10, v39
	s_or_b64 exec, exec, s[14:15]
	s_and_saveexec_b64 s[12:13], s[10:11]
	s_cbranch_execz .LBB935_216
.LBB935_271:
	v_sub_u32_e32 v10, v36, v7
	v_lshlrev_b32_e32 v10, 2, v10
	ds_write_b32 v10, v37
	s_or_b64 exec, exec, s[12:13]
	s_and_saveexec_b64 s[10:11], s[8:9]
	s_cbranch_execz .LBB935_217
.LBB935_272:
	v_sub_u32_e32 v10, v34, v7
	v_lshlrev_b32_e32 v10, 2, v10
	ds_write_b32 v10, v35
	s_or_b64 exec, exec, s[10:11]
	s_and_saveexec_b64 s[8:9], s[6:7]
	s_cbranch_execz .LBB935_218
.LBB935_273:
	v_sub_u32_e32 v10, v32, v7
	v_lshlrev_b32_e32 v10, 2, v10
	ds_write_b32 v10, v33
	s_or_b64 exec, exec, s[8:9]
	s_and_saveexec_b64 s[6:7], s[4:5]
	s_cbranch_execz .LBB935_219
.LBB935_274:
	v_sub_u32_e32 v10, v30, v7
	v_lshlrev_b32_e32 v10, 2, v10
	ds_write_b32 v10, v31
	s_or_b64 exec, exec, s[6:7]
	s_and_saveexec_b64 s[4:5], s[2:3]
	s_cbranch_execnz .LBB935_220
	s_branch .LBB935_221
	.section	.rodata,"a",@progbits
	.p2align	6, 0x0
	.amdhsa_kernel _ZN7rocprim17ROCPRIM_400000_NS6detail17trampoline_kernelINS0_14default_configENS1_33run_length_encode_config_selectorIN3c104HalfEjNS0_4plusIjEEEEZZNS1_33reduce_by_key_impl_wrapped_configILNS1_25lookback_scan_determinismE0ES3_S9_PKS6_NS0_17constant_iteratorIjlEEPS6_PlSH_S8_NS0_8equal_toIS6_EEEE10hipError_tPvRmT2_T3_mT4_T5_T6_T7_T8_P12ihipStream_tbENKUlT_T0_E_clISt17integral_constantIbLb1EES11_EEDaSW_SX_EUlSW_E_NS1_11comp_targetILNS1_3genE5ELNS1_11target_archE942ELNS1_3gpuE9ELNS1_3repE0EEENS1_30default_config_static_selectorELNS0_4arch9wavefront6targetE1EEEvT1_
		.amdhsa_group_segment_fixed_size 15360
		.amdhsa_private_segment_fixed_size 0
		.amdhsa_kernarg_size 128
		.amdhsa_user_sgpr_count 2
		.amdhsa_user_sgpr_dispatch_ptr 0
		.amdhsa_user_sgpr_queue_ptr 0
		.amdhsa_user_sgpr_kernarg_segment_ptr 1
		.amdhsa_user_sgpr_dispatch_id 0
		.amdhsa_user_sgpr_kernarg_preload_length 0
		.amdhsa_user_sgpr_kernarg_preload_offset 0
		.amdhsa_user_sgpr_private_segment_size 0
		.amdhsa_uses_dynamic_stack 0
		.amdhsa_enable_private_segment 0
		.amdhsa_system_sgpr_workgroup_id_x 1
		.amdhsa_system_sgpr_workgroup_id_y 0
		.amdhsa_system_sgpr_workgroup_id_z 0
		.amdhsa_system_sgpr_workgroup_info 0
		.amdhsa_system_vgpr_workitem_id 0
		.amdhsa_next_free_vgpr 108
		.amdhsa_next_free_sgpr 66
		.amdhsa_accum_offset 108
		.amdhsa_reserve_vcc 1
		.amdhsa_float_round_mode_32 0
		.amdhsa_float_round_mode_16_64 0
		.amdhsa_float_denorm_mode_32 3
		.amdhsa_float_denorm_mode_16_64 3
		.amdhsa_dx10_clamp 1
		.amdhsa_ieee_mode 1
		.amdhsa_fp16_overflow 0
		.amdhsa_tg_split 0
		.amdhsa_exception_fp_ieee_invalid_op 0
		.amdhsa_exception_fp_denorm_src 0
		.amdhsa_exception_fp_ieee_div_zero 0
		.amdhsa_exception_fp_ieee_overflow 0
		.amdhsa_exception_fp_ieee_underflow 0
		.amdhsa_exception_fp_ieee_inexact 0
		.amdhsa_exception_int_div_zero 0
	.end_amdhsa_kernel
	.section	.text._ZN7rocprim17ROCPRIM_400000_NS6detail17trampoline_kernelINS0_14default_configENS1_33run_length_encode_config_selectorIN3c104HalfEjNS0_4plusIjEEEEZZNS1_33reduce_by_key_impl_wrapped_configILNS1_25lookback_scan_determinismE0ES3_S9_PKS6_NS0_17constant_iteratorIjlEEPS6_PlSH_S8_NS0_8equal_toIS6_EEEE10hipError_tPvRmT2_T3_mT4_T5_T6_T7_T8_P12ihipStream_tbENKUlT_T0_E_clISt17integral_constantIbLb1EES11_EEDaSW_SX_EUlSW_E_NS1_11comp_targetILNS1_3genE5ELNS1_11target_archE942ELNS1_3gpuE9ELNS1_3repE0EEENS1_30default_config_static_selectorELNS0_4arch9wavefront6targetE1EEEvT1_,"axG",@progbits,_ZN7rocprim17ROCPRIM_400000_NS6detail17trampoline_kernelINS0_14default_configENS1_33run_length_encode_config_selectorIN3c104HalfEjNS0_4plusIjEEEEZZNS1_33reduce_by_key_impl_wrapped_configILNS1_25lookback_scan_determinismE0ES3_S9_PKS6_NS0_17constant_iteratorIjlEEPS6_PlSH_S8_NS0_8equal_toIS6_EEEE10hipError_tPvRmT2_T3_mT4_T5_T6_T7_T8_P12ihipStream_tbENKUlT_T0_E_clISt17integral_constantIbLb1EES11_EEDaSW_SX_EUlSW_E_NS1_11comp_targetILNS1_3genE5ELNS1_11target_archE942ELNS1_3gpuE9ELNS1_3repE0EEENS1_30default_config_static_selectorELNS0_4arch9wavefront6targetE1EEEvT1_,comdat
.Lfunc_end935:
	.size	_ZN7rocprim17ROCPRIM_400000_NS6detail17trampoline_kernelINS0_14default_configENS1_33run_length_encode_config_selectorIN3c104HalfEjNS0_4plusIjEEEEZZNS1_33reduce_by_key_impl_wrapped_configILNS1_25lookback_scan_determinismE0ES3_S9_PKS6_NS0_17constant_iteratorIjlEEPS6_PlSH_S8_NS0_8equal_toIS6_EEEE10hipError_tPvRmT2_T3_mT4_T5_T6_T7_T8_P12ihipStream_tbENKUlT_T0_E_clISt17integral_constantIbLb1EES11_EEDaSW_SX_EUlSW_E_NS1_11comp_targetILNS1_3genE5ELNS1_11target_archE942ELNS1_3gpuE9ELNS1_3repE0EEENS1_30default_config_static_selectorELNS0_4arch9wavefront6targetE1EEEvT1_, .Lfunc_end935-_ZN7rocprim17ROCPRIM_400000_NS6detail17trampoline_kernelINS0_14default_configENS1_33run_length_encode_config_selectorIN3c104HalfEjNS0_4plusIjEEEEZZNS1_33reduce_by_key_impl_wrapped_configILNS1_25lookback_scan_determinismE0ES3_S9_PKS6_NS0_17constant_iteratorIjlEEPS6_PlSH_S8_NS0_8equal_toIS6_EEEE10hipError_tPvRmT2_T3_mT4_T5_T6_T7_T8_P12ihipStream_tbENKUlT_T0_E_clISt17integral_constantIbLb1EES11_EEDaSW_SX_EUlSW_E_NS1_11comp_targetILNS1_3genE5ELNS1_11target_archE942ELNS1_3gpuE9ELNS1_3repE0EEENS1_30default_config_static_selectorELNS0_4arch9wavefront6targetE1EEEvT1_
                                        ; -- End function
	.section	.AMDGPU.csdata,"",@progbits
; Kernel info:
; codeLenInByte = 15376
; NumSgprs: 72
; NumVgprs: 108
; NumAgprs: 0
; TotalNumVgprs: 108
; ScratchSize: 0
; MemoryBound: 0
; FloatMode: 240
; IeeeMode: 1
; LDSByteSize: 15360 bytes/workgroup (compile time only)
; SGPRBlocks: 8
; VGPRBlocks: 13
; NumSGPRsForWavesPerEU: 72
; NumVGPRsForWavesPerEU: 108
; AccumOffset: 108
; Occupancy: 4
; WaveLimiterHint : 1
; COMPUTE_PGM_RSRC2:SCRATCH_EN: 0
; COMPUTE_PGM_RSRC2:USER_SGPR: 2
; COMPUTE_PGM_RSRC2:TRAP_HANDLER: 0
; COMPUTE_PGM_RSRC2:TGID_X_EN: 1
; COMPUTE_PGM_RSRC2:TGID_Y_EN: 0
; COMPUTE_PGM_RSRC2:TGID_Z_EN: 0
; COMPUTE_PGM_RSRC2:TIDIG_COMP_CNT: 0
; COMPUTE_PGM_RSRC3_GFX90A:ACCUM_OFFSET: 26
; COMPUTE_PGM_RSRC3_GFX90A:TG_SPLIT: 0
	.section	.text._ZN7rocprim17ROCPRIM_400000_NS6detail17trampoline_kernelINS0_14default_configENS1_33run_length_encode_config_selectorIN3c104HalfEjNS0_4plusIjEEEEZZNS1_33reduce_by_key_impl_wrapped_configILNS1_25lookback_scan_determinismE0ES3_S9_PKS6_NS0_17constant_iteratorIjlEEPS6_PlSH_S8_NS0_8equal_toIS6_EEEE10hipError_tPvRmT2_T3_mT4_T5_T6_T7_T8_P12ihipStream_tbENKUlT_T0_E_clISt17integral_constantIbLb1EES11_EEDaSW_SX_EUlSW_E_NS1_11comp_targetILNS1_3genE4ELNS1_11target_archE910ELNS1_3gpuE8ELNS1_3repE0EEENS1_30default_config_static_selectorELNS0_4arch9wavefront6targetE1EEEvT1_,"axG",@progbits,_ZN7rocprim17ROCPRIM_400000_NS6detail17trampoline_kernelINS0_14default_configENS1_33run_length_encode_config_selectorIN3c104HalfEjNS0_4plusIjEEEEZZNS1_33reduce_by_key_impl_wrapped_configILNS1_25lookback_scan_determinismE0ES3_S9_PKS6_NS0_17constant_iteratorIjlEEPS6_PlSH_S8_NS0_8equal_toIS6_EEEE10hipError_tPvRmT2_T3_mT4_T5_T6_T7_T8_P12ihipStream_tbENKUlT_T0_E_clISt17integral_constantIbLb1EES11_EEDaSW_SX_EUlSW_E_NS1_11comp_targetILNS1_3genE4ELNS1_11target_archE910ELNS1_3gpuE8ELNS1_3repE0EEENS1_30default_config_static_selectorELNS0_4arch9wavefront6targetE1EEEvT1_,comdat
	.protected	_ZN7rocprim17ROCPRIM_400000_NS6detail17trampoline_kernelINS0_14default_configENS1_33run_length_encode_config_selectorIN3c104HalfEjNS0_4plusIjEEEEZZNS1_33reduce_by_key_impl_wrapped_configILNS1_25lookback_scan_determinismE0ES3_S9_PKS6_NS0_17constant_iteratorIjlEEPS6_PlSH_S8_NS0_8equal_toIS6_EEEE10hipError_tPvRmT2_T3_mT4_T5_T6_T7_T8_P12ihipStream_tbENKUlT_T0_E_clISt17integral_constantIbLb1EES11_EEDaSW_SX_EUlSW_E_NS1_11comp_targetILNS1_3genE4ELNS1_11target_archE910ELNS1_3gpuE8ELNS1_3repE0EEENS1_30default_config_static_selectorELNS0_4arch9wavefront6targetE1EEEvT1_ ; -- Begin function _ZN7rocprim17ROCPRIM_400000_NS6detail17trampoline_kernelINS0_14default_configENS1_33run_length_encode_config_selectorIN3c104HalfEjNS0_4plusIjEEEEZZNS1_33reduce_by_key_impl_wrapped_configILNS1_25lookback_scan_determinismE0ES3_S9_PKS6_NS0_17constant_iteratorIjlEEPS6_PlSH_S8_NS0_8equal_toIS6_EEEE10hipError_tPvRmT2_T3_mT4_T5_T6_T7_T8_P12ihipStream_tbENKUlT_T0_E_clISt17integral_constantIbLb1EES11_EEDaSW_SX_EUlSW_E_NS1_11comp_targetILNS1_3genE4ELNS1_11target_archE910ELNS1_3gpuE8ELNS1_3repE0EEENS1_30default_config_static_selectorELNS0_4arch9wavefront6targetE1EEEvT1_
	.globl	_ZN7rocprim17ROCPRIM_400000_NS6detail17trampoline_kernelINS0_14default_configENS1_33run_length_encode_config_selectorIN3c104HalfEjNS0_4plusIjEEEEZZNS1_33reduce_by_key_impl_wrapped_configILNS1_25lookback_scan_determinismE0ES3_S9_PKS6_NS0_17constant_iteratorIjlEEPS6_PlSH_S8_NS0_8equal_toIS6_EEEE10hipError_tPvRmT2_T3_mT4_T5_T6_T7_T8_P12ihipStream_tbENKUlT_T0_E_clISt17integral_constantIbLb1EES11_EEDaSW_SX_EUlSW_E_NS1_11comp_targetILNS1_3genE4ELNS1_11target_archE910ELNS1_3gpuE8ELNS1_3repE0EEENS1_30default_config_static_selectorELNS0_4arch9wavefront6targetE1EEEvT1_
	.p2align	8
	.type	_ZN7rocprim17ROCPRIM_400000_NS6detail17trampoline_kernelINS0_14default_configENS1_33run_length_encode_config_selectorIN3c104HalfEjNS0_4plusIjEEEEZZNS1_33reduce_by_key_impl_wrapped_configILNS1_25lookback_scan_determinismE0ES3_S9_PKS6_NS0_17constant_iteratorIjlEEPS6_PlSH_S8_NS0_8equal_toIS6_EEEE10hipError_tPvRmT2_T3_mT4_T5_T6_T7_T8_P12ihipStream_tbENKUlT_T0_E_clISt17integral_constantIbLb1EES11_EEDaSW_SX_EUlSW_E_NS1_11comp_targetILNS1_3genE4ELNS1_11target_archE910ELNS1_3gpuE8ELNS1_3repE0EEENS1_30default_config_static_selectorELNS0_4arch9wavefront6targetE1EEEvT1_,@function
_ZN7rocprim17ROCPRIM_400000_NS6detail17trampoline_kernelINS0_14default_configENS1_33run_length_encode_config_selectorIN3c104HalfEjNS0_4plusIjEEEEZZNS1_33reduce_by_key_impl_wrapped_configILNS1_25lookback_scan_determinismE0ES3_S9_PKS6_NS0_17constant_iteratorIjlEEPS6_PlSH_S8_NS0_8equal_toIS6_EEEE10hipError_tPvRmT2_T3_mT4_T5_T6_T7_T8_P12ihipStream_tbENKUlT_T0_E_clISt17integral_constantIbLb1EES11_EEDaSW_SX_EUlSW_E_NS1_11comp_targetILNS1_3genE4ELNS1_11target_archE910ELNS1_3gpuE8ELNS1_3repE0EEENS1_30default_config_static_selectorELNS0_4arch9wavefront6targetE1EEEvT1_: ; @_ZN7rocprim17ROCPRIM_400000_NS6detail17trampoline_kernelINS0_14default_configENS1_33run_length_encode_config_selectorIN3c104HalfEjNS0_4plusIjEEEEZZNS1_33reduce_by_key_impl_wrapped_configILNS1_25lookback_scan_determinismE0ES3_S9_PKS6_NS0_17constant_iteratorIjlEEPS6_PlSH_S8_NS0_8equal_toIS6_EEEE10hipError_tPvRmT2_T3_mT4_T5_T6_T7_T8_P12ihipStream_tbENKUlT_T0_E_clISt17integral_constantIbLb1EES11_EEDaSW_SX_EUlSW_E_NS1_11comp_targetILNS1_3genE4ELNS1_11target_archE910ELNS1_3gpuE8ELNS1_3repE0EEENS1_30default_config_static_selectorELNS0_4arch9wavefront6targetE1EEEvT1_
; %bb.0:
	.section	.rodata,"a",@progbits
	.p2align	6, 0x0
	.amdhsa_kernel _ZN7rocprim17ROCPRIM_400000_NS6detail17trampoline_kernelINS0_14default_configENS1_33run_length_encode_config_selectorIN3c104HalfEjNS0_4plusIjEEEEZZNS1_33reduce_by_key_impl_wrapped_configILNS1_25lookback_scan_determinismE0ES3_S9_PKS6_NS0_17constant_iteratorIjlEEPS6_PlSH_S8_NS0_8equal_toIS6_EEEE10hipError_tPvRmT2_T3_mT4_T5_T6_T7_T8_P12ihipStream_tbENKUlT_T0_E_clISt17integral_constantIbLb1EES11_EEDaSW_SX_EUlSW_E_NS1_11comp_targetILNS1_3genE4ELNS1_11target_archE910ELNS1_3gpuE8ELNS1_3repE0EEENS1_30default_config_static_selectorELNS0_4arch9wavefront6targetE1EEEvT1_
		.amdhsa_group_segment_fixed_size 0
		.amdhsa_private_segment_fixed_size 0
		.amdhsa_kernarg_size 128
		.amdhsa_user_sgpr_count 2
		.amdhsa_user_sgpr_dispatch_ptr 0
		.amdhsa_user_sgpr_queue_ptr 0
		.amdhsa_user_sgpr_kernarg_segment_ptr 1
		.amdhsa_user_sgpr_dispatch_id 0
		.amdhsa_user_sgpr_kernarg_preload_length 0
		.amdhsa_user_sgpr_kernarg_preload_offset 0
		.amdhsa_user_sgpr_private_segment_size 0
		.amdhsa_uses_dynamic_stack 0
		.amdhsa_enable_private_segment 0
		.amdhsa_system_sgpr_workgroup_id_x 1
		.amdhsa_system_sgpr_workgroup_id_y 0
		.amdhsa_system_sgpr_workgroup_id_z 0
		.amdhsa_system_sgpr_workgroup_info 0
		.amdhsa_system_vgpr_workitem_id 0
		.amdhsa_next_free_vgpr 1
		.amdhsa_next_free_sgpr 0
		.amdhsa_accum_offset 4
		.amdhsa_reserve_vcc 0
		.amdhsa_float_round_mode_32 0
		.amdhsa_float_round_mode_16_64 0
		.amdhsa_float_denorm_mode_32 3
		.amdhsa_float_denorm_mode_16_64 3
		.amdhsa_dx10_clamp 1
		.amdhsa_ieee_mode 1
		.amdhsa_fp16_overflow 0
		.amdhsa_tg_split 0
		.amdhsa_exception_fp_ieee_invalid_op 0
		.amdhsa_exception_fp_denorm_src 0
		.amdhsa_exception_fp_ieee_div_zero 0
		.amdhsa_exception_fp_ieee_overflow 0
		.amdhsa_exception_fp_ieee_underflow 0
		.amdhsa_exception_fp_ieee_inexact 0
		.amdhsa_exception_int_div_zero 0
	.end_amdhsa_kernel
	.section	.text._ZN7rocprim17ROCPRIM_400000_NS6detail17trampoline_kernelINS0_14default_configENS1_33run_length_encode_config_selectorIN3c104HalfEjNS0_4plusIjEEEEZZNS1_33reduce_by_key_impl_wrapped_configILNS1_25lookback_scan_determinismE0ES3_S9_PKS6_NS0_17constant_iteratorIjlEEPS6_PlSH_S8_NS0_8equal_toIS6_EEEE10hipError_tPvRmT2_T3_mT4_T5_T6_T7_T8_P12ihipStream_tbENKUlT_T0_E_clISt17integral_constantIbLb1EES11_EEDaSW_SX_EUlSW_E_NS1_11comp_targetILNS1_3genE4ELNS1_11target_archE910ELNS1_3gpuE8ELNS1_3repE0EEENS1_30default_config_static_selectorELNS0_4arch9wavefront6targetE1EEEvT1_,"axG",@progbits,_ZN7rocprim17ROCPRIM_400000_NS6detail17trampoline_kernelINS0_14default_configENS1_33run_length_encode_config_selectorIN3c104HalfEjNS0_4plusIjEEEEZZNS1_33reduce_by_key_impl_wrapped_configILNS1_25lookback_scan_determinismE0ES3_S9_PKS6_NS0_17constant_iteratorIjlEEPS6_PlSH_S8_NS0_8equal_toIS6_EEEE10hipError_tPvRmT2_T3_mT4_T5_T6_T7_T8_P12ihipStream_tbENKUlT_T0_E_clISt17integral_constantIbLb1EES11_EEDaSW_SX_EUlSW_E_NS1_11comp_targetILNS1_3genE4ELNS1_11target_archE910ELNS1_3gpuE8ELNS1_3repE0EEENS1_30default_config_static_selectorELNS0_4arch9wavefront6targetE1EEEvT1_,comdat
.Lfunc_end936:
	.size	_ZN7rocprim17ROCPRIM_400000_NS6detail17trampoline_kernelINS0_14default_configENS1_33run_length_encode_config_selectorIN3c104HalfEjNS0_4plusIjEEEEZZNS1_33reduce_by_key_impl_wrapped_configILNS1_25lookback_scan_determinismE0ES3_S9_PKS6_NS0_17constant_iteratorIjlEEPS6_PlSH_S8_NS0_8equal_toIS6_EEEE10hipError_tPvRmT2_T3_mT4_T5_T6_T7_T8_P12ihipStream_tbENKUlT_T0_E_clISt17integral_constantIbLb1EES11_EEDaSW_SX_EUlSW_E_NS1_11comp_targetILNS1_3genE4ELNS1_11target_archE910ELNS1_3gpuE8ELNS1_3repE0EEENS1_30default_config_static_selectorELNS0_4arch9wavefront6targetE1EEEvT1_, .Lfunc_end936-_ZN7rocprim17ROCPRIM_400000_NS6detail17trampoline_kernelINS0_14default_configENS1_33run_length_encode_config_selectorIN3c104HalfEjNS0_4plusIjEEEEZZNS1_33reduce_by_key_impl_wrapped_configILNS1_25lookback_scan_determinismE0ES3_S9_PKS6_NS0_17constant_iteratorIjlEEPS6_PlSH_S8_NS0_8equal_toIS6_EEEE10hipError_tPvRmT2_T3_mT4_T5_T6_T7_T8_P12ihipStream_tbENKUlT_T0_E_clISt17integral_constantIbLb1EES11_EEDaSW_SX_EUlSW_E_NS1_11comp_targetILNS1_3genE4ELNS1_11target_archE910ELNS1_3gpuE8ELNS1_3repE0EEENS1_30default_config_static_selectorELNS0_4arch9wavefront6targetE1EEEvT1_
                                        ; -- End function
	.section	.AMDGPU.csdata,"",@progbits
; Kernel info:
; codeLenInByte = 0
; NumSgprs: 6
; NumVgprs: 0
; NumAgprs: 0
; TotalNumVgprs: 0
; ScratchSize: 0
; MemoryBound: 0
; FloatMode: 240
; IeeeMode: 1
; LDSByteSize: 0 bytes/workgroup (compile time only)
; SGPRBlocks: 0
; VGPRBlocks: 0
; NumSGPRsForWavesPerEU: 6
; NumVGPRsForWavesPerEU: 1
; AccumOffset: 4
; Occupancy: 8
; WaveLimiterHint : 0
; COMPUTE_PGM_RSRC2:SCRATCH_EN: 0
; COMPUTE_PGM_RSRC2:USER_SGPR: 2
; COMPUTE_PGM_RSRC2:TRAP_HANDLER: 0
; COMPUTE_PGM_RSRC2:TGID_X_EN: 1
; COMPUTE_PGM_RSRC2:TGID_Y_EN: 0
; COMPUTE_PGM_RSRC2:TGID_Z_EN: 0
; COMPUTE_PGM_RSRC2:TIDIG_COMP_CNT: 0
; COMPUTE_PGM_RSRC3_GFX90A:ACCUM_OFFSET: 0
; COMPUTE_PGM_RSRC3_GFX90A:TG_SPLIT: 0
	.section	.text._ZN7rocprim17ROCPRIM_400000_NS6detail17trampoline_kernelINS0_14default_configENS1_33run_length_encode_config_selectorIN3c104HalfEjNS0_4plusIjEEEEZZNS1_33reduce_by_key_impl_wrapped_configILNS1_25lookback_scan_determinismE0ES3_S9_PKS6_NS0_17constant_iteratorIjlEEPS6_PlSH_S8_NS0_8equal_toIS6_EEEE10hipError_tPvRmT2_T3_mT4_T5_T6_T7_T8_P12ihipStream_tbENKUlT_T0_E_clISt17integral_constantIbLb1EES11_EEDaSW_SX_EUlSW_E_NS1_11comp_targetILNS1_3genE3ELNS1_11target_archE908ELNS1_3gpuE7ELNS1_3repE0EEENS1_30default_config_static_selectorELNS0_4arch9wavefront6targetE1EEEvT1_,"axG",@progbits,_ZN7rocprim17ROCPRIM_400000_NS6detail17trampoline_kernelINS0_14default_configENS1_33run_length_encode_config_selectorIN3c104HalfEjNS0_4plusIjEEEEZZNS1_33reduce_by_key_impl_wrapped_configILNS1_25lookback_scan_determinismE0ES3_S9_PKS6_NS0_17constant_iteratorIjlEEPS6_PlSH_S8_NS0_8equal_toIS6_EEEE10hipError_tPvRmT2_T3_mT4_T5_T6_T7_T8_P12ihipStream_tbENKUlT_T0_E_clISt17integral_constantIbLb1EES11_EEDaSW_SX_EUlSW_E_NS1_11comp_targetILNS1_3genE3ELNS1_11target_archE908ELNS1_3gpuE7ELNS1_3repE0EEENS1_30default_config_static_selectorELNS0_4arch9wavefront6targetE1EEEvT1_,comdat
	.protected	_ZN7rocprim17ROCPRIM_400000_NS6detail17trampoline_kernelINS0_14default_configENS1_33run_length_encode_config_selectorIN3c104HalfEjNS0_4plusIjEEEEZZNS1_33reduce_by_key_impl_wrapped_configILNS1_25lookback_scan_determinismE0ES3_S9_PKS6_NS0_17constant_iteratorIjlEEPS6_PlSH_S8_NS0_8equal_toIS6_EEEE10hipError_tPvRmT2_T3_mT4_T5_T6_T7_T8_P12ihipStream_tbENKUlT_T0_E_clISt17integral_constantIbLb1EES11_EEDaSW_SX_EUlSW_E_NS1_11comp_targetILNS1_3genE3ELNS1_11target_archE908ELNS1_3gpuE7ELNS1_3repE0EEENS1_30default_config_static_selectorELNS0_4arch9wavefront6targetE1EEEvT1_ ; -- Begin function _ZN7rocprim17ROCPRIM_400000_NS6detail17trampoline_kernelINS0_14default_configENS1_33run_length_encode_config_selectorIN3c104HalfEjNS0_4plusIjEEEEZZNS1_33reduce_by_key_impl_wrapped_configILNS1_25lookback_scan_determinismE0ES3_S9_PKS6_NS0_17constant_iteratorIjlEEPS6_PlSH_S8_NS0_8equal_toIS6_EEEE10hipError_tPvRmT2_T3_mT4_T5_T6_T7_T8_P12ihipStream_tbENKUlT_T0_E_clISt17integral_constantIbLb1EES11_EEDaSW_SX_EUlSW_E_NS1_11comp_targetILNS1_3genE3ELNS1_11target_archE908ELNS1_3gpuE7ELNS1_3repE0EEENS1_30default_config_static_selectorELNS0_4arch9wavefront6targetE1EEEvT1_
	.globl	_ZN7rocprim17ROCPRIM_400000_NS6detail17trampoline_kernelINS0_14default_configENS1_33run_length_encode_config_selectorIN3c104HalfEjNS0_4plusIjEEEEZZNS1_33reduce_by_key_impl_wrapped_configILNS1_25lookback_scan_determinismE0ES3_S9_PKS6_NS0_17constant_iteratorIjlEEPS6_PlSH_S8_NS0_8equal_toIS6_EEEE10hipError_tPvRmT2_T3_mT4_T5_T6_T7_T8_P12ihipStream_tbENKUlT_T0_E_clISt17integral_constantIbLb1EES11_EEDaSW_SX_EUlSW_E_NS1_11comp_targetILNS1_3genE3ELNS1_11target_archE908ELNS1_3gpuE7ELNS1_3repE0EEENS1_30default_config_static_selectorELNS0_4arch9wavefront6targetE1EEEvT1_
	.p2align	8
	.type	_ZN7rocprim17ROCPRIM_400000_NS6detail17trampoline_kernelINS0_14default_configENS1_33run_length_encode_config_selectorIN3c104HalfEjNS0_4plusIjEEEEZZNS1_33reduce_by_key_impl_wrapped_configILNS1_25lookback_scan_determinismE0ES3_S9_PKS6_NS0_17constant_iteratorIjlEEPS6_PlSH_S8_NS0_8equal_toIS6_EEEE10hipError_tPvRmT2_T3_mT4_T5_T6_T7_T8_P12ihipStream_tbENKUlT_T0_E_clISt17integral_constantIbLb1EES11_EEDaSW_SX_EUlSW_E_NS1_11comp_targetILNS1_3genE3ELNS1_11target_archE908ELNS1_3gpuE7ELNS1_3repE0EEENS1_30default_config_static_selectorELNS0_4arch9wavefront6targetE1EEEvT1_,@function
_ZN7rocprim17ROCPRIM_400000_NS6detail17trampoline_kernelINS0_14default_configENS1_33run_length_encode_config_selectorIN3c104HalfEjNS0_4plusIjEEEEZZNS1_33reduce_by_key_impl_wrapped_configILNS1_25lookback_scan_determinismE0ES3_S9_PKS6_NS0_17constant_iteratorIjlEEPS6_PlSH_S8_NS0_8equal_toIS6_EEEE10hipError_tPvRmT2_T3_mT4_T5_T6_T7_T8_P12ihipStream_tbENKUlT_T0_E_clISt17integral_constantIbLb1EES11_EEDaSW_SX_EUlSW_E_NS1_11comp_targetILNS1_3genE3ELNS1_11target_archE908ELNS1_3gpuE7ELNS1_3repE0EEENS1_30default_config_static_selectorELNS0_4arch9wavefront6targetE1EEEvT1_: ; @_ZN7rocprim17ROCPRIM_400000_NS6detail17trampoline_kernelINS0_14default_configENS1_33run_length_encode_config_selectorIN3c104HalfEjNS0_4plusIjEEEEZZNS1_33reduce_by_key_impl_wrapped_configILNS1_25lookback_scan_determinismE0ES3_S9_PKS6_NS0_17constant_iteratorIjlEEPS6_PlSH_S8_NS0_8equal_toIS6_EEEE10hipError_tPvRmT2_T3_mT4_T5_T6_T7_T8_P12ihipStream_tbENKUlT_T0_E_clISt17integral_constantIbLb1EES11_EEDaSW_SX_EUlSW_E_NS1_11comp_targetILNS1_3genE3ELNS1_11target_archE908ELNS1_3gpuE7ELNS1_3repE0EEENS1_30default_config_static_selectorELNS0_4arch9wavefront6targetE1EEEvT1_
; %bb.0:
	.section	.rodata,"a",@progbits
	.p2align	6, 0x0
	.amdhsa_kernel _ZN7rocprim17ROCPRIM_400000_NS6detail17trampoline_kernelINS0_14default_configENS1_33run_length_encode_config_selectorIN3c104HalfEjNS0_4plusIjEEEEZZNS1_33reduce_by_key_impl_wrapped_configILNS1_25lookback_scan_determinismE0ES3_S9_PKS6_NS0_17constant_iteratorIjlEEPS6_PlSH_S8_NS0_8equal_toIS6_EEEE10hipError_tPvRmT2_T3_mT4_T5_T6_T7_T8_P12ihipStream_tbENKUlT_T0_E_clISt17integral_constantIbLb1EES11_EEDaSW_SX_EUlSW_E_NS1_11comp_targetILNS1_3genE3ELNS1_11target_archE908ELNS1_3gpuE7ELNS1_3repE0EEENS1_30default_config_static_selectorELNS0_4arch9wavefront6targetE1EEEvT1_
		.amdhsa_group_segment_fixed_size 0
		.amdhsa_private_segment_fixed_size 0
		.amdhsa_kernarg_size 128
		.amdhsa_user_sgpr_count 2
		.amdhsa_user_sgpr_dispatch_ptr 0
		.amdhsa_user_sgpr_queue_ptr 0
		.amdhsa_user_sgpr_kernarg_segment_ptr 1
		.amdhsa_user_sgpr_dispatch_id 0
		.amdhsa_user_sgpr_kernarg_preload_length 0
		.amdhsa_user_sgpr_kernarg_preload_offset 0
		.amdhsa_user_sgpr_private_segment_size 0
		.amdhsa_uses_dynamic_stack 0
		.amdhsa_enable_private_segment 0
		.amdhsa_system_sgpr_workgroup_id_x 1
		.amdhsa_system_sgpr_workgroup_id_y 0
		.amdhsa_system_sgpr_workgroup_id_z 0
		.amdhsa_system_sgpr_workgroup_info 0
		.amdhsa_system_vgpr_workitem_id 0
		.amdhsa_next_free_vgpr 1
		.amdhsa_next_free_sgpr 0
		.amdhsa_accum_offset 4
		.amdhsa_reserve_vcc 0
		.amdhsa_float_round_mode_32 0
		.amdhsa_float_round_mode_16_64 0
		.amdhsa_float_denorm_mode_32 3
		.amdhsa_float_denorm_mode_16_64 3
		.amdhsa_dx10_clamp 1
		.amdhsa_ieee_mode 1
		.amdhsa_fp16_overflow 0
		.amdhsa_tg_split 0
		.amdhsa_exception_fp_ieee_invalid_op 0
		.amdhsa_exception_fp_denorm_src 0
		.amdhsa_exception_fp_ieee_div_zero 0
		.amdhsa_exception_fp_ieee_overflow 0
		.amdhsa_exception_fp_ieee_underflow 0
		.amdhsa_exception_fp_ieee_inexact 0
		.amdhsa_exception_int_div_zero 0
	.end_amdhsa_kernel
	.section	.text._ZN7rocprim17ROCPRIM_400000_NS6detail17trampoline_kernelINS0_14default_configENS1_33run_length_encode_config_selectorIN3c104HalfEjNS0_4plusIjEEEEZZNS1_33reduce_by_key_impl_wrapped_configILNS1_25lookback_scan_determinismE0ES3_S9_PKS6_NS0_17constant_iteratorIjlEEPS6_PlSH_S8_NS0_8equal_toIS6_EEEE10hipError_tPvRmT2_T3_mT4_T5_T6_T7_T8_P12ihipStream_tbENKUlT_T0_E_clISt17integral_constantIbLb1EES11_EEDaSW_SX_EUlSW_E_NS1_11comp_targetILNS1_3genE3ELNS1_11target_archE908ELNS1_3gpuE7ELNS1_3repE0EEENS1_30default_config_static_selectorELNS0_4arch9wavefront6targetE1EEEvT1_,"axG",@progbits,_ZN7rocprim17ROCPRIM_400000_NS6detail17trampoline_kernelINS0_14default_configENS1_33run_length_encode_config_selectorIN3c104HalfEjNS0_4plusIjEEEEZZNS1_33reduce_by_key_impl_wrapped_configILNS1_25lookback_scan_determinismE0ES3_S9_PKS6_NS0_17constant_iteratorIjlEEPS6_PlSH_S8_NS0_8equal_toIS6_EEEE10hipError_tPvRmT2_T3_mT4_T5_T6_T7_T8_P12ihipStream_tbENKUlT_T0_E_clISt17integral_constantIbLb1EES11_EEDaSW_SX_EUlSW_E_NS1_11comp_targetILNS1_3genE3ELNS1_11target_archE908ELNS1_3gpuE7ELNS1_3repE0EEENS1_30default_config_static_selectorELNS0_4arch9wavefront6targetE1EEEvT1_,comdat
.Lfunc_end937:
	.size	_ZN7rocprim17ROCPRIM_400000_NS6detail17trampoline_kernelINS0_14default_configENS1_33run_length_encode_config_selectorIN3c104HalfEjNS0_4plusIjEEEEZZNS1_33reduce_by_key_impl_wrapped_configILNS1_25lookback_scan_determinismE0ES3_S9_PKS6_NS0_17constant_iteratorIjlEEPS6_PlSH_S8_NS0_8equal_toIS6_EEEE10hipError_tPvRmT2_T3_mT4_T5_T6_T7_T8_P12ihipStream_tbENKUlT_T0_E_clISt17integral_constantIbLb1EES11_EEDaSW_SX_EUlSW_E_NS1_11comp_targetILNS1_3genE3ELNS1_11target_archE908ELNS1_3gpuE7ELNS1_3repE0EEENS1_30default_config_static_selectorELNS0_4arch9wavefront6targetE1EEEvT1_, .Lfunc_end937-_ZN7rocprim17ROCPRIM_400000_NS6detail17trampoline_kernelINS0_14default_configENS1_33run_length_encode_config_selectorIN3c104HalfEjNS0_4plusIjEEEEZZNS1_33reduce_by_key_impl_wrapped_configILNS1_25lookback_scan_determinismE0ES3_S9_PKS6_NS0_17constant_iteratorIjlEEPS6_PlSH_S8_NS0_8equal_toIS6_EEEE10hipError_tPvRmT2_T3_mT4_T5_T6_T7_T8_P12ihipStream_tbENKUlT_T0_E_clISt17integral_constantIbLb1EES11_EEDaSW_SX_EUlSW_E_NS1_11comp_targetILNS1_3genE3ELNS1_11target_archE908ELNS1_3gpuE7ELNS1_3repE0EEENS1_30default_config_static_selectorELNS0_4arch9wavefront6targetE1EEEvT1_
                                        ; -- End function
	.section	.AMDGPU.csdata,"",@progbits
; Kernel info:
; codeLenInByte = 0
; NumSgprs: 6
; NumVgprs: 0
; NumAgprs: 0
; TotalNumVgprs: 0
; ScratchSize: 0
; MemoryBound: 0
; FloatMode: 240
; IeeeMode: 1
; LDSByteSize: 0 bytes/workgroup (compile time only)
; SGPRBlocks: 0
; VGPRBlocks: 0
; NumSGPRsForWavesPerEU: 6
; NumVGPRsForWavesPerEU: 1
; AccumOffset: 4
; Occupancy: 8
; WaveLimiterHint : 0
; COMPUTE_PGM_RSRC2:SCRATCH_EN: 0
; COMPUTE_PGM_RSRC2:USER_SGPR: 2
; COMPUTE_PGM_RSRC2:TRAP_HANDLER: 0
; COMPUTE_PGM_RSRC2:TGID_X_EN: 1
; COMPUTE_PGM_RSRC2:TGID_Y_EN: 0
; COMPUTE_PGM_RSRC2:TGID_Z_EN: 0
; COMPUTE_PGM_RSRC2:TIDIG_COMP_CNT: 0
; COMPUTE_PGM_RSRC3_GFX90A:ACCUM_OFFSET: 0
; COMPUTE_PGM_RSRC3_GFX90A:TG_SPLIT: 0
	.section	.text._ZN7rocprim17ROCPRIM_400000_NS6detail17trampoline_kernelINS0_14default_configENS1_33run_length_encode_config_selectorIN3c104HalfEjNS0_4plusIjEEEEZZNS1_33reduce_by_key_impl_wrapped_configILNS1_25lookback_scan_determinismE0ES3_S9_PKS6_NS0_17constant_iteratorIjlEEPS6_PlSH_S8_NS0_8equal_toIS6_EEEE10hipError_tPvRmT2_T3_mT4_T5_T6_T7_T8_P12ihipStream_tbENKUlT_T0_E_clISt17integral_constantIbLb1EES11_EEDaSW_SX_EUlSW_E_NS1_11comp_targetILNS1_3genE2ELNS1_11target_archE906ELNS1_3gpuE6ELNS1_3repE0EEENS1_30default_config_static_selectorELNS0_4arch9wavefront6targetE1EEEvT1_,"axG",@progbits,_ZN7rocprim17ROCPRIM_400000_NS6detail17trampoline_kernelINS0_14default_configENS1_33run_length_encode_config_selectorIN3c104HalfEjNS0_4plusIjEEEEZZNS1_33reduce_by_key_impl_wrapped_configILNS1_25lookback_scan_determinismE0ES3_S9_PKS6_NS0_17constant_iteratorIjlEEPS6_PlSH_S8_NS0_8equal_toIS6_EEEE10hipError_tPvRmT2_T3_mT4_T5_T6_T7_T8_P12ihipStream_tbENKUlT_T0_E_clISt17integral_constantIbLb1EES11_EEDaSW_SX_EUlSW_E_NS1_11comp_targetILNS1_3genE2ELNS1_11target_archE906ELNS1_3gpuE6ELNS1_3repE0EEENS1_30default_config_static_selectorELNS0_4arch9wavefront6targetE1EEEvT1_,comdat
	.protected	_ZN7rocprim17ROCPRIM_400000_NS6detail17trampoline_kernelINS0_14default_configENS1_33run_length_encode_config_selectorIN3c104HalfEjNS0_4plusIjEEEEZZNS1_33reduce_by_key_impl_wrapped_configILNS1_25lookback_scan_determinismE0ES3_S9_PKS6_NS0_17constant_iteratorIjlEEPS6_PlSH_S8_NS0_8equal_toIS6_EEEE10hipError_tPvRmT2_T3_mT4_T5_T6_T7_T8_P12ihipStream_tbENKUlT_T0_E_clISt17integral_constantIbLb1EES11_EEDaSW_SX_EUlSW_E_NS1_11comp_targetILNS1_3genE2ELNS1_11target_archE906ELNS1_3gpuE6ELNS1_3repE0EEENS1_30default_config_static_selectorELNS0_4arch9wavefront6targetE1EEEvT1_ ; -- Begin function _ZN7rocprim17ROCPRIM_400000_NS6detail17trampoline_kernelINS0_14default_configENS1_33run_length_encode_config_selectorIN3c104HalfEjNS0_4plusIjEEEEZZNS1_33reduce_by_key_impl_wrapped_configILNS1_25lookback_scan_determinismE0ES3_S9_PKS6_NS0_17constant_iteratorIjlEEPS6_PlSH_S8_NS0_8equal_toIS6_EEEE10hipError_tPvRmT2_T3_mT4_T5_T6_T7_T8_P12ihipStream_tbENKUlT_T0_E_clISt17integral_constantIbLb1EES11_EEDaSW_SX_EUlSW_E_NS1_11comp_targetILNS1_3genE2ELNS1_11target_archE906ELNS1_3gpuE6ELNS1_3repE0EEENS1_30default_config_static_selectorELNS0_4arch9wavefront6targetE1EEEvT1_
	.globl	_ZN7rocprim17ROCPRIM_400000_NS6detail17trampoline_kernelINS0_14default_configENS1_33run_length_encode_config_selectorIN3c104HalfEjNS0_4plusIjEEEEZZNS1_33reduce_by_key_impl_wrapped_configILNS1_25lookback_scan_determinismE0ES3_S9_PKS6_NS0_17constant_iteratorIjlEEPS6_PlSH_S8_NS0_8equal_toIS6_EEEE10hipError_tPvRmT2_T3_mT4_T5_T6_T7_T8_P12ihipStream_tbENKUlT_T0_E_clISt17integral_constantIbLb1EES11_EEDaSW_SX_EUlSW_E_NS1_11comp_targetILNS1_3genE2ELNS1_11target_archE906ELNS1_3gpuE6ELNS1_3repE0EEENS1_30default_config_static_selectorELNS0_4arch9wavefront6targetE1EEEvT1_
	.p2align	8
	.type	_ZN7rocprim17ROCPRIM_400000_NS6detail17trampoline_kernelINS0_14default_configENS1_33run_length_encode_config_selectorIN3c104HalfEjNS0_4plusIjEEEEZZNS1_33reduce_by_key_impl_wrapped_configILNS1_25lookback_scan_determinismE0ES3_S9_PKS6_NS0_17constant_iteratorIjlEEPS6_PlSH_S8_NS0_8equal_toIS6_EEEE10hipError_tPvRmT2_T3_mT4_T5_T6_T7_T8_P12ihipStream_tbENKUlT_T0_E_clISt17integral_constantIbLb1EES11_EEDaSW_SX_EUlSW_E_NS1_11comp_targetILNS1_3genE2ELNS1_11target_archE906ELNS1_3gpuE6ELNS1_3repE0EEENS1_30default_config_static_selectorELNS0_4arch9wavefront6targetE1EEEvT1_,@function
_ZN7rocprim17ROCPRIM_400000_NS6detail17trampoline_kernelINS0_14default_configENS1_33run_length_encode_config_selectorIN3c104HalfEjNS0_4plusIjEEEEZZNS1_33reduce_by_key_impl_wrapped_configILNS1_25lookback_scan_determinismE0ES3_S9_PKS6_NS0_17constant_iteratorIjlEEPS6_PlSH_S8_NS0_8equal_toIS6_EEEE10hipError_tPvRmT2_T3_mT4_T5_T6_T7_T8_P12ihipStream_tbENKUlT_T0_E_clISt17integral_constantIbLb1EES11_EEDaSW_SX_EUlSW_E_NS1_11comp_targetILNS1_3genE2ELNS1_11target_archE906ELNS1_3gpuE6ELNS1_3repE0EEENS1_30default_config_static_selectorELNS0_4arch9wavefront6targetE1EEEvT1_: ; @_ZN7rocprim17ROCPRIM_400000_NS6detail17trampoline_kernelINS0_14default_configENS1_33run_length_encode_config_selectorIN3c104HalfEjNS0_4plusIjEEEEZZNS1_33reduce_by_key_impl_wrapped_configILNS1_25lookback_scan_determinismE0ES3_S9_PKS6_NS0_17constant_iteratorIjlEEPS6_PlSH_S8_NS0_8equal_toIS6_EEEE10hipError_tPvRmT2_T3_mT4_T5_T6_T7_T8_P12ihipStream_tbENKUlT_T0_E_clISt17integral_constantIbLb1EES11_EEDaSW_SX_EUlSW_E_NS1_11comp_targetILNS1_3genE2ELNS1_11target_archE906ELNS1_3gpuE6ELNS1_3repE0EEENS1_30default_config_static_selectorELNS0_4arch9wavefront6targetE1EEEvT1_
; %bb.0:
	.section	.rodata,"a",@progbits
	.p2align	6, 0x0
	.amdhsa_kernel _ZN7rocprim17ROCPRIM_400000_NS6detail17trampoline_kernelINS0_14default_configENS1_33run_length_encode_config_selectorIN3c104HalfEjNS0_4plusIjEEEEZZNS1_33reduce_by_key_impl_wrapped_configILNS1_25lookback_scan_determinismE0ES3_S9_PKS6_NS0_17constant_iteratorIjlEEPS6_PlSH_S8_NS0_8equal_toIS6_EEEE10hipError_tPvRmT2_T3_mT4_T5_T6_T7_T8_P12ihipStream_tbENKUlT_T0_E_clISt17integral_constantIbLb1EES11_EEDaSW_SX_EUlSW_E_NS1_11comp_targetILNS1_3genE2ELNS1_11target_archE906ELNS1_3gpuE6ELNS1_3repE0EEENS1_30default_config_static_selectorELNS0_4arch9wavefront6targetE1EEEvT1_
		.amdhsa_group_segment_fixed_size 0
		.amdhsa_private_segment_fixed_size 0
		.amdhsa_kernarg_size 128
		.amdhsa_user_sgpr_count 2
		.amdhsa_user_sgpr_dispatch_ptr 0
		.amdhsa_user_sgpr_queue_ptr 0
		.amdhsa_user_sgpr_kernarg_segment_ptr 1
		.amdhsa_user_sgpr_dispatch_id 0
		.amdhsa_user_sgpr_kernarg_preload_length 0
		.amdhsa_user_sgpr_kernarg_preload_offset 0
		.amdhsa_user_sgpr_private_segment_size 0
		.amdhsa_uses_dynamic_stack 0
		.amdhsa_enable_private_segment 0
		.amdhsa_system_sgpr_workgroup_id_x 1
		.amdhsa_system_sgpr_workgroup_id_y 0
		.amdhsa_system_sgpr_workgroup_id_z 0
		.amdhsa_system_sgpr_workgroup_info 0
		.amdhsa_system_vgpr_workitem_id 0
		.amdhsa_next_free_vgpr 1
		.amdhsa_next_free_sgpr 0
		.amdhsa_accum_offset 4
		.amdhsa_reserve_vcc 0
		.amdhsa_float_round_mode_32 0
		.amdhsa_float_round_mode_16_64 0
		.amdhsa_float_denorm_mode_32 3
		.amdhsa_float_denorm_mode_16_64 3
		.amdhsa_dx10_clamp 1
		.amdhsa_ieee_mode 1
		.amdhsa_fp16_overflow 0
		.amdhsa_tg_split 0
		.amdhsa_exception_fp_ieee_invalid_op 0
		.amdhsa_exception_fp_denorm_src 0
		.amdhsa_exception_fp_ieee_div_zero 0
		.amdhsa_exception_fp_ieee_overflow 0
		.amdhsa_exception_fp_ieee_underflow 0
		.amdhsa_exception_fp_ieee_inexact 0
		.amdhsa_exception_int_div_zero 0
	.end_amdhsa_kernel
	.section	.text._ZN7rocprim17ROCPRIM_400000_NS6detail17trampoline_kernelINS0_14default_configENS1_33run_length_encode_config_selectorIN3c104HalfEjNS0_4plusIjEEEEZZNS1_33reduce_by_key_impl_wrapped_configILNS1_25lookback_scan_determinismE0ES3_S9_PKS6_NS0_17constant_iteratorIjlEEPS6_PlSH_S8_NS0_8equal_toIS6_EEEE10hipError_tPvRmT2_T3_mT4_T5_T6_T7_T8_P12ihipStream_tbENKUlT_T0_E_clISt17integral_constantIbLb1EES11_EEDaSW_SX_EUlSW_E_NS1_11comp_targetILNS1_3genE2ELNS1_11target_archE906ELNS1_3gpuE6ELNS1_3repE0EEENS1_30default_config_static_selectorELNS0_4arch9wavefront6targetE1EEEvT1_,"axG",@progbits,_ZN7rocprim17ROCPRIM_400000_NS6detail17trampoline_kernelINS0_14default_configENS1_33run_length_encode_config_selectorIN3c104HalfEjNS0_4plusIjEEEEZZNS1_33reduce_by_key_impl_wrapped_configILNS1_25lookback_scan_determinismE0ES3_S9_PKS6_NS0_17constant_iteratorIjlEEPS6_PlSH_S8_NS0_8equal_toIS6_EEEE10hipError_tPvRmT2_T3_mT4_T5_T6_T7_T8_P12ihipStream_tbENKUlT_T0_E_clISt17integral_constantIbLb1EES11_EEDaSW_SX_EUlSW_E_NS1_11comp_targetILNS1_3genE2ELNS1_11target_archE906ELNS1_3gpuE6ELNS1_3repE0EEENS1_30default_config_static_selectorELNS0_4arch9wavefront6targetE1EEEvT1_,comdat
.Lfunc_end938:
	.size	_ZN7rocprim17ROCPRIM_400000_NS6detail17trampoline_kernelINS0_14default_configENS1_33run_length_encode_config_selectorIN3c104HalfEjNS0_4plusIjEEEEZZNS1_33reduce_by_key_impl_wrapped_configILNS1_25lookback_scan_determinismE0ES3_S9_PKS6_NS0_17constant_iteratorIjlEEPS6_PlSH_S8_NS0_8equal_toIS6_EEEE10hipError_tPvRmT2_T3_mT4_T5_T6_T7_T8_P12ihipStream_tbENKUlT_T0_E_clISt17integral_constantIbLb1EES11_EEDaSW_SX_EUlSW_E_NS1_11comp_targetILNS1_3genE2ELNS1_11target_archE906ELNS1_3gpuE6ELNS1_3repE0EEENS1_30default_config_static_selectorELNS0_4arch9wavefront6targetE1EEEvT1_, .Lfunc_end938-_ZN7rocprim17ROCPRIM_400000_NS6detail17trampoline_kernelINS0_14default_configENS1_33run_length_encode_config_selectorIN3c104HalfEjNS0_4plusIjEEEEZZNS1_33reduce_by_key_impl_wrapped_configILNS1_25lookback_scan_determinismE0ES3_S9_PKS6_NS0_17constant_iteratorIjlEEPS6_PlSH_S8_NS0_8equal_toIS6_EEEE10hipError_tPvRmT2_T3_mT4_T5_T6_T7_T8_P12ihipStream_tbENKUlT_T0_E_clISt17integral_constantIbLb1EES11_EEDaSW_SX_EUlSW_E_NS1_11comp_targetILNS1_3genE2ELNS1_11target_archE906ELNS1_3gpuE6ELNS1_3repE0EEENS1_30default_config_static_selectorELNS0_4arch9wavefront6targetE1EEEvT1_
                                        ; -- End function
	.section	.AMDGPU.csdata,"",@progbits
; Kernel info:
; codeLenInByte = 0
; NumSgprs: 6
; NumVgprs: 0
; NumAgprs: 0
; TotalNumVgprs: 0
; ScratchSize: 0
; MemoryBound: 0
; FloatMode: 240
; IeeeMode: 1
; LDSByteSize: 0 bytes/workgroup (compile time only)
; SGPRBlocks: 0
; VGPRBlocks: 0
; NumSGPRsForWavesPerEU: 6
; NumVGPRsForWavesPerEU: 1
; AccumOffset: 4
; Occupancy: 8
; WaveLimiterHint : 0
; COMPUTE_PGM_RSRC2:SCRATCH_EN: 0
; COMPUTE_PGM_RSRC2:USER_SGPR: 2
; COMPUTE_PGM_RSRC2:TRAP_HANDLER: 0
; COMPUTE_PGM_RSRC2:TGID_X_EN: 1
; COMPUTE_PGM_RSRC2:TGID_Y_EN: 0
; COMPUTE_PGM_RSRC2:TGID_Z_EN: 0
; COMPUTE_PGM_RSRC2:TIDIG_COMP_CNT: 0
; COMPUTE_PGM_RSRC3_GFX90A:ACCUM_OFFSET: 0
; COMPUTE_PGM_RSRC3_GFX90A:TG_SPLIT: 0
	.section	.text._ZN7rocprim17ROCPRIM_400000_NS6detail17trampoline_kernelINS0_14default_configENS1_33run_length_encode_config_selectorIN3c104HalfEjNS0_4plusIjEEEEZZNS1_33reduce_by_key_impl_wrapped_configILNS1_25lookback_scan_determinismE0ES3_S9_PKS6_NS0_17constant_iteratorIjlEEPS6_PlSH_S8_NS0_8equal_toIS6_EEEE10hipError_tPvRmT2_T3_mT4_T5_T6_T7_T8_P12ihipStream_tbENKUlT_T0_E_clISt17integral_constantIbLb1EES11_EEDaSW_SX_EUlSW_E_NS1_11comp_targetILNS1_3genE10ELNS1_11target_archE1201ELNS1_3gpuE5ELNS1_3repE0EEENS1_30default_config_static_selectorELNS0_4arch9wavefront6targetE1EEEvT1_,"axG",@progbits,_ZN7rocprim17ROCPRIM_400000_NS6detail17trampoline_kernelINS0_14default_configENS1_33run_length_encode_config_selectorIN3c104HalfEjNS0_4plusIjEEEEZZNS1_33reduce_by_key_impl_wrapped_configILNS1_25lookback_scan_determinismE0ES3_S9_PKS6_NS0_17constant_iteratorIjlEEPS6_PlSH_S8_NS0_8equal_toIS6_EEEE10hipError_tPvRmT2_T3_mT4_T5_T6_T7_T8_P12ihipStream_tbENKUlT_T0_E_clISt17integral_constantIbLb1EES11_EEDaSW_SX_EUlSW_E_NS1_11comp_targetILNS1_3genE10ELNS1_11target_archE1201ELNS1_3gpuE5ELNS1_3repE0EEENS1_30default_config_static_selectorELNS0_4arch9wavefront6targetE1EEEvT1_,comdat
	.protected	_ZN7rocprim17ROCPRIM_400000_NS6detail17trampoline_kernelINS0_14default_configENS1_33run_length_encode_config_selectorIN3c104HalfEjNS0_4plusIjEEEEZZNS1_33reduce_by_key_impl_wrapped_configILNS1_25lookback_scan_determinismE0ES3_S9_PKS6_NS0_17constant_iteratorIjlEEPS6_PlSH_S8_NS0_8equal_toIS6_EEEE10hipError_tPvRmT2_T3_mT4_T5_T6_T7_T8_P12ihipStream_tbENKUlT_T0_E_clISt17integral_constantIbLb1EES11_EEDaSW_SX_EUlSW_E_NS1_11comp_targetILNS1_3genE10ELNS1_11target_archE1201ELNS1_3gpuE5ELNS1_3repE0EEENS1_30default_config_static_selectorELNS0_4arch9wavefront6targetE1EEEvT1_ ; -- Begin function _ZN7rocprim17ROCPRIM_400000_NS6detail17trampoline_kernelINS0_14default_configENS1_33run_length_encode_config_selectorIN3c104HalfEjNS0_4plusIjEEEEZZNS1_33reduce_by_key_impl_wrapped_configILNS1_25lookback_scan_determinismE0ES3_S9_PKS6_NS0_17constant_iteratorIjlEEPS6_PlSH_S8_NS0_8equal_toIS6_EEEE10hipError_tPvRmT2_T3_mT4_T5_T6_T7_T8_P12ihipStream_tbENKUlT_T0_E_clISt17integral_constantIbLb1EES11_EEDaSW_SX_EUlSW_E_NS1_11comp_targetILNS1_3genE10ELNS1_11target_archE1201ELNS1_3gpuE5ELNS1_3repE0EEENS1_30default_config_static_selectorELNS0_4arch9wavefront6targetE1EEEvT1_
	.globl	_ZN7rocprim17ROCPRIM_400000_NS6detail17trampoline_kernelINS0_14default_configENS1_33run_length_encode_config_selectorIN3c104HalfEjNS0_4plusIjEEEEZZNS1_33reduce_by_key_impl_wrapped_configILNS1_25lookback_scan_determinismE0ES3_S9_PKS6_NS0_17constant_iteratorIjlEEPS6_PlSH_S8_NS0_8equal_toIS6_EEEE10hipError_tPvRmT2_T3_mT4_T5_T6_T7_T8_P12ihipStream_tbENKUlT_T0_E_clISt17integral_constantIbLb1EES11_EEDaSW_SX_EUlSW_E_NS1_11comp_targetILNS1_3genE10ELNS1_11target_archE1201ELNS1_3gpuE5ELNS1_3repE0EEENS1_30default_config_static_selectorELNS0_4arch9wavefront6targetE1EEEvT1_
	.p2align	8
	.type	_ZN7rocprim17ROCPRIM_400000_NS6detail17trampoline_kernelINS0_14default_configENS1_33run_length_encode_config_selectorIN3c104HalfEjNS0_4plusIjEEEEZZNS1_33reduce_by_key_impl_wrapped_configILNS1_25lookback_scan_determinismE0ES3_S9_PKS6_NS0_17constant_iteratorIjlEEPS6_PlSH_S8_NS0_8equal_toIS6_EEEE10hipError_tPvRmT2_T3_mT4_T5_T6_T7_T8_P12ihipStream_tbENKUlT_T0_E_clISt17integral_constantIbLb1EES11_EEDaSW_SX_EUlSW_E_NS1_11comp_targetILNS1_3genE10ELNS1_11target_archE1201ELNS1_3gpuE5ELNS1_3repE0EEENS1_30default_config_static_selectorELNS0_4arch9wavefront6targetE1EEEvT1_,@function
_ZN7rocprim17ROCPRIM_400000_NS6detail17trampoline_kernelINS0_14default_configENS1_33run_length_encode_config_selectorIN3c104HalfEjNS0_4plusIjEEEEZZNS1_33reduce_by_key_impl_wrapped_configILNS1_25lookback_scan_determinismE0ES3_S9_PKS6_NS0_17constant_iteratorIjlEEPS6_PlSH_S8_NS0_8equal_toIS6_EEEE10hipError_tPvRmT2_T3_mT4_T5_T6_T7_T8_P12ihipStream_tbENKUlT_T0_E_clISt17integral_constantIbLb1EES11_EEDaSW_SX_EUlSW_E_NS1_11comp_targetILNS1_3genE10ELNS1_11target_archE1201ELNS1_3gpuE5ELNS1_3repE0EEENS1_30default_config_static_selectorELNS0_4arch9wavefront6targetE1EEEvT1_: ; @_ZN7rocprim17ROCPRIM_400000_NS6detail17trampoline_kernelINS0_14default_configENS1_33run_length_encode_config_selectorIN3c104HalfEjNS0_4plusIjEEEEZZNS1_33reduce_by_key_impl_wrapped_configILNS1_25lookback_scan_determinismE0ES3_S9_PKS6_NS0_17constant_iteratorIjlEEPS6_PlSH_S8_NS0_8equal_toIS6_EEEE10hipError_tPvRmT2_T3_mT4_T5_T6_T7_T8_P12ihipStream_tbENKUlT_T0_E_clISt17integral_constantIbLb1EES11_EEDaSW_SX_EUlSW_E_NS1_11comp_targetILNS1_3genE10ELNS1_11target_archE1201ELNS1_3gpuE5ELNS1_3repE0EEENS1_30default_config_static_selectorELNS0_4arch9wavefront6targetE1EEEvT1_
; %bb.0:
	.section	.rodata,"a",@progbits
	.p2align	6, 0x0
	.amdhsa_kernel _ZN7rocprim17ROCPRIM_400000_NS6detail17trampoline_kernelINS0_14default_configENS1_33run_length_encode_config_selectorIN3c104HalfEjNS0_4plusIjEEEEZZNS1_33reduce_by_key_impl_wrapped_configILNS1_25lookback_scan_determinismE0ES3_S9_PKS6_NS0_17constant_iteratorIjlEEPS6_PlSH_S8_NS0_8equal_toIS6_EEEE10hipError_tPvRmT2_T3_mT4_T5_T6_T7_T8_P12ihipStream_tbENKUlT_T0_E_clISt17integral_constantIbLb1EES11_EEDaSW_SX_EUlSW_E_NS1_11comp_targetILNS1_3genE10ELNS1_11target_archE1201ELNS1_3gpuE5ELNS1_3repE0EEENS1_30default_config_static_selectorELNS0_4arch9wavefront6targetE1EEEvT1_
		.amdhsa_group_segment_fixed_size 0
		.amdhsa_private_segment_fixed_size 0
		.amdhsa_kernarg_size 128
		.amdhsa_user_sgpr_count 2
		.amdhsa_user_sgpr_dispatch_ptr 0
		.amdhsa_user_sgpr_queue_ptr 0
		.amdhsa_user_sgpr_kernarg_segment_ptr 1
		.amdhsa_user_sgpr_dispatch_id 0
		.amdhsa_user_sgpr_kernarg_preload_length 0
		.amdhsa_user_sgpr_kernarg_preload_offset 0
		.amdhsa_user_sgpr_private_segment_size 0
		.amdhsa_uses_dynamic_stack 0
		.amdhsa_enable_private_segment 0
		.amdhsa_system_sgpr_workgroup_id_x 1
		.amdhsa_system_sgpr_workgroup_id_y 0
		.amdhsa_system_sgpr_workgroup_id_z 0
		.amdhsa_system_sgpr_workgroup_info 0
		.amdhsa_system_vgpr_workitem_id 0
		.amdhsa_next_free_vgpr 1
		.amdhsa_next_free_sgpr 0
		.amdhsa_accum_offset 4
		.amdhsa_reserve_vcc 0
		.amdhsa_float_round_mode_32 0
		.amdhsa_float_round_mode_16_64 0
		.amdhsa_float_denorm_mode_32 3
		.amdhsa_float_denorm_mode_16_64 3
		.amdhsa_dx10_clamp 1
		.amdhsa_ieee_mode 1
		.amdhsa_fp16_overflow 0
		.amdhsa_tg_split 0
		.amdhsa_exception_fp_ieee_invalid_op 0
		.amdhsa_exception_fp_denorm_src 0
		.amdhsa_exception_fp_ieee_div_zero 0
		.amdhsa_exception_fp_ieee_overflow 0
		.amdhsa_exception_fp_ieee_underflow 0
		.amdhsa_exception_fp_ieee_inexact 0
		.amdhsa_exception_int_div_zero 0
	.end_amdhsa_kernel
	.section	.text._ZN7rocprim17ROCPRIM_400000_NS6detail17trampoline_kernelINS0_14default_configENS1_33run_length_encode_config_selectorIN3c104HalfEjNS0_4plusIjEEEEZZNS1_33reduce_by_key_impl_wrapped_configILNS1_25lookback_scan_determinismE0ES3_S9_PKS6_NS0_17constant_iteratorIjlEEPS6_PlSH_S8_NS0_8equal_toIS6_EEEE10hipError_tPvRmT2_T3_mT4_T5_T6_T7_T8_P12ihipStream_tbENKUlT_T0_E_clISt17integral_constantIbLb1EES11_EEDaSW_SX_EUlSW_E_NS1_11comp_targetILNS1_3genE10ELNS1_11target_archE1201ELNS1_3gpuE5ELNS1_3repE0EEENS1_30default_config_static_selectorELNS0_4arch9wavefront6targetE1EEEvT1_,"axG",@progbits,_ZN7rocprim17ROCPRIM_400000_NS6detail17trampoline_kernelINS0_14default_configENS1_33run_length_encode_config_selectorIN3c104HalfEjNS0_4plusIjEEEEZZNS1_33reduce_by_key_impl_wrapped_configILNS1_25lookback_scan_determinismE0ES3_S9_PKS6_NS0_17constant_iteratorIjlEEPS6_PlSH_S8_NS0_8equal_toIS6_EEEE10hipError_tPvRmT2_T3_mT4_T5_T6_T7_T8_P12ihipStream_tbENKUlT_T0_E_clISt17integral_constantIbLb1EES11_EEDaSW_SX_EUlSW_E_NS1_11comp_targetILNS1_3genE10ELNS1_11target_archE1201ELNS1_3gpuE5ELNS1_3repE0EEENS1_30default_config_static_selectorELNS0_4arch9wavefront6targetE1EEEvT1_,comdat
.Lfunc_end939:
	.size	_ZN7rocprim17ROCPRIM_400000_NS6detail17trampoline_kernelINS0_14default_configENS1_33run_length_encode_config_selectorIN3c104HalfEjNS0_4plusIjEEEEZZNS1_33reduce_by_key_impl_wrapped_configILNS1_25lookback_scan_determinismE0ES3_S9_PKS6_NS0_17constant_iteratorIjlEEPS6_PlSH_S8_NS0_8equal_toIS6_EEEE10hipError_tPvRmT2_T3_mT4_T5_T6_T7_T8_P12ihipStream_tbENKUlT_T0_E_clISt17integral_constantIbLb1EES11_EEDaSW_SX_EUlSW_E_NS1_11comp_targetILNS1_3genE10ELNS1_11target_archE1201ELNS1_3gpuE5ELNS1_3repE0EEENS1_30default_config_static_selectorELNS0_4arch9wavefront6targetE1EEEvT1_, .Lfunc_end939-_ZN7rocprim17ROCPRIM_400000_NS6detail17trampoline_kernelINS0_14default_configENS1_33run_length_encode_config_selectorIN3c104HalfEjNS0_4plusIjEEEEZZNS1_33reduce_by_key_impl_wrapped_configILNS1_25lookback_scan_determinismE0ES3_S9_PKS6_NS0_17constant_iteratorIjlEEPS6_PlSH_S8_NS0_8equal_toIS6_EEEE10hipError_tPvRmT2_T3_mT4_T5_T6_T7_T8_P12ihipStream_tbENKUlT_T0_E_clISt17integral_constantIbLb1EES11_EEDaSW_SX_EUlSW_E_NS1_11comp_targetILNS1_3genE10ELNS1_11target_archE1201ELNS1_3gpuE5ELNS1_3repE0EEENS1_30default_config_static_selectorELNS0_4arch9wavefront6targetE1EEEvT1_
                                        ; -- End function
	.section	.AMDGPU.csdata,"",@progbits
; Kernel info:
; codeLenInByte = 0
; NumSgprs: 6
; NumVgprs: 0
; NumAgprs: 0
; TotalNumVgprs: 0
; ScratchSize: 0
; MemoryBound: 0
; FloatMode: 240
; IeeeMode: 1
; LDSByteSize: 0 bytes/workgroup (compile time only)
; SGPRBlocks: 0
; VGPRBlocks: 0
; NumSGPRsForWavesPerEU: 6
; NumVGPRsForWavesPerEU: 1
; AccumOffset: 4
; Occupancy: 8
; WaveLimiterHint : 0
; COMPUTE_PGM_RSRC2:SCRATCH_EN: 0
; COMPUTE_PGM_RSRC2:USER_SGPR: 2
; COMPUTE_PGM_RSRC2:TRAP_HANDLER: 0
; COMPUTE_PGM_RSRC2:TGID_X_EN: 1
; COMPUTE_PGM_RSRC2:TGID_Y_EN: 0
; COMPUTE_PGM_RSRC2:TGID_Z_EN: 0
; COMPUTE_PGM_RSRC2:TIDIG_COMP_CNT: 0
; COMPUTE_PGM_RSRC3_GFX90A:ACCUM_OFFSET: 0
; COMPUTE_PGM_RSRC3_GFX90A:TG_SPLIT: 0
	.section	.text._ZN7rocprim17ROCPRIM_400000_NS6detail17trampoline_kernelINS0_14default_configENS1_33run_length_encode_config_selectorIN3c104HalfEjNS0_4plusIjEEEEZZNS1_33reduce_by_key_impl_wrapped_configILNS1_25lookback_scan_determinismE0ES3_S9_PKS6_NS0_17constant_iteratorIjlEEPS6_PlSH_S8_NS0_8equal_toIS6_EEEE10hipError_tPvRmT2_T3_mT4_T5_T6_T7_T8_P12ihipStream_tbENKUlT_T0_E_clISt17integral_constantIbLb1EES11_EEDaSW_SX_EUlSW_E_NS1_11comp_targetILNS1_3genE10ELNS1_11target_archE1200ELNS1_3gpuE4ELNS1_3repE0EEENS1_30default_config_static_selectorELNS0_4arch9wavefront6targetE1EEEvT1_,"axG",@progbits,_ZN7rocprim17ROCPRIM_400000_NS6detail17trampoline_kernelINS0_14default_configENS1_33run_length_encode_config_selectorIN3c104HalfEjNS0_4plusIjEEEEZZNS1_33reduce_by_key_impl_wrapped_configILNS1_25lookback_scan_determinismE0ES3_S9_PKS6_NS0_17constant_iteratorIjlEEPS6_PlSH_S8_NS0_8equal_toIS6_EEEE10hipError_tPvRmT2_T3_mT4_T5_T6_T7_T8_P12ihipStream_tbENKUlT_T0_E_clISt17integral_constantIbLb1EES11_EEDaSW_SX_EUlSW_E_NS1_11comp_targetILNS1_3genE10ELNS1_11target_archE1200ELNS1_3gpuE4ELNS1_3repE0EEENS1_30default_config_static_selectorELNS0_4arch9wavefront6targetE1EEEvT1_,comdat
	.protected	_ZN7rocprim17ROCPRIM_400000_NS6detail17trampoline_kernelINS0_14default_configENS1_33run_length_encode_config_selectorIN3c104HalfEjNS0_4plusIjEEEEZZNS1_33reduce_by_key_impl_wrapped_configILNS1_25lookback_scan_determinismE0ES3_S9_PKS6_NS0_17constant_iteratorIjlEEPS6_PlSH_S8_NS0_8equal_toIS6_EEEE10hipError_tPvRmT2_T3_mT4_T5_T6_T7_T8_P12ihipStream_tbENKUlT_T0_E_clISt17integral_constantIbLb1EES11_EEDaSW_SX_EUlSW_E_NS1_11comp_targetILNS1_3genE10ELNS1_11target_archE1200ELNS1_3gpuE4ELNS1_3repE0EEENS1_30default_config_static_selectorELNS0_4arch9wavefront6targetE1EEEvT1_ ; -- Begin function _ZN7rocprim17ROCPRIM_400000_NS6detail17trampoline_kernelINS0_14default_configENS1_33run_length_encode_config_selectorIN3c104HalfEjNS0_4plusIjEEEEZZNS1_33reduce_by_key_impl_wrapped_configILNS1_25lookback_scan_determinismE0ES3_S9_PKS6_NS0_17constant_iteratorIjlEEPS6_PlSH_S8_NS0_8equal_toIS6_EEEE10hipError_tPvRmT2_T3_mT4_T5_T6_T7_T8_P12ihipStream_tbENKUlT_T0_E_clISt17integral_constantIbLb1EES11_EEDaSW_SX_EUlSW_E_NS1_11comp_targetILNS1_3genE10ELNS1_11target_archE1200ELNS1_3gpuE4ELNS1_3repE0EEENS1_30default_config_static_selectorELNS0_4arch9wavefront6targetE1EEEvT1_
	.globl	_ZN7rocprim17ROCPRIM_400000_NS6detail17trampoline_kernelINS0_14default_configENS1_33run_length_encode_config_selectorIN3c104HalfEjNS0_4plusIjEEEEZZNS1_33reduce_by_key_impl_wrapped_configILNS1_25lookback_scan_determinismE0ES3_S9_PKS6_NS0_17constant_iteratorIjlEEPS6_PlSH_S8_NS0_8equal_toIS6_EEEE10hipError_tPvRmT2_T3_mT4_T5_T6_T7_T8_P12ihipStream_tbENKUlT_T0_E_clISt17integral_constantIbLb1EES11_EEDaSW_SX_EUlSW_E_NS1_11comp_targetILNS1_3genE10ELNS1_11target_archE1200ELNS1_3gpuE4ELNS1_3repE0EEENS1_30default_config_static_selectorELNS0_4arch9wavefront6targetE1EEEvT1_
	.p2align	8
	.type	_ZN7rocprim17ROCPRIM_400000_NS6detail17trampoline_kernelINS0_14default_configENS1_33run_length_encode_config_selectorIN3c104HalfEjNS0_4plusIjEEEEZZNS1_33reduce_by_key_impl_wrapped_configILNS1_25lookback_scan_determinismE0ES3_S9_PKS6_NS0_17constant_iteratorIjlEEPS6_PlSH_S8_NS0_8equal_toIS6_EEEE10hipError_tPvRmT2_T3_mT4_T5_T6_T7_T8_P12ihipStream_tbENKUlT_T0_E_clISt17integral_constantIbLb1EES11_EEDaSW_SX_EUlSW_E_NS1_11comp_targetILNS1_3genE10ELNS1_11target_archE1200ELNS1_3gpuE4ELNS1_3repE0EEENS1_30default_config_static_selectorELNS0_4arch9wavefront6targetE1EEEvT1_,@function
_ZN7rocprim17ROCPRIM_400000_NS6detail17trampoline_kernelINS0_14default_configENS1_33run_length_encode_config_selectorIN3c104HalfEjNS0_4plusIjEEEEZZNS1_33reduce_by_key_impl_wrapped_configILNS1_25lookback_scan_determinismE0ES3_S9_PKS6_NS0_17constant_iteratorIjlEEPS6_PlSH_S8_NS0_8equal_toIS6_EEEE10hipError_tPvRmT2_T3_mT4_T5_T6_T7_T8_P12ihipStream_tbENKUlT_T0_E_clISt17integral_constantIbLb1EES11_EEDaSW_SX_EUlSW_E_NS1_11comp_targetILNS1_3genE10ELNS1_11target_archE1200ELNS1_3gpuE4ELNS1_3repE0EEENS1_30default_config_static_selectorELNS0_4arch9wavefront6targetE1EEEvT1_: ; @_ZN7rocprim17ROCPRIM_400000_NS6detail17trampoline_kernelINS0_14default_configENS1_33run_length_encode_config_selectorIN3c104HalfEjNS0_4plusIjEEEEZZNS1_33reduce_by_key_impl_wrapped_configILNS1_25lookback_scan_determinismE0ES3_S9_PKS6_NS0_17constant_iteratorIjlEEPS6_PlSH_S8_NS0_8equal_toIS6_EEEE10hipError_tPvRmT2_T3_mT4_T5_T6_T7_T8_P12ihipStream_tbENKUlT_T0_E_clISt17integral_constantIbLb1EES11_EEDaSW_SX_EUlSW_E_NS1_11comp_targetILNS1_3genE10ELNS1_11target_archE1200ELNS1_3gpuE4ELNS1_3repE0EEENS1_30default_config_static_selectorELNS0_4arch9wavefront6targetE1EEEvT1_
; %bb.0:
	.section	.rodata,"a",@progbits
	.p2align	6, 0x0
	.amdhsa_kernel _ZN7rocprim17ROCPRIM_400000_NS6detail17trampoline_kernelINS0_14default_configENS1_33run_length_encode_config_selectorIN3c104HalfEjNS0_4plusIjEEEEZZNS1_33reduce_by_key_impl_wrapped_configILNS1_25lookback_scan_determinismE0ES3_S9_PKS6_NS0_17constant_iteratorIjlEEPS6_PlSH_S8_NS0_8equal_toIS6_EEEE10hipError_tPvRmT2_T3_mT4_T5_T6_T7_T8_P12ihipStream_tbENKUlT_T0_E_clISt17integral_constantIbLb1EES11_EEDaSW_SX_EUlSW_E_NS1_11comp_targetILNS1_3genE10ELNS1_11target_archE1200ELNS1_3gpuE4ELNS1_3repE0EEENS1_30default_config_static_selectorELNS0_4arch9wavefront6targetE1EEEvT1_
		.amdhsa_group_segment_fixed_size 0
		.amdhsa_private_segment_fixed_size 0
		.amdhsa_kernarg_size 128
		.amdhsa_user_sgpr_count 2
		.amdhsa_user_sgpr_dispatch_ptr 0
		.amdhsa_user_sgpr_queue_ptr 0
		.amdhsa_user_sgpr_kernarg_segment_ptr 1
		.amdhsa_user_sgpr_dispatch_id 0
		.amdhsa_user_sgpr_kernarg_preload_length 0
		.amdhsa_user_sgpr_kernarg_preload_offset 0
		.amdhsa_user_sgpr_private_segment_size 0
		.amdhsa_uses_dynamic_stack 0
		.amdhsa_enable_private_segment 0
		.amdhsa_system_sgpr_workgroup_id_x 1
		.amdhsa_system_sgpr_workgroup_id_y 0
		.amdhsa_system_sgpr_workgroup_id_z 0
		.amdhsa_system_sgpr_workgroup_info 0
		.amdhsa_system_vgpr_workitem_id 0
		.amdhsa_next_free_vgpr 1
		.amdhsa_next_free_sgpr 0
		.amdhsa_accum_offset 4
		.amdhsa_reserve_vcc 0
		.amdhsa_float_round_mode_32 0
		.amdhsa_float_round_mode_16_64 0
		.amdhsa_float_denorm_mode_32 3
		.amdhsa_float_denorm_mode_16_64 3
		.amdhsa_dx10_clamp 1
		.amdhsa_ieee_mode 1
		.amdhsa_fp16_overflow 0
		.amdhsa_tg_split 0
		.amdhsa_exception_fp_ieee_invalid_op 0
		.amdhsa_exception_fp_denorm_src 0
		.amdhsa_exception_fp_ieee_div_zero 0
		.amdhsa_exception_fp_ieee_overflow 0
		.amdhsa_exception_fp_ieee_underflow 0
		.amdhsa_exception_fp_ieee_inexact 0
		.amdhsa_exception_int_div_zero 0
	.end_amdhsa_kernel
	.section	.text._ZN7rocprim17ROCPRIM_400000_NS6detail17trampoline_kernelINS0_14default_configENS1_33run_length_encode_config_selectorIN3c104HalfEjNS0_4plusIjEEEEZZNS1_33reduce_by_key_impl_wrapped_configILNS1_25lookback_scan_determinismE0ES3_S9_PKS6_NS0_17constant_iteratorIjlEEPS6_PlSH_S8_NS0_8equal_toIS6_EEEE10hipError_tPvRmT2_T3_mT4_T5_T6_T7_T8_P12ihipStream_tbENKUlT_T0_E_clISt17integral_constantIbLb1EES11_EEDaSW_SX_EUlSW_E_NS1_11comp_targetILNS1_3genE10ELNS1_11target_archE1200ELNS1_3gpuE4ELNS1_3repE0EEENS1_30default_config_static_selectorELNS0_4arch9wavefront6targetE1EEEvT1_,"axG",@progbits,_ZN7rocprim17ROCPRIM_400000_NS6detail17trampoline_kernelINS0_14default_configENS1_33run_length_encode_config_selectorIN3c104HalfEjNS0_4plusIjEEEEZZNS1_33reduce_by_key_impl_wrapped_configILNS1_25lookback_scan_determinismE0ES3_S9_PKS6_NS0_17constant_iteratorIjlEEPS6_PlSH_S8_NS0_8equal_toIS6_EEEE10hipError_tPvRmT2_T3_mT4_T5_T6_T7_T8_P12ihipStream_tbENKUlT_T0_E_clISt17integral_constantIbLb1EES11_EEDaSW_SX_EUlSW_E_NS1_11comp_targetILNS1_3genE10ELNS1_11target_archE1200ELNS1_3gpuE4ELNS1_3repE0EEENS1_30default_config_static_selectorELNS0_4arch9wavefront6targetE1EEEvT1_,comdat
.Lfunc_end940:
	.size	_ZN7rocprim17ROCPRIM_400000_NS6detail17trampoline_kernelINS0_14default_configENS1_33run_length_encode_config_selectorIN3c104HalfEjNS0_4plusIjEEEEZZNS1_33reduce_by_key_impl_wrapped_configILNS1_25lookback_scan_determinismE0ES3_S9_PKS6_NS0_17constant_iteratorIjlEEPS6_PlSH_S8_NS0_8equal_toIS6_EEEE10hipError_tPvRmT2_T3_mT4_T5_T6_T7_T8_P12ihipStream_tbENKUlT_T0_E_clISt17integral_constantIbLb1EES11_EEDaSW_SX_EUlSW_E_NS1_11comp_targetILNS1_3genE10ELNS1_11target_archE1200ELNS1_3gpuE4ELNS1_3repE0EEENS1_30default_config_static_selectorELNS0_4arch9wavefront6targetE1EEEvT1_, .Lfunc_end940-_ZN7rocprim17ROCPRIM_400000_NS6detail17trampoline_kernelINS0_14default_configENS1_33run_length_encode_config_selectorIN3c104HalfEjNS0_4plusIjEEEEZZNS1_33reduce_by_key_impl_wrapped_configILNS1_25lookback_scan_determinismE0ES3_S9_PKS6_NS0_17constant_iteratorIjlEEPS6_PlSH_S8_NS0_8equal_toIS6_EEEE10hipError_tPvRmT2_T3_mT4_T5_T6_T7_T8_P12ihipStream_tbENKUlT_T0_E_clISt17integral_constantIbLb1EES11_EEDaSW_SX_EUlSW_E_NS1_11comp_targetILNS1_3genE10ELNS1_11target_archE1200ELNS1_3gpuE4ELNS1_3repE0EEENS1_30default_config_static_selectorELNS0_4arch9wavefront6targetE1EEEvT1_
                                        ; -- End function
	.section	.AMDGPU.csdata,"",@progbits
; Kernel info:
; codeLenInByte = 0
; NumSgprs: 6
; NumVgprs: 0
; NumAgprs: 0
; TotalNumVgprs: 0
; ScratchSize: 0
; MemoryBound: 0
; FloatMode: 240
; IeeeMode: 1
; LDSByteSize: 0 bytes/workgroup (compile time only)
; SGPRBlocks: 0
; VGPRBlocks: 0
; NumSGPRsForWavesPerEU: 6
; NumVGPRsForWavesPerEU: 1
; AccumOffset: 4
; Occupancy: 8
; WaveLimiterHint : 0
; COMPUTE_PGM_RSRC2:SCRATCH_EN: 0
; COMPUTE_PGM_RSRC2:USER_SGPR: 2
; COMPUTE_PGM_RSRC2:TRAP_HANDLER: 0
; COMPUTE_PGM_RSRC2:TGID_X_EN: 1
; COMPUTE_PGM_RSRC2:TGID_Y_EN: 0
; COMPUTE_PGM_RSRC2:TGID_Z_EN: 0
; COMPUTE_PGM_RSRC2:TIDIG_COMP_CNT: 0
; COMPUTE_PGM_RSRC3_GFX90A:ACCUM_OFFSET: 0
; COMPUTE_PGM_RSRC3_GFX90A:TG_SPLIT: 0
	.section	.text._ZN7rocprim17ROCPRIM_400000_NS6detail17trampoline_kernelINS0_14default_configENS1_33run_length_encode_config_selectorIN3c104HalfEjNS0_4plusIjEEEEZZNS1_33reduce_by_key_impl_wrapped_configILNS1_25lookback_scan_determinismE0ES3_S9_PKS6_NS0_17constant_iteratorIjlEEPS6_PlSH_S8_NS0_8equal_toIS6_EEEE10hipError_tPvRmT2_T3_mT4_T5_T6_T7_T8_P12ihipStream_tbENKUlT_T0_E_clISt17integral_constantIbLb1EES11_EEDaSW_SX_EUlSW_E_NS1_11comp_targetILNS1_3genE9ELNS1_11target_archE1100ELNS1_3gpuE3ELNS1_3repE0EEENS1_30default_config_static_selectorELNS0_4arch9wavefront6targetE1EEEvT1_,"axG",@progbits,_ZN7rocprim17ROCPRIM_400000_NS6detail17trampoline_kernelINS0_14default_configENS1_33run_length_encode_config_selectorIN3c104HalfEjNS0_4plusIjEEEEZZNS1_33reduce_by_key_impl_wrapped_configILNS1_25lookback_scan_determinismE0ES3_S9_PKS6_NS0_17constant_iteratorIjlEEPS6_PlSH_S8_NS0_8equal_toIS6_EEEE10hipError_tPvRmT2_T3_mT4_T5_T6_T7_T8_P12ihipStream_tbENKUlT_T0_E_clISt17integral_constantIbLb1EES11_EEDaSW_SX_EUlSW_E_NS1_11comp_targetILNS1_3genE9ELNS1_11target_archE1100ELNS1_3gpuE3ELNS1_3repE0EEENS1_30default_config_static_selectorELNS0_4arch9wavefront6targetE1EEEvT1_,comdat
	.protected	_ZN7rocprim17ROCPRIM_400000_NS6detail17trampoline_kernelINS0_14default_configENS1_33run_length_encode_config_selectorIN3c104HalfEjNS0_4plusIjEEEEZZNS1_33reduce_by_key_impl_wrapped_configILNS1_25lookback_scan_determinismE0ES3_S9_PKS6_NS0_17constant_iteratorIjlEEPS6_PlSH_S8_NS0_8equal_toIS6_EEEE10hipError_tPvRmT2_T3_mT4_T5_T6_T7_T8_P12ihipStream_tbENKUlT_T0_E_clISt17integral_constantIbLb1EES11_EEDaSW_SX_EUlSW_E_NS1_11comp_targetILNS1_3genE9ELNS1_11target_archE1100ELNS1_3gpuE3ELNS1_3repE0EEENS1_30default_config_static_selectorELNS0_4arch9wavefront6targetE1EEEvT1_ ; -- Begin function _ZN7rocprim17ROCPRIM_400000_NS6detail17trampoline_kernelINS0_14default_configENS1_33run_length_encode_config_selectorIN3c104HalfEjNS0_4plusIjEEEEZZNS1_33reduce_by_key_impl_wrapped_configILNS1_25lookback_scan_determinismE0ES3_S9_PKS6_NS0_17constant_iteratorIjlEEPS6_PlSH_S8_NS0_8equal_toIS6_EEEE10hipError_tPvRmT2_T3_mT4_T5_T6_T7_T8_P12ihipStream_tbENKUlT_T0_E_clISt17integral_constantIbLb1EES11_EEDaSW_SX_EUlSW_E_NS1_11comp_targetILNS1_3genE9ELNS1_11target_archE1100ELNS1_3gpuE3ELNS1_3repE0EEENS1_30default_config_static_selectorELNS0_4arch9wavefront6targetE1EEEvT1_
	.globl	_ZN7rocprim17ROCPRIM_400000_NS6detail17trampoline_kernelINS0_14default_configENS1_33run_length_encode_config_selectorIN3c104HalfEjNS0_4plusIjEEEEZZNS1_33reduce_by_key_impl_wrapped_configILNS1_25lookback_scan_determinismE0ES3_S9_PKS6_NS0_17constant_iteratorIjlEEPS6_PlSH_S8_NS0_8equal_toIS6_EEEE10hipError_tPvRmT2_T3_mT4_T5_T6_T7_T8_P12ihipStream_tbENKUlT_T0_E_clISt17integral_constantIbLb1EES11_EEDaSW_SX_EUlSW_E_NS1_11comp_targetILNS1_3genE9ELNS1_11target_archE1100ELNS1_3gpuE3ELNS1_3repE0EEENS1_30default_config_static_selectorELNS0_4arch9wavefront6targetE1EEEvT1_
	.p2align	8
	.type	_ZN7rocprim17ROCPRIM_400000_NS6detail17trampoline_kernelINS0_14default_configENS1_33run_length_encode_config_selectorIN3c104HalfEjNS0_4plusIjEEEEZZNS1_33reduce_by_key_impl_wrapped_configILNS1_25lookback_scan_determinismE0ES3_S9_PKS6_NS0_17constant_iteratorIjlEEPS6_PlSH_S8_NS0_8equal_toIS6_EEEE10hipError_tPvRmT2_T3_mT4_T5_T6_T7_T8_P12ihipStream_tbENKUlT_T0_E_clISt17integral_constantIbLb1EES11_EEDaSW_SX_EUlSW_E_NS1_11comp_targetILNS1_3genE9ELNS1_11target_archE1100ELNS1_3gpuE3ELNS1_3repE0EEENS1_30default_config_static_selectorELNS0_4arch9wavefront6targetE1EEEvT1_,@function
_ZN7rocprim17ROCPRIM_400000_NS6detail17trampoline_kernelINS0_14default_configENS1_33run_length_encode_config_selectorIN3c104HalfEjNS0_4plusIjEEEEZZNS1_33reduce_by_key_impl_wrapped_configILNS1_25lookback_scan_determinismE0ES3_S9_PKS6_NS0_17constant_iteratorIjlEEPS6_PlSH_S8_NS0_8equal_toIS6_EEEE10hipError_tPvRmT2_T3_mT4_T5_T6_T7_T8_P12ihipStream_tbENKUlT_T0_E_clISt17integral_constantIbLb1EES11_EEDaSW_SX_EUlSW_E_NS1_11comp_targetILNS1_3genE9ELNS1_11target_archE1100ELNS1_3gpuE3ELNS1_3repE0EEENS1_30default_config_static_selectorELNS0_4arch9wavefront6targetE1EEEvT1_: ; @_ZN7rocprim17ROCPRIM_400000_NS6detail17trampoline_kernelINS0_14default_configENS1_33run_length_encode_config_selectorIN3c104HalfEjNS0_4plusIjEEEEZZNS1_33reduce_by_key_impl_wrapped_configILNS1_25lookback_scan_determinismE0ES3_S9_PKS6_NS0_17constant_iteratorIjlEEPS6_PlSH_S8_NS0_8equal_toIS6_EEEE10hipError_tPvRmT2_T3_mT4_T5_T6_T7_T8_P12ihipStream_tbENKUlT_T0_E_clISt17integral_constantIbLb1EES11_EEDaSW_SX_EUlSW_E_NS1_11comp_targetILNS1_3genE9ELNS1_11target_archE1100ELNS1_3gpuE3ELNS1_3repE0EEENS1_30default_config_static_selectorELNS0_4arch9wavefront6targetE1EEEvT1_
; %bb.0:
	.section	.rodata,"a",@progbits
	.p2align	6, 0x0
	.amdhsa_kernel _ZN7rocprim17ROCPRIM_400000_NS6detail17trampoline_kernelINS0_14default_configENS1_33run_length_encode_config_selectorIN3c104HalfEjNS0_4plusIjEEEEZZNS1_33reduce_by_key_impl_wrapped_configILNS1_25lookback_scan_determinismE0ES3_S9_PKS6_NS0_17constant_iteratorIjlEEPS6_PlSH_S8_NS0_8equal_toIS6_EEEE10hipError_tPvRmT2_T3_mT4_T5_T6_T7_T8_P12ihipStream_tbENKUlT_T0_E_clISt17integral_constantIbLb1EES11_EEDaSW_SX_EUlSW_E_NS1_11comp_targetILNS1_3genE9ELNS1_11target_archE1100ELNS1_3gpuE3ELNS1_3repE0EEENS1_30default_config_static_selectorELNS0_4arch9wavefront6targetE1EEEvT1_
		.amdhsa_group_segment_fixed_size 0
		.amdhsa_private_segment_fixed_size 0
		.amdhsa_kernarg_size 128
		.amdhsa_user_sgpr_count 2
		.amdhsa_user_sgpr_dispatch_ptr 0
		.amdhsa_user_sgpr_queue_ptr 0
		.amdhsa_user_sgpr_kernarg_segment_ptr 1
		.amdhsa_user_sgpr_dispatch_id 0
		.amdhsa_user_sgpr_kernarg_preload_length 0
		.amdhsa_user_sgpr_kernarg_preload_offset 0
		.amdhsa_user_sgpr_private_segment_size 0
		.amdhsa_uses_dynamic_stack 0
		.amdhsa_enable_private_segment 0
		.amdhsa_system_sgpr_workgroup_id_x 1
		.amdhsa_system_sgpr_workgroup_id_y 0
		.amdhsa_system_sgpr_workgroup_id_z 0
		.amdhsa_system_sgpr_workgroup_info 0
		.amdhsa_system_vgpr_workitem_id 0
		.amdhsa_next_free_vgpr 1
		.amdhsa_next_free_sgpr 0
		.amdhsa_accum_offset 4
		.amdhsa_reserve_vcc 0
		.amdhsa_float_round_mode_32 0
		.amdhsa_float_round_mode_16_64 0
		.amdhsa_float_denorm_mode_32 3
		.amdhsa_float_denorm_mode_16_64 3
		.amdhsa_dx10_clamp 1
		.amdhsa_ieee_mode 1
		.amdhsa_fp16_overflow 0
		.amdhsa_tg_split 0
		.amdhsa_exception_fp_ieee_invalid_op 0
		.amdhsa_exception_fp_denorm_src 0
		.amdhsa_exception_fp_ieee_div_zero 0
		.amdhsa_exception_fp_ieee_overflow 0
		.amdhsa_exception_fp_ieee_underflow 0
		.amdhsa_exception_fp_ieee_inexact 0
		.amdhsa_exception_int_div_zero 0
	.end_amdhsa_kernel
	.section	.text._ZN7rocprim17ROCPRIM_400000_NS6detail17trampoline_kernelINS0_14default_configENS1_33run_length_encode_config_selectorIN3c104HalfEjNS0_4plusIjEEEEZZNS1_33reduce_by_key_impl_wrapped_configILNS1_25lookback_scan_determinismE0ES3_S9_PKS6_NS0_17constant_iteratorIjlEEPS6_PlSH_S8_NS0_8equal_toIS6_EEEE10hipError_tPvRmT2_T3_mT4_T5_T6_T7_T8_P12ihipStream_tbENKUlT_T0_E_clISt17integral_constantIbLb1EES11_EEDaSW_SX_EUlSW_E_NS1_11comp_targetILNS1_3genE9ELNS1_11target_archE1100ELNS1_3gpuE3ELNS1_3repE0EEENS1_30default_config_static_selectorELNS0_4arch9wavefront6targetE1EEEvT1_,"axG",@progbits,_ZN7rocprim17ROCPRIM_400000_NS6detail17trampoline_kernelINS0_14default_configENS1_33run_length_encode_config_selectorIN3c104HalfEjNS0_4plusIjEEEEZZNS1_33reduce_by_key_impl_wrapped_configILNS1_25lookback_scan_determinismE0ES3_S9_PKS6_NS0_17constant_iteratorIjlEEPS6_PlSH_S8_NS0_8equal_toIS6_EEEE10hipError_tPvRmT2_T3_mT4_T5_T6_T7_T8_P12ihipStream_tbENKUlT_T0_E_clISt17integral_constantIbLb1EES11_EEDaSW_SX_EUlSW_E_NS1_11comp_targetILNS1_3genE9ELNS1_11target_archE1100ELNS1_3gpuE3ELNS1_3repE0EEENS1_30default_config_static_selectorELNS0_4arch9wavefront6targetE1EEEvT1_,comdat
.Lfunc_end941:
	.size	_ZN7rocprim17ROCPRIM_400000_NS6detail17trampoline_kernelINS0_14default_configENS1_33run_length_encode_config_selectorIN3c104HalfEjNS0_4plusIjEEEEZZNS1_33reduce_by_key_impl_wrapped_configILNS1_25lookback_scan_determinismE0ES3_S9_PKS6_NS0_17constant_iteratorIjlEEPS6_PlSH_S8_NS0_8equal_toIS6_EEEE10hipError_tPvRmT2_T3_mT4_T5_T6_T7_T8_P12ihipStream_tbENKUlT_T0_E_clISt17integral_constantIbLb1EES11_EEDaSW_SX_EUlSW_E_NS1_11comp_targetILNS1_3genE9ELNS1_11target_archE1100ELNS1_3gpuE3ELNS1_3repE0EEENS1_30default_config_static_selectorELNS0_4arch9wavefront6targetE1EEEvT1_, .Lfunc_end941-_ZN7rocprim17ROCPRIM_400000_NS6detail17trampoline_kernelINS0_14default_configENS1_33run_length_encode_config_selectorIN3c104HalfEjNS0_4plusIjEEEEZZNS1_33reduce_by_key_impl_wrapped_configILNS1_25lookback_scan_determinismE0ES3_S9_PKS6_NS0_17constant_iteratorIjlEEPS6_PlSH_S8_NS0_8equal_toIS6_EEEE10hipError_tPvRmT2_T3_mT4_T5_T6_T7_T8_P12ihipStream_tbENKUlT_T0_E_clISt17integral_constantIbLb1EES11_EEDaSW_SX_EUlSW_E_NS1_11comp_targetILNS1_3genE9ELNS1_11target_archE1100ELNS1_3gpuE3ELNS1_3repE0EEENS1_30default_config_static_selectorELNS0_4arch9wavefront6targetE1EEEvT1_
                                        ; -- End function
	.section	.AMDGPU.csdata,"",@progbits
; Kernel info:
; codeLenInByte = 0
; NumSgprs: 6
; NumVgprs: 0
; NumAgprs: 0
; TotalNumVgprs: 0
; ScratchSize: 0
; MemoryBound: 0
; FloatMode: 240
; IeeeMode: 1
; LDSByteSize: 0 bytes/workgroup (compile time only)
; SGPRBlocks: 0
; VGPRBlocks: 0
; NumSGPRsForWavesPerEU: 6
; NumVGPRsForWavesPerEU: 1
; AccumOffset: 4
; Occupancy: 8
; WaveLimiterHint : 0
; COMPUTE_PGM_RSRC2:SCRATCH_EN: 0
; COMPUTE_PGM_RSRC2:USER_SGPR: 2
; COMPUTE_PGM_RSRC2:TRAP_HANDLER: 0
; COMPUTE_PGM_RSRC2:TGID_X_EN: 1
; COMPUTE_PGM_RSRC2:TGID_Y_EN: 0
; COMPUTE_PGM_RSRC2:TGID_Z_EN: 0
; COMPUTE_PGM_RSRC2:TIDIG_COMP_CNT: 0
; COMPUTE_PGM_RSRC3_GFX90A:ACCUM_OFFSET: 0
; COMPUTE_PGM_RSRC3_GFX90A:TG_SPLIT: 0
	.section	.text._ZN7rocprim17ROCPRIM_400000_NS6detail17trampoline_kernelINS0_14default_configENS1_33run_length_encode_config_selectorIN3c104HalfEjNS0_4plusIjEEEEZZNS1_33reduce_by_key_impl_wrapped_configILNS1_25lookback_scan_determinismE0ES3_S9_PKS6_NS0_17constant_iteratorIjlEEPS6_PlSH_S8_NS0_8equal_toIS6_EEEE10hipError_tPvRmT2_T3_mT4_T5_T6_T7_T8_P12ihipStream_tbENKUlT_T0_E_clISt17integral_constantIbLb1EES11_EEDaSW_SX_EUlSW_E_NS1_11comp_targetILNS1_3genE8ELNS1_11target_archE1030ELNS1_3gpuE2ELNS1_3repE0EEENS1_30default_config_static_selectorELNS0_4arch9wavefront6targetE1EEEvT1_,"axG",@progbits,_ZN7rocprim17ROCPRIM_400000_NS6detail17trampoline_kernelINS0_14default_configENS1_33run_length_encode_config_selectorIN3c104HalfEjNS0_4plusIjEEEEZZNS1_33reduce_by_key_impl_wrapped_configILNS1_25lookback_scan_determinismE0ES3_S9_PKS6_NS0_17constant_iteratorIjlEEPS6_PlSH_S8_NS0_8equal_toIS6_EEEE10hipError_tPvRmT2_T3_mT4_T5_T6_T7_T8_P12ihipStream_tbENKUlT_T0_E_clISt17integral_constantIbLb1EES11_EEDaSW_SX_EUlSW_E_NS1_11comp_targetILNS1_3genE8ELNS1_11target_archE1030ELNS1_3gpuE2ELNS1_3repE0EEENS1_30default_config_static_selectorELNS0_4arch9wavefront6targetE1EEEvT1_,comdat
	.protected	_ZN7rocprim17ROCPRIM_400000_NS6detail17trampoline_kernelINS0_14default_configENS1_33run_length_encode_config_selectorIN3c104HalfEjNS0_4plusIjEEEEZZNS1_33reduce_by_key_impl_wrapped_configILNS1_25lookback_scan_determinismE0ES3_S9_PKS6_NS0_17constant_iteratorIjlEEPS6_PlSH_S8_NS0_8equal_toIS6_EEEE10hipError_tPvRmT2_T3_mT4_T5_T6_T7_T8_P12ihipStream_tbENKUlT_T0_E_clISt17integral_constantIbLb1EES11_EEDaSW_SX_EUlSW_E_NS1_11comp_targetILNS1_3genE8ELNS1_11target_archE1030ELNS1_3gpuE2ELNS1_3repE0EEENS1_30default_config_static_selectorELNS0_4arch9wavefront6targetE1EEEvT1_ ; -- Begin function _ZN7rocprim17ROCPRIM_400000_NS6detail17trampoline_kernelINS0_14default_configENS1_33run_length_encode_config_selectorIN3c104HalfEjNS0_4plusIjEEEEZZNS1_33reduce_by_key_impl_wrapped_configILNS1_25lookback_scan_determinismE0ES3_S9_PKS6_NS0_17constant_iteratorIjlEEPS6_PlSH_S8_NS0_8equal_toIS6_EEEE10hipError_tPvRmT2_T3_mT4_T5_T6_T7_T8_P12ihipStream_tbENKUlT_T0_E_clISt17integral_constantIbLb1EES11_EEDaSW_SX_EUlSW_E_NS1_11comp_targetILNS1_3genE8ELNS1_11target_archE1030ELNS1_3gpuE2ELNS1_3repE0EEENS1_30default_config_static_selectorELNS0_4arch9wavefront6targetE1EEEvT1_
	.globl	_ZN7rocprim17ROCPRIM_400000_NS6detail17trampoline_kernelINS0_14default_configENS1_33run_length_encode_config_selectorIN3c104HalfEjNS0_4plusIjEEEEZZNS1_33reduce_by_key_impl_wrapped_configILNS1_25lookback_scan_determinismE0ES3_S9_PKS6_NS0_17constant_iteratorIjlEEPS6_PlSH_S8_NS0_8equal_toIS6_EEEE10hipError_tPvRmT2_T3_mT4_T5_T6_T7_T8_P12ihipStream_tbENKUlT_T0_E_clISt17integral_constantIbLb1EES11_EEDaSW_SX_EUlSW_E_NS1_11comp_targetILNS1_3genE8ELNS1_11target_archE1030ELNS1_3gpuE2ELNS1_3repE0EEENS1_30default_config_static_selectorELNS0_4arch9wavefront6targetE1EEEvT1_
	.p2align	8
	.type	_ZN7rocprim17ROCPRIM_400000_NS6detail17trampoline_kernelINS0_14default_configENS1_33run_length_encode_config_selectorIN3c104HalfEjNS0_4plusIjEEEEZZNS1_33reduce_by_key_impl_wrapped_configILNS1_25lookback_scan_determinismE0ES3_S9_PKS6_NS0_17constant_iteratorIjlEEPS6_PlSH_S8_NS0_8equal_toIS6_EEEE10hipError_tPvRmT2_T3_mT4_T5_T6_T7_T8_P12ihipStream_tbENKUlT_T0_E_clISt17integral_constantIbLb1EES11_EEDaSW_SX_EUlSW_E_NS1_11comp_targetILNS1_3genE8ELNS1_11target_archE1030ELNS1_3gpuE2ELNS1_3repE0EEENS1_30default_config_static_selectorELNS0_4arch9wavefront6targetE1EEEvT1_,@function
_ZN7rocprim17ROCPRIM_400000_NS6detail17trampoline_kernelINS0_14default_configENS1_33run_length_encode_config_selectorIN3c104HalfEjNS0_4plusIjEEEEZZNS1_33reduce_by_key_impl_wrapped_configILNS1_25lookback_scan_determinismE0ES3_S9_PKS6_NS0_17constant_iteratorIjlEEPS6_PlSH_S8_NS0_8equal_toIS6_EEEE10hipError_tPvRmT2_T3_mT4_T5_T6_T7_T8_P12ihipStream_tbENKUlT_T0_E_clISt17integral_constantIbLb1EES11_EEDaSW_SX_EUlSW_E_NS1_11comp_targetILNS1_3genE8ELNS1_11target_archE1030ELNS1_3gpuE2ELNS1_3repE0EEENS1_30default_config_static_selectorELNS0_4arch9wavefront6targetE1EEEvT1_: ; @_ZN7rocprim17ROCPRIM_400000_NS6detail17trampoline_kernelINS0_14default_configENS1_33run_length_encode_config_selectorIN3c104HalfEjNS0_4plusIjEEEEZZNS1_33reduce_by_key_impl_wrapped_configILNS1_25lookback_scan_determinismE0ES3_S9_PKS6_NS0_17constant_iteratorIjlEEPS6_PlSH_S8_NS0_8equal_toIS6_EEEE10hipError_tPvRmT2_T3_mT4_T5_T6_T7_T8_P12ihipStream_tbENKUlT_T0_E_clISt17integral_constantIbLb1EES11_EEDaSW_SX_EUlSW_E_NS1_11comp_targetILNS1_3genE8ELNS1_11target_archE1030ELNS1_3gpuE2ELNS1_3repE0EEENS1_30default_config_static_selectorELNS0_4arch9wavefront6targetE1EEEvT1_
; %bb.0:
	.section	.rodata,"a",@progbits
	.p2align	6, 0x0
	.amdhsa_kernel _ZN7rocprim17ROCPRIM_400000_NS6detail17trampoline_kernelINS0_14default_configENS1_33run_length_encode_config_selectorIN3c104HalfEjNS0_4plusIjEEEEZZNS1_33reduce_by_key_impl_wrapped_configILNS1_25lookback_scan_determinismE0ES3_S9_PKS6_NS0_17constant_iteratorIjlEEPS6_PlSH_S8_NS0_8equal_toIS6_EEEE10hipError_tPvRmT2_T3_mT4_T5_T6_T7_T8_P12ihipStream_tbENKUlT_T0_E_clISt17integral_constantIbLb1EES11_EEDaSW_SX_EUlSW_E_NS1_11comp_targetILNS1_3genE8ELNS1_11target_archE1030ELNS1_3gpuE2ELNS1_3repE0EEENS1_30default_config_static_selectorELNS0_4arch9wavefront6targetE1EEEvT1_
		.amdhsa_group_segment_fixed_size 0
		.amdhsa_private_segment_fixed_size 0
		.amdhsa_kernarg_size 128
		.amdhsa_user_sgpr_count 2
		.amdhsa_user_sgpr_dispatch_ptr 0
		.amdhsa_user_sgpr_queue_ptr 0
		.amdhsa_user_sgpr_kernarg_segment_ptr 1
		.amdhsa_user_sgpr_dispatch_id 0
		.amdhsa_user_sgpr_kernarg_preload_length 0
		.amdhsa_user_sgpr_kernarg_preload_offset 0
		.amdhsa_user_sgpr_private_segment_size 0
		.amdhsa_uses_dynamic_stack 0
		.amdhsa_enable_private_segment 0
		.amdhsa_system_sgpr_workgroup_id_x 1
		.amdhsa_system_sgpr_workgroup_id_y 0
		.amdhsa_system_sgpr_workgroup_id_z 0
		.amdhsa_system_sgpr_workgroup_info 0
		.amdhsa_system_vgpr_workitem_id 0
		.amdhsa_next_free_vgpr 1
		.amdhsa_next_free_sgpr 0
		.amdhsa_accum_offset 4
		.amdhsa_reserve_vcc 0
		.amdhsa_float_round_mode_32 0
		.amdhsa_float_round_mode_16_64 0
		.amdhsa_float_denorm_mode_32 3
		.amdhsa_float_denorm_mode_16_64 3
		.amdhsa_dx10_clamp 1
		.amdhsa_ieee_mode 1
		.amdhsa_fp16_overflow 0
		.amdhsa_tg_split 0
		.amdhsa_exception_fp_ieee_invalid_op 0
		.amdhsa_exception_fp_denorm_src 0
		.amdhsa_exception_fp_ieee_div_zero 0
		.amdhsa_exception_fp_ieee_overflow 0
		.amdhsa_exception_fp_ieee_underflow 0
		.amdhsa_exception_fp_ieee_inexact 0
		.amdhsa_exception_int_div_zero 0
	.end_amdhsa_kernel
	.section	.text._ZN7rocprim17ROCPRIM_400000_NS6detail17trampoline_kernelINS0_14default_configENS1_33run_length_encode_config_selectorIN3c104HalfEjNS0_4plusIjEEEEZZNS1_33reduce_by_key_impl_wrapped_configILNS1_25lookback_scan_determinismE0ES3_S9_PKS6_NS0_17constant_iteratorIjlEEPS6_PlSH_S8_NS0_8equal_toIS6_EEEE10hipError_tPvRmT2_T3_mT4_T5_T6_T7_T8_P12ihipStream_tbENKUlT_T0_E_clISt17integral_constantIbLb1EES11_EEDaSW_SX_EUlSW_E_NS1_11comp_targetILNS1_3genE8ELNS1_11target_archE1030ELNS1_3gpuE2ELNS1_3repE0EEENS1_30default_config_static_selectorELNS0_4arch9wavefront6targetE1EEEvT1_,"axG",@progbits,_ZN7rocprim17ROCPRIM_400000_NS6detail17trampoline_kernelINS0_14default_configENS1_33run_length_encode_config_selectorIN3c104HalfEjNS0_4plusIjEEEEZZNS1_33reduce_by_key_impl_wrapped_configILNS1_25lookback_scan_determinismE0ES3_S9_PKS6_NS0_17constant_iteratorIjlEEPS6_PlSH_S8_NS0_8equal_toIS6_EEEE10hipError_tPvRmT2_T3_mT4_T5_T6_T7_T8_P12ihipStream_tbENKUlT_T0_E_clISt17integral_constantIbLb1EES11_EEDaSW_SX_EUlSW_E_NS1_11comp_targetILNS1_3genE8ELNS1_11target_archE1030ELNS1_3gpuE2ELNS1_3repE0EEENS1_30default_config_static_selectorELNS0_4arch9wavefront6targetE1EEEvT1_,comdat
.Lfunc_end942:
	.size	_ZN7rocprim17ROCPRIM_400000_NS6detail17trampoline_kernelINS0_14default_configENS1_33run_length_encode_config_selectorIN3c104HalfEjNS0_4plusIjEEEEZZNS1_33reduce_by_key_impl_wrapped_configILNS1_25lookback_scan_determinismE0ES3_S9_PKS6_NS0_17constant_iteratorIjlEEPS6_PlSH_S8_NS0_8equal_toIS6_EEEE10hipError_tPvRmT2_T3_mT4_T5_T6_T7_T8_P12ihipStream_tbENKUlT_T0_E_clISt17integral_constantIbLb1EES11_EEDaSW_SX_EUlSW_E_NS1_11comp_targetILNS1_3genE8ELNS1_11target_archE1030ELNS1_3gpuE2ELNS1_3repE0EEENS1_30default_config_static_selectorELNS0_4arch9wavefront6targetE1EEEvT1_, .Lfunc_end942-_ZN7rocprim17ROCPRIM_400000_NS6detail17trampoline_kernelINS0_14default_configENS1_33run_length_encode_config_selectorIN3c104HalfEjNS0_4plusIjEEEEZZNS1_33reduce_by_key_impl_wrapped_configILNS1_25lookback_scan_determinismE0ES3_S9_PKS6_NS0_17constant_iteratorIjlEEPS6_PlSH_S8_NS0_8equal_toIS6_EEEE10hipError_tPvRmT2_T3_mT4_T5_T6_T7_T8_P12ihipStream_tbENKUlT_T0_E_clISt17integral_constantIbLb1EES11_EEDaSW_SX_EUlSW_E_NS1_11comp_targetILNS1_3genE8ELNS1_11target_archE1030ELNS1_3gpuE2ELNS1_3repE0EEENS1_30default_config_static_selectorELNS0_4arch9wavefront6targetE1EEEvT1_
                                        ; -- End function
	.section	.AMDGPU.csdata,"",@progbits
; Kernel info:
; codeLenInByte = 0
; NumSgprs: 6
; NumVgprs: 0
; NumAgprs: 0
; TotalNumVgprs: 0
; ScratchSize: 0
; MemoryBound: 0
; FloatMode: 240
; IeeeMode: 1
; LDSByteSize: 0 bytes/workgroup (compile time only)
; SGPRBlocks: 0
; VGPRBlocks: 0
; NumSGPRsForWavesPerEU: 6
; NumVGPRsForWavesPerEU: 1
; AccumOffset: 4
; Occupancy: 8
; WaveLimiterHint : 0
; COMPUTE_PGM_RSRC2:SCRATCH_EN: 0
; COMPUTE_PGM_RSRC2:USER_SGPR: 2
; COMPUTE_PGM_RSRC2:TRAP_HANDLER: 0
; COMPUTE_PGM_RSRC2:TGID_X_EN: 1
; COMPUTE_PGM_RSRC2:TGID_Y_EN: 0
; COMPUTE_PGM_RSRC2:TGID_Z_EN: 0
; COMPUTE_PGM_RSRC2:TIDIG_COMP_CNT: 0
; COMPUTE_PGM_RSRC3_GFX90A:ACCUM_OFFSET: 0
; COMPUTE_PGM_RSRC3_GFX90A:TG_SPLIT: 0
	.section	.text._ZN7rocprim17ROCPRIM_400000_NS6detail17trampoline_kernelINS0_14default_configENS1_33run_length_encode_config_selectorIN3c104HalfEjNS0_4plusIjEEEEZZNS1_33reduce_by_key_impl_wrapped_configILNS1_25lookback_scan_determinismE0ES3_S9_PKS6_NS0_17constant_iteratorIjlEEPS6_PlSH_S8_NS0_8equal_toIS6_EEEE10hipError_tPvRmT2_T3_mT4_T5_T6_T7_T8_P12ihipStream_tbENKUlT_T0_E_clISt17integral_constantIbLb1EES10_IbLb0EEEEDaSW_SX_EUlSW_E_NS1_11comp_targetILNS1_3genE0ELNS1_11target_archE4294967295ELNS1_3gpuE0ELNS1_3repE0EEENS1_30default_config_static_selectorELNS0_4arch9wavefront6targetE1EEEvT1_,"axG",@progbits,_ZN7rocprim17ROCPRIM_400000_NS6detail17trampoline_kernelINS0_14default_configENS1_33run_length_encode_config_selectorIN3c104HalfEjNS0_4plusIjEEEEZZNS1_33reduce_by_key_impl_wrapped_configILNS1_25lookback_scan_determinismE0ES3_S9_PKS6_NS0_17constant_iteratorIjlEEPS6_PlSH_S8_NS0_8equal_toIS6_EEEE10hipError_tPvRmT2_T3_mT4_T5_T6_T7_T8_P12ihipStream_tbENKUlT_T0_E_clISt17integral_constantIbLb1EES10_IbLb0EEEEDaSW_SX_EUlSW_E_NS1_11comp_targetILNS1_3genE0ELNS1_11target_archE4294967295ELNS1_3gpuE0ELNS1_3repE0EEENS1_30default_config_static_selectorELNS0_4arch9wavefront6targetE1EEEvT1_,comdat
	.protected	_ZN7rocprim17ROCPRIM_400000_NS6detail17trampoline_kernelINS0_14default_configENS1_33run_length_encode_config_selectorIN3c104HalfEjNS0_4plusIjEEEEZZNS1_33reduce_by_key_impl_wrapped_configILNS1_25lookback_scan_determinismE0ES3_S9_PKS6_NS0_17constant_iteratorIjlEEPS6_PlSH_S8_NS0_8equal_toIS6_EEEE10hipError_tPvRmT2_T3_mT4_T5_T6_T7_T8_P12ihipStream_tbENKUlT_T0_E_clISt17integral_constantIbLb1EES10_IbLb0EEEEDaSW_SX_EUlSW_E_NS1_11comp_targetILNS1_3genE0ELNS1_11target_archE4294967295ELNS1_3gpuE0ELNS1_3repE0EEENS1_30default_config_static_selectorELNS0_4arch9wavefront6targetE1EEEvT1_ ; -- Begin function _ZN7rocprim17ROCPRIM_400000_NS6detail17trampoline_kernelINS0_14default_configENS1_33run_length_encode_config_selectorIN3c104HalfEjNS0_4plusIjEEEEZZNS1_33reduce_by_key_impl_wrapped_configILNS1_25lookback_scan_determinismE0ES3_S9_PKS6_NS0_17constant_iteratorIjlEEPS6_PlSH_S8_NS0_8equal_toIS6_EEEE10hipError_tPvRmT2_T3_mT4_T5_T6_T7_T8_P12ihipStream_tbENKUlT_T0_E_clISt17integral_constantIbLb1EES10_IbLb0EEEEDaSW_SX_EUlSW_E_NS1_11comp_targetILNS1_3genE0ELNS1_11target_archE4294967295ELNS1_3gpuE0ELNS1_3repE0EEENS1_30default_config_static_selectorELNS0_4arch9wavefront6targetE1EEEvT1_
	.globl	_ZN7rocprim17ROCPRIM_400000_NS6detail17trampoline_kernelINS0_14default_configENS1_33run_length_encode_config_selectorIN3c104HalfEjNS0_4plusIjEEEEZZNS1_33reduce_by_key_impl_wrapped_configILNS1_25lookback_scan_determinismE0ES3_S9_PKS6_NS0_17constant_iteratorIjlEEPS6_PlSH_S8_NS0_8equal_toIS6_EEEE10hipError_tPvRmT2_T3_mT4_T5_T6_T7_T8_P12ihipStream_tbENKUlT_T0_E_clISt17integral_constantIbLb1EES10_IbLb0EEEEDaSW_SX_EUlSW_E_NS1_11comp_targetILNS1_3genE0ELNS1_11target_archE4294967295ELNS1_3gpuE0ELNS1_3repE0EEENS1_30default_config_static_selectorELNS0_4arch9wavefront6targetE1EEEvT1_
	.p2align	8
	.type	_ZN7rocprim17ROCPRIM_400000_NS6detail17trampoline_kernelINS0_14default_configENS1_33run_length_encode_config_selectorIN3c104HalfEjNS0_4plusIjEEEEZZNS1_33reduce_by_key_impl_wrapped_configILNS1_25lookback_scan_determinismE0ES3_S9_PKS6_NS0_17constant_iteratorIjlEEPS6_PlSH_S8_NS0_8equal_toIS6_EEEE10hipError_tPvRmT2_T3_mT4_T5_T6_T7_T8_P12ihipStream_tbENKUlT_T0_E_clISt17integral_constantIbLb1EES10_IbLb0EEEEDaSW_SX_EUlSW_E_NS1_11comp_targetILNS1_3genE0ELNS1_11target_archE4294967295ELNS1_3gpuE0ELNS1_3repE0EEENS1_30default_config_static_selectorELNS0_4arch9wavefront6targetE1EEEvT1_,@function
_ZN7rocprim17ROCPRIM_400000_NS6detail17trampoline_kernelINS0_14default_configENS1_33run_length_encode_config_selectorIN3c104HalfEjNS0_4plusIjEEEEZZNS1_33reduce_by_key_impl_wrapped_configILNS1_25lookback_scan_determinismE0ES3_S9_PKS6_NS0_17constant_iteratorIjlEEPS6_PlSH_S8_NS0_8equal_toIS6_EEEE10hipError_tPvRmT2_T3_mT4_T5_T6_T7_T8_P12ihipStream_tbENKUlT_T0_E_clISt17integral_constantIbLb1EES10_IbLb0EEEEDaSW_SX_EUlSW_E_NS1_11comp_targetILNS1_3genE0ELNS1_11target_archE4294967295ELNS1_3gpuE0ELNS1_3repE0EEENS1_30default_config_static_selectorELNS0_4arch9wavefront6targetE1EEEvT1_: ; @_ZN7rocprim17ROCPRIM_400000_NS6detail17trampoline_kernelINS0_14default_configENS1_33run_length_encode_config_selectorIN3c104HalfEjNS0_4plusIjEEEEZZNS1_33reduce_by_key_impl_wrapped_configILNS1_25lookback_scan_determinismE0ES3_S9_PKS6_NS0_17constant_iteratorIjlEEPS6_PlSH_S8_NS0_8equal_toIS6_EEEE10hipError_tPvRmT2_T3_mT4_T5_T6_T7_T8_P12ihipStream_tbENKUlT_T0_E_clISt17integral_constantIbLb1EES10_IbLb0EEEEDaSW_SX_EUlSW_E_NS1_11comp_targetILNS1_3genE0ELNS1_11target_archE4294967295ELNS1_3gpuE0ELNS1_3repE0EEENS1_30default_config_static_selectorELNS0_4arch9wavefront6targetE1EEEvT1_
; %bb.0:
	.section	.rodata,"a",@progbits
	.p2align	6, 0x0
	.amdhsa_kernel _ZN7rocprim17ROCPRIM_400000_NS6detail17trampoline_kernelINS0_14default_configENS1_33run_length_encode_config_selectorIN3c104HalfEjNS0_4plusIjEEEEZZNS1_33reduce_by_key_impl_wrapped_configILNS1_25lookback_scan_determinismE0ES3_S9_PKS6_NS0_17constant_iteratorIjlEEPS6_PlSH_S8_NS0_8equal_toIS6_EEEE10hipError_tPvRmT2_T3_mT4_T5_T6_T7_T8_P12ihipStream_tbENKUlT_T0_E_clISt17integral_constantIbLb1EES10_IbLb0EEEEDaSW_SX_EUlSW_E_NS1_11comp_targetILNS1_3genE0ELNS1_11target_archE4294967295ELNS1_3gpuE0ELNS1_3repE0EEENS1_30default_config_static_selectorELNS0_4arch9wavefront6targetE1EEEvT1_
		.amdhsa_group_segment_fixed_size 0
		.amdhsa_private_segment_fixed_size 0
		.amdhsa_kernarg_size 128
		.amdhsa_user_sgpr_count 2
		.amdhsa_user_sgpr_dispatch_ptr 0
		.amdhsa_user_sgpr_queue_ptr 0
		.amdhsa_user_sgpr_kernarg_segment_ptr 1
		.amdhsa_user_sgpr_dispatch_id 0
		.amdhsa_user_sgpr_kernarg_preload_length 0
		.amdhsa_user_sgpr_kernarg_preload_offset 0
		.amdhsa_user_sgpr_private_segment_size 0
		.amdhsa_uses_dynamic_stack 0
		.amdhsa_enable_private_segment 0
		.amdhsa_system_sgpr_workgroup_id_x 1
		.amdhsa_system_sgpr_workgroup_id_y 0
		.amdhsa_system_sgpr_workgroup_id_z 0
		.amdhsa_system_sgpr_workgroup_info 0
		.amdhsa_system_vgpr_workitem_id 0
		.amdhsa_next_free_vgpr 1
		.amdhsa_next_free_sgpr 0
		.amdhsa_accum_offset 4
		.amdhsa_reserve_vcc 0
		.amdhsa_float_round_mode_32 0
		.amdhsa_float_round_mode_16_64 0
		.amdhsa_float_denorm_mode_32 3
		.amdhsa_float_denorm_mode_16_64 3
		.amdhsa_dx10_clamp 1
		.amdhsa_ieee_mode 1
		.amdhsa_fp16_overflow 0
		.amdhsa_tg_split 0
		.amdhsa_exception_fp_ieee_invalid_op 0
		.amdhsa_exception_fp_denorm_src 0
		.amdhsa_exception_fp_ieee_div_zero 0
		.amdhsa_exception_fp_ieee_overflow 0
		.amdhsa_exception_fp_ieee_underflow 0
		.amdhsa_exception_fp_ieee_inexact 0
		.amdhsa_exception_int_div_zero 0
	.end_amdhsa_kernel
	.section	.text._ZN7rocprim17ROCPRIM_400000_NS6detail17trampoline_kernelINS0_14default_configENS1_33run_length_encode_config_selectorIN3c104HalfEjNS0_4plusIjEEEEZZNS1_33reduce_by_key_impl_wrapped_configILNS1_25lookback_scan_determinismE0ES3_S9_PKS6_NS0_17constant_iteratorIjlEEPS6_PlSH_S8_NS0_8equal_toIS6_EEEE10hipError_tPvRmT2_T3_mT4_T5_T6_T7_T8_P12ihipStream_tbENKUlT_T0_E_clISt17integral_constantIbLb1EES10_IbLb0EEEEDaSW_SX_EUlSW_E_NS1_11comp_targetILNS1_3genE0ELNS1_11target_archE4294967295ELNS1_3gpuE0ELNS1_3repE0EEENS1_30default_config_static_selectorELNS0_4arch9wavefront6targetE1EEEvT1_,"axG",@progbits,_ZN7rocprim17ROCPRIM_400000_NS6detail17trampoline_kernelINS0_14default_configENS1_33run_length_encode_config_selectorIN3c104HalfEjNS0_4plusIjEEEEZZNS1_33reduce_by_key_impl_wrapped_configILNS1_25lookback_scan_determinismE0ES3_S9_PKS6_NS0_17constant_iteratorIjlEEPS6_PlSH_S8_NS0_8equal_toIS6_EEEE10hipError_tPvRmT2_T3_mT4_T5_T6_T7_T8_P12ihipStream_tbENKUlT_T0_E_clISt17integral_constantIbLb1EES10_IbLb0EEEEDaSW_SX_EUlSW_E_NS1_11comp_targetILNS1_3genE0ELNS1_11target_archE4294967295ELNS1_3gpuE0ELNS1_3repE0EEENS1_30default_config_static_selectorELNS0_4arch9wavefront6targetE1EEEvT1_,comdat
.Lfunc_end943:
	.size	_ZN7rocprim17ROCPRIM_400000_NS6detail17trampoline_kernelINS0_14default_configENS1_33run_length_encode_config_selectorIN3c104HalfEjNS0_4plusIjEEEEZZNS1_33reduce_by_key_impl_wrapped_configILNS1_25lookback_scan_determinismE0ES3_S9_PKS6_NS0_17constant_iteratorIjlEEPS6_PlSH_S8_NS0_8equal_toIS6_EEEE10hipError_tPvRmT2_T3_mT4_T5_T6_T7_T8_P12ihipStream_tbENKUlT_T0_E_clISt17integral_constantIbLb1EES10_IbLb0EEEEDaSW_SX_EUlSW_E_NS1_11comp_targetILNS1_3genE0ELNS1_11target_archE4294967295ELNS1_3gpuE0ELNS1_3repE0EEENS1_30default_config_static_selectorELNS0_4arch9wavefront6targetE1EEEvT1_, .Lfunc_end943-_ZN7rocprim17ROCPRIM_400000_NS6detail17trampoline_kernelINS0_14default_configENS1_33run_length_encode_config_selectorIN3c104HalfEjNS0_4plusIjEEEEZZNS1_33reduce_by_key_impl_wrapped_configILNS1_25lookback_scan_determinismE0ES3_S9_PKS6_NS0_17constant_iteratorIjlEEPS6_PlSH_S8_NS0_8equal_toIS6_EEEE10hipError_tPvRmT2_T3_mT4_T5_T6_T7_T8_P12ihipStream_tbENKUlT_T0_E_clISt17integral_constantIbLb1EES10_IbLb0EEEEDaSW_SX_EUlSW_E_NS1_11comp_targetILNS1_3genE0ELNS1_11target_archE4294967295ELNS1_3gpuE0ELNS1_3repE0EEENS1_30default_config_static_selectorELNS0_4arch9wavefront6targetE1EEEvT1_
                                        ; -- End function
	.section	.AMDGPU.csdata,"",@progbits
; Kernel info:
; codeLenInByte = 0
; NumSgprs: 6
; NumVgprs: 0
; NumAgprs: 0
; TotalNumVgprs: 0
; ScratchSize: 0
; MemoryBound: 0
; FloatMode: 240
; IeeeMode: 1
; LDSByteSize: 0 bytes/workgroup (compile time only)
; SGPRBlocks: 0
; VGPRBlocks: 0
; NumSGPRsForWavesPerEU: 6
; NumVGPRsForWavesPerEU: 1
; AccumOffset: 4
; Occupancy: 8
; WaveLimiterHint : 0
; COMPUTE_PGM_RSRC2:SCRATCH_EN: 0
; COMPUTE_PGM_RSRC2:USER_SGPR: 2
; COMPUTE_PGM_RSRC2:TRAP_HANDLER: 0
; COMPUTE_PGM_RSRC2:TGID_X_EN: 1
; COMPUTE_PGM_RSRC2:TGID_Y_EN: 0
; COMPUTE_PGM_RSRC2:TGID_Z_EN: 0
; COMPUTE_PGM_RSRC2:TIDIG_COMP_CNT: 0
; COMPUTE_PGM_RSRC3_GFX90A:ACCUM_OFFSET: 0
; COMPUTE_PGM_RSRC3_GFX90A:TG_SPLIT: 0
	.section	.text._ZN7rocprim17ROCPRIM_400000_NS6detail17trampoline_kernelINS0_14default_configENS1_33run_length_encode_config_selectorIN3c104HalfEjNS0_4plusIjEEEEZZNS1_33reduce_by_key_impl_wrapped_configILNS1_25lookback_scan_determinismE0ES3_S9_PKS6_NS0_17constant_iteratorIjlEEPS6_PlSH_S8_NS0_8equal_toIS6_EEEE10hipError_tPvRmT2_T3_mT4_T5_T6_T7_T8_P12ihipStream_tbENKUlT_T0_E_clISt17integral_constantIbLb1EES10_IbLb0EEEEDaSW_SX_EUlSW_E_NS1_11comp_targetILNS1_3genE5ELNS1_11target_archE942ELNS1_3gpuE9ELNS1_3repE0EEENS1_30default_config_static_selectorELNS0_4arch9wavefront6targetE1EEEvT1_,"axG",@progbits,_ZN7rocprim17ROCPRIM_400000_NS6detail17trampoline_kernelINS0_14default_configENS1_33run_length_encode_config_selectorIN3c104HalfEjNS0_4plusIjEEEEZZNS1_33reduce_by_key_impl_wrapped_configILNS1_25lookback_scan_determinismE0ES3_S9_PKS6_NS0_17constant_iteratorIjlEEPS6_PlSH_S8_NS0_8equal_toIS6_EEEE10hipError_tPvRmT2_T3_mT4_T5_T6_T7_T8_P12ihipStream_tbENKUlT_T0_E_clISt17integral_constantIbLb1EES10_IbLb0EEEEDaSW_SX_EUlSW_E_NS1_11comp_targetILNS1_3genE5ELNS1_11target_archE942ELNS1_3gpuE9ELNS1_3repE0EEENS1_30default_config_static_selectorELNS0_4arch9wavefront6targetE1EEEvT1_,comdat
	.protected	_ZN7rocprim17ROCPRIM_400000_NS6detail17trampoline_kernelINS0_14default_configENS1_33run_length_encode_config_selectorIN3c104HalfEjNS0_4plusIjEEEEZZNS1_33reduce_by_key_impl_wrapped_configILNS1_25lookback_scan_determinismE0ES3_S9_PKS6_NS0_17constant_iteratorIjlEEPS6_PlSH_S8_NS0_8equal_toIS6_EEEE10hipError_tPvRmT2_T3_mT4_T5_T6_T7_T8_P12ihipStream_tbENKUlT_T0_E_clISt17integral_constantIbLb1EES10_IbLb0EEEEDaSW_SX_EUlSW_E_NS1_11comp_targetILNS1_3genE5ELNS1_11target_archE942ELNS1_3gpuE9ELNS1_3repE0EEENS1_30default_config_static_selectorELNS0_4arch9wavefront6targetE1EEEvT1_ ; -- Begin function _ZN7rocprim17ROCPRIM_400000_NS6detail17trampoline_kernelINS0_14default_configENS1_33run_length_encode_config_selectorIN3c104HalfEjNS0_4plusIjEEEEZZNS1_33reduce_by_key_impl_wrapped_configILNS1_25lookback_scan_determinismE0ES3_S9_PKS6_NS0_17constant_iteratorIjlEEPS6_PlSH_S8_NS0_8equal_toIS6_EEEE10hipError_tPvRmT2_T3_mT4_T5_T6_T7_T8_P12ihipStream_tbENKUlT_T0_E_clISt17integral_constantIbLb1EES10_IbLb0EEEEDaSW_SX_EUlSW_E_NS1_11comp_targetILNS1_3genE5ELNS1_11target_archE942ELNS1_3gpuE9ELNS1_3repE0EEENS1_30default_config_static_selectorELNS0_4arch9wavefront6targetE1EEEvT1_
	.globl	_ZN7rocprim17ROCPRIM_400000_NS6detail17trampoline_kernelINS0_14default_configENS1_33run_length_encode_config_selectorIN3c104HalfEjNS0_4plusIjEEEEZZNS1_33reduce_by_key_impl_wrapped_configILNS1_25lookback_scan_determinismE0ES3_S9_PKS6_NS0_17constant_iteratorIjlEEPS6_PlSH_S8_NS0_8equal_toIS6_EEEE10hipError_tPvRmT2_T3_mT4_T5_T6_T7_T8_P12ihipStream_tbENKUlT_T0_E_clISt17integral_constantIbLb1EES10_IbLb0EEEEDaSW_SX_EUlSW_E_NS1_11comp_targetILNS1_3genE5ELNS1_11target_archE942ELNS1_3gpuE9ELNS1_3repE0EEENS1_30default_config_static_selectorELNS0_4arch9wavefront6targetE1EEEvT1_
	.p2align	8
	.type	_ZN7rocprim17ROCPRIM_400000_NS6detail17trampoline_kernelINS0_14default_configENS1_33run_length_encode_config_selectorIN3c104HalfEjNS0_4plusIjEEEEZZNS1_33reduce_by_key_impl_wrapped_configILNS1_25lookback_scan_determinismE0ES3_S9_PKS6_NS0_17constant_iteratorIjlEEPS6_PlSH_S8_NS0_8equal_toIS6_EEEE10hipError_tPvRmT2_T3_mT4_T5_T6_T7_T8_P12ihipStream_tbENKUlT_T0_E_clISt17integral_constantIbLb1EES10_IbLb0EEEEDaSW_SX_EUlSW_E_NS1_11comp_targetILNS1_3genE5ELNS1_11target_archE942ELNS1_3gpuE9ELNS1_3repE0EEENS1_30default_config_static_selectorELNS0_4arch9wavefront6targetE1EEEvT1_,@function
_ZN7rocprim17ROCPRIM_400000_NS6detail17trampoline_kernelINS0_14default_configENS1_33run_length_encode_config_selectorIN3c104HalfEjNS0_4plusIjEEEEZZNS1_33reduce_by_key_impl_wrapped_configILNS1_25lookback_scan_determinismE0ES3_S9_PKS6_NS0_17constant_iteratorIjlEEPS6_PlSH_S8_NS0_8equal_toIS6_EEEE10hipError_tPvRmT2_T3_mT4_T5_T6_T7_T8_P12ihipStream_tbENKUlT_T0_E_clISt17integral_constantIbLb1EES10_IbLb0EEEEDaSW_SX_EUlSW_E_NS1_11comp_targetILNS1_3genE5ELNS1_11target_archE942ELNS1_3gpuE9ELNS1_3repE0EEENS1_30default_config_static_selectorELNS0_4arch9wavefront6targetE1EEEvT1_: ; @_ZN7rocprim17ROCPRIM_400000_NS6detail17trampoline_kernelINS0_14default_configENS1_33run_length_encode_config_selectorIN3c104HalfEjNS0_4plusIjEEEEZZNS1_33reduce_by_key_impl_wrapped_configILNS1_25lookback_scan_determinismE0ES3_S9_PKS6_NS0_17constant_iteratorIjlEEPS6_PlSH_S8_NS0_8equal_toIS6_EEEE10hipError_tPvRmT2_T3_mT4_T5_T6_T7_T8_P12ihipStream_tbENKUlT_T0_E_clISt17integral_constantIbLb1EES10_IbLb0EEEEDaSW_SX_EUlSW_E_NS1_11comp_targetILNS1_3genE5ELNS1_11target_archE942ELNS1_3gpuE9ELNS1_3repE0EEENS1_30default_config_static_selectorELNS0_4arch9wavefront6targetE1EEEvT1_
; %bb.0:
	s_load_dwordx4 s[4:7], s[0:1], 0x0
	s_load_dword s3, s[0:1], 0x10
	s_load_dwordx8 s[36:43], s[0:1], 0x40
	s_load_dwordx4 s[44:47], s[0:1], 0x20
	s_load_dwordx2 s[34:35], s[0:1], 0x30
	s_load_dwordx2 s[52:53], s[0:1], 0x70
	s_load_dwordx4 s[48:51], s[0:1], 0x60
	s_waitcnt lgkmcnt(0)
	s_mul_i32 s0, s40, s39
	s_mul_hi_u32 s1, s40, s38
	s_add_i32 s0, s1, s0
	s_mul_i32 s1, s41, s38
	s_add_i32 s9, s0, s1
	s_lshl_b64 s[0:1], s[6:7], 1
	s_add_u32 s4, s4, s0
	s_addc_u32 s5, s5, s1
	s_mul_i32 s0, s2, 0xf00
	s_mov_b32 s1, 0
	s_lshl_b64 s[0:1], s[0:1], 1
	s_add_u32 s6, s4, s0
	s_mul_i32 s8, s40, s38
	s_addc_u32 s7, s5, s1
	s_add_u32 s8, s8, s2
	s_addc_u32 s9, s9, 0
	s_add_u32 s10, s42, -1
	s_addc_u32 s11, s43, -1
	s_cmp_eq_u64 s[8:9], s[10:11]
	s_cselect_b64 s[40:41], -1, 0
	s_cmp_lg_u64 s[8:9], s[10:11]
	s_mov_b64 s[4:5], -1
	s_cselect_b64 s[0:1], -1, 0
	s_mul_i32 s33, s10, 0xfffff100
	s_and_b64 vcc, exec, s[40:41]
	s_cbranch_vccnz .LBB944_2
; %bb.1:
	v_lshlrev_b32_e32 v2, 1, v0
	v_mov_b32_e32 v3, 0
	v_lshl_add_u64 v[4:5], s[6:7], 0, v[2:3]
	v_add_co_u32_e32 v4, vcc, 0x1000, v4
	global_load_ushort v1, v2, s[6:7]
	global_load_ushort v3, v2, s[6:7] offset:512
	global_load_ushort v12, v2, s[6:7] offset:1024
	;; [unrolled: 1-line block ×7, first 2 shown]
	v_addc_co_u32_e32 v5, vcc, 0, v5, vcc
	global_load_ushort v19, v[4:5], off
	global_load_ushort v20, v[4:5], off offset:512
	global_load_ushort v21, v[4:5], off offset:1024
	global_load_ushort v22, v[4:5], off offset:1536
	global_load_ushort v23, v[4:5], off offset:2048
	global_load_ushort v25, v[4:5], off offset:2560
	global_load_ushort v26, v[4:5], off offset:3072
	v_mad_u32_u24 v28, v0, 28, v2
	s_movk_i32 s4, 0xffe6
	v_mul_u32_u24_e32 v6, 15, v0
	v_mad_u32_u24 v7, v0, 15, 1
	v_mad_u32_u24 v11, v0, 15, 3
	;; [unrolled: 1-line block ×7, first 2 shown]
	v_mov_b32_e32 v27, s3
	v_mad_i32_i24 v29, v0, s4, v28
	s_waitcnt vmcnt(14)
	ds_write_b16 v2, v1
	s_waitcnt vmcnt(13)
	ds_write_b16 v2, v3 offset:512
	s_waitcnt vmcnt(12)
	ds_write_b16 v2, v12 offset:1024
	;; [unrolled: 2-line block ×14, first 2 shown]
	s_waitcnt lgkmcnt(0)
	s_barrier
	ds_read_u16 v1, v28
	ds_read_b128 v[2:5], v28 offset:2
	ds_read_b96 v[12:14], v28 offset:18
	s_waitcnt lgkmcnt(0)
	s_barrier
	ds_write2st64_b32 v29, v27, v27 offset1:4
	ds_write2st64_b32 v29, v27, v27 offset0:8 offset1:12
	ds_write2st64_b32 v29, v27, v27 offset0:16 offset1:20
	;; [unrolled: 1-line block ×6, first 2 shown]
	ds_write_b32 v29, v27 offset:14336
	s_waitcnt lgkmcnt(0)
	s_barrier
	s_add_i32 s33, s33, s48
	s_cbranch_execz .LBB944_3
	s_branch .LBB944_34
.LBB944_2:
                                        ; implicit-def: $vgpr2
                                        ; implicit-def: $vgpr12
                                        ; implicit-def: $vgpr15
                                        ; implicit-def: $vgpr24
                                        ; implicit-def: $vgpr8
                                        ; implicit-def: $vgpr9
                                        ; implicit-def: $vgpr10
                                        ; implicit-def: $vgpr11
                                        ; implicit-def: $vgpr7
                                        ; implicit-def: $vgpr6
                                        ; implicit-def: $vgpr1
	s_andn2_b64 vcc, exec, s[4:5]
	s_add_i32 s33, s33, s48
	s_cbranch_vccnz .LBB944_34
.LBB944_3:
	v_cmp_gt_u32_e32 vcc, s33, v0
                                        ; implicit-def: $vgpr1
	s_and_saveexec_b64 s[4:5], vcc
	s_cbranch_execz .LBB944_5
; %bb.4:
	v_lshlrev_b32_e32 v1, 1, v0
	global_load_ushort v1, v1, s[6:7]
.LBB944_5:
	s_or_b64 exec, exec, s[4:5]
	v_or_b32_e32 v2, 0x100, v0
	v_cmp_gt_u32_e32 vcc, s33, v2
                                        ; implicit-def: $vgpr2
	s_and_saveexec_b64 s[4:5], vcc
	s_cbranch_execz .LBB944_7
; %bb.6:
	v_lshlrev_b32_e32 v2, 1, v0
	global_load_ushort v2, v2, s[6:7] offset:512
.LBB944_7:
	s_or_b64 exec, exec, s[4:5]
	v_or_b32_e32 v3, 0x200, v0
	v_cmp_gt_u32_e32 vcc, s33, v3
                                        ; implicit-def: $vgpr3
	s_and_saveexec_b64 s[4:5], vcc
	s_cbranch_execz .LBB944_9
; %bb.8:
	v_lshlrev_b32_e32 v3, 1, v0
	global_load_ushort v3, v3, s[6:7] offset:1024
.LBB944_9:
	s_or_b64 exec, exec, s[4:5]
	v_or_b32_e32 v4, 0x300, v0
	v_cmp_gt_u32_e32 vcc, s33, v4
                                        ; implicit-def: $vgpr4
	s_and_saveexec_b64 s[4:5], vcc
	s_cbranch_execz .LBB944_11
; %bb.10:
	v_lshlrev_b32_e32 v4, 1, v0
	global_load_ushort v4, v4, s[6:7] offset:1536
.LBB944_11:
	s_or_b64 exec, exec, s[4:5]
	v_or_b32_e32 v5, 0x400, v0
	v_cmp_gt_u32_e32 vcc, s33, v5
                                        ; implicit-def: $vgpr5
	s_and_saveexec_b64 s[4:5], vcc
	s_cbranch_execz .LBB944_13
; %bb.12:
	v_lshlrev_b32_e32 v5, 1, v0
	global_load_ushort v5, v5, s[6:7] offset:2048
.LBB944_13:
	s_or_b64 exec, exec, s[4:5]
	v_or_b32_e32 v6, 0x500, v0
	v_cmp_gt_u32_e32 vcc, s33, v6
                                        ; implicit-def: $vgpr6
	s_and_saveexec_b64 s[4:5], vcc
	s_cbranch_execz .LBB944_15
; %bb.14:
	v_lshlrev_b32_e32 v6, 1, v0
	global_load_ushort v6, v6, s[6:7] offset:2560
.LBB944_15:
	s_or_b64 exec, exec, s[4:5]
	v_or_b32_e32 v7, 0x600, v0
	v_cmp_gt_u32_e32 vcc, s33, v7
                                        ; implicit-def: $vgpr7
	s_and_saveexec_b64 s[4:5], vcc
	s_cbranch_execz .LBB944_17
; %bb.16:
	v_lshlrev_b32_e32 v7, 1, v0
	global_load_ushort v7, v7, s[6:7] offset:3072
.LBB944_17:
	s_or_b64 exec, exec, s[4:5]
	v_or_b32_e32 v8, 0x700, v0
	v_cmp_gt_u32_e32 vcc, s33, v8
                                        ; implicit-def: $vgpr8
	s_and_saveexec_b64 s[4:5], vcc
	s_cbranch_execz .LBB944_19
; %bb.18:
	v_lshlrev_b32_e32 v8, 1, v0
	global_load_ushort v8, v8, s[6:7] offset:3584
.LBB944_19:
	s_or_b64 exec, exec, s[4:5]
	v_or_b32_e32 v10, 0x800, v0
	v_cmp_gt_u32_e32 vcc, s33, v10
                                        ; implicit-def: $vgpr9
	s_and_saveexec_b64 s[4:5], vcc
	s_cbranch_execz .LBB944_21
; %bb.20:
	v_lshlrev_b32_e32 v9, 1, v10
	global_load_ushort v9, v9, s[6:7]
.LBB944_21:
	s_or_b64 exec, exec, s[4:5]
	v_or_b32_e32 v11, 0x900, v0
	v_cmp_gt_u32_e32 vcc, s33, v11
                                        ; implicit-def: $vgpr10
	s_and_saveexec_b64 s[4:5], vcc
	s_cbranch_execz .LBB944_23
; %bb.22:
	v_lshlrev_b32_e32 v10, 1, v11
	global_load_ushort v10, v10, s[6:7]
.LBB944_23:
	s_or_b64 exec, exec, s[4:5]
	v_or_b32_e32 v12, 0xa00, v0
	v_cmp_gt_u32_e32 vcc, s33, v12
                                        ; implicit-def: $vgpr11
	s_and_saveexec_b64 s[4:5], vcc
	s_cbranch_execz .LBB944_25
; %bb.24:
	v_lshlrev_b32_e32 v11, 1, v12
	global_load_ushort v11, v11, s[6:7]
.LBB944_25:
	s_or_b64 exec, exec, s[4:5]
	v_or_b32_e32 v13, 0xb00, v0
	v_cmp_gt_u32_e32 vcc, s33, v13
                                        ; implicit-def: $vgpr12
	s_and_saveexec_b64 s[4:5], vcc
	s_cbranch_execz .LBB944_27
; %bb.26:
	v_lshlrev_b32_e32 v12, 1, v13
	global_load_ushort v12, v12, s[6:7]
.LBB944_27:
	s_or_b64 exec, exec, s[4:5]
	v_or_b32_e32 v14, 0xc00, v0
	v_cmp_gt_u32_e32 vcc, s33, v14
                                        ; implicit-def: $vgpr13
	s_and_saveexec_b64 s[4:5], vcc
	s_cbranch_execz .LBB944_29
; %bb.28:
	v_lshlrev_b32_e32 v13, 1, v14
	global_load_ushort v13, v13, s[6:7]
.LBB944_29:
	s_or_b64 exec, exec, s[4:5]
	v_or_b32_e32 v15, 0xd00, v0
	v_cmp_gt_u32_e32 vcc, s33, v15
                                        ; implicit-def: $vgpr14
	s_and_saveexec_b64 s[4:5], vcc
	s_cbranch_execz .LBB944_31
; %bb.30:
	v_lshlrev_b32_e32 v14, 1, v15
	global_load_ushort v14, v14, s[6:7]
.LBB944_31:
	s_or_b64 exec, exec, s[4:5]
	v_or_b32_e32 v16, 0xe00, v0
	v_cmp_gt_u32_e32 vcc, s33, v16
                                        ; implicit-def: $vgpr15
	s_and_saveexec_b64 s[4:5], vcc
	s_cbranch_execz .LBB944_33
; %bb.32:
	v_lshlrev_b32_e32 v15, 1, v16
	global_load_ushort v15, v15, s[6:7]
.LBB944_33:
	s_or_b64 exec, exec, s[4:5]
	v_lshlrev_b32_e32 v16, 1, v0
	s_waitcnt vmcnt(0)
	ds_write_b16 v16, v1
	ds_write_b16 v16, v2 offset:512
	ds_write_b16 v16, v3 offset:1024
	;; [unrolled: 1-line block ×14, first 2 shown]
	v_mad_u32_u24 v16, v0, 28, v16
	s_waitcnt lgkmcnt(0)
	s_barrier
	ds_read_u16 v1, v16
	ds_read_b128 v[2:5], v16 offset:2
	ds_read_b96 v[12:14], v16 offset:18
	s_movk_i32 s4, 0xffe6
	v_mul_u32_u24_e32 v6, 15, v0
	v_mad_u32_u24 v7, v0, 15, 1
	v_mad_u32_u24 v11, v0, 15, 3
	;; [unrolled: 1-line block ×7, first 2 shown]
	v_mad_i32_i24 v16, v0, s4, v16
	v_mov_b32_e32 v17, s3
	s_waitcnt lgkmcnt(0)
	s_barrier
	ds_write2st64_b32 v16, v17, v17 offset1:4
	ds_write2st64_b32 v16, v17, v17 offset0:8 offset1:12
	ds_write2st64_b32 v16, v17, v17 offset0:16 offset1:20
	ds_write2st64_b32 v16, v17, v17 offset0:24 offset1:28
	ds_write2st64_b32 v16, v17, v17 offset0:32 offset1:36
	ds_write2st64_b32 v16, v17, v17 offset0:40 offset1:44
	ds_write2st64_b32 v16, v17, v17 offset0:48 offset1:52
	ds_write_b32 v16, v17 offset:14336
	s_waitcnt lgkmcnt(0)
	s_barrier
.LBB944_34:
	v_lshlrev_b32_e32 v6, 2, v6
	ds_read2_b32 v[22:23], v6 offset1:2
	ds_read2_b32 v[20:21], v6 offset0:4 offset1:6
	ds_read2_b32 v[18:19], v6 offset0:8 offset1:10
	;; [unrolled: 1-line block ×3, first 2 shown]
	v_lshlrev_b32_e32 v6, 2, v7
	v_lshlrev_b32_e32 v7, 2, v11
	;; [unrolled: 1-line block ×7, first 2 shown]
	ds_read_b32 v76, v6
	ds_read_b32 v75, v7
	;; [unrolled: 1-line block ×7, first 2 shown]
	s_cmp_eq_u64 s[8:9], 0
	s_cselect_b64 s[42:43], -1, 0
	s_cmp_lg_u64 s[8:9], 0
	s_mov_b64 s[4:5], 0
	s_cselect_b64 s[10:11], -1, 0
	s_and_b64 vcc, exec, s[0:1]
	s_waitcnt lgkmcnt(0)
	s_barrier
	s_cbranch_vccz .LBB944_40
; %bb.35:
	s_and_b64 vcc, exec, s[10:11]
	s_cbranch_vccz .LBB944_41
; %bb.36:
	v_mov_b32_e32 v6, 0
	global_load_ushort v6, v6, s[6:7] offset:-2
	v_lshrrev_b32_e32 v8, 16, v14
	v_lshlrev_b32_e32 v7, 1, v0
	v_cmp_neq_f16_e32 vcc, v14, v8
	v_cmp_neq_f16_sdwa s[12:13], v13, v14 src0_sel:WORD_1 src1_sel:DWORD
	v_cmp_neq_f16_sdwa s[14:15], v13, v13 src0_sel:DWORD src1_sel:WORD_1
	v_cmp_neq_f16_sdwa s[16:17], v12, v13 src0_sel:WORD_1 src1_sel:DWORD
	v_cmp_neq_f16_sdwa s[18:19], v12, v12 src0_sel:DWORD src1_sel:WORD_1
	;; [unrolled: 2-line block ×6, first 2 shown]
	v_cmp_neq_f16_e64 s[0:1], v1, v2
	v_cmp_ne_u32_e64 s[4:5], 0, v0
	ds_write_b16 v7, v8
	s_waitcnt lgkmcnt(0)
	s_barrier
	s_and_saveexec_b64 s[58:59], s[4:5]
	s_cbranch_execz .LBB944_38
; %bb.37:
	s_waitcnt vmcnt(0)
	v_add_u32_e32 v6, -2, v7
	ds_read_u16 v6, v6
.LBB944_38:
	s_or_b64 exec, exec, s[58:59]
	v_cndmask_b32_e64 v15, 0, 1, vcc
	v_cndmask_b32_e64 v56, 0, 1, s[12:13]
	v_cndmask_b32_e64 v57, 0, 1, s[14:15]
	;; [unrolled: 1-line block ×13, first 2 shown]
	s_waitcnt vmcnt(0) lgkmcnt(0)
	v_cmp_neq_f16_e64 s[0:1], v1, v6
	s_mov_b64 s[4:5], -1
.LBB944_39:
                                        ; implicit-def: $sgpr3
	s_branch .LBB944_53
.LBB944_40:
                                        ; implicit-def: $sgpr0_sgpr1
                                        ; implicit-def: $vgpr15
                                        ; implicit-def: $vgpr56
                                        ; implicit-def: $vgpr57
                                        ; implicit-def: $vgpr58
                                        ; implicit-def: $vgpr59
                                        ; implicit-def: $vgpr60
                                        ; implicit-def: $vgpr61
                                        ; implicit-def: $vgpr62
                                        ; implicit-def: $vgpr63
                                        ; implicit-def: $vgpr64
                                        ; implicit-def: $vgpr65
                                        ; implicit-def: $vgpr66
                                        ; implicit-def: $vgpr67
                                        ; implicit-def: $vgpr68
                                        ; implicit-def: $sgpr3
	s_cbranch_execnz .LBB944_45
	s_branch .LBB944_53
.LBB944_41:
                                        ; implicit-def: $sgpr0_sgpr1
                                        ; implicit-def: $vgpr15
                                        ; implicit-def: $vgpr56
                                        ; implicit-def: $vgpr57
                                        ; implicit-def: $vgpr58
                                        ; implicit-def: $vgpr59
                                        ; implicit-def: $vgpr60
                                        ; implicit-def: $vgpr61
                                        ; implicit-def: $vgpr62
                                        ; implicit-def: $vgpr63
                                        ; implicit-def: $vgpr64
                                        ; implicit-def: $vgpr65
                                        ; implicit-def: $vgpr66
                                        ; implicit-def: $vgpr67
                                        ; implicit-def: $vgpr68
	s_cbranch_execz .LBB944_39
; %bb.42:
	v_cmp_neq_f16_sdwa s[0:1], v13, v14 src0_sel:WORD_1 src1_sel:DWORD
	v_lshrrev_b32_e32 v7, 16, v14
	v_cmp_neq_f16_e32 vcc, v14, v7
	v_cndmask_b32_e64 v56, 0, 1, s[0:1]
	v_cmp_neq_f16_sdwa s[0:1], v13, v13 src0_sel:DWORD src1_sel:WORD_1
	v_cndmask_b32_e64 v15, 0, 1, vcc
	v_cmp_neq_f16_e32 vcc, v1, v2
	v_cndmask_b32_e64 v57, 0, 1, s[0:1]
	v_cmp_neq_f16_sdwa s[0:1], v12, v13 src0_sel:WORD_1 src1_sel:DWORD
	s_mov_b32 s3, 1
	v_lshlrev_b32_e32 v6, 1, v0
	v_cndmask_b32_e64 v58, 0, 1, s[0:1]
	v_cmp_neq_f16_sdwa s[0:1], v12, v12 src0_sel:DWORD src1_sel:WORD_1
	v_cndmask_b32_e64 v68, 0, 1, vcc
	v_cmp_ne_u32_e32 vcc, 0, v0
	v_cndmask_b32_e64 v59, 0, 1, s[0:1]
	v_cmp_neq_f16_sdwa s[0:1], v5, v12 src0_sel:WORD_1 src1_sel:DWORD
	ds_write_b16 v6, v7
	s_waitcnt lgkmcnt(0)
	v_cndmask_b32_e64 v60, 0, 1, s[0:1]
	v_cmp_neq_f16_sdwa s[0:1], v5, v5 src0_sel:DWORD src1_sel:WORD_1
	s_barrier
	s_nop 0
	v_cndmask_b32_e64 v61, 0, 1, s[0:1]
	v_cmp_neq_f16_sdwa s[0:1], v4, v5 src0_sel:WORD_1 src1_sel:DWORD
	s_nop 1
	v_cndmask_b32_e64 v62, 0, 1, s[0:1]
	v_cmp_neq_f16_sdwa s[0:1], v4, v4 src0_sel:DWORD src1_sel:WORD_1
	s_nop 1
	v_cndmask_b32_e64 v63, 0, 1, s[0:1]
	v_cmp_neq_f16_sdwa s[0:1], v3, v4 src0_sel:WORD_1 src1_sel:DWORD
	s_nop 1
	v_cndmask_b32_e64 v64, 0, 1, s[0:1]
	v_cmp_neq_f16_sdwa s[0:1], v3, v3 src0_sel:DWORD src1_sel:WORD_1
	;; [unrolled: 6-line block ×3, first 2 shown]
	s_nop 1
	v_cndmask_b32_e64 v67, 0, 1, s[0:1]
                                        ; implicit-def: $sgpr0_sgpr1
	s_and_saveexec_b64 s[12:13], vcc
	s_xor_b64 s[12:13], exec, s[12:13]
	s_cbranch_execz .LBB944_44
; %bb.43:
	v_add_u32_e32 v6, -2, v6
	ds_read_u16 v6, v6
	s_or_b64 s[4:5], s[4:5], exec
	s_waitcnt lgkmcnt(0)
	v_cmp_neq_f16_e32 vcc, v6, v1
	s_and_b64 s[0:1], vcc, exec
.LBB944_44:
	s_or_b64 exec, exec, s[12:13]
	s_branch .LBB944_53
.LBB944_45:
	s_mul_hi_u32 s1, s8, 0xfffff100
	s_mul_i32 s0, s9, 0xfffff100
	s_sub_i32 s1, s1, s8
	s_add_i32 s1, s1, s0
	s_mul_i32 s0, s8, 0xfffff100
	s_add_u32 s8, s0, s48
	s_addc_u32 s9, s1, s49
	s_and_b64 vcc, exec, s[10:11]
	s_cbranch_vccz .LBB944_50
; %bb.46:
	v_mov_b32_e32 v7, 0
	global_load_ushort v10, v7, s[6:7] offset:-2
	v_lshrrev_b32_e32 v11, 16, v14
	v_mad_u32_u24 v6, v0, 15, 14
	v_cmp_gt_u64_e32 vcc, s[8:9], v[6:7]
	v_cmp_neq_f16_e64 s[0:1], v14, v11
	v_mad_u32_u24 v6, v0, 15, 13
	s_and_b64 s[4:5], vcc, s[0:1]
	v_cmp_gt_u64_e32 vcc, s[8:9], v[6:7]
	v_cmp_neq_f16_sdwa s[0:1], v13, v14 src0_sel:WORD_1 src1_sel:DWORD
	v_mad_u32_u24 v6, v0, 15, 12
	s_and_b64 s[6:7], vcc, s[0:1]
	v_cmp_gt_u64_e32 vcc, s[8:9], v[6:7]
	v_cmp_neq_f16_sdwa s[0:1], v13, v13 src0_sel:DWORD src1_sel:WORD_1
	v_mad_u32_u24 v6, v0, 15, 11
	s_and_b64 s[10:11], vcc, s[0:1]
	v_cmp_gt_u64_e32 vcc, s[8:9], v[6:7]
	v_cmp_neq_f16_sdwa s[0:1], v12, v13 src0_sel:WORD_1 src1_sel:DWORD
	v_mad_u32_u24 v6, v0, 15, 10
	s_and_b64 s[12:13], vcc, s[0:1]
	v_cmp_gt_u64_e32 vcc, s[8:9], v[6:7]
	v_cmp_neq_f16_sdwa s[0:1], v12, v12 src0_sel:DWORD src1_sel:WORD_1
	;; [unrolled: 8-line block ×6, first 2 shown]
	v_mad_u32_u24 v6, v0, 15, 1
	s_and_b64 s[30:31], vcc, s[0:1]
	v_cmp_gt_u64_e32 vcc, s[8:9], v[6:7]
	v_cmp_neq_f16_e64 s[0:1], v1, v2
	v_lshlrev_b32_e32 v9, 1, v0
	v_mul_u32_u24_e32 v8, 15, v0
	s_and_b64 s[0:1], vcc, s[0:1]
	v_cmp_ne_u32_e32 vcc, 0, v0
	ds_write_b16 v9, v11
	s_waitcnt lgkmcnt(0)
	s_barrier
	s_and_saveexec_b64 s[48:49], vcc
	s_cbranch_execz .LBB944_48
; %bb.47:
	v_add_u32_e32 v6, -2, v9
	s_waitcnt vmcnt(0)
	ds_read_u16 v10, v6
.LBB944_48:
	s_or_b64 exec, exec, s[48:49]
	v_mov_b32_e32 v9, v7
	v_cndmask_b32_e64 v68, 0, 1, s[0:1]
	v_cmp_gt_u64_e32 vcc, s[8:9], v[8:9]
	s_waitcnt vmcnt(0) lgkmcnt(0)
	v_cmp_neq_f16_e64 s[0:1], v1, v10
	v_cndmask_b32_e64 v15, 0, 1, s[4:5]
	v_cndmask_b32_e64 v56, 0, 1, s[6:7]
	;; [unrolled: 1-line block ×13, first 2 shown]
	s_and_b64 s[0:1], vcc, s[0:1]
	s_mov_b64 s[4:5], -1
.LBB944_49:
                                        ; implicit-def: $sgpr3
	v_mov_b32_e32 v69, s3
	s_and_saveexec_b64 s[6:7], s[4:5]
	s_cbranch_execnz .LBB944_54
	s_branch .LBB944_55
.LBB944_50:
                                        ; implicit-def: $sgpr0_sgpr1
                                        ; implicit-def: $vgpr15
                                        ; implicit-def: $vgpr56
                                        ; implicit-def: $vgpr57
                                        ; implicit-def: $vgpr58
                                        ; implicit-def: $vgpr59
                                        ; implicit-def: $vgpr60
                                        ; implicit-def: $vgpr61
                                        ; implicit-def: $vgpr62
                                        ; implicit-def: $vgpr63
                                        ; implicit-def: $vgpr64
                                        ; implicit-def: $vgpr65
                                        ; implicit-def: $vgpr66
                                        ; implicit-def: $vgpr67
                                        ; implicit-def: $vgpr68
	s_cbranch_execz .LBB944_49
; %bb.51:
	v_lshrrev_b32_e32 v9, 16, v14
	v_mad_u32_u24 v6, v0, 15, 14
	v_mov_b32_e32 v7, 0
	v_cmp_gt_u64_e32 vcc, s[8:9], v[6:7]
	v_cmp_neq_f16_e64 s[0:1], v14, v9
	s_and_b64 s[0:1], vcc, s[0:1]
	v_mad_u32_u24 v6, v0, 15, 13
	v_cndmask_b32_e64 v15, 0, 1, s[0:1]
	v_cmp_gt_u64_e32 vcc, s[8:9], v[6:7]
	v_cmp_neq_f16_sdwa s[0:1], v13, v14 src0_sel:WORD_1 src1_sel:DWORD
	s_and_b64 s[0:1], vcc, s[0:1]
	v_mad_u32_u24 v6, v0, 15, 12
	v_cndmask_b32_e64 v56, 0, 1, s[0:1]
	v_cmp_gt_u64_e32 vcc, s[8:9], v[6:7]
	v_cmp_neq_f16_sdwa s[0:1], v13, v13 src0_sel:DWORD src1_sel:WORD_1
	s_and_b64 s[0:1], vcc, s[0:1]
	v_mad_u32_u24 v6, v0, 15, 11
	v_cndmask_b32_e64 v57, 0, 1, s[0:1]
	v_cmp_gt_u64_e32 vcc, s[8:9], v[6:7]
	v_cmp_neq_f16_sdwa s[0:1], v12, v13 src0_sel:WORD_1 src1_sel:DWORD
	s_and_b64 s[0:1], vcc, s[0:1]
	v_mad_u32_u24 v6, v0, 15, 10
	v_cndmask_b32_e64 v58, 0, 1, s[0:1]
	v_cmp_gt_u64_e32 vcc, s[8:9], v[6:7]
	v_cmp_neq_f16_sdwa s[0:1], v12, v12 src0_sel:DWORD src1_sel:WORD_1
	;; [unrolled: 10-line block ×6, first 2 shown]
	s_and_b64 s[0:1], vcc, s[0:1]
	v_mad_u32_u24 v6, v0, 15, 1
	v_cndmask_b32_e64 v67, 0, 1, s[0:1]
	v_cmp_gt_u64_e32 vcc, s[8:9], v[6:7]
	v_cmp_neq_f16_e64 s[0:1], v1, v2
	s_and_b64 s[0:1], vcc, s[0:1]
	s_mov_b32 s3, 1
	v_lshlrev_b32_e32 v8, 1, v0
	v_cndmask_b32_e64 v68, 0, 1, s[0:1]
	v_cmp_ne_u32_e32 vcc, 0, v0
	ds_write_b16 v8, v9
	s_waitcnt lgkmcnt(0)
	s_barrier
	s_waitcnt lgkmcnt(0)
                                        ; implicit-def: $sgpr0_sgpr1
	s_and_saveexec_b64 s[6:7], vcc
	s_cbranch_execz .LBB944_150
; %bb.52:
	v_add_u32_e32 v6, -2, v8
	ds_read_u16 v8, v6
	v_mul_u32_u24_e32 v6, 15, v0
	v_cmp_gt_u64_e32 vcc, s[8:9], v[6:7]
	s_or_b64 s[4:5], s[4:5], exec
	s_waitcnt lgkmcnt(0)
	v_cmp_neq_f16_e64 s[0:1], v8, v1
	s_and_b64 s[0:1], vcc, s[0:1]
	s_and_b64 s[0:1], s[0:1], exec
	s_or_b64 exec, exec, s[6:7]
.LBB944_53:
	v_mov_b32_e32 v69, s3
	s_and_saveexec_b64 s[6:7], s[4:5]
.LBB944_54:
	v_cndmask_b32_e64 v69, 0, 1, s[0:1]
.LBB944_55:
	s_or_b64 exec, exec, s[6:7]
	s_cmp_eq_u64 s[38:39], 0
	v_add3_u32 v6, v68, v69, v67
	s_cselect_b64 s[38:39], -1, 0
	s_cmp_lg_u32 s2, 0
	v_cmp_eq_u32_e64 s[24:25], 0, v68
	v_cmp_eq_u32_e64 s[22:23], 0, v67
	;; [unrolled: 1-line block ×3, first 2 shown]
	v_add3_u32 v80, v6, v66, v65
	v_cmp_eq_u32_e64 s[18:19], 0, v65
	v_cmp_eq_u32_e64 s[16:17], 0, v64
	;; [unrolled: 1-line block ×10, first 2 shown]
	v_cmp_eq_u32_e32 vcc, 0, v15
	v_mbcnt_lo_u32_b32 v79, -1, 0
	v_lshrrev_b32_e32 v77, 6, v0
	v_or_b32_e32 v78, 63, v0
	s_cbranch_scc0 .LBB944_86
; %bb.56:
	v_cndmask_b32_e64 v6, 0, v22, s[24:25]
	v_add_u32_e32 v6, v6, v76
	v_cndmask_b32_e64 v6, 0, v6, s[22:23]
	v_add_u32_e32 v6, v6, v23
	;; [unrolled: 2-line block ×11, first 2 shown]
	v_cndmask_b32_e64 v6, 0, v6, s[28:29]
	v_add3_u32 v7, v80, v64, v63
	v_add_u32_e32 v6, v6, v16
	v_add3_u32 v7, v7, v62, v61
	v_cndmask_b32_e64 v6, 0, v6, s[0:1]
	v_add3_u32 v7, v7, v60, v59
	v_add_u32_e32 v6, v6, v70
	v_add3_u32 v7, v7, v58, v57
	v_cndmask_b32_e32 v6, 0, v6, vcc
	v_add3_u32 v7, v7, v56, v15
	v_add_u32_e32 v6, v6, v17
	v_mbcnt_hi_u32_b32 v27, -1, v79
	v_and_b32_e32 v8, 15, v27
	v_mov_b32_dpp v10, v6 row_shr:1 row_mask:0xf bank_mask:0xf
	v_cmp_eq_u32_e32 vcc, 0, v7
	v_mov_b32_dpp v9, v7 row_shr:1 row_mask:0xf bank_mask:0xf
	v_cmp_lt_u32_e64 s[26:27], 1, v8
	v_cndmask_b32_e32 v10, 0, v10, vcc
	v_cmp_eq_u32_e32 vcc, 0, v8
	s_nop 1
	v_cndmask_b32_e64 v9, v9, 0, vcc
	v_add_u32_e32 v7, v9, v7
	v_cndmask_b32_e64 v9, v10, 0, vcc
	v_add_u32_e32 v6, v9, v6
	v_cmp_eq_u32_e32 vcc, 0, v7
	v_mov_b32_dpp v9, v7 row_shr:2 row_mask:0xf bank_mask:0xf
	v_mov_b32_dpp v10, v6 row_shr:2 row_mask:0xf bank_mask:0xf
	v_cndmask_b32_e64 v9, 0, v9, s[26:27]
	s_and_b64 vcc, s[26:27], vcc
	v_cndmask_b32_e32 v10, 0, v10, vcc
	v_add_u32_e32 v7, v7, v9
	v_add_u32_e32 v6, v10, v6
	v_cmp_eq_u32_e32 vcc, 0, v7
	v_mov_b32_dpp v9, v7 row_shr:4 row_mask:0xf bank_mask:0xf
	v_cmp_lt_u32_e64 s[26:27], 3, v8
	v_mov_b32_dpp v10, v6 row_shr:4 row_mask:0xf bank_mask:0xf
	s_and_b64 vcc, s[26:27], vcc
	v_cndmask_b32_e64 v9, 0, v9, s[26:27]
	v_cndmask_b32_e32 v10, 0, v10, vcc
	v_add_u32_e32 v7, v9, v7
	v_add_u32_e32 v6, v6, v10
	v_cmp_eq_u32_e32 vcc, 0, v7
	v_cmp_lt_u32_e64 s[26:27], 7, v8
	v_mov_b32_dpp v9, v7 row_shr:8 row_mask:0xf bank_mask:0xf
	v_mov_b32_dpp v10, v6 row_shr:8 row_mask:0xf bank_mask:0xf
	s_and_b64 vcc, s[26:27], vcc
	v_cndmask_b32_e64 v8, 0, v9, s[26:27]
	v_cndmask_b32_e32 v9, 0, v10, vcc
	v_add_u32_e32 v6, v9, v6
	v_add_u32_e32 v7, v8, v7
	v_bfe_i32 v10, v27, 4, 1
	v_mov_b32_dpp v9, v6 row_bcast:15 row_mask:0xf bank_mask:0xf
	v_mov_b32_dpp v8, v7 row_bcast:15 row_mask:0xf bank_mask:0xf
	v_cmp_eq_u32_e32 vcc, 0, v7
	v_and_b32_e32 v8, v10, v8
	v_add_u32_e32 v7, v8, v7
	v_cndmask_b32_e32 v9, 0, v9, vcc
	v_and_b32_e32 v8, v10, v9
	v_add_u32_e32 v8, v8, v6
	v_mov_b32_dpp v6, v7 row_bcast:31 row_mask:0xf bank_mask:0xf
	v_cmp_eq_u32_e32 vcc, 0, v7
	v_cmp_lt_u32_e64 s[26:27], 31, v27
	v_mov_b32_dpp v9, v8 row_bcast:31 row_mask:0xf bank_mask:0xf
	s_and_b64 vcc, s[26:27], vcc
	v_cndmask_b32_e64 v6, 0, v6, s[26:27]
	v_add_u32_e32 v6, v6, v7
	v_cndmask_b32_e32 v7, 0, v9, vcc
	v_add_u32_e32 v7, v7, v8
	v_cmp_eq_u32_e32 vcc, v78, v0
	v_lshlrev_b32_e32 v8, 3, v77
	s_and_saveexec_b64 s[26:27], vcc
	s_cbranch_execz .LBB944_58
; %bb.57:
	ds_write_b64 v8, v[6:7] offset:1040
.LBB944_58:
	s_or_b64 exec, exec, s[26:27]
	v_cmp_gt_u32_e32 vcc, 4, v0
	s_waitcnt lgkmcnt(0)
	s_barrier
	s_and_saveexec_b64 s[30:31], vcc
	s_cbranch_execz .LBB944_60
; %bb.59:
	v_lshlrev_b32_e32 v9, 3, v0
	ds_read_b64 v[10:11], v9 offset:1040
	v_and_b32_e32 v24, 3, v27
	v_cmp_lt_u32_e64 s[26:27], 1, v24
	s_waitcnt lgkmcnt(0)
	v_mov_b32_dpp v26, v11 row_shr:1 row_mask:0xf bank_mask:0xf
	v_cmp_eq_u32_e32 vcc, 0, v10
	v_mov_b32_dpp v25, v10 row_shr:1 row_mask:0xf bank_mask:0xf
	s_nop 0
	v_cndmask_b32_e32 v26, 0, v26, vcc
	v_cmp_eq_u32_e32 vcc, 0, v24
	s_nop 1
	v_cndmask_b32_e64 v25, v25, 0, vcc
	v_add_u32_e32 v10, v25, v10
	v_cndmask_b32_e64 v25, v26, 0, vcc
	v_add_u32_e32 v11, v25, v11
	v_cmp_eq_u32_e32 vcc, 0, v10
	v_mov_b32_dpp v25, v10 row_shr:2 row_mask:0xf bank_mask:0xf
	v_mov_b32_dpp v26, v11 row_shr:2 row_mask:0xf bank_mask:0xf
	v_cndmask_b32_e64 v24, 0, v25, s[26:27]
	s_and_b64 vcc, s[26:27], vcc
	v_add_u32_e32 v10, v24, v10
	v_cndmask_b32_e32 v24, 0, v26, vcc
	v_add_u32_e32 v11, v24, v11
	ds_write_b64 v9, v[10:11] offset:1040
.LBB944_60:
	s_or_b64 exec, exec, s[30:31]
	v_cmp_gt_u32_e32 vcc, 64, v0
	v_cmp_lt_u32_e64 s[26:27], 63, v0
	v_mov_b32_e32 v24, 0
	v_mov_b32_e32 v25, 0
	s_waitcnt lgkmcnt(0)
	s_barrier
	s_and_saveexec_b64 s[30:31], s[26:27]
	s_cbranch_execz .LBB944_62
; %bb.61:
	ds_read_b64 v[24:25], v8 offset:1032
	v_cmp_eq_u32_e64 s[26:27], 0, v6
	s_waitcnt lgkmcnt(0)
	v_add_u32_e32 v8, v24, v6
	v_cndmask_b32_e64 v6, 0, v25, s[26:27]
	v_add_u32_e32 v7, v6, v7
	v_mov_b32_e32 v6, v8
.LBB944_62:
	s_or_b64 exec, exec, s[30:31]
	v_add_u32_e32 v8, -1, v27
	v_and_b32_e32 v9, 64, v27
	v_cmp_lt_i32_e64 s[26:27], v8, v9
	s_nop 1
	v_cndmask_b32_e64 v8, v8, v27, s[26:27]
	v_lshlrev_b32_e32 v8, 2, v8
	ds_bpermute_b32 v32, v8, v6
	ds_bpermute_b32 v33, v8, v7
	v_cmp_eq_u32_e64 s[26:27], 0, v27
	s_and_saveexec_b64 s[48:49], vcc
	s_cbranch_execz .LBB944_85
; %bb.63:
	v_mov_b32_e32 v11, 0
	ds_read_b64 v[6:7], v11 offset:1064
	s_waitcnt lgkmcnt(0)
	v_readfirstlane_b32 s3, v6
	v_readfirstlane_b32 s56, v7
	s_and_saveexec_b64 s[30:31], s[26:27]
	s_cbranch_execz .LBB944_65
; %bb.64:
	s_add_i32 s54, s2, 64
	s_mov_b32 s55, 0
	s_lshl_b64 s[58:59], s[54:55], 4
	s_add_u32 s58, s36, s58
	s_addc_u32 s59, s37, s59
	s_and_b32 s61, s56, 0xff000000
	s_mov_b32 s60, s55
	s_and_b32 s63, s56, 0xff0000
	s_mov_b32 s62, s55
	s_or_b64 s[60:61], s[62:63], s[60:61]
	s_and_b32 s63, s56, 0xff00
	s_or_b64 s[60:61], s[60:61], s[62:63]
	s_and_b32 s63, s56, 0xff
	s_or_b64 s[54:55], s[60:61], s[62:63]
	v_mov_b32_e32 v8, s3
	v_mov_b32_e32 v9, s55
	;; [unrolled: 1-line block ×3, first 2 shown]
	v_mov_b64_e32 v[6:7], s[58:59]
	;;#ASMSTART
	global_store_dwordx4 v[6:7], v[8:11] off sc1	
s_waitcnt vmcnt(0)
	;;#ASMEND
.LBB944_65:
	s_or_b64 exec, exec, s[30:31]
	v_xad_u32 v26, v27, -1, s2
	v_add_u32_e32 v10, 64, v26
	v_lshl_add_u64 v[28:29], v[10:11], 4, s[36:37]
	;;#ASMSTART
	global_load_dwordx4 v[6:9], v[28:29] off sc1	
s_waitcnt vmcnt(0)
	;;#ASMEND
	s_nop 0
	v_and_b32_e32 v9, 0xff, v7
	v_and_b32_e32 v10, 0xff00, v7
	v_or3_b32 v6, v6, 0, 0
	v_and_b32_e32 v30, 0xff000000, v7
	v_or3_b32 v9, 0, v9, v10
	;; [unrolled: 2-line block ×3, first 2 shown]
	v_or3_b32 v6, v6, 0, 0
	v_cmp_eq_u16_sdwa s[54:55], v8, v11 src0_sel:BYTE_0 src1_sel:DWORD
	s_and_saveexec_b64 s[30:31], s[54:55]
	s_cbranch_execz .LBB944_71
; %bb.66:
	s_mov_b32 s57, 1
	s_mov_b64 s[54:55], 0
	v_mov_b32_e32 v10, 0
.LBB944_67:                             ; =>This Loop Header: Depth=1
                                        ;     Child Loop BB944_68 Depth 2
	s_max_u32 s58, s57, 1
.LBB944_68:                             ;   Parent Loop BB944_67 Depth=1
                                        ; =>  This Inner Loop Header: Depth=2
	s_add_i32 s58, s58, -1
	s_cmp_eq_u32 s58, 0
	s_sleep 1
	s_cbranch_scc0 .LBB944_68
; %bb.69:                               ;   in Loop: Header=BB944_67 Depth=1
	s_cmp_lt_u32 s57, 32
	s_cselect_b64 s[58:59], -1, 0
	s_cmp_lg_u64 s[58:59], 0
	s_addc_u32 s57, s57, 0
	;;#ASMSTART
	global_load_dwordx4 v[6:9], v[28:29] off sc1	
s_waitcnt vmcnt(0)
	;;#ASMEND
	s_nop 0
	v_cmp_ne_u16_sdwa s[58:59], v8, v10 src0_sel:BYTE_0 src1_sel:DWORD
	s_or_b64 s[54:55], s[58:59], s[54:55]
	s_andn2_b64 exec, exec, s[54:55]
	s_cbranch_execnz .LBB944_67
; %bb.70:
	s_or_b64 exec, exec, s[54:55]
.LBB944_71:
	s_or_b64 exec, exec, s[30:31]
	v_mov_b32_e32 v34, 2
	v_cmp_eq_u16_sdwa s[30:31], v8, v34 src0_sel:BYTE_0 src1_sel:DWORD
	v_lshlrev_b64 v[28:29], v27, -1
	v_and_b32_e32 v35, 63, v27
	v_and_b32_e32 v9, s31, v29
	v_or_b32_e32 v9, 0x80000000, v9
	v_cmp_ne_u32_e32 vcc, 63, v35
	v_and_b32_e32 v10, s30, v28
	v_ffbl_b32_e32 v9, v9
	v_addc_co_u32_e32 v11, vcc, 0, v27, vcc
	v_add_u32_e32 v9, 32, v9
	v_ffbl_b32_e32 v10, v10
	v_lshlrev_b32_e32 v36, 2, v11
	v_min_u32_e32 v9, v10, v9
	ds_bpermute_b32 v10, v36, v7
	v_cmp_eq_u32_e32 vcc, 0, v6
	v_cmp_lt_u32_e64 s[30:31], v35, v9
	ds_bpermute_b32 v11, v36, v6
	s_and_b64 vcc, s[30:31], vcc
	s_waitcnt lgkmcnt(1)
	v_cndmask_b32_e32 v10, 0, v10, vcc
	v_cmp_gt_u32_e32 vcc, 62, v35
	v_add_u32_e32 v7, v10, v7
	s_waitcnt lgkmcnt(0)
	v_cndmask_b32_e64 v11, 0, v11, s[30:31]
	v_cndmask_b32_e64 v10, 0, 1, vcc
	v_lshlrev_b32_e32 v10, 1, v10
	v_add_lshl_u32 v37, v10, v27, 2
	ds_bpermute_b32 v10, v37, v7
	v_add_u32_e32 v6, v11, v6
	ds_bpermute_b32 v11, v37, v6
	v_add_u32_e32 v38, 2, v35
	v_cmp_eq_u32_e32 vcc, 0, v6
	v_add_u32_e32 v40, 4, v35
	v_add_u32_e32 v42, 8, v35
	s_waitcnt lgkmcnt(1)
	v_cndmask_b32_e32 v10, 0, v10, vcc
	v_cmp_gt_u32_e32 vcc, v38, v9
	v_add_u32_e32 v44, 16, v35
	v_add_u32_e32 v46, 32, v35
	v_cndmask_b32_e64 v10, v10, 0, vcc
	v_add_u32_e32 v7, v10, v7
	s_waitcnt lgkmcnt(0)
	v_cndmask_b32_e64 v10, v11, 0, vcc
	v_cmp_gt_u32_e32 vcc, 60, v35
	v_add_u32_e32 v6, v6, v10
	s_nop 0
	v_cndmask_b32_e64 v11, 0, 1, vcc
	v_lshlrev_b32_e32 v11, 2, v11
	v_add_lshl_u32 v39, v11, v27, 2
	ds_bpermute_b32 v11, v39, v7
	ds_bpermute_b32 v10, v39, v6
	v_cmp_eq_u32_e32 vcc, 0, v6
	s_waitcnt lgkmcnt(1)
	s_nop 0
	v_cndmask_b32_e32 v11, 0, v11, vcc
	v_cmp_gt_u32_e32 vcc, v40, v9
	s_nop 1
	v_cndmask_b32_e64 v11, v11, 0, vcc
	s_waitcnt lgkmcnt(0)
	v_cndmask_b32_e64 v10, v10, 0, vcc
	v_cmp_gt_u32_e32 vcc, 56, v35
	v_add_u32_e32 v7, v7, v11
	v_add_u32_e32 v6, v6, v10
	v_cndmask_b32_e64 v11, 0, 1, vcc
	v_lshlrev_b32_e32 v11, 3, v11
	v_add_lshl_u32 v41, v11, v27, 2
	ds_bpermute_b32 v11, v41, v7
	ds_bpermute_b32 v10, v41, v6
	v_cmp_eq_u32_e32 vcc, 0, v6
	s_waitcnt lgkmcnt(1)
	s_nop 0
	v_cndmask_b32_e32 v11, 0, v11, vcc
	v_cmp_gt_u32_e32 vcc, v42, v9
	s_nop 1
	v_cndmask_b32_e64 v11, v11, 0, vcc
	s_waitcnt lgkmcnt(0)
	v_cndmask_b32_e64 v10, v10, 0, vcc
	v_cmp_gt_u32_e32 vcc, 48, v35
	v_add_u32_e32 v7, v7, v11
	v_add_u32_e32 v6, v6, v10
	;; [unrolled: 17-line block ×3, first 2 shown]
	v_cndmask_b32_e64 v11, 0, 1, vcc
	v_lshlrev_b32_e32 v11, 5, v11
	v_add_lshl_u32 v45, v11, v27, 2
	ds_bpermute_b32 v11, v45, v7
	ds_bpermute_b32 v10, v45, v6
	v_cmp_eq_u32_e32 vcc, 0, v6
	v_mov_b32_e32 v27, 0
	s_waitcnt lgkmcnt(1)
	v_cndmask_b32_e32 v11, 0, v11, vcc
	v_cmp_gt_u32_e32 vcc, v46, v9
	s_nop 1
	v_cndmask_b32_e64 v9, v11, 0, vcc
	v_add_u32_e32 v7, v9, v7
	s_waitcnt lgkmcnt(0)
	v_cndmask_b32_e64 v9, v10, 0, vcc
	v_add_u32_e32 v6, v9, v6
	s_branch .LBB944_73
.LBB944_72:                             ;   in Loop: Header=BB944_73 Depth=1
	s_or_b64 exec, exec, s[30:31]
	v_cmp_eq_u16_sdwa s[30:31], v8, v34 src0_sel:BYTE_0 src1_sel:DWORD
	v_cmp_eq_u32_e32 vcc, 0, v6
	ds_bpermute_b32 v31, v36, v6
	v_and_b32_e32 v9, s31, v29
	v_or_b32_e32 v9, 0x80000000, v9
	v_and_b32_e32 v30, s30, v28
	v_ffbl_b32_e32 v9, v9
	v_add_u32_e32 v9, 32, v9
	v_ffbl_b32_e32 v30, v30
	v_min_u32_e32 v9, v30, v9
	ds_bpermute_b32 v30, v36, v7
	v_cmp_lt_u32_e64 s[30:31], v35, v9
	s_and_b64 vcc, s[30:31], vcc
	v_subrev_u32_e32 v26, 64, v26
	s_waitcnt lgkmcnt(1)
	v_cndmask_b32_e64 v31, 0, v31, s[30:31]
	s_waitcnt lgkmcnt(0)
	v_cndmask_b32_e32 v30, 0, v30, vcc
	v_add_u32_e32 v7, v30, v7
	ds_bpermute_b32 v30, v37, v7
	v_add_u32_e32 v6, v31, v6
	v_cmp_eq_u32_e32 vcc, 0, v6
	ds_bpermute_b32 v31, v37, v6
	s_waitcnt lgkmcnt(1)
	v_cndmask_b32_e32 v30, 0, v30, vcc
	v_cmp_gt_u32_e32 vcc, v38, v9
	s_nop 1
	v_cndmask_b32_e64 v30, v30, 0, vcc
	v_add_u32_e32 v7, v30, v7
	ds_bpermute_b32 v30, v39, v7
	s_waitcnt lgkmcnt(1)
	v_cndmask_b32_e64 v31, v31, 0, vcc
	v_add_u32_e32 v6, v6, v31
	v_cmp_eq_u32_e32 vcc, 0, v6
	ds_bpermute_b32 v31, v39, v6
	s_waitcnt lgkmcnt(1)
	v_cndmask_b32_e32 v30, 0, v30, vcc
	v_cmp_gt_u32_e32 vcc, v40, v9
	s_nop 1
	v_cndmask_b32_e64 v30, v30, 0, vcc
	v_add_u32_e32 v7, v7, v30
	ds_bpermute_b32 v30, v41, v7
	s_waitcnt lgkmcnt(1)
	v_cndmask_b32_e64 v31, v31, 0, vcc
	v_add_u32_e32 v6, v6, v31
	ds_bpermute_b32 v31, v41, v6
	v_cmp_eq_u32_e32 vcc, 0, v6
	s_waitcnt lgkmcnt(1)
	s_nop 0
	v_cndmask_b32_e32 v30, 0, v30, vcc
	v_cmp_gt_u32_e32 vcc, v42, v9
	s_nop 1
	v_cndmask_b32_e64 v30, v30, 0, vcc
	v_add_u32_e32 v7, v7, v30
	ds_bpermute_b32 v30, v43, v7
	s_waitcnt lgkmcnt(1)
	v_cndmask_b32_e64 v31, v31, 0, vcc
	v_add_u32_e32 v6, v6, v31
	ds_bpermute_b32 v31, v43, v6
	v_cmp_eq_u32_e32 vcc, 0, v6
	s_waitcnt lgkmcnt(1)
	s_nop 0
	;; [unrolled: 13-line block ×3, first 2 shown]
	v_cndmask_b32_e32 v30, 0, v30, vcc
	v_cmp_gt_u32_e32 vcc, v46, v9
	s_nop 1
	v_cndmask_b32_e64 v9, v30, 0, vcc
	v_add_u32_e32 v7, v9, v7
	s_waitcnt lgkmcnt(0)
	v_cndmask_b32_e64 v9, v31, 0, vcc
	v_cmp_eq_u32_e32 vcc, 0, v10
	v_add3_u32 v6, v6, v10, v9
	s_nop 0
	v_cndmask_b32_e32 v7, 0, v7, vcc
	v_add_u32_e32 v7, v7, v11
.LBB944_73:                             ; =>This Loop Header: Depth=1
                                        ;     Child Loop BB944_76 Depth 2
                                        ;       Child Loop BB944_77 Depth 3
	v_cmp_ne_u16_sdwa s[30:31], v8, v34 src0_sel:BYTE_0 src1_sel:DWORD
	v_mov_b32_e32 v11, v7
	v_mov_b32_e32 v10, v6
	v_cndmask_b32_e64 v7, 0, 1, s[30:31]
	;;#ASMSTART
	;;#ASMEND
	s_nop 0
	v_cmp_ne_u32_e32 vcc, 0, v7
	s_cmp_lg_u64 vcc, exec
	s_cbranch_scc1 .LBB944_80
; %bb.74:                               ;   in Loop: Header=BB944_73 Depth=1
	v_lshl_add_u64 v[30:31], v[26:27], 4, s[36:37]
	;;#ASMSTART
	global_load_dwordx4 v[6:9], v[30:31] off sc1	
s_waitcnt vmcnt(0)
	;;#ASMEND
	s_nop 0
	v_and_b32_e32 v9, 0xff, v7
	v_and_b32_e32 v47, 0xff00, v7
	v_or3_b32 v6, v6, 0, 0
	v_and_b32_e32 v48, 0xff000000, v7
	v_or3_b32 v9, 0, v9, v47
	;; [unrolled: 2-line block ×3, first 2 shown]
	v_or3_b32 v6, v6, 0, 0
	v_cmp_eq_u16_sdwa s[54:55], v8, v27 src0_sel:BYTE_0 src1_sel:DWORD
	s_and_saveexec_b64 s[30:31], s[54:55]
	s_cbranch_execz .LBB944_72
; %bb.75:                               ;   in Loop: Header=BB944_73 Depth=1
	s_mov_b32 s57, 1
	s_mov_b64 s[54:55], 0
.LBB944_76:                             ;   Parent Loop BB944_73 Depth=1
                                        ; =>  This Loop Header: Depth=2
                                        ;       Child Loop BB944_77 Depth 3
	s_max_u32 s58, s57, 1
.LBB944_77:                             ;   Parent Loop BB944_73 Depth=1
                                        ;     Parent Loop BB944_76 Depth=2
                                        ; =>    This Inner Loop Header: Depth=3
	s_add_i32 s58, s58, -1
	s_cmp_eq_u32 s58, 0
	s_sleep 1
	s_cbranch_scc0 .LBB944_77
; %bb.78:                               ;   in Loop: Header=BB944_76 Depth=2
	s_cmp_lt_u32 s57, 32
	s_cselect_b64 s[58:59], -1, 0
	s_cmp_lg_u64 s[58:59], 0
	s_addc_u32 s57, s57, 0
	;;#ASMSTART
	global_load_dwordx4 v[6:9], v[30:31] off sc1	
s_waitcnt vmcnt(0)
	;;#ASMEND
	s_nop 0
	v_cmp_ne_u16_sdwa s[58:59], v8, v27 src0_sel:BYTE_0 src1_sel:DWORD
	s_or_b64 s[54:55], s[58:59], s[54:55]
	s_andn2_b64 exec, exec, s[54:55]
	s_cbranch_execnz .LBB944_76
; %bb.79:                               ;   in Loop: Header=BB944_73 Depth=1
	s_or_b64 exec, exec, s[54:55]
	s_branch .LBB944_72
.LBB944_80:                             ;   in Loop: Header=BB944_73 Depth=1
                                        ; implicit-def: $vgpr7
                                        ; implicit-def: $vgpr6
                                        ; implicit-def: $vgpr8
	s_cbranch_execz .LBB944_73
; %bb.81:
	s_and_saveexec_b64 s[30:31], s[26:27]
	s_cbranch_execz .LBB944_83
; %bb.82:
	s_cmp_eq_u32 s3, 0
	s_cselect_b64 vcc, -1, 0
	s_mov_b32 s55, 0
	v_cndmask_b32_e32 v6, 0, v11, vcc
	s_add_i32 s54, s2, 64
	v_add_u32_e32 v6, s56, v6
	s_lshl_b64 s[54:55], s[54:55], 4
	s_add_u32 s54, s36, s54
	v_and_b32_e32 v7, 0xff000000, v6
	v_and_b32_e32 v8, 0xff0000, v6
	s_addc_u32 s55, s37, s55
	v_or_b32_e32 v7, v8, v7
	v_and_b32_e32 v8, 0xff00, v6
	v_and_b32_e32 v6, 0xff, v6
	v_add_u32_e32 v26, s3, v10
	v_mov_b32_e32 v29, 0
	v_or3_b32 v27, v7, v8, v6
	v_mov_b32_e32 v28, 2
	v_mov_b64_e32 v[6:7], s[54:55]
	;;#ASMSTART
	global_store_dwordx4 v[6:7], v[26:29] off sc1	
s_waitcnt vmcnt(0)
	;;#ASMEND
	v_mov_b32_e32 v8, s3
	v_mov_b32_e32 v9, s56
	ds_write_b128 v29, v[8:11] offset:1024
.LBB944_83:
	s_or_b64 exec, exec, s[30:31]
	v_cmp_eq_u32_e32 vcc, 0, v0
	s_and_b64 exec, exec, vcc
	s_cbranch_execz .LBB944_85
; %bb.84:
	v_mov_b32_e32 v6, 0
	ds_write_b64 v6, v[10:11] offset:1064
.LBB944_85:
	s_or_b64 exec, exec, s[48:49]
	v_mov_b32_e32 v8, 0
	s_waitcnt lgkmcnt(0)
	s_barrier
	ds_read_b64 v[6:7], v8 offset:1064
	v_cndmask_b32_e64 v10, v32, v24, s[26:27]
	v_cmp_eq_u32_e32 vcc, 0, v10
	v_cndmask_b32_e64 v9, v33, v25, s[26:27]
	s_waitcnt lgkmcnt(0)
	v_cndmask_b32_e32 v11, 0, v7, vcc
	v_add_u32_e32 v9, v11, v9
	v_cmp_eq_u32_e32 vcc, 0, v0
	s_barrier
	s_nop 0
	v_cndmask_b32_e32 v55, v9, v7, vcc
	v_cndmask_b32_e64 v7, v10, 0, vcc
	v_cmp_eq_u32_e32 vcc, 0, v69
	v_add_u32_e32 v54, v6, v7
	v_add_u32_e32 v52, v54, v69
	v_cndmask_b32_e32 v6, 0, v55, vcc
	v_add_u32_e32 v53, v6, v22
	v_cndmask_b32_e64 v6, 0, v53, s[24:25]
	v_add_u32_e32 v51, v6, v76
	v_cndmask_b32_e64 v6, 0, v51, s[22:23]
	;; [unrolled: 2-line block ×8, first 2 shown]
	v_add_u32_e32 v37, v6, v18
	v_add_u32_e32 v50, v52, v68
	v_cndmask_b32_e64 v6, 0, v37, s[8:9]
	v_add_u32_e32 v48, v50, v67
	v_add_u32_e32 v35, v6, v72
	v_add_u32_e32 v46, v48, v66
	v_cndmask_b32_e64 v6, 0, v35, s[6:7]
	v_add_u32_e32 v44, v46, v65
	;; [unrolled: 4-line block ×3, first 2 shown]
	v_add_u32_e32 v31, v6, v71
	ds_read_b128 v[6:9], v8 offset:1024
	v_add_u32_e32 v38, v40, v62
	v_add_u32_e32 v36, v38, v61
	;; [unrolled: 1-line block ×4, first 2 shown]
	v_cndmask_b32_e64 v10, 0, v31, s[28:29]
	v_add_u32_e32 v30, v32, v58
	v_add_u32_e32 v29, v10, v16
	s_waitcnt lgkmcnt(0)
	v_cmp_eq_u32_e32 vcc, 0, v6
	v_add_u32_e32 v28, v30, v57
	v_cndmask_b32_e64 v10, 0, v29, s[0:1]
	v_cndmask_b32_e32 v9, 0, v9, vcc
	v_add_u32_e32 v26, v28, v56
	v_add_u32_e32 v27, v10, v70
	v_add_u32_e32 v24, v9, v7
	s_branch .LBB944_98
.LBB944_86:
                                        ; implicit-def: $vgpr6
                                        ; implicit-def: $vgpr24
                                        ; implicit-def: $vgpr54_vgpr55
                                        ; implicit-def: $vgpr52_vgpr53
                                        ; implicit-def: $vgpr50_vgpr51
                                        ; implicit-def: $vgpr48_vgpr49
                                        ; implicit-def: $vgpr46_vgpr47
                                        ; implicit-def: $vgpr44_vgpr45
                                        ; implicit-def: $vgpr42_vgpr43
                                        ; implicit-def: $vgpr40_vgpr41
                                        ; implicit-def: $vgpr38_vgpr39
                                        ; implicit-def: $vgpr36_vgpr37
                                        ; implicit-def: $vgpr34_vgpr35
                                        ; implicit-def: $vgpr32_vgpr33
                                        ; implicit-def: $vgpr30_vgpr31
                                        ; implicit-def: $vgpr28_vgpr29
                                        ; implicit-def: $vgpr26_vgpr27
	s_cbranch_execz .LBB944_98
; %bb.87:
	s_and_b64 s[0:1], s[38:39], exec
	s_cselect_b32 s1, 0, s53
	s_cselect_b32 s0, 0, s52
	s_cmp_eq_u64 s[0:1], 0
	v_mov_b32_e32 v10, v22
	s_cbranch_scc1 .LBB944_89
; %bb.88:
	v_mov_b32_e32 v6, 0
	global_load_dword v10, v6, s[0:1]
.LBB944_89:
	v_cmp_eq_u32_e64 s[0:1], 0, v68
	v_cmp_eq_u32_e64 s[2:3], 0, v67
	v_cmp_eq_u32_e64 s[4:5], 0, v66
	v_cndmask_b32_e64 v6, 0, v22, s[0:1]
	v_add_u32_e32 v6, v6, v76
	v_cndmask_b32_e64 v6, 0, v6, s[2:3]
	v_add_u32_e32 v6, v6, v23
	v_cndmask_b32_e64 v6, 0, v6, s[4:5]
	v_add_u32_e32 v6, v6, v75
	v_cmp_eq_u32_e64 s[6:7], 0, v65
	v_cmp_eq_u32_e64 s[8:9], 0, v64
	v_cmp_eq_u32_e64 s[10:11], 0, v63
	v_cndmask_b32_e64 v6, 0, v6, s[6:7]
	v_add_u32_e32 v6, v6, v20
	v_cndmask_b32_e64 v6, 0, v6, s[8:9]
	v_add_u32_e32 v6, v6, v74
	v_cndmask_b32_e64 v6, 0, v6, s[10:11]
	v_add_u32_e32 v6, v6, v21
	;; [unrolled: 9-line block ×3, first 2 shown]
	v_cmp_eq_u32_e64 s[18:19], 0, v59
	v_cmp_eq_u32_e64 s[20:21], 0, v58
	;; [unrolled: 1-line block ×3, first 2 shown]
	v_cndmask_b32_e64 v6, 0, v6, s[18:19]
	v_add_u32_e32 v6, v6, v19
	v_cndmask_b32_e64 v6, 0, v6, s[20:21]
	v_add_u32_e32 v6, v6, v71
	v_cndmask_b32_e64 v6, 0, v6, s[22:23]
	v_add3_u32 v7, v80, v64, v63
	v_add_u32_e32 v6, v6, v16
	v_cmp_eq_u32_e32 vcc, 0, v56
	v_add3_u32 v7, v7, v62, v61
	v_add3_u32 v7, v7, v60, v59
	v_cndmask_b32_e32 v6, 0, v6, vcc
	v_add_u32_e32 v6, v6, v70
	v_cmp_eq_u32_e64 s[24:25], 0, v15
	v_add3_u32 v7, v7, v58, v57
	v_add3_u32 v7, v7, v56, v15
	v_cndmask_b32_e64 v6, 0, v6, s[24:25]
	v_add_u32_e32 v6, v6, v17
	v_mbcnt_hi_u32_b32 v11, -1, v79
	v_and_b32_e32 v8, 15, v11
	v_mov_b32_dpp v17, v6 row_shr:1 row_mask:0xf bank_mask:0xf
	v_cmp_eq_u32_e64 s[24:25], 0, v7
	v_mov_b32_dpp v9, v7 row_shr:1 row_mask:0xf bank_mask:0xf
	v_cmp_lt_u32_e64 s[26:27], 1, v8
	v_cndmask_b32_e64 v17, 0, v17, s[24:25]
	v_cmp_eq_u32_e64 s[24:25], 0, v8
	s_nop 1
	v_cndmask_b32_e64 v9, v9, 0, s[24:25]
	v_add_u32_e32 v7, v9, v7
	v_cndmask_b32_e64 v9, v17, 0, s[24:25]
	v_add_u32_e32 v6, v9, v6
	v_cmp_eq_u32_e64 s[24:25], 0, v7
	v_mov_b32_dpp v9, v7 row_shr:2 row_mask:0xf bank_mask:0xf
	v_mov_b32_dpp v17, v6 row_shr:2 row_mask:0xf bank_mask:0xf
	v_cndmask_b32_e64 v9, 0, v9, s[26:27]
	s_and_b64 s[24:25], s[26:27], s[24:25]
	v_cndmask_b32_e64 v17, 0, v17, s[24:25]
	v_add_u32_e32 v7, v7, v9
	v_add_u32_e32 v6, v17, v6
	v_cmp_eq_u32_e64 s[24:25], 0, v7
	v_mov_b32_dpp v9, v7 row_shr:4 row_mask:0xf bank_mask:0xf
	v_cmp_lt_u32_e64 s[26:27], 3, v8
	v_mov_b32_dpp v17, v6 row_shr:4 row_mask:0xf bank_mask:0xf
	s_and_b64 s[24:25], s[26:27], s[24:25]
	v_cndmask_b32_e64 v9, 0, v9, s[26:27]
	v_cndmask_b32_e64 v17, 0, v17, s[24:25]
	v_add_u32_e32 v7, v9, v7
	v_add_u32_e32 v6, v6, v17
	v_cmp_eq_u32_e64 s[24:25], 0, v7
	v_cmp_lt_u32_e64 s[26:27], 7, v8
	v_mov_b32_dpp v9, v7 row_shr:8 row_mask:0xf bank_mask:0xf
	v_mov_b32_dpp v17, v6 row_shr:8 row_mask:0xf bank_mask:0xf
	s_and_b64 s[24:25], s[26:27], s[24:25]
	v_cndmask_b32_e64 v8, 0, v9, s[26:27]
	v_cndmask_b32_e64 v9, 0, v17, s[24:25]
	v_add_u32_e32 v6, v9, v6
	v_add_u32_e32 v7, v8, v7
	v_bfe_i32 v17, v11, 4, 1
	v_mov_b32_dpp v9, v6 row_bcast:15 row_mask:0xf bank_mask:0xf
	v_mov_b32_dpp v8, v7 row_bcast:15 row_mask:0xf bank_mask:0xf
	v_cmp_eq_u32_e64 s[24:25], 0, v7
	v_and_b32_e32 v8, v17, v8
	v_add_u32_e32 v7, v8, v7
	v_cndmask_b32_e64 v9, 0, v9, s[24:25]
	v_and_b32_e32 v8, v17, v9
	v_add_u32_e32 v8, v8, v6
	v_mov_b32_dpp v6, v7 row_bcast:31 row_mask:0xf bank_mask:0xf
	v_cmp_eq_u32_e64 s[24:25], 0, v7
	v_cmp_lt_u32_e64 s[26:27], 31, v11
	v_mov_b32_dpp v9, v8 row_bcast:31 row_mask:0xf bank_mask:0xf
	s_and_b64 s[24:25], s[26:27], s[24:25]
	v_cndmask_b32_e64 v6, 0, v6, s[26:27]
	v_add_u32_e32 v6, v6, v7
	v_cndmask_b32_e64 v7, 0, v9, s[24:25]
	v_add_u32_e32 v7, v7, v8
	v_cmp_eq_u32_e64 s[24:25], v78, v0
	s_and_saveexec_b64 s[26:27], s[24:25]
	s_cbranch_execz .LBB944_91
; %bb.90:
	v_lshlrev_b32_e32 v8, 3, v77
	ds_write_b64 v8, v[6:7] offset:1040
.LBB944_91:
	s_or_b64 exec, exec, s[26:27]
	v_cmp_gt_u32_e64 s[24:25], 4, v0
	s_waitcnt lgkmcnt(0)
	s_barrier
	s_and_saveexec_b64 s[28:29], s[24:25]
	s_cbranch_execz .LBB944_93
; %bb.92:
	v_lshlrev_b32_e32 v17, 3, v0
	ds_read_b64 v[8:9], v17 offset:1040
	v_and_b32_e32 v24, 3, v11
	v_cmp_lt_u32_e64 s[26:27], 1, v24
	s_waitcnt lgkmcnt(0)
	v_mov_b32_dpp v26, v9 row_shr:1 row_mask:0xf bank_mask:0xf
	v_cmp_eq_u32_e64 s[24:25], 0, v8
	v_mov_b32_dpp v25, v8 row_shr:1 row_mask:0xf bank_mask:0xf
	s_nop 0
	v_cndmask_b32_e64 v26, 0, v26, s[24:25]
	v_cmp_eq_u32_e64 s[24:25], 0, v24
	s_nop 1
	v_cndmask_b32_e64 v25, v25, 0, s[24:25]
	v_add_u32_e32 v8, v25, v8
	v_cndmask_b32_e64 v25, v26, 0, s[24:25]
	v_add_u32_e32 v9, v25, v9
	v_cmp_eq_u32_e64 s[24:25], 0, v8
	v_mov_b32_dpp v25, v8 row_shr:2 row_mask:0xf bank_mask:0xf
	v_mov_b32_dpp v26, v9 row_shr:2 row_mask:0xf bank_mask:0xf
	v_cndmask_b32_e64 v24, 0, v25, s[26:27]
	s_and_b64 s[24:25], s[26:27], s[24:25]
	v_add_u32_e32 v8, v24, v8
	v_cndmask_b32_e64 v24, 0, v26, s[24:25]
	v_add_u32_e32 v9, v24, v9
	ds_write_b64 v17, v[8:9] offset:1040
.LBB944_93:
	s_or_b64 exec, exec, s[28:29]
	v_cmp_lt_u32_e64 s[24:25], 63, v0
	v_mov_b32_e32 v17, 0
	v_mov_b32_e32 v8, 0
	s_waitcnt vmcnt(0)
	v_mov_b32_e32 v9, v10
	s_waitcnt lgkmcnt(0)
	s_barrier
	s_and_saveexec_b64 s[26:27], s[24:25]
	s_cbranch_execz .LBB944_95
; %bb.94:
	v_lshlrev_b32_e32 v8, 3, v77
	ds_read_b64 v[8:9], v8 offset:1032
	s_waitcnt lgkmcnt(0)
	v_cmp_eq_u32_e64 s[24:25], 0, v8
	s_nop 1
	v_cndmask_b32_e64 v24, 0, v10, s[24:25]
	v_add_u32_e32 v9, v24, v9
.LBB944_95:
	s_or_b64 exec, exec, s[26:27]
	v_cmp_eq_u32_e64 s[24:25], 0, v6
	v_add_u32_e32 v24, v8, v6
	v_and_b32_e32 v25, 64, v11
	v_cndmask_b32_e64 v6, 0, v9, s[24:25]
	v_add_u32_e32 v6, v6, v7
	v_add_u32_e32 v7, -1, v11
	v_cmp_lt_i32_e64 s[24:25], v7, v25
	v_cmp_eq_u32_e64 s[26:27], 0, v69
	s_nop 0
	v_cndmask_b32_e64 v7, v7, v11, s[24:25]
	v_lshlrev_b32_e32 v7, 2, v7
	ds_bpermute_b32 v24, v7, v24
	ds_bpermute_b32 v6, v7, v6
	v_cmp_eq_u32_e64 s[24:25], 0, v11
	s_waitcnt lgkmcnt(1)
	s_nop 0
	v_cndmask_b32_e64 v7, v24, v8, s[24:25]
	s_waitcnt lgkmcnt(0)
	v_cndmask_b32_e64 v6, v6, v9, s[24:25]
	v_cmp_eq_u32_e64 s[24:25], 0, v0
	s_nop 1
	v_cndmask_b32_e64 v55, v6, v10, s[24:25]
	v_cndmask_b32_e64 v6, 0, v55, s[26:27]
	v_add_u32_e32 v53, v6, v22
	v_cndmask_b32_e64 v6, 0, v53, s[0:1]
	v_add_u32_e32 v51, v6, v76
	;; [unrolled: 2-line block ×8, first 2 shown]
	v_cndmask_b32_e64 v54, v7, 0, s[24:25]
	v_cndmask_b32_e64 v6, 0, v39, s[14:15]
	v_add_u32_e32 v52, v54, v69
	v_add_u32_e32 v37, v6, v18
	v_add_u32_e32 v50, v52, v68
	v_cndmask_b32_e64 v6, 0, v37, s[16:17]
	v_add_u32_e32 v48, v50, v67
	v_add_u32_e32 v35, v6, v72
	v_add_u32_e32 v46, v48, v66
	;; [unrolled: 4-line block ×3, first 2 shown]
	v_cndmask_b32_e64 v6, 0, v33, s[20:21]
	v_add_u32_e32 v40, v42, v63
	v_add_u32_e32 v31, v6, v71
	ds_read_b64 v[6:7], v17 offset:1064
	v_add_u32_e32 v38, v40, v62
	v_add_u32_e32 v36, v38, v61
	;; [unrolled: 1-line block ×3, first 2 shown]
	v_cndmask_b32_e64 v8, 0, v31, s[22:23]
	v_add_u32_e32 v32, v34, v59
	v_add_u32_e32 v29, v8, v16
	;; [unrolled: 1-line block ×3, first 2 shown]
	v_cndmask_b32_e32 v8, 0, v29, vcc
	s_waitcnt lgkmcnt(0)
	v_cmp_eq_u32_e32 vcc, 0, v6
	v_add_u32_e32 v28, v30, v57
	v_add_u32_e32 v27, v8, v70
	v_cndmask_b32_e32 v8, 0, v10, vcc
	v_add_u32_e32 v26, v28, v56
	v_add_u32_e32 v24, v8, v7
	s_and_saveexec_b64 s[0:1], s[24:25]
	s_cbranch_execz .LBB944_97
; %bb.96:
	s_add_u32 s2, s36, 0x400
	v_and_b32_e32 v7, 0xff000000, v24
	v_and_b32_e32 v8, 0xff0000, v24
	s_addc_u32 s3, s37, 0
	v_or_b32_e32 v7, v8, v7
	v_and_b32_e32 v8, 0xff00, v24
	v_and_b32_e32 v10, 0xff, v24
	v_mov_b32_e32 v9, 0
	v_or3_b32 v7, v7, v8, v10
	v_mov_b32_e32 v8, 2
	v_mov_b64_e32 v[10:11], s[2:3]
	;;#ASMSTART
	global_store_dwordx4 v[10:11], v[6:9] off sc1	
s_waitcnt vmcnt(0)
	;;#ASMEND
.LBB944_97:
	s_or_b64 exec, exec, s[0:1]
	v_mov_b32_e32 v8, 0
.LBB944_98:
	s_and_b64 s[0:1], s[38:39], exec
	s_cselect_b32 s1, 0, s51
	s_cselect_b32 s0, 0, s50
	s_cmp_eq_u64 s[0:1], 0
	v_mov_b64_e32 v[16:17], 0
	s_barrier
	s_cbranch_scc1 .LBB944_100
; %bb.99:
	v_mov_b32_e32 v7, 0
	global_load_dwordx2 v[16:17], v7, s[0:1]
.LBB944_100:
	s_waitcnt vmcnt(0)
	v_lshlrev_b64 v[10:11], 1, v[16:17]
	v_mov_b32_e32 v9, 0
	v_cmp_eq_u32_e32 vcc, 0, v69
	v_lshl_add_u64 v[10:11], s[44:45], 0, v[10:11]
	v_lshlrev_b64 v[18:19], 1, v[8:9]
	v_cndmask_b32_e64 v7, 1, 2, vcc
	v_cmp_eq_u32_e32 vcc, 0, v68
	v_lshl_add_u64 v[18:19], v[10:11], 0, v[18:19]
	s_movk_i32 s30, 0x100
	v_cndmask_b32_e64 v10, 1, 2, vcc
	v_cmp_eq_u32_e32 vcc, 0, v67
	v_and_b32_e32 v7, v10, v7
	v_cmp_ne_u32_e64 s[28:29], 0, v69
	v_cndmask_b32_e64 v10, 1, 2, vcc
	v_cmp_eq_u32_e32 vcc, 0, v66
	v_and_b32_e32 v7, v7, v10
	v_cmp_ne_u32_e64 s[26:27], 0, v68
	;; [unrolled: 4-line block ×13, first 2 shown]
	v_cndmask_b32_e64 v10, 1, 2, vcc
	v_and_b32_e32 v7, v7, v10
	v_cmp_gt_u32_e32 vcc, s30, v6
	v_cmp_ne_u32_e64 s[2:3], 0, v56
	v_cmp_ne_u32_e64 s[0:1], 0, v15
	s_mov_b64 s[36:37], -1
	v_cmp_gt_i16_e64 s[30:31], 2, v7
	s_cbranch_vccz .LBB944_107
; %bb.101:
	s_and_saveexec_b64 s[36:37], s[30:31]
	s_cbranch_execz .LBB944_106
; %bb.102:
	v_cmp_ne_u16_e32 vcc, 1, v7
	s_mov_b64 s[38:39], 0
	s_and_saveexec_b64 s[30:31], vcc
	s_xor_b64 s[30:31], exec, s[30:31]
	s_cbranch_execnz .LBB944_151
; %bb.103:
	s_andn2_saveexec_b64 s[30:31], s[30:31]
	s_cbranch_execnz .LBB944_167
.LBB944_104:
	s_or_b64 exec, exec, s[30:31]
	s_and_b64 exec, exec, s[38:39]
	s_cbranch_execz .LBB944_106
.LBB944_105:
	v_sub_u32_e32 v10, v26, v8
	v_mov_b32_e32 v11, 0
	v_lshl_add_u64 v[10:11], v[10:11], 1, v[18:19]
	global_store_short_d16_hi v[10:11], v14, off
.LBB944_106:
	s_or_b64 exec, exec, s[36:37]
	s_mov_b64 s[36:37], 0
.LBB944_107:
	s_and_b64 vcc, exec, s[36:37]
	s_cbranch_vccz .LBB944_129
; %bb.108:
	v_cmp_gt_i16_e32 vcc, 2, v7
	s_and_saveexec_b64 s[30:31], vcc
	s_cbranch_execz .LBB944_113
; %bb.109:
	v_cmp_ne_u16_e32 vcc, 1, v7
	s_mov_b64 s[38:39], 0
	s_and_saveexec_b64 s[36:37], vcc
	s_xor_b64 s[36:37], exec, s[36:37]
	s_cbranch_execnz .LBB944_168
; %bb.110:
	s_andn2_saveexec_b64 s[0:1], s[36:37]
	s_cbranch_execnz .LBB944_184
.LBB944_111:
	s_or_b64 exec, exec, s[0:1]
	s_and_b64 exec, exec, s[38:39]
	s_cbranch_execz .LBB944_113
.LBB944_112:
	v_sub_u32_e32 v1, v26, v8
	v_lshlrev_b32_e32 v1, 1, v1
	ds_write_b16_d16_hi v1, v14
.LBB944_113:
	s_or_b64 exec, exec, s[30:31]
	v_cmp_lt_u32_e32 vcc, v0, v6
	s_waitcnt lgkmcnt(0)
	s_barrier
	s_and_saveexec_b64 s[0:1], vcc
	s_cbranch_execz .LBB944_128
; %bb.114:
	v_xad_u32 v1, v0, -1, v6
	s_movk_i32 s2, 0x1700
	s_movk_i32 s4, 0x16ff
	v_cmp_gt_u32_e64 s[2:3], s2, v1
	v_cmp_lt_u32_e32 vcc, s4, v1
	v_mov_b32_e32 v2, v0
	s_and_saveexec_b64 s[4:5], vcc
	s_cbranch_execz .LBB944_125
; %bb.115:
	v_sub_u32_e32 v2, v0, v6
	v_or_b32_e32 v2, 0xff, v2
	v_cmp_ge_u32_e32 vcc, v2, v0
	s_mov_b64 s[8:9], -1
	v_mov_b32_e32 v2, v0
	s_and_saveexec_b64 s[6:7], vcc
	s_cbranch_execz .LBB944_124
; %bb.116:
	v_lshrrev_b32_e32 v7, 8, v1
	v_or_b32_e32 v3, 0x300, v0
	v_or_b32_e32 v2, 0x200, v0
	v_add_u32_e32 v4, -3, v7
	v_or_b32_e32 v1, 0x100, v0
	v_lshrrev_b32_e32 v5, 2, v4
	v_mov_b64_e32 v[12:13], v[2:3]
	v_add_u32_e32 v20, 1, v5
	v_cmp_lt_u32_e32 vcc, 11, v4
	v_mov_b32_e32 v23, 0
	v_lshlrev_b32_e32 v14, 1, v0
	v_mov_b64_e32 v[10:11], v[0:1]
	s_and_saveexec_b64 s[8:9], vcc
	s_cbranch_execz .LBB944_120
; %bb.117:
	v_mov_b64_e32 v[12:13], v[2:3]
	v_and_b32_e32 v21, 0x7ffffffc, v20
	s_mov_b32 s12, 0
	s_mov_b64 s[10:11], 0
	v_mov_b32_e32 v5, 0
	v_mov_b32_e32 v22, v14
	v_mov_b64_e32 v[10:11], v[0:1]
.LBB944_118:                            ; =>This Inner Loop Header: Depth=1
	v_mov_b32_e32 v4, v10
	ds_read_u16 v1, v22
	ds_read_u16 v25, v22 offset:512
	ds_read_u16 v94, v22 offset:1024
	;; [unrolled: 1-line block ×7, first 2 shown]
	v_lshl_add_u64 v[86:87], v[4:5], 1, v[18:19]
	v_mov_b32_e32 v4, v11
	v_lshl_add_u64 v[88:89], v[4:5], 1, v[18:19]
	v_mov_b32_e32 v4, v12
	ds_read_u16 v100, v22 offset:4096
	ds_read_u16 v101, v22 offset:4608
	;; [unrolled: 1-line block ×8, first 2 shown]
	v_lshl_add_u64 v[90:91], v[4:5], 1, v[18:19]
	v_mov_b32_e32 v4, v13
	v_add_u32_e32 v2, 0x400, v13
	v_mov_b32_e32 v3, v5
	v_lshl_add_u64 v[92:93], v[4:5], 1, v[18:19]
	v_add_u32_e32 v4, 0x400, v10
	v_add_u32_e32 v70, 0x400, v12
	;; [unrolled: 1-line block ×3, first 2 shown]
	v_mov_b32_e32 v73, v5
	v_mov_b32_e32 v71, v5
	v_add_u32_e32 v21, -4, v21
	v_lshl_add_u64 v[2:3], v[2:3], 1, v[18:19]
	s_waitcnt lgkmcnt(14)
	global_store_short v[86:87], v1, off
	global_store_short v[88:89], v25, off
	s_waitcnt lgkmcnt(13)
	global_store_short v[90:91], v94, off
	s_waitcnt lgkmcnt(12)
	global_store_short v[92:93], v95, off
	v_lshl_add_u64 v[86:87], v[4:5], 1, v[18:19]
	v_add_u32_e32 v4, 0x800, v10
	v_add_u32_e32 v74, 0x800, v13
	;; [unrolled: 1-line block ×4, first 2 shown]
	v_mov_b32_e32 v79, v5
	v_mov_b32_e32 v77, v5
	;; [unrolled: 1-line block ×3, first 2 shown]
	s_add_i32 s12, s12, 16
	v_lshl_add_u64 v[72:73], v[72:73], 1, v[18:19]
	v_lshl_add_u64 v[70:71], v[70:71], 1, v[18:19]
	v_cmp_eq_u32_e32 vcc, 0, v21
	s_waitcnt lgkmcnt(11)
	global_store_short v[86:87], v96, off
	s_waitcnt lgkmcnt(10)
	global_store_short v[72:73], v97, off
	s_waitcnt lgkmcnt(9)
	global_store_short v[70:71], v98, off
	s_waitcnt lgkmcnt(8)
	global_store_short v[2:3], v99, off
	v_lshl_add_u64 v[2:3], v[4:5], 1, v[18:19]
	v_add_u32_e32 v4, 0xc00, v10
	v_add_u32_e32 v80, 0xc00, v13
	;; [unrolled: 1-line block ×4, first 2 shown]
	v_mov_b32_e32 v85, v5
	v_mov_b32_e32 v83, v5
	;; [unrolled: 1-line block ×3, first 2 shown]
	v_add_u32_e32 v22, 0x2000, v22
	v_lshl_add_u64 v[78:79], v[78:79], 1, v[18:19]
	v_lshl_add_u64 v[76:77], v[76:77], 1, v[18:19]
	;; [unrolled: 1-line block ×3, first 2 shown]
	v_add_u32_e32 v11, 0x1000, v11
	v_mov_b32_e32 v23, s12
	v_add_u32_e32 v12, 0x1000, v12
	s_or_b64 s[10:11], vcc, s[10:11]
	v_add_u32_e32 v13, 0x1000, v13
	v_add_u32_e32 v10, 0x1000, v10
	s_waitcnt lgkmcnt(7)
	global_store_short v[2:3], v100, off
	s_waitcnt lgkmcnt(6)
	global_store_short v[78:79], v101, off
	;; [unrolled: 2-line block ×4, first 2 shown]
	v_lshl_add_u64 v[2:3], v[4:5], 1, v[18:19]
	v_lshl_add_u64 v[84:85], v[84:85], 1, v[18:19]
	;; [unrolled: 1-line block ×4, first 2 shown]
	s_waitcnt lgkmcnt(3)
	global_store_short v[2:3], v104, off
	s_waitcnt lgkmcnt(2)
	global_store_short v[84:85], v105, off
	;; [unrolled: 2-line block ×4, first 2 shown]
	s_andn2_b64 exec, exec, s[10:11]
	s_cbranch_execnz .LBB944_118
; %bb.119:
	s_or_b64 exec, exec, s[10:11]
.LBB944_120:
	s_or_b64 exec, exec, s[8:9]
	v_and_b32_e32 v1, 3, v20
	v_cmp_ne_u32_e32 vcc, 0, v1
	s_and_saveexec_b64 s[8:9], vcc
	s_cbranch_execz .LBB944_123
; %bb.121:
	v_lshl_or_b32 v4, v23, 9, v14
	s_mov_b64 s[10:11], 0
	v_mov_b32_e32 v3, 0
.LBB944_122:                            ; =>This Inner Loop Header: Depth=1
	ds_read_u16 v5, v4
	ds_read_u16 v14, v4 offset:512
	ds_read_u16 v25, v4 offset:1024
	;; [unrolled: 1-line block ×3, first 2 shown]
	v_mov_b32_e32 v2, v10
	v_add_u32_e32 v1, -1, v1
	v_lshl_add_u64 v[20:21], v[2:3], 1, v[18:19]
	v_mov_b32_e32 v2, v11
	v_cmp_eq_u32_e32 vcc, 0, v1
	v_lshl_add_u64 v[22:23], v[2:3], 1, v[18:19]
	v_mov_b32_e32 v2, v12
	v_add_u32_e32 v10, 0x400, v10
	v_add_u32_e32 v4, 0x800, v4
	;; [unrolled: 1-line block ×4, first 2 shown]
	s_or_b64 s[10:11], vcc, s[10:11]
	v_lshl_add_u64 v[70:71], v[2:3], 1, v[18:19]
	v_mov_b32_e32 v2, v13
	v_add_u32_e32 v13, 0x400, v13
	v_lshl_add_u64 v[72:73], v[2:3], 1, v[18:19]
	s_waitcnt lgkmcnt(3)
	global_store_short v[20:21], v5, off
	s_waitcnt lgkmcnt(2)
	global_store_short v[22:23], v14, off
	;; [unrolled: 2-line block ×4, first 2 shown]
	s_andn2_b64 exec, exec, s[10:11]
	s_cbranch_execnz .LBB944_122
.LBB944_123:
	s_or_b64 exec, exec, s[8:9]
	v_add_u32_e32 v1, 1, v7
	v_and_b32_e32 v3, 0x1fffffc, v1
	v_cmp_ne_u32_e32 vcc, v1, v3
	v_lshl_or_b32 v2, v3, 8, v0
	s_orn2_b64 s[8:9], vcc, exec
.LBB944_124:
	s_or_b64 exec, exec, s[6:7]
	s_andn2_b64 s[2:3], s[2:3], exec
	s_and_b64 s[6:7], s[8:9], exec
	s_or_b64 s[2:3], s[2:3], s[6:7]
.LBB944_125:
	s_or_b64 exec, exec, s[4:5]
	s_and_b64 exec, exec, s[2:3]
	s_cbranch_execz .LBB944_128
; %bb.126:
	v_lshlrev_b32_e32 v1, 1, v2
	s_mov_b64 s[2:3], 0
	v_mov_b32_e32 v3, 0
.LBB944_127:                            ; =>This Inner Loop Header: Depth=1
	ds_read_u16 v7, v1
	v_lshl_add_u64 v[4:5], v[2:3], 1, v[18:19]
	v_add_u32_e32 v2, 0x100, v2
	v_cmp_ge_u32_e32 vcc, v2, v6
	v_add_u32_e32 v1, 0x200, v1
	s_or_b64 s[2:3], vcc, s[2:3]
	s_waitcnt lgkmcnt(0)
	global_store_short v[4:5], v7, off
	s_andn2_b64 exec, exec, s[2:3]
	s_cbranch_execnz .LBB944_127
.LBB944_128:
	s_or_b64 exec, exec, s[0:1]
.LBB944_129:
	s_cmpk_lg_i32 s33, 0xf00
	s_cselect_b64 s[0:1], -1, 0
	v_cndmask_b32_e64 v7, 0, 1, s[42:43]
	s_and_b64 s[0:1], s[40:41], s[0:1]
	v_cmp_eq_u32_e32 vcc, 0, v0
	v_sub_u32_e32 v1, v6, v7
	v_cndmask_b32_e64 v2, 0, 1, s[0:1]
	s_and_b64 s[0:1], vcc, s[42:43]
	v_add_u32_e32 v1, v1, v2
	v_cndmask_b32_e64 v2, v69, 0, s[0:1]
	s_mul_hi_u32 s0, s33, 0x88888889
	s_lshr_b32 s0, s0, 3
	v_mad_i32_i24 v3, v0, -15, s33
	v_cmp_eq_u32_e32 vcc, s0, v0
	v_cmp_ne_u32_e64 s[0:1], 0, v3
	s_and_b64 vcc, s[40:41], vcc
	s_movk_i32 s30, 0x100
	v_cndmask_b32_e64 v4, 1, v2, s[0:1]
	v_cmp_ne_u32_e64 s[0:1], 1, v3
	s_mov_b64 s[36:37], -1
	s_nop 0
	v_cndmask_b32_e64 v5, 1, v68, s[0:1]
	v_cmp_ne_u32_e64 s[0:1], 2, v3
	s_barrier
	s_nop 0
	v_cndmask_b32_e64 v10, 1, v67, s[0:1]
	v_cmp_ne_u32_e64 s[0:1], 3, v3
	v_cndmask_b32_e32 v10, v67, v10, vcc
	v_cmp_ne_u32_e64 s[24:25], 0, v10
	v_cndmask_b32_e64 v11, 1, v66, s[0:1]
	v_cmp_ne_u32_e64 s[0:1], 4, v3
	v_cndmask_b32_e32 v11, v66, v11, vcc
	v_cmp_ne_u32_e64 s[22:23], 0, v11
	;; [unrolled: 4-line block ×10, first 2 shown]
	v_cndmask_b32_e64 v23, 1, v57, s[0:1]
	v_cmp_ne_u32_e64 s[0:1], 13, v3
	v_cndmask_b32_e32 v23, v57, v23, vcc
	v_cndmask_b32_e32 v57, v2, v4, vcc
	v_cndmask_b32_e64 v25, 1, v56, s[0:1]
	v_cmp_ne_u32_e64 s[0:1], 14, v3
	v_cndmask_b32_e32 v25, v56, v25, vcc
	v_cndmask_b32_e32 v56, v68, v5, vcc
	v_cndmask_b32_e64 v3, 1, v15, s[0:1]
	v_cndmask_b32_e32 v15, v15, v3, vcc
	v_cmp_eq_u32_e32 vcc, 0, v57
	v_cmp_ne_u32_e64 s[28:29], 0, v57
	v_cmp_ne_u32_e64 s[26:27], 0, v56
	v_cndmask_b32_e64 v57, 1, 2, vcc
	v_cmp_eq_u32_e32 vcc, 0, v56
	v_lshlrev_b64 v[2:3], 3, v[16:17]
	v_lshl_add_u64 v[2:3], s[46:47], 0, v[2:3]
	v_cndmask_b32_e64 v56, 1, 2, vcc
	v_cmp_eq_u32_e32 vcc, 0, v10
	v_and_b32_e32 v56, v56, v57
	v_lshlrev_b64 v[4:5], 3, v[8:9]
	v_cndmask_b32_e64 v10, 1, 2, vcc
	v_cmp_eq_u32_e32 vcc, 0, v11
	v_and_b32_e32 v10, v56, v10
	v_lshl_add_u64 v[2:3], v[2:3], 0, v[4:5]
	v_cndmask_b32_e64 v11, 1, 2, vcc
	v_cmp_eq_u32_e32 vcc, 0, v12
	v_and_b32_e32 v10, v10, v11
	v_lshlrev_b32_e32 v4, 3, v7
	v_cndmask_b32_e64 v11, 1, 2, vcc
	v_cmp_eq_u32_e32 vcc, 0, v13
	v_and_b32_e32 v10, v10, v11
	v_mov_b32_e32 v5, 0
	v_cndmask_b32_e64 v11, 1, 2, vcc
	v_cmp_eq_u32_e32 vcc, 0, v14
	v_and_b32_e32 v10, v10, v11
	v_lshl_add_u64 v[4:5], v[4:5], 0, v[2:3]
	v_cndmask_b32_e64 v11, 1, 2, vcc
	v_cmp_eq_u32_e32 vcc, 0, v18
	v_and_b32_e32 v10, v10, v11
	v_lshl_add_u64 v[4:5], v[4:5], 0, -8
	v_cndmask_b32_e64 v11, 1, 2, vcc
	v_cmp_eq_u32_e32 vcc, 0, v19
	v_and_b32_e32 v10, v10, v11
	v_add_u32_e32 v7, v8, v7
	v_cndmask_b32_e64 v11, 1, 2, vcc
	v_cmp_eq_u32_e32 vcc, 0, v20
	v_and_b32_e32 v10, v10, v11
	v_cmp_ne_u32_e64 s[4:5], 0, v23
	v_cndmask_b32_e64 v11, 1, 2, vcc
	v_cmp_eq_u32_e32 vcc, 0, v21
	v_and_b32_e32 v10, v10, v11
	v_cmp_ne_u32_e64 s[2:3], 0, v25
	;; [unrolled: 4-line block ×3, first 2 shown]
	v_cndmask_b32_e64 v11, 1, 2, vcc
	v_cmp_eq_u32_e32 vcc, 0, v23
	v_and_b32_e32 v10, v10, v11
	s_nop 0
	v_cndmask_b32_e64 v11, 1, 2, vcc
	v_cmp_eq_u32_e32 vcc, 0, v25
	v_and_b32_e32 v10, v10, v11
	s_nop 0
	;; [unrolled: 4-line block ×3, first 2 shown]
	v_cndmask_b32_e64 v11, 1, 2, vcc
	v_and_b32_e32 v10, v10, v11
	v_cmp_gt_u32_e32 vcc, s30, v1
	v_cmp_gt_i16_e64 s[30:31], 2, v10
	s_cbranch_vccz .LBB944_136
; %bb.130:
	s_and_saveexec_b64 s[36:37], s[30:31]
	s_cbranch_execz .LBB944_135
; %bb.131:
	v_cmp_ne_u16_e32 vcc, 1, v10
	s_mov_b64 s[38:39], 0
	s_and_saveexec_b64 s[30:31], vcc
	s_xor_b64 s[30:31], exec, s[30:31]
	s_cbranch_execnz .LBB944_185
; %bb.132:
	s_andn2_saveexec_b64 s[30:31], s[30:31]
	s_cbranch_execnz .LBB944_201
.LBB944_133:
	s_or_b64 exec, exec, s[30:31]
	s_and_b64 exec, exec, s[38:39]
	s_cbranch_execz .LBB944_135
.LBB944_134:
	v_mov_b32_e32 v13, 0
	v_sub_u32_e32 v14, v26, v7
	v_mov_b32_e32 v15, v13
	v_mov_b32_e32 v12, v27
	v_lshl_add_u64 v[14:15], v[14:15], 3, v[4:5]
	global_store_dwordx2 v[14:15], v[12:13], off
.LBB944_135:
	s_or_b64 exec, exec, s[36:37]
	s_mov_b64 s[36:37], 0
.LBB944_136:
	s_and_b64 vcc, exec, s[36:37]
	s_cbranch_vccz .LBB944_146
; %bb.137:
	v_cmp_gt_i16_e32 vcc, 2, v10
	s_and_saveexec_b64 s[30:31], vcc
	s_cbranch_execz .LBB944_142
; %bb.138:
	v_cmp_ne_u16_e32 vcc, 1, v10
	s_mov_b64 s[38:39], 0
	s_and_saveexec_b64 s[36:37], vcc
	s_xor_b64 s[36:37], exec, s[36:37]
	s_cbranch_execnz .LBB944_202
; %bb.139:
	s_andn2_saveexec_b64 s[0:1], s[36:37]
	s_cbranch_execnz .LBB944_218
.LBB944_140:
	s_or_b64 exec, exec, s[0:1]
	s_and_b64 exec, exec, s[38:39]
	s_cbranch_execz .LBB944_142
.LBB944_141:
	v_sub_u32_e32 v7, v26, v7
	v_lshlrev_b32_e32 v7, 2, v7
	ds_write_b32 v7, v27
.LBB944_142:
	s_or_b64 exec, exec, s[30:31]
	v_cmp_lt_u32_e32 vcc, v0, v1
	s_waitcnt lgkmcnt(0)
	s_barrier
	s_and_saveexec_b64 s[0:1], vcc
	s_cbranch_execz .LBB944_145
; %bb.143:
	v_lshlrev_b32_e32 v7, 2, v0
	s_mov_b64 s[2:3], 0
	v_mov_b32_e32 v11, 0
	v_mov_b32_e32 v10, v0
.LBB944_144:                            ; =>This Inner Loop Header: Depth=1
	ds_read_b32 v12, v7
	v_lshl_add_u64 v[14:15], v[10:11], 3, v[4:5]
	v_add_u32_e32 v10, 0x100, v10
	v_cmp_ge_u32_e32 vcc, v10, v1
	v_mov_b32_e32 v13, v11
	v_add_u32_e32 v7, 0x400, v7
	s_or_b64 s[2:3], vcc, s[2:3]
	s_waitcnt lgkmcnt(0)
	global_store_dwordx2 v[14:15], v[12:13], off
	s_andn2_b64 exec, exec, s[2:3]
	s_cbranch_execnz .LBB944_144
.LBB944_145:
	s_or_b64 exec, exec, s[0:1]
.LBB944_146:
	s_movk_i32 s0, 0xff
	v_cmp_eq_u32_e32 vcc, s0, v0
	s_and_b64 s[0:1], vcc, s[40:41]
	s_and_saveexec_b64 s[2:3], s[0:1]
	s_cbranch_execz .LBB944_149
; %bb.147:
	v_mov_b32_e32 v7, 0
	v_lshl_add_u64 v[0:1], v[6:7], 0, v[8:9]
	v_lshl_add_u64 v[0:1], v[0:1], 0, v[16:17]
	s_cmpk_lg_i32 s33, 0xf00
	global_store_dwordx2 v7, v[0:1], s[34:35]
	s_cbranch_scc1 .LBB944_149
; %bb.148:
	v_lshlrev_b64 v[0:1], 3, v[6:7]
	v_mov_b32_e32 v25, v7
	v_lshl_add_u64 v[0:1], v[2:3], 0, v[0:1]
	global_store_dwordx2 v[0:1], v[24:25], off offset:-8
.LBB944_149:
	s_endpgm
.LBB944_150:
	s_or_b64 exec, exec, s[6:7]
	v_mov_b32_e32 v69, s3
	s_and_saveexec_b64 s[6:7], s[4:5]
	s_cbranch_execnz .LBB944_54
	s_branch .LBB944_55
.LBB944_151:
	s_and_saveexec_b64 s[38:39], s[28:29]
	s_cbranch_execnz .LBB944_219
; %bb.152:
	s_or_b64 exec, exec, s[38:39]
	s_and_saveexec_b64 s[38:39], s[26:27]
	s_cbranch_execnz .LBB944_220
.LBB944_153:
	s_or_b64 exec, exec, s[38:39]
	s_and_saveexec_b64 s[38:39], s[24:25]
	s_cbranch_execnz .LBB944_221
.LBB944_154:
	s_or_b64 exec, exec, s[38:39]
	s_and_saveexec_b64 s[38:39], s[22:23]
	s_cbranch_execnz .LBB944_222
.LBB944_155:
	s_or_b64 exec, exec, s[38:39]
	s_and_saveexec_b64 s[38:39], s[20:21]
	s_cbranch_execnz .LBB944_223
.LBB944_156:
	s_or_b64 exec, exec, s[38:39]
	s_and_saveexec_b64 s[38:39], s[18:19]
	s_cbranch_execnz .LBB944_224
.LBB944_157:
	s_or_b64 exec, exec, s[38:39]
	s_and_saveexec_b64 s[38:39], s[16:17]
	s_cbranch_execnz .LBB944_225
.LBB944_158:
	s_or_b64 exec, exec, s[38:39]
	s_and_saveexec_b64 s[38:39], s[14:15]
	s_cbranch_execnz .LBB944_226
.LBB944_159:
	s_or_b64 exec, exec, s[38:39]
	s_and_saveexec_b64 s[38:39], s[12:13]
	s_cbranch_execnz .LBB944_227
.LBB944_160:
	s_or_b64 exec, exec, s[38:39]
	s_and_saveexec_b64 s[38:39], s[10:11]
	s_cbranch_execnz .LBB944_228
.LBB944_161:
	s_or_b64 exec, exec, s[38:39]
	s_and_saveexec_b64 s[38:39], s[8:9]
	s_cbranch_execnz .LBB944_229
.LBB944_162:
	s_or_b64 exec, exec, s[38:39]
	s_and_saveexec_b64 s[38:39], s[6:7]
	s_cbranch_execnz .LBB944_230
.LBB944_163:
	s_or_b64 exec, exec, s[38:39]
	s_and_saveexec_b64 s[38:39], s[4:5]
	s_cbranch_execnz .LBB944_231
.LBB944_164:
	s_or_b64 exec, exec, s[38:39]
	s_and_saveexec_b64 s[38:39], s[2:3]
	s_cbranch_execz .LBB944_166
.LBB944_165:
	v_sub_u32_e32 v10, v28, v8
	v_mov_b32_e32 v11, 0
	v_lshl_add_u64 v[10:11], v[10:11], 1, v[18:19]
	global_store_short v[10:11], v14, off
.LBB944_166:
	s_or_b64 exec, exec, s[38:39]
	s_and_b64 s[38:39], s[0:1], exec
	s_andn2_saveexec_b64 s[30:31], s[30:31]
	s_cbranch_execz .LBB944_104
.LBB944_167:
	v_sub_u32_e32 v10, v54, v8
	v_mov_b32_e32 v11, 0
	v_lshl_add_u64 v[20:21], v[10:11], 1, v[18:19]
	v_sub_u32_e32 v10, v52, v8
	global_store_short v[20:21], v1, off
	v_lshl_add_u64 v[20:21], v[10:11], 1, v[18:19]
	v_sub_u32_e32 v10, v50, v8
	global_store_short v[20:21], v2, off
	v_lshl_add_u64 v[20:21], v[10:11], 1, v[18:19]
	v_sub_u32_e32 v10, v48, v8
	global_store_short_d16_hi v[20:21], v2, off
	v_lshl_add_u64 v[20:21], v[10:11], 1, v[18:19]
	v_sub_u32_e32 v10, v46, v8
	global_store_short v[20:21], v3, off
	v_lshl_add_u64 v[20:21], v[10:11], 1, v[18:19]
	v_sub_u32_e32 v10, v44, v8
	global_store_short_d16_hi v[20:21], v3, off
	;; [unrolled: 6-line block ×5, first 2 shown]
	v_lshl_add_u64 v[20:21], v[10:11], 1, v[18:19]
	v_sub_u32_e32 v10, v30, v8
	global_store_short v[20:21], v13, off
	v_lshl_add_u64 v[20:21], v[10:11], 1, v[18:19]
	v_sub_u32_e32 v10, v28, v8
	v_lshl_add_u64 v[10:11], v[10:11], 1, v[18:19]
	s_or_b64 s[38:39], s[38:39], exec
	global_store_short_d16_hi v[20:21], v13, off
	global_store_short v[10:11], v14, off
	s_or_b64 exec, exec, s[30:31]
	s_and_b64 exec, exec, s[38:39]
	s_cbranch_execnz .LBB944_105
	s_branch .LBB944_106
.LBB944_168:
	s_and_saveexec_b64 s[38:39], s[28:29]
	s_cbranch_execnz .LBB944_232
; %bb.169:
	s_or_b64 exec, exec, s[38:39]
	s_and_saveexec_b64 s[28:29], s[26:27]
	s_cbranch_execnz .LBB944_233
.LBB944_170:
	s_or_b64 exec, exec, s[28:29]
	s_and_saveexec_b64 s[26:27], s[24:25]
	s_cbranch_execnz .LBB944_234
.LBB944_171:
	s_or_b64 exec, exec, s[26:27]
	s_and_saveexec_b64 s[24:25], s[22:23]
	s_cbranch_execnz .LBB944_235
.LBB944_172:
	s_or_b64 exec, exec, s[24:25]
	s_and_saveexec_b64 s[22:23], s[20:21]
	s_cbranch_execnz .LBB944_236
.LBB944_173:
	s_or_b64 exec, exec, s[22:23]
	s_and_saveexec_b64 s[20:21], s[18:19]
	s_cbranch_execnz .LBB944_237
.LBB944_174:
	s_or_b64 exec, exec, s[20:21]
	s_and_saveexec_b64 s[18:19], s[16:17]
	s_cbranch_execnz .LBB944_238
.LBB944_175:
	s_or_b64 exec, exec, s[18:19]
	s_and_saveexec_b64 s[16:17], s[14:15]
	s_cbranch_execnz .LBB944_239
.LBB944_176:
	s_or_b64 exec, exec, s[16:17]
	s_and_saveexec_b64 s[14:15], s[12:13]
	s_cbranch_execnz .LBB944_240
.LBB944_177:
	s_or_b64 exec, exec, s[14:15]
	s_and_saveexec_b64 s[12:13], s[10:11]
	s_cbranch_execnz .LBB944_241
.LBB944_178:
	s_or_b64 exec, exec, s[12:13]
	s_and_saveexec_b64 s[10:11], s[8:9]
	s_cbranch_execnz .LBB944_242
.LBB944_179:
	s_or_b64 exec, exec, s[10:11]
	s_and_saveexec_b64 s[8:9], s[6:7]
	s_cbranch_execnz .LBB944_243
.LBB944_180:
	s_or_b64 exec, exec, s[8:9]
	s_and_saveexec_b64 s[6:7], s[4:5]
	s_cbranch_execnz .LBB944_244
.LBB944_181:
	s_or_b64 exec, exec, s[6:7]
	s_and_saveexec_b64 s[4:5], s[2:3]
	s_cbranch_execz .LBB944_183
.LBB944_182:
	v_sub_u32_e32 v1, v28, v8
	v_lshlrev_b32_e32 v1, 1, v1
	ds_write_b16 v1, v14
.LBB944_183:
	s_or_b64 exec, exec, s[4:5]
	s_and_b64 s[38:39], s[0:1], exec
                                        ; implicit-def: $vgpr1
                                        ; implicit-def: $vgpr2
	s_andn2_saveexec_b64 s[0:1], s[36:37]
	s_cbranch_execz .LBB944_111
.LBB944_184:
	v_sub_u32_e32 v7, v54, v8
	v_lshlrev_b32_e32 v7, 1, v7
	ds_write_b16 v7, v1
	v_sub_u32_e32 v1, v52, v8
	v_lshlrev_b32_e32 v1, 1, v1
	ds_write_b16 v1, v2
	v_sub_u32_e32 v1, v50, v8
	v_lshlrev_b32_e32 v1, 1, v1
	ds_write_b16_d16_hi v1, v2
	v_sub_u32_e32 v1, v48, v8
	v_lshlrev_b32_e32 v1, 1, v1
	ds_write_b16 v1, v3
	v_sub_u32_e32 v1, v46, v8
	v_lshlrev_b32_e32 v1, 1, v1
	ds_write_b16_d16_hi v1, v3
	;; [unrolled: 6-line block ×6, first 2 shown]
	v_sub_u32_e32 v1, v28, v8
	v_lshlrev_b32_e32 v1, 1, v1
	s_or_b64 s[38:39], s[38:39], exec
	ds_write_b16 v1, v14
	s_or_b64 exec, exec, s[0:1]
	s_and_b64 exec, exec, s[38:39]
	s_cbranch_execnz .LBB944_112
	s_branch .LBB944_113
.LBB944_185:
	s_and_saveexec_b64 s[38:39], s[28:29]
	s_cbranch_execnz .LBB944_245
; %bb.186:
	s_or_b64 exec, exec, s[38:39]
	s_and_saveexec_b64 s[38:39], s[26:27]
	s_cbranch_execnz .LBB944_246
.LBB944_187:
	s_or_b64 exec, exec, s[38:39]
	s_and_saveexec_b64 s[38:39], s[24:25]
	s_cbranch_execnz .LBB944_247
.LBB944_188:
	s_or_b64 exec, exec, s[38:39]
	s_and_saveexec_b64 s[38:39], s[22:23]
	s_cbranch_execnz .LBB944_248
.LBB944_189:
	s_or_b64 exec, exec, s[38:39]
	s_and_saveexec_b64 s[38:39], s[20:21]
	s_cbranch_execnz .LBB944_249
.LBB944_190:
	s_or_b64 exec, exec, s[38:39]
	s_and_saveexec_b64 s[38:39], s[18:19]
	s_cbranch_execnz .LBB944_250
.LBB944_191:
	s_or_b64 exec, exec, s[38:39]
	s_and_saveexec_b64 s[38:39], s[16:17]
	s_cbranch_execnz .LBB944_251
.LBB944_192:
	s_or_b64 exec, exec, s[38:39]
	s_and_saveexec_b64 s[38:39], s[14:15]
	s_cbranch_execnz .LBB944_252
.LBB944_193:
	s_or_b64 exec, exec, s[38:39]
	s_and_saveexec_b64 s[38:39], s[12:13]
	s_cbranch_execnz .LBB944_253
.LBB944_194:
	s_or_b64 exec, exec, s[38:39]
	s_and_saveexec_b64 s[38:39], s[10:11]
	s_cbranch_execnz .LBB944_254
.LBB944_195:
	s_or_b64 exec, exec, s[38:39]
	s_and_saveexec_b64 s[38:39], s[8:9]
	s_cbranch_execnz .LBB944_255
.LBB944_196:
	s_or_b64 exec, exec, s[38:39]
	s_and_saveexec_b64 s[38:39], s[6:7]
	s_cbranch_execnz .LBB944_256
.LBB944_197:
	s_or_b64 exec, exec, s[38:39]
	s_and_saveexec_b64 s[38:39], s[4:5]
	s_cbranch_execnz .LBB944_257
.LBB944_198:
	s_or_b64 exec, exec, s[38:39]
	s_and_saveexec_b64 s[38:39], s[2:3]
	s_cbranch_execz .LBB944_200
.LBB944_199:
	v_sub_u32_e32 v12, v28, v7
	v_mov_b32_e32 v13, 0
	v_lshl_add_u64 v[14:15], v[12:13], 3, v[4:5]
	v_mov_b32_e32 v12, v29
	global_store_dwordx2 v[14:15], v[12:13], off
.LBB944_200:
	s_or_b64 exec, exec, s[38:39]
	s_and_b64 s[38:39], s[0:1], exec
	s_andn2_saveexec_b64 s[30:31], s[30:31]
	s_cbranch_execz .LBB944_133
.LBB944_201:
	v_mov_b32_e32 v13, 0
	v_sub_u32_e32 v14, v54, v7
	v_mov_b32_e32 v15, v13
	v_mov_b32_e32 v12, v55
	v_lshl_add_u64 v[14:15], v[14:15], 3, v[4:5]
	global_store_dwordx2 v[14:15], v[12:13], off
	v_sub_u32_e32 v14, v52, v7
	v_mov_b32_e32 v15, v13
	v_mov_b32_e32 v12, v53
	v_lshl_add_u64 v[14:15], v[14:15], 3, v[4:5]
	global_store_dwordx2 v[14:15], v[12:13], off
	;; [unrolled: 5-line block ×13, first 2 shown]
	v_sub_u32_e32 v14, v28, v7
	v_mov_b32_e32 v15, v13
	v_mov_b32_e32 v12, v29
	v_lshl_add_u64 v[14:15], v[14:15], 3, v[4:5]
	s_or_b64 s[38:39], s[38:39], exec
	global_store_dwordx2 v[14:15], v[12:13], off
	s_or_b64 exec, exec, s[30:31]
	s_and_b64 exec, exec, s[38:39]
	s_cbranch_execnz .LBB944_134
	s_branch .LBB944_135
.LBB944_202:
	s_and_saveexec_b64 s[38:39], s[28:29]
	s_cbranch_execnz .LBB944_258
; %bb.203:
	s_or_b64 exec, exec, s[38:39]
	s_and_saveexec_b64 s[28:29], s[26:27]
	s_cbranch_execnz .LBB944_259
.LBB944_204:
	s_or_b64 exec, exec, s[28:29]
	s_and_saveexec_b64 s[26:27], s[24:25]
	s_cbranch_execnz .LBB944_260
.LBB944_205:
	s_or_b64 exec, exec, s[26:27]
	s_and_saveexec_b64 s[24:25], s[22:23]
	s_cbranch_execnz .LBB944_261
.LBB944_206:
	s_or_b64 exec, exec, s[24:25]
	s_and_saveexec_b64 s[22:23], s[20:21]
	s_cbranch_execnz .LBB944_262
.LBB944_207:
	s_or_b64 exec, exec, s[22:23]
	s_and_saveexec_b64 s[20:21], s[18:19]
	s_cbranch_execnz .LBB944_263
.LBB944_208:
	s_or_b64 exec, exec, s[20:21]
	s_and_saveexec_b64 s[18:19], s[16:17]
	s_cbranch_execnz .LBB944_264
.LBB944_209:
	s_or_b64 exec, exec, s[18:19]
	s_and_saveexec_b64 s[16:17], s[14:15]
	s_cbranch_execnz .LBB944_265
.LBB944_210:
	s_or_b64 exec, exec, s[16:17]
	s_and_saveexec_b64 s[14:15], s[12:13]
	s_cbranch_execnz .LBB944_266
.LBB944_211:
	s_or_b64 exec, exec, s[14:15]
	s_and_saveexec_b64 s[12:13], s[10:11]
	s_cbranch_execnz .LBB944_267
.LBB944_212:
	s_or_b64 exec, exec, s[12:13]
	s_and_saveexec_b64 s[10:11], s[8:9]
	s_cbranch_execnz .LBB944_268
.LBB944_213:
	s_or_b64 exec, exec, s[10:11]
	s_and_saveexec_b64 s[8:9], s[6:7]
	s_cbranch_execnz .LBB944_269
.LBB944_214:
	s_or_b64 exec, exec, s[8:9]
	s_and_saveexec_b64 s[6:7], s[4:5]
	s_cbranch_execnz .LBB944_270
.LBB944_215:
	s_or_b64 exec, exec, s[6:7]
	s_and_saveexec_b64 s[4:5], s[2:3]
	s_cbranch_execz .LBB944_217
.LBB944_216:
	v_sub_u32_e32 v10, v28, v7
	v_lshlrev_b32_e32 v10, 2, v10
	ds_write_b32 v10, v29
.LBB944_217:
	s_or_b64 exec, exec, s[4:5]
	s_and_b64 s[38:39], s[0:1], exec
                                        ; implicit-def: $vgpr54_vgpr55
                                        ; implicit-def: $vgpr52_vgpr53
                                        ; implicit-def: $vgpr50_vgpr51
                                        ; implicit-def: $vgpr48_vgpr49
                                        ; implicit-def: $vgpr46_vgpr47
                                        ; implicit-def: $vgpr44_vgpr45
                                        ; implicit-def: $vgpr42_vgpr43
                                        ; implicit-def: $vgpr40_vgpr41
                                        ; implicit-def: $vgpr38_vgpr39
                                        ; implicit-def: $vgpr36_vgpr37
                                        ; implicit-def: $vgpr34_vgpr35
                                        ; implicit-def: $vgpr32_vgpr33
                                        ; implicit-def: $vgpr30_vgpr31
                                        ; implicit-def: $vgpr28_vgpr29
	s_andn2_saveexec_b64 s[0:1], s[36:37]
	s_cbranch_execz .LBB944_140
.LBB944_218:
	v_sub_u32_e32 v10, v54, v7
	v_lshlrev_b32_e32 v10, 2, v10
	ds_write_b32 v10, v55
	v_sub_u32_e32 v10, v52, v7
	v_lshlrev_b32_e32 v10, 2, v10
	ds_write_b32 v10, v53
	;; [unrolled: 3-line block ×13, first 2 shown]
	v_sub_u32_e32 v10, v28, v7
	v_lshlrev_b32_e32 v10, 2, v10
	s_or_b64 s[38:39], s[38:39], exec
	ds_write_b32 v10, v29
	s_or_b64 exec, exec, s[0:1]
	s_and_b64 exec, exec, s[38:39]
	s_cbranch_execnz .LBB944_141
	s_branch .LBB944_142
.LBB944_219:
	v_sub_u32_e32 v10, v54, v8
	v_mov_b32_e32 v11, 0
	v_lshl_add_u64 v[10:11], v[10:11], 1, v[18:19]
	global_store_short v[10:11], v1, off
	s_or_b64 exec, exec, s[38:39]
	s_and_saveexec_b64 s[38:39], s[26:27]
	s_cbranch_execz .LBB944_153
.LBB944_220:
	v_sub_u32_e32 v10, v52, v8
	v_mov_b32_e32 v11, 0
	v_lshl_add_u64 v[10:11], v[10:11], 1, v[18:19]
	global_store_short v[10:11], v2, off
	s_or_b64 exec, exec, s[38:39]
	s_and_saveexec_b64 s[38:39], s[24:25]
	s_cbranch_execz .LBB944_154
.LBB944_221:
	v_sub_u32_e32 v10, v50, v8
	v_mov_b32_e32 v11, 0
	v_lshl_add_u64 v[10:11], v[10:11], 1, v[18:19]
	global_store_short_d16_hi v[10:11], v2, off
	s_or_b64 exec, exec, s[38:39]
	s_and_saveexec_b64 s[38:39], s[22:23]
	s_cbranch_execz .LBB944_155
.LBB944_222:
	v_sub_u32_e32 v10, v48, v8
	v_mov_b32_e32 v11, 0
	v_lshl_add_u64 v[10:11], v[10:11], 1, v[18:19]
	global_store_short v[10:11], v3, off
	s_or_b64 exec, exec, s[38:39]
	s_and_saveexec_b64 s[38:39], s[20:21]
	s_cbranch_execz .LBB944_156
.LBB944_223:
	v_sub_u32_e32 v10, v46, v8
	v_mov_b32_e32 v11, 0
	v_lshl_add_u64 v[10:11], v[10:11], 1, v[18:19]
	global_store_short_d16_hi v[10:11], v3, off
	s_or_b64 exec, exec, s[38:39]
	s_and_saveexec_b64 s[38:39], s[18:19]
	s_cbranch_execz .LBB944_157
.LBB944_224:
	v_sub_u32_e32 v10, v44, v8
	v_mov_b32_e32 v11, 0
	v_lshl_add_u64 v[10:11], v[10:11], 1, v[18:19]
	global_store_short v[10:11], v4, off
	s_or_b64 exec, exec, s[38:39]
	s_and_saveexec_b64 s[38:39], s[16:17]
	s_cbranch_execz .LBB944_158
.LBB944_225:
	v_sub_u32_e32 v10, v42, v8
	v_mov_b32_e32 v11, 0
	v_lshl_add_u64 v[10:11], v[10:11], 1, v[18:19]
	global_store_short_d16_hi v[10:11], v4, off
	s_or_b64 exec, exec, s[38:39]
	s_and_saveexec_b64 s[38:39], s[14:15]
	s_cbranch_execz .LBB944_159
.LBB944_226:
	v_sub_u32_e32 v10, v40, v8
	v_mov_b32_e32 v11, 0
	v_lshl_add_u64 v[10:11], v[10:11], 1, v[18:19]
	global_store_short v[10:11], v5, off
	s_or_b64 exec, exec, s[38:39]
	s_and_saveexec_b64 s[38:39], s[12:13]
	s_cbranch_execz .LBB944_160
.LBB944_227:
	v_sub_u32_e32 v10, v38, v8
	v_mov_b32_e32 v11, 0
	v_lshl_add_u64 v[10:11], v[10:11], 1, v[18:19]
	global_store_short_d16_hi v[10:11], v5, off
	s_or_b64 exec, exec, s[38:39]
	s_and_saveexec_b64 s[38:39], s[10:11]
	s_cbranch_execz .LBB944_161
.LBB944_228:
	v_sub_u32_e32 v10, v36, v8
	v_mov_b32_e32 v11, 0
	v_lshl_add_u64 v[10:11], v[10:11], 1, v[18:19]
	global_store_short v[10:11], v12, off
	s_or_b64 exec, exec, s[38:39]
	s_and_saveexec_b64 s[38:39], s[8:9]
	s_cbranch_execz .LBB944_162
.LBB944_229:
	v_sub_u32_e32 v10, v34, v8
	v_mov_b32_e32 v11, 0
	v_lshl_add_u64 v[10:11], v[10:11], 1, v[18:19]
	global_store_short_d16_hi v[10:11], v12, off
	s_or_b64 exec, exec, s[38:39]
	s_and_saveexec_b64 s[38:39], s[6:7]
	s_cbranch_execz .LBB944_163
.LBB944_230:
	v_sub_u32_e32 v10, v32, v8
	v_mov_b32_e32 v11, 0
	v_lshl_add_u64 v[10:11], v[10:11], 1, v[18:19]
	global_store_short v[10:11], v13, off
	s_or_b64 exec, exec, s[38:39]
	s_and_saveexec_b64 s[38:39], s[4:5]
	s_cbranch_execz .LBB944_164
.LBB944_231:
	v_sub_u32_e32 v10, v30, v8
	v_mov_b32_e32 v11, 0
	v_lshl_add_u64 v[10:11], v[10:11], 1, v[18:19]
	global_store_short_d16_hi v[10:11], v13, off
	s_or_b64 exec, exec, s[38:39]
	s_and_saveexec_b64 s[38:39], s[2:3]
	s_cbranch_execnz .LBB944_165
	s_branch .LBB944_166
.LBB944_232:
	v_sub_u32_e32 v7, v54, v8
	v_lshlrev_b32_e32 v7, 1, v7
	ds_write_b16 v7, v1
	s_or_b64 exec, exec, s[38:39]
	s_and_saveexec_b64 s[28:29], s[26:27]
	s_cbranch_execz .LBB944_170
.LBB944_233:
	v_sub_u32_e32 v1, v52, v8
	v_lshlrev_b32_e32 v1, 1, v1
	ds_write_b16 v1, v2
	s_or_b64 exec, exec, s[28:29]
	s_and_saveexec_b64 s[26:27], s[24:25]
	s_cbranch_execz .LBB944_171
.LBB944_234:
	v_sub_u32_e32 v1, v50, v8
	v_lshlrev_b32_e32 v1, 1, v1
	ds_write_b16_d16_hi v1, v2
	s_or_b64 exec, exec, s[26:27]
	s_and_saveexec_b64 s[24:25], s[22:23]
	s_cbranch_execz .LBB944_172
.LBB944_235:
	v_sub_u32_e32 v1, v48, v8
	v_lshlrev_b32_e32 v1, 1, v1
	ds_write_b16 v1, v3
	s_or_b64 exec, exec, s[24:25]
	s_and_saveexec_b64 s[22:23], s[20:21]
	s_cbranch_execz .LBB944_173
.LBB944_236:
	v_sub_u32_e32 v1, v46, v8
	v_lshlrev_b32_e32 v1, 1, v1
	ds_write_b16_d16_hi v1, v3
	s_or_b64 exec, exec, s[22:23]
	s_and_saveexec_b64 s[20:21], s[18:19]
	s_cbranch_execz .LBB944_174
.LBB944_237:
	v_sub_u32_e32 v1, v44, v8
	v_lshlrev_b32_e32 v1, 1, v1
	ds_write_b16 v1, v4
	s_or_b64 exec, exec, s[20:21]
	s_and_saveexec_b64 s[18:19], s[16:17]
	s_cbranch_execz .LBB944_175
.LBB944_238:
	v_sub_u32_e32 v1, v42, v8
	v_lshlrev_b32_e32 v1, 1, v1
	ds_write_b16_d16_hi v1, v4
	s_or_b64 exec, exec, s[18:19]
	s_and_saveexec_b64 s[16:17], s[14:15]
	s_cbranch_execz .LBB944_176
.LBB944_239:
	v_sub_u32_e32 v1, v40, v8
	v_lshlrev_b32_e32 v1, 1, v1
	ds_write_b16 v1, v5
	s_or_b64 exec, exec, s[16:17]
	s_and_saveexec_b64 s[14:15], s[12:13]
	s_cbranch_execz .LBB944_177
.LBB944_240:
	v_sub_u32_e32 v1, v38, v8
	v_lshlrev_b32_e32 v1, 1, v1
	ds_write_b16_d16_hi v1, v5
	s_or_b64 exec, exec, s[14:15]
	s_and_saveexec_b64 s[12:13], s[10:11]
	s_cbranch_execz .LBB944_178
.LBB944_241:
	v_sub_u32_e32 v1, v36, v8
	v_lshlrev_b32_e32 v1, 1, v1
	ds_write_b16 v1, v12
	s_or_b64 exec, exec, s[12:13]
	s_and_saveexec_b64 s[10:11], s[8:9]
	s_cbranch_execz .LBB944_179
.LBB944_242:
	v_sub_u32_e32 v1, v34, v8
	v_lshlrev_b32_e32 v1, 1, v1
	ds_write_b16_d16_hi v1, v12
	s_or_b64 exec, exec, s[10:11]
	s_and_saveexec_b64 s[8:9], s[6:7]
	s_cbranch_execz .LBB944_180
.LBB944_243:
	v_sub_u32_e32 v1, v32, v8
	v_lshlrev_b32_e32 v1, 1, v1
	ds_write_b16 v1, v13
	s_or_b64 exec, exec, s[8:9]
	s_and_saveexec_b64 s[6:7], s[4:5]
	s_cbranch_execz .LBB944_181
.LBB944_244:
	v_sub_u32_e32 v1, v30, v8
	v_lshlrev_b32_e32 v1, 1, v1
	ds_write_b16_d16_hi v1, v13
	s_or_b64 exec, exec, s[6:7]
	s_and_saveexec_b64 s[4:5], s[2:3]
	s_cbranch_execnz .LBB944_182
	s_branch .LBB944_183
.LBB944_245:
	v_sub_u32_e32 v12, v54, v7
	v_mov_b32_e32 v13, 0
	v_lshl_add_u64 v[14:15], v[12:13], 3, v[4:5]
	v_mov_b32_e32 v12, v55
	global_store_dwordx2 v[14:15], v[12:13], off
	s_or_b64 exec, exec, s[38:39]
	s_and_saveexec_b64 s[38:39], s[26:27]
	s_cbranch_execz .LBB944_187
.LBB944_246:
	v_sub_u32_e32 v12, v52, v7
	v_mov_b32_e32 v13, 0
	v_lshl_add_u64 v[14:15], v[12:13], 3, v[4:5]
	v_mov_b32_e32 v12, v53
	global_store_dwordx2 v[14:15], v[12:13], off
	s_or_b64 exec, exec, s[38:39]
	s_and_saveexec_b64 s[38:39], s[24:25]
	s_cbranch_execz .LBB944_188
.LBB944_247:
	v_sub_u32_e32 v12, v50, v7
	v_mov_b32_e32 v13, 0
	v_lshl_add_u64 v[14:15], v[12:13], 3, v[4:5]
	v_mov_b32_e32 v12, v51
	global_store_dwordx2 v[14:15], v[12:13], off
	s_or_b64 exec, exec, s[38:39]
	s_and_saveexec_b64 s[38:39], s[22:23]
	s_cbranch_execz .LBB944_189
.LBB944_248:
	v_sub_u32_e32 v12, v48, v7
	v_mov_b32_e32 v13, 0
	v_lshl_add_u64 v[14:15], v[12:13], 3, v[4:5]
	v_mov_b32_e32 v12, v49
	global_store_dwordx2 v[14:15], v[12:13], off
	s_or_b64 exec, exec, s[38:39]
	s_and_saveexec_b64 s[38:39], s[20:21]
	s_cbranch_execz .LBB944_190
.LBB944_249:
	v_sub_u32_e32 v12, v46, v7
	v_mov_b32_e32 v13, 0
	v_lshl_add_u64 v[14:15], v[12:13], 3, v[4:5]
	v_mov_b32_e32 v12, v47
	global_store_dwordx2 v[14:15], v[12:13], off
	s_or_b64 exec, exec, s[38:39]
	s_and_saveexec_b64 s[38:39], s[18:19]
	s_cbranch_execz .LBB944_191
.LBB944_250:
	v_sub_u32_e32 v12, v44, v7
	v_mov_b32_e32 v13, 0
	v_lshl_add_u64 v[14:15], v[12:13], 3, v[4:5]
	v_mov_b32_e32 v12, v45
	global_store_dwordx2 v[14:15], v[12:13], off
	s_or_b64 exec, exec, s[38:39]
	s_and_saveexec_b64 s[38:39], s[16:17]
	s_cbranch_execz .LBB944_192
.LBB944_251:
	v_sub_u32_e32 v12, v42, v7
	v_mov_b32_e32 v13, 0
	v_lshl_add_u64 v[14:15], v[12:13], 3, v[4:5]
	v_mov_b32_e32 v12, v43
	global_store_dwordx2 v[14:15], v[12:13], off
	s_or_b64 exec, exec, s[38:39]
	s_and_saveexec_b64 s[38:39], s[14:15]
	s_cbranch_execz .LBB944_193
.LBB944_252:
	v_sub_u32_e32 v12, v40, v7
	v_mov_b32_e32 v13, 0
	v_lshl_add_u64 v[14:15], v[12:13], 3, v[4:5]
	v_mov_b32_e32 v12, v41
	global_store_dwordx2 v[14:15], v[12:13], off
	s_or_b64 exec, exec, s[38:39]
	s_and_saveexec_b64 s[38:39], s[12:13]
	s_cbranch_execz .LBB944_194
.LBB944_253:
	v_sub_u32_e32 v12, v38, v7
	v_mov_b32_e32 v13, 0
	v_lshl_add_u64 v[14:15], v[12:13], 3, v[4:5]
	v_mov_b32_e32 v12, v39
	global_store_dwordx2 v[14:15], v[12:13], off
	s_or_b64 exec, exec, s[38:39]
	s_and_saveexec_b64 s[38:39], s[10:11]
	s_cbranch_execz .LBB944_195
.LBB944_254:
	v_sub_u32_e32 v12, v36, v7
	v_mov_b32_e32 v13, 0
	v_lshl_add_u64 v[14:15], v[12:13], 3, v[4:5]
	v_mov_b32_e32 v12, v37
	global_store_dwordx2 v[14:15], v[12:13], off
	s_or_b64 exec, exec, s[38:39]
	s_and_saveexec_b64 s[38:39], s[8:9]
	s_cbranch_execz .LBB944_196
.LBB944_255:
	v_sub_u32_e32 v12, v34, v7
	v_mov_b32_e32 v13, 0
	v_lshl_add_u64 v[14:15], v[12:13], 3, v[4:5]
	v_mov_b32_e32 v12, v35
	global_store_dwordx2 v[14:15], v[12:13], off
	s_or_b64 exec, exec, s[38:39]
	s_and_saveexec_b64 s[38:39], s[6:7]
	s_cbranch_execz .LBB944_197
.LBB944_256:
	v_sub_u32_e32 v12, v32, v7
	v_mov_b32_e32 v13, 0
	v_lshl_add_u64 v[14:15], v[12:13], 3, v[4:5]
	v_mov_b32_e32 v12, v33
	global_store_dwordx2 v[14:15], v[12:13], off
	s_or_b64 exec, exec, s[38:39]
	s_and_saveexec_b64 s[38:39], s[4:5]
	s_cbranch_execz .LBB944_198
.LBB944_257:
	v_sub_u32_e32 v12, v30, v7
	v_mov_b32_e32 v13, 0
	v_lshl_add_u64 v[14:15], v[12:13], 3, v[4:5]
	v_mov_b32_e32 v12, v31
	global_store_dwordx2 v[14:15], v[12:13], off
	s_or_b64 exec, exec, s[38:39]
	s_and_saveexec_b64 s[38:39], s[2:3]
	s_cbranch_execnz .LBB944_199
	s_branch .LBB944_200
.LBB944_258:
	v_sub_u32_e32 v10, v54, v7
	v_lshlrev_b32_e32 v10, 2, v10
	ds_write_b32 v10, v55
	s_or_b64 exec, exec, s[38:39]
	s_and_saveexec_b64 s[28:29], s[26:27]
	s_cbranch_execz .LBB944_204
.LBB944_259:
	v_sub_u32_e32 v10, v52, v7
	v_lshlrev_b32_e32 v10, 2, v10
	ds_write_b32 v10, v53
	s_or_b64 exec, exec, s[28:29]
	s_and_saveexec_b64 s[26:27], s[24:25]
	s_cbranch_execz .LBB944_205
.LBB944_260:
	v_sub_u32_e32 v10, v50, v7
	v_lshlrev_b32_e32 v10, 2, v10
	ds_write_b32 v10, v51
	s_or_b64 exec, exec, s[26:27]
	s_and_saveexec_b64 s[24:25], s[22:23]
	s_cbranch_execz .LBB944_206
.LBB944_261:
	v_sub_u32_e32 v10, v48, v7
	v_lshlrev_b32_e32 v10, 2, v10
	ds_write_b32 v10, v49
	s_or_b64 exec, exec, s[24:25]
	s_and_saveexec_b64 s[22:23], s[20:21]
	s_cbranch_execz .LBB944_207
.LBB944_262:
	v_sub_u32_e32 v10, v46, v7
	v_lshlrev_b32_e32 v10, 2, v10
	ds_write_b32 v10, v47
	s_or_b64 exec, exec, s[22:23]
	s_and_saveexec_b64 s[20:21], s[18:19]
	s_cbranch_execz .LBB944_208
.LBB944_263:
	v_sub_u32_e32 v10, v44, v7
	v_lshlrev_b32_e32 v10, 2, v10
	ds_write_b32 v10, v45
	s_or_b64 exec, exec, s[20:21]
	s_and_saveexec_b64 s[18:19], s[16:17]
	s_cbranch_execz .LBB944_209
.LBB944_264:
	v_sub_u32_e32 v10, v42, v7
	v_lshlrev_b32_e32 v10, 2, v10
	ds_write_b32 v10, v43
	s_or_b64 exec, exec, s[18:19]
	s_and_saveexec_b64 s[16:17], s[14:15]
	s_cbranch_execz .LBB944_210
.LBB944_265:
	v_sub_u32_e32 v10, v40, v7
	v_lshlrev_b32_e32 v10, 2, v10
	ds_write_b32 v10, v41
	s_or_b64 exec, exec, s[16:17]
	s_and_saveexec_b64 s[14:15], s[12:13]
	s_cbranch_execz .LBB944_211
.LBB944_266:
	v_sub_u32_e32 v10, v38, v7
	v_lshlrev_b32_e32 v10, 2, v10
	ds_write_b32 v10, v39
	s_or_b64 exec, exec, s[14:15]
	s_and_saveexec_b64 s[12:13], s[10:11]
	s_cbranch_execz .LBB944_212
.LBB944_267:
	v_sub_u32_e32 v10, v36, v7
	v_lshlrev_b32_e32 v10, 2, v10
	ds_write_b32 v10, v37
	s_or_b64 exec, exec, s[12:13]
	s_and_saveexec_b64 s[10:11], s[8:9]
	s_cbranch_execz .LBB944_213
.LBB944_268:
	v_sub_u32_e32 v10, v34, v7
	v_lshlrev_b32_e32 v10, 2, v10
	ds_write_b32 v10, v35
	s_or_b64 exec, exec, s[10:11]
	s_and_saveexec_b64 s[8:9], s[6:7]
	s_cbranch_execz .LBB944_214
.LBB944_269:
	v_sub_u32_e32 v10, v32, v7
	v_lshlrev_b32_e32 v10, 2, v10
	ds_write_b32 v10, v33
	s_or_b64 exec, exec, s[8:9]
	s_and_saveexec_b64 s[6:7], s[4:5]
	s_cbranch_execz .LBB944_215
.LBB944_270:
	v_sub_u32_e32 v10, v30, v7
	v_lshlrev_b32_e32 v10, 2, v10
	ds_write_b32 v10, v31
	s_or_b64 exec, exec, s[6:7]
	s_and_saveexec_b64 s[4:5], s[2:3]
	s_cbranch_execnz .LBB944_216
	s_branch .LBB944_217
	.section	.rodata,"a",@progbits
	.p2align	6, 0x0
	.amdhsa_kernel _ZN7rocprim17ROCPRIM_400000_NS6detail17trampoline_kernelINS0_14default_configENS1_33run_length_encode_config_selectorIN3c104HalfEjNS0_4plusIjEEEEZZNS1_33reduce_by_key_impl_wrapped_configILNS1_25lookback_scan_determinismE0ES3_S9_PKS6_NS0_17constant_iteratorIjlEEPS6_PlSH_S8_NS0_8equal_toIS6_EEEE10hipError_tPvRmT2_T3_mT4_T5_T6_T7_T8_P12ihipStream_tbENKUlT_T0_E_clISt17integral_constantIbLb1EES10_IbLb0EEEEDaSW_SX_EUlSW_E_NS1_11comp_targetILNS1_3genE5ELNS1_11target_archE942ELNS1_3gpuE9ELNS1_3repE0EEENS1_30default_config_static_selectorELNS0_4arch9wavefront6targetE1EEEvT1_
		.amdhsa_group_segment_fixed_size 15360
		.amdhsa_private_segment_fixed_size 0
		.amdhsa_kernarg_size 128
		.amdhsa_user_sgpr_count 2
		.amdhsa_user_sgpr_dispatch_ptr 0
		.amdhsa_user_sgpr_queue_ptr 0
		.amdhsa_user_sgpr_kernarg_segment_ptr 1
		.amdhsa_user_sgpr_dispatch_id 0
		.amdhsa_user_sgpr_kernarg_preload_length 0
		.amdhsa_user_sgpr_kernarg_preload_offset 0
		.amdhsa_user_sgpr_private_segment_size 0
		.amdhsa_uses_dynamic_stack 0
		.amdhsa_enable_private_segment 0
		.amdhsa_system_sgpr_workgroup_id_x 1
		.amdhsa_system_sgpr_workgroup_id_y 0
		.amdhsa_system_sgpr_workgroup_id_z 0
		.amdhsa_system_sgpr_workgroup_info 0
		.amdhsa_system_vgpr_workitem_id 0
		.amdhsa_next_free_vgpr 108
		.amdhsa_next_free_sgpr 64
		.amdhsa_accum_offset 108
		.amdhsa_reserve_vcc 1
		.amdhsa_float_round_mode_32 0
		.amdhsa_float_round_mode_16_64 0
		.amdhsa_float_denorm_mode_32 3
		.amdhsa_float_denorm_mode_16_64 3
		.amdhsa_dx10_clamp 1
		.amdhsa_ieee_mode 1
		.amdhsa_fp16_overflow 0
		.amdhsa_tg_split 0
		.amdhsa_exception_fp_ieee_invalid_op 0
		.amdhsa_exception_fp_denorm_src 0
		.amdhsa_exception_fp_ieee_div_zero 0
		.amdhsa_exception_fp_ieee_overflow 0
		.amdhsa_exception_fp_ieee_underflow 0
		.amdhsa_exception_fp_ieee_inexact 0
		.amdhsa_exception_int_div_zero 0
	.end_amdhsa_kernel
	.section	.text._ZN7rocprim17ROCPRIM_400000_NS6detail17trampoline_kernelINS0_14default_configENS1_33run_length_encode_config_selectorIN3c104HalfEjNS0_4plusIjEEEEZZNS1_33reduce_by_key_impl_wrapped_configILNS1_25lookback_scan_determinismE0ES3_S9_PKS6_NS0_17constant_iteratorIjlEEPS6_PlSH_S8_NS0_8equal_toIS6_EEEE10hipError_tPvRmT2_T3_mT4_T5_T6_T7_T8_P12ihipStream_tbENKUlT_T0_E_clISt17integral_constantIbLb1EES10_IbLb0EEEEDaSW_SX_EUlSW_E_NS1_11comp_targetILNS1_3genE5ELNS1_11target_archE942ELNS1_3gpuE9ELNS1_3repE0EEENS1_30default_config_static_selectorELNS0_4arch9wavefront6targetE1EEEvT1_,"axG",@progbits,_ZN7rocprim17ROCPRIM_400000_NS6detail17trampoline_kernelINS0_14default_configENS1_33run_length_encode_config_selectorIN3c104HalfEjNS0_4plusIjEEEEZZNS1_33reduce_by_key_impl_wrapped_configILNS1_25lookback_scan_determinismE0ES3_S9_PKS6_NS0_17constant_iteratorIjlEEPS6_PlSH_S8_NS0_8equal_toIS6_EEEE10hipError_tPvRmT2_T3_mT4_T5_T6_T7_T8_P12ihipStream_tbENKUlT_T0_E_clISt17integral_constantIbLb1EES10_IbLb0EEEEDaSW_SX_EUlSW_E_NS1_11comp_targetILNS1_3genE5ELNS1_11target_archE942ELNS1_3gpuE9ELNS1_3repE0EEENS1_30default_config_static_selectorELNS0_4arch9wavefront6targetE1EEEvT1_,comdat
.Lfunc_end944:
	.size	_ZN7rocprim17ROCPRIM_400000_NS6detail17trampoline_kernelINS0_14default_configENS1_33run_length_encode_config_selectorIN3c104HalfEjNS0_4plusIjEEEEZZNS1_33reduce_by_key_impl_wrapped_configILNS1_25lookback_scan_determinismE0ES3_S9_PKS6_NS0_17constant_iteratorIjlEEPS6_PlSH_S8_NS0_8equal_toIS6_EEEE10hipError_tPvRmT2_T3_mT4_T5_T6_T7_T8_P12ihipStream_tbENKUlT_T0_E_clISt17integral_constantIbLb1EES10_IbLb0EEEEDaSW_SX_EUlSW_E_NS1_11comp_targetILNS1_3genE5ELNS1_11target_archE942ELNS1_3gpuE9ELNS1_3repE0EEENS1_30default_config_static_selectorELNS0_4arch9wavefront6targetE1EEEvT1_, .Lfunc_end944-_ZN7rocprim17ROCPRIM_400000_NS6detail17trampoline_kernelINS0_14default_configENS1_33run_length_encode_config_selectorIN3c104HalfEjNS0_4plusIjEEEEZZNS1_33reduce_by_key_impl_wrapped_configILNS1_25lookback_scan_determinismE0ES3_S9_PKS6_NS0_17constant_iteratorIjlEEPS6_PlSH_S8_NS0_8equal_toIS6_EEEE10hipError_tPvRmT2_T3_mT4_T5_T6_T7_T8_P12ihipStream_tbENKUlT_T0_E_clISt17integral_constantIbLb1EES10_IbLb0EEEEDaSW_SX_EUlSW_E_NS1_11comp_targetILNS1_3genE5ELNS1_11target_archE942ELNS1_3gpuE9ELNS1_3repE0EEENS1_30default_config_static_selectorELNS0_4arch9wavefront6targetE1EEEvT1_
                                        ; -- End function
	.section	.AMDGPU.csdata,"",@progbits
; Kernel info:
; codeLenInByte = 15080
; NumSgprs: 70
; NumVgprs: 108
; NumAgprs: 0
; TotalNumVgprs: 108
; ScratchSize: 0
; MemoryBound: 0
; FloatMode: 240
; IeeeMode: 1
; LDSByteSize: 15360 bytes/workgroup (compile time only)
; SGPRBlocks: 8
; VGPRBlocks: 13
; NumSGPRsForWavesPerEU: 70
; NumVGPRsForWavesPerEU: 108
; AccumOffset: 108
; Occupancy: 4
; WaveLimiterHint : 1
; COMPUTE_PGM_RSRC2:SCRATCH_EN: 0
; COMPUTE_PGM_RSRC2:USER_SGPR: 2
; COMPUTE_PGM_RSRC2:TRAP_HANDLER: 0
; COMPUTE_PGM_RSRC2:TGID_X_EN: 1
; COMPUTE_PGM_RSRC2:TGID_Y_EN: 0
; COMPUTE_PGM_RSRC2:TGID_Z_EN: 0
; COMPUTE_PGM_RSRC2:TIDIG_COMP_CNT: 0
; COMPUTE_PGM_RSRC3_GFX90A:ACCUM_OFFSET: 26
; COMPUTE_PGM_RSRC3_GFX90A:TG_SPLIT: 0
	.section	.text._ZN7rocprim17ROCPRIM_400000_NS6detail17trampoline_kernelINS0_14default_configENS1_33run_length_encode_config_selectorIN3c104HalfEjNS0_4plusIjEEEEZZNS1_33reduce_by_key_impl_wrapped_configILNS1_25lookback_scan_determinismE0ES3_S9_PKS6_NS0_17constant_iteratorIjlEEPS6_PlSH_S8_NS0_8equal_toIS6_EEEE10hipError_tPvRmT2_T3_mT4_T5_T6_T7_T8_P12ihipStream_tbENKUlT_T0_E_clISt17integral_constantIbLb1EES10_IbLb0EEEEDaSW_SX_EUlSW_E_NS1_11comp_targetILNS1_3genE4ELNS1_11target_archE910ELNS1_3gpuE8ELNS1_3repE0EEENS1_30default_config_static_selectorELNS0_4arch9wavefront6targetE1EEEvT1_,"axG",@progbits,_ZN7rocprim17ROCPRIM_400000_NS6detail17trampoline_kernelINS0_14default_configENS1_33run_length_encode_config_selectorIN3c104HalfEjNS0_4plusIjEEEEZZNS1_33reduce_by_key_impl_wrapped_configILNS1_25lookback_scan_determinismE0ES3_S9_PKS6_NS0_17constant_iteratorIjlEEPS6_PlSH_S8_NS0_8equal_toIS6_EEEE10hipError_tPvRmT2_T3_mT4_T5_T6_T7_T8_P12ihipStream_tbENKUlT_T0_E_clISt17integral_constantIbLb1EES10_IbLb0EEEEDaSW_SX_EUlSW_E_NS1_11comp_targetILNS1_3genE4ELNS1_11target_archE910ELNS1_3gpuE8ELNS1_3repE0EEENS1_30default_config_static_selectorELNS0_4arch9wavefront6targetE1EEEvT1_,comdat
	.protected	_ZN7rocprim17ROCPRIM_400000_NS6detail17trampoline_kernelINS0_14default_configENS1_33run_length_encode_config_selectorIN3c104HalfEjNS0_4plusIjEEEEZZNS1_33reduce_by_key_impl_wrapped_configILNS1_25lookback_scan_determinismE0ES3_S9_PKS6_NS0_17constant_iteratorIjlEEPS6_PlSH_S8_NS0_8equal_toIS6_EEEE10hipError_tPvRmT2_T3_mT4_T5_T6_T7_T8_P12ihipStream_tbENKUlT_T0_E_clISt17integral_constantIbLb1EES10_IbLb0EEEEDaSW_SX_EUlSW_E_NS1_11comp_targetILNS1_3genE4ELNS1_11target_archE910ELNS1_3gpuE8ELNS1_3repE0EEENS1_30default_config_static_selectorELNS0_4arch9wavefront6targetE1EEEvT1_ ; -- Begin function _ZN7rocprim17ROCPRIM_400000_NS6detail17trampoline_kernelINS0_14default_configENS1_33run_length_encode_config_selectorIN3c104HalfEjNS0_4plusIjEEEEZZNS1_33reduce_by_key_impl_wrapped_configILNS1_25lookback_scan_determinismE0ES3_S9_PKS6_NS0_17constant_iteratorIjlEEPS6_PlSH_S8_NS0_8equal_toIS6_EEEE10hipError_tPvRmT2_T3_mT4_T5_T6_T7_T8_P12ihipStream_tbENKUlT_T0_E_clISt17integral_constantIbLb1EES10_IbLb0EEEEDaSW_SX_EUlSW_E_NS1_11comp_targetILNS1_3genE4ELNS1_11target_archE910ELNS1_3gpuE8ELNS1_3repE0EEENS1_30default_config_static_selectorELNS0_4arch9wavefront6targetE1EEEvT1_
	.globl	_ZN7rocprim17ROCPRIM_400000_NS6detail17trampoline_kernelINS0_14default_configENS1_33run_length_encode_config_selectorIN3c104HalfEjNS0_4plusIjEEEEZZNS1_33reduce_by_key_impl_wrapped_configILNS1_25lookback_scan_determinismE0ES3_S9_PKS6_NS0_17constant_iteratorIjlEEPS6_PlSH_S8_NS0_8equal_toIS6_EEEE10hipError_tPvRmT2_T3_mT4_T5_T6_T7_T8_P12ihipStream_tbENKUlT_T0_E_clISt17integral_constantIbLb1EES10_IbLb0EEEEDaSW_SX_EUlSW_E_NS1_11comp_targetILNS1_3genE4ELNS1_11target_archE910ELNS1_3gpuE8ELNS1_3repE0EEENS1_30default_config_static_selectorELNS0_4arch9wavefront6targetE1EEEvT1_
	.p2align	8
	.type	_ZN7rocprim17ROCPRIM_400000_NS6detail17trampoline_kernelINS0_14default_configENS1_33run_length_encode_config_selectorIN3c104HalfEjNS0_4plusIjEEEEZZNS1_33reduce_by_key_impl_wrapped_configILNS1_25lookback_scan_determinismE0ES3_S9_PKS6_NS0_17constant_iteratorIjlEEPS6_PlSH_S8_NS0_8equal_toIS6_EEEE10hipError_tPvRmT2_T3_mT4_T5_T6_T7_T8_P12ihipStream_tbENKUlT_T0_E_clISt17integral_constantIbLb1EES10_IbLb0EEEEDaSW_SX_EUlSW_E_NS1_11comp_targetILNS1_3genE4ELNS1_11target_archE910ELNS1_3gpuE8ELNS1_3repE0EEENS1_30default_config_static_selectorELNS0_4arch9wavefront6targetE1EEEvT1_,@function
_ZN7rocprim17ROCPRIM_400000_NS6detail17trampoline_kernelINS0_14default_configENS1_33run_length_encode_config_selectorIN3c104HalfEjNS0_4plusIjEEEEZZNS1_33reduce_by_key_impl_wrapped_configILNS1_25lookback_scan_determinismE0ES3_S9_PKS6_NS0_17constant_iteratorIjlEEPS6_PlSH_S8_NS0_8equal_toIS6_EEEE10hipError_tPvRmT2_T3_mT4_T5_T6_T7_T8_P12ihipStream_tbENKUlT_T0_E_clISt17integral_constantIbLb1EES10_IbLb0EEEEDaSW_SX_EUlSW_E_NS1_11comp_targetILNS1_3genE4ELNS1_11target_archE910ELNS1_3gpuE8ELNS1_3repE0EEENS1_30default_config_static_selectorELNS0_4arch9wavefront6targetE1EEEvT1_: ; @_ZN7rocprim17ROCPRIM_400000_NS6detail17trampoline_kernelINS0_14default_configENS1_33run_length_encode_config_selectorIN3c104HalfEjNS0_4plusIjEEEEZZNS1_33reduce_by_key_impl_wrapped_configILNS1_25lookback_scan_determinismE0ES3_S9_PKS6_NS0_17constant_iteratorIjlEEPS6_PlSH_S8_NS0_8equal_toIS6_EEEE10hipError_tPvRmT2_T3_mT4_T5_T6_T7_T8_P12ihipStream_tbENKUlT_T0_E_clISt17integral_constantIbLb1EES10_IbLb0EEEEDaSW_SX_EUlSW_E_NS1_11comp_targetILNS1_3genE4ELNS1_11target_archE910ELNS1_3gpuE8ELNS1_3repE0EEENS1_30default_config_static_selectorELNS0_4arch9wavefront6targetE1EEEvT1_
; %bb.0:
	.section	.rodata,"a",@progbits
	.p2align	6, 0x0
	.amdhsa_kernel _ZN7rocprim17ROCPRIM_400000_NS6detail17trampoline_kernelINS0_14default_configENS1_33run_length_encode_config_selectorIN3c104HalfEjNS0_4plusIjEEEEZZNS1_33reduce_by_key_impl_wrapped_configILNS1_25lookback_scan_determinismE0ES3_S9_PKS6_NS0_17constant_iteratorIjlEEPS6_PlSH_S8_NS0_8equal_toIS6_EEEE10hipError_tPvRmT2_T3_mT4_T5_T6_T7_T8_P12ihipStream_tbENKUlT_T0_E_clISt17integral_constantIbLb1EES10_IbLb0EEEEDaSW_SX_EUlSW_E_NS1_11comp_targetILNS1_3genE4ELNS1_11target_archE910ELNS1_3gpuE8ELNS1_3repE0EEENS1_30default_config_static_selectorELNS0_4arch9wavefront6targetE1EEEvT1_
		.amdhsa_group_segment_fixed_size 0
		.amdhsa_private_segment_fixed_size 0
		.amdhsa_kernarg_size 128
		.amdhsa_user_sgpr_count 2
		.amdhsa_user_sgpr_dispatch_ptr 0
		.amdhsa_user_sgpr_queue_ptr 0
		.amdhsa_user_sgpr_kernarg_segment_ptr 1
		.amdhsa_user_sgpr_dispatch_id 0
		.amdhsa_user_sgpr_kernarg_preload_length 0
		.amdhsa_user_sgpr_kernarg_preload_offset 0
		.amdhsa_user_sgpr_private_segment_size 0
		.amdhsa_uses_dynamic_stack 0
		.amdhsa_enable_private_segment 0
		.amdhsa_system_sgpr_workgroup_id_x 1
		.amdhsa_system_sgpr_workgroup_id_y 0
		.amdhsa_system_sgpr_workgroup_id_z 0
		.amdhsa_system_sgpr_workgroup_info 0
		.amdhsa_system_vgpr_workitem_id 0
		.amdhsa_next_free_vgpr 1
		.amdhsa_next_free_sgpr 0
		.amdhsa_accum_offset 4
		.amdhsa_reserve_vcc 0
		.amdhsa_float_round_mode_32 0
		.amdhsa_float_round_mode_16_64 0
		.amdhsa_float_denorm_mode_32 3
		.amdhsa_float_denorm_mode_16_64 3
		.amdhsa_dx10_clamp 1
		.amdhsa_ieee_mode 1
		.amdhsa_fp16_overflow 0
		.amdhsa_tg_split 0
		.amdhsa_exception_fp_ieee_invalid_op 0
		.amdhsa_exception_fp_denorm_src 0
		.amdhsa_exception_fp_ieee_div_zero 0
		.amdhsa_exception_fp_ieee_overflow 0
		.amdhsa_exception_fp_ieee_underflow 0
		.amdhsa_exception_fp_ieee_inexact 0
		.amdhsa_exception_int_div_zero 0
	.end_amdhsa_kernel
	.section	.text._ZN7rocprim17ROCPRIM_400000_NS6detail17trampoline_kernelINS0_14default_configENS1_33run_length_encode_config_selectorIN3c104HalfEjNS0_4plusIjEEEEZZNS1_33reduce_by_key_impl_wrapped_configILNS1_25lookback_scan_determinismE0ES3_S9_PKS6_NS0_17constant_iteratorIjlEEPS6_PlSH_S8_NS0_8equal_toIS6_EEEE10hipError_tPvRmT2_T3_mT4_T5_T6_T7_T8_P12ihipStream_tbENKUlT_T0_E_clISt17integral_constantIbLb1EES10_IbLb0EEEEDaSW_SX_EUlSW_E_NS1_11comp_targetILNS1_3genE4ELNS1_11target_archE910ELNS1_3gpuE8ELNS1_3repE0EEENS1_30default_config_static_selectorELNS0_4arch9wavefront6targetE1EEEvT1_,"axG",@progbits,_ZN7rocprim17ROCPRIM_400000_NS6detail17trampoline_kernelINS0_14default_configENS1_33run_length_encode_config_selectorIN3c104HalfEjNS0_4plusIjEEEEZZNS1_33reduce_by_key_impl_wrapped_configILNS1_25lookback_scan_determinismE0ES3_S9_PKS6_NS0_17constant_iteratorIjlEEPS6_PlSH_S8_NS0_8equal_toIS6_EEEE10hipError_tPvRmT2_T3_mT4_T5_T6_T7_T8_P12ihipStream_tbENKUlT_T0_E_clISt17integral_constantIbLb1EES10_IbLb0EEEEDaSW_SX_EUlSW_E_NS1_11comp_targetILNS1_3genE4ELNS1_11target_archE910ELNS1_3gpuE8ELNS1_3repE0EEENS1_30default_config_static_selectorELNS0_4arch9wavefront6targetE1EEEvT1_,comdat
.Lfunc_end945:
	.size	_ZN7rocprim17ROCPRIM_400000_NS6detail17trampoline_kernelINS0_14default_configENS1_33run_length_encode_config_selectorIN3c104HalfEjNS0_4plusIjEEEEZZNS1_33reduce_by_key_impl_wrapped_configILNS1_25lookback_scan_determinismE0ES3_S9_PKS6_NS0_17constant_iteratorIjlEEPS6_PlSH_S8_NS0_8equal_toIS6_EEEE10hipError_tPvRmT2_T3_mT4_T5_T6_T7_T8_P12ihipStream_tbENKUlT_T0_E_clISt17integral_constantIbLb1EES10_IbLb0EEEEDaSW_SX_EUlSW_E_NS1_11comp_targetILNS1_3genE4ELNS1_11target_archE910ELNS1_3gpuE8ELNS1_3repE0EEENS1_30default_config_static_selectorELNS0_4arch9wavefront6targetE1EEEvT1_, .Lfunc_end945-_ZN7rocprim17ROCPRIM_400000_NS6detail17trampoline_kernelINS0_14default_configENS1_33run_length_encode_config_selectorIN3c104HalfEjNS0_4plusIjEEEEZZNS1_33reduce_by_key_impl_wrapped_configILNS1_25lookback_scan_determinismE0ES3_S9_PKS6_NS0_17constant_iteratorIjlEEPS6_PlSH_S8_NS0_8equal_toIS6_EEEE10hipError_tPvRmT2_T3_mT4_T5_T6_T7_T8_P12ihipStream_tbENKUlT_T0_E_clISt17integral_constantIbLb1EES10_IbLb0EEEEDaSW_SX_EUlSW_E_NS1_11comp_targetILNS1_3genE4ELNS1_11target_archE910ELNS1_3gpuE8ELNS1_3repE0EEENS1_30default_config_static_selectorELNS0_4arch9wavefront6targetE1EEEvT1_
                                        ; -- End function
	.section	.AMDGPU.csdata,"",@progbits
; Kernel info:
; codeLenInByte = 0
; NumSgprs: 6
; NumVgprs: 0
; NumAgprs: 0
; TotalNumVgprs: 0
; ScratchSize: 0
; MemoryBound: 0
; FloatMode: 240
; IeeeMode: 1
; LDSByteSize: 0 bytes/workgroup (compile time only)
; SGPRBlocks: 0
; VGPRBlocks: 0
; NumSGPRsForWavesPerEU: 6
; NumVGPRsForWavesPerEU: 1
; AccumOffset: 4
; Occupancy: 8
; WaveLimiterHint : 0
; COMPUTE_PGM_RSRC2:SCRATCH_EN: 0
; COMPUTE_PGM_RSRC2:USER_SGPR: 2
; COMPUTE_PGM_RSRC2:TRAP_HANDLER: 0
; COMPUTE_PGM_RSRC2:TGID_X_EN: 1
; COMPUTE_PGM_RSRC2:TGID_Y_EN: 0
; COMPUTE_PGM_RSRC2:TGID_Z_EN: 0
; COMPUTE_PGM_RSRC2:TIDIG_COMP_CNT: 0
; COMPUTE_PGM_RSRC3_GFX90A:ACCUM_OFFSET: 0
; COMPUTE_PGM_RSRC3_GFX90A:TG_SPLIT: 0
	.section	.text._ZN7rocprim17ROCPRIM_400000_NS6detail17trampoline_kernelINS0_14default_configENS1_33run_length_encode_config_selectorIN3c104HalfEjNS0_4plusIjEEEEZZNS1_33reduce_by_key_impl_wrapped_configILNS1_25lookback_scan_determinismE0ES3_S9_PKS6_NS0_17constant_iteratorIjlEEPS6_PlSH_S8_NS0_8equal_toIS6_EEEE10hipError_tPvRmT2_T3_mT4_T5_T6_T7_T8_P12ihipStream_tbENKUlT_T0_E_clISt17integral_constantIbLb1EES10_IbLb0EEEEDaSW_SX_EUlSW_E_NS1_11comp_targetILNS1_3genE3ELNS1_11target_archE908ELNS1_3gpuE7ELNS1_3repE0EEENS1_30default_config_static_selectorELNS0_4arch9wavefront6targetE1EEEvT1_,"axG",@progbits,_ZN7rocprim17ROCPRIM_400000_NS6detail17trampoline_kernelINS0_14default_configENS1_33run_length_encode_config_selectorIN3c104HalfEjNS0_4plusIjEEEEZZNS1_33reduce_by_key_impl_wrapped_configILNS1_25lookback_scan_determinismE0ES3_S9_PKS6_NS0_17constant_iteratorIjlEEPS6_PlSH_S8_NS0_8equal_toIS6_EEEE10hipError_tPvRmT2_T3_mT4_T5_T6_T7_T8_P12ihipStream_tbENKUlT_T0_E_clISt17integral_constantIbLb1EES10_IbLb0EEEEDaSW_SX_EUlSW_E_NS1_11comp_targetILNS1_3genE3ELNS1_11target_archE908ELNS1_3gpuE7ELNS1_3repE0EEENS1_30default_config_static_selectorELNS0_4arch9wavefront6targetE1EEEvT1_,comdat
	.protected	_ZN7rocprim17ROCPRIM_400000_NS6detail17trampoline_kernelINS0_14default_configENS1_33run_length_encode_config_selectorIN3c104HalfEjNS0_4plusIjEEEEZZNS1_33reduce_by_key_impl_wrapped_configILNS1_25lookback_scan_determinismE0ES3_S9_PKS6_NS0_17constant_iteratorIjlEEPS6_PlSH_S8_NS0_8equal_toIS6_EEEE10hipError_tPvRmT2_T3_mT4_T5_T6_T7_T8_P12ihipStream_tbENKUlT_T0_E_clISt17integral_constantIbLb1EES10_IbLb0EEEEDaSW_SX_EUlSW_E_NS1_11comp_targetILNS1_3genE3ELNS1_11target_archE908ELNS1_3gpuE7ELNS1_3repE0EEENS1_30default_config_static_selectorELNS0_4arch9wavefront6targetE1EEEvT1_ ; -- Begin function _ZN7rocprim17ROCPRIM_400000_NS6detail17trampoline_kernelINS0_14default_configENS1_33run_length_encode_config_selectorIN3c104HalfEjNS0_4plusIjEEEEZZNS1_33reduce_by_key_impl_wrapped_configILNS1_25lookback_scan_determinismE0ES3_S9_PKS6_NS0_17constant_iteratorIjlEEPS6_PlSH_S8_NS0_8equal_toIS6_EEEE10hipError_tPvRmT2_T3_mT4_T5_T6_T7_T8_P12ihipStream_tbENKUlT_T0_E_clISt17integral_constantIbLb1EES10_IbLb0EEEEDaSW_SX_EUlSW_E_NS1_11comp_targetILNS1_3genE3ELNS1_11target_archE908ELNS1_3gpuE7ELNS1_3repE0EEENS1_30default_config_static_selectorELNS0_4arch9wavefront6targetE1EEEvT1_
	.globl	_ZN7rocprim17ROCPRIM_400000_NS6detail17trampoline_kernelINS0_14default_configENS1_33run_length_encode_config_selectorIN3c104HalfEjNS0_4plusIjEEEEZZNS1_33reduce_by_key_impl_wrapped_configILNS1_25lookback_scan_determinismE0ES3_S9_PKS6_NS0_17constant_iteratorIjlEEPS6_PlSH_S8_NS0_8equal_toIS6_EEEE10hipError_tPvRmT2_T3_mT4_T5_T6_T7_T8_P12ihipStream_tbENKUlT_T0_E_clISt17integral_constantIbLb1EES10_IbLb0EEEEDaSW_SX_EUlSW_E_NS1_11comp_targetILNS1_3genE3ELNS1_11target_archE908ELNS1_3gpuE7ELNS1_3repE0EEENS1_30default_config_static_selectorELNS0_4arch9wavefront6targetE1EEEvT1_
	.p2align	8
	.type	_ZN7rocprim17ROCPRIM_400000_NS6detail17trampoline_kernelINS0_14default_configENS1_33run_length_encode_config_selectorIN3c104HalfEjNS0_4plusIjEEEEZZNS1_33reduce_by_key_impl_wrapped_configILNS1_25lookback_scan_determinismE0ES3_S9_PKS6_NS0_17constant_iteratorIjlEEPS6_PlSH_S8_NS0_8equal_toIS6_EEEE10hipError_tPvRmT2_T3_mT4_T5_T6_T7_T8_P12ihipStream_tbENKUlT_T0_E_clISt17integral_constantIbLb1EES10_IbLb0EEEEDaSW_SX_EUlSW_E_NS1_11comp_targetILNS1_3genE3ELNS1_11target_archE908ELNS1_3gpuE7ELNS1_3repE0EEENS1_30default_config_static_selectorELNS0_4arch9wavefront6targetE1EEEvT1_,@function
_ZN7rocprim17ROCPRIM_400000_NS6detail17trampoline_kernelINS0_14default_configENS1_33run_length_encode_config_selectorIN3c104HalfEjNS0_4plusIjEEEEZZNS1_33reduce_by_key_impl_wrapped_configILNS1_25lookback_scan_determinismE0ES3_S9_PKS6_NS0_17constant_iteratorIjlEEPS6_PlSH_S8_NS0_8equal_toIS6_EEEE10hipError_tPvRmT2_T3_mT4_T5_T6_T7_T8_P12ihipStream_tbENKUlT_T0_E_clISt17integral_constantIbLb1EES10_IbLb0EEEEDaSW_SX_EUlSW_E_NS1_11comp_targetILNS1_3genE3ELNS1_11target_archE908ELNS1_3gpuE7ELNS1_3repE0EEENS1_30default_config_static_selectorELNS0_4arch9wavefront6targetE1EEEvT1_: ; @_ZN7rocprim17ROCPRIM_400000_NS6detail17trampoline_kernelINS0_14default_configENS1_33run_length_encode_config_selectorIN3c104HalfEjNS0_4plusIjEEEEZZNS1_33reduce_by_key_impl_wrapped_configILNS1_25lookback_scan_determinismE0ES3_S9_PKS6_NS0_17constant_iteratorIjlEEPS6_PlSH_S8_NS0_8equal_toIS6_EEEE10hipError_tPvRmT2_T3_mT4_T5_T6_T7_T8_P12ihipStream_tbENKUlT_T0_E_clISt17integral_constantIbLb1EES10_IbLb0EEEEDaSW_SX_EUlSW_E_NS1_11comp_targetILNS1_3genE3ELNS1_11target_archE908ELNS1_3gpuE7ELNS1_3repE0EEENS1_30default_config_static_selectorELNS0_4arch9wavefront6targetE1EEEvT1_
; %bb.0:
	.section	.rodata,"a",@progbits
	.p2align	6, 0x0
	.amdhsa_kernel _ZN7rocprim17ROCPRIM_400000_NS6detail17trampoline_kernelINS0_14default_configENS1_33run_length_encode_config_selectorIN3c104HalfEjNS0_4plusIjEEEEZZNS1_33reduce_by_key_impl_wrapped_configILNS1_25lookback_scan_determinismE0ES3_S9_PKS6_NS0_17constant_iteratorIjlEEPS6_PlSH_S8_NS0_8equal_toIS6_EEEE10hipError_tPvRmT2_T3_mT4_T5_T6_T7_T8_P12ihipStream_tbENKUlT_T0_E_clISt17integral_constantIbLb1EES10_IbLb0EEEEDaSW_SX_EUlSW_E_NS1_11comp_targetILNS1_3genE3ELNS1_11target_archE908ELNS1_3gpuE7ELNS1_3repE0EEENS1_30default_config_static_selectorELNS0_4arch9wavefront6targetE1EEEvT1_
		.amdhsa_group_segment_fixed_size 0
		.amdhsa_private_segment_fixed_size 0
		.amdhsa_kernarg_size 128
		.amdhsa_user_sgpr_count 2
		.amdhsa_user_sgpr_dispatch_ptr 0
		.amdhsa_user_sgpr_queue_ptr 0
		.amdhsa_user_sgpr_kernarg_segment_ptr 1
		.amdhsa_user_sgpr_dispatch_id 0
		.amdhsa_user_sgpr_kernarg_preload_length 0
		.amdhsa_user_sgpr_kernarg_preload_offset 0
		.amdhsa_user_sgpr_private_segment_size 0
		.amdhsa_uses_dynamic_stack 0
		.amdhsa_enable_private_segment 0
		.amdhsa_system_sgpr_workgroup_id_x 1
		.amdhsa_system_sgpr_workgroup_id_y 0
		.amdhsa_system_sgpr_workgroup_id_z 0
		.amdhsa_system_sgpr_workgroup_info 0
		.amdhsa_system_vgpr_workitem_id 0
		.amdhsa_next_free_vgpr 1
		.amdhsa_next_free_sgpr 0
		.amdhsa_accum_offset 4
		.amdhsa_reserve_vcc 0
		.amdhsa_float_round_mode_32 0
		.amdhsa_float_round_mode_16_64 0
		.amdhsa_float_denorm_mode_32 3
		.amdhsa_float_denorm_mode_16_64 3
		.amdhsa_dx10_clamp 1
		.amdhsa_ieee_mode 1
		.amdhsa_fp16_overflow 0
		.amdhsa_tg_split 0
		.amdhsa_exception_fp_ieee_invalid_op 0
		.amdhsa_exception_fp_denorm_src 0
		.amdhsa_exception_fp_ieee_div_zero 0
		.amdhsa_exception_fp_ieee_overflow 0
		.amdhsa_exception_fp_ieee_underflow 0
		.amdhsa_exception_fp_ieee_inexact 0
		.amdhsa_exception_int_div_zero 0
	.end_amdhsa_kernel
	.section	.text._ZN7rocprim17ROCPRIM_400000_NS6detail17trampoline_kernelINS0_14default_configENS1_33run_length_encode_config_selectorIN3c104HalfEjNS0_4plusIjEEEEZZNS1_33reduce_by_key_impl_wrapped_configILNS1_25lookback_scan_determinismE0ES3_S9_PKS6_NS0_17constant_iteratorIjlEEPS6_PlSH_S8_NS0_8equal_toIS6_EEEE10hipError_tPvRmT2_T3_mT4_T5_T6_T7_T8_P12ihipStream_tbENKUlT_T0_E_clISt17integral_constantIbLb1EES10_IbLb0EEEEDaSW_SX_EUlSW_E_NS1_11comp_targetILNS1_3genE3ELNS1_11target_archE908ELNS1_3gpuE7ELNS1_3repE0EEENS1_30default_config_static_selectorELNS0_4arch9wavefront6targetE1EEEvT1_,"axG",@progbits,_ZN7rocprim17ROCPRIM_400000_NS6detail17trampoline_kernelINS0_14default_configENS1_33run_length_encode_config_selectorIN3c104HalfEjNS0_4plusIjEEEEZZNS1_33reduce_by_key_impl_wrapped_configILNS1_25lookback_scan_determinismE0ES3_S9_PKS6_NS0_17constant_iteratorIjlEEPS6_PlSH_S8_NS0_8equal_toIS6_EEEE10hipError_tPvRmT2_T3_mT4_T5_T6_T7_T8_P12ihipStream_tbENKUlT_T0_E_clISt17integral_constantIbLb1EES10_IbLb0EEEEDaSW_SX_EUlSW_E_NS1_11comp_targetILNS1_3genE3ELNS1_11target_archE908ELNS1_3gpuE7ELNS1_3repE0EEENS1_30default_config_static_selectorELNS0_4arch9wavefront6targetE1EEEvT1_,comdat
.Lfunc_end946:
	.size	_ZN7rocprim17ROCPRIM_400000_NS6detail17trampoline_kernelINS0_14default_configENS1_33run_length_encode_config_selectorIN3c104HalfEjNS0_4plusIjEEEEZZNS1_33reduce_by_key_impl_wrapped_configILNS1_25lookback_scan_determinismE0ES3_S9_PKS6_NS0_17constant_iteratorIjlEEPS6_PlSH_S8_NS0_8equal_toIS6_EEEE10hipError_tPvRmT2_T3_mT4_T5_T6_T7_T8_P12ihipStream_tbENKUlT_T0_E_clISt17integral_constantIbLb1EES10_IbLb0EEEEDaSW_SX_EUlSW_E_NS1_11comp_targetILNS1_3genE3ELNS1_11target_archE908ELNS1_3gpuE7ELNS1_3repE0EEENS1_30default_config_static_selectorELNS0_4arch9wavefront6targetE1EEEvT1_, .Lfunc_end946-_ZN7rocprim17ROCPRIM_400000_NS6detail17trampoline_kernelINS0_14default_configENS1_33run_length_encode_config_selectorIN3c104HalfEjNS0_4plusIjEEEEZZNS1_33reduce_by_key_impl_wrapped_configILNS1_25lookback_scan_determinismE0ES3_S9_PKS6_NS0_17constant_iteratorIjlEEPS6_PlSH_S8_NS0_8equal_toIS6_EEEE10hipError_tPvRmT2_T3_mT4_T5_T6_T7_T8_P12ihipStream_tbENKUlT_T0_E_clISt17integral_constantIbLb1EES10_IbLb0EEEEDaSW_SX_EUlSW_E_NS1_11comp_targetILNS1_3genE3ELNS1_11target_archE908ELNS1_3gpuE7ELNS1_3repE0EEENS1_30default_config_static_selectorELNS0_4arch9wavefront6targetE1EEEvT1_
                                        ; -- End function
	.section	.AMDGPU.csdata,"",@progbits
; Kernel info:
; codeLenInByte = 0
; NumSgprs: 6
; NumVgprs: 0
; NumAgprs: 0
; TotalNumVgprs: 0
; ScratchSize: 0
; MemoryBound: 0
; FloatMode: 240
; IeeeMode: 1
; LDSByteSize: 0 bytes/workgroup (compile time only)
; SGPRBlocks: 0
; VGPRBlocks: 0
; NumSGPRsForWavesPerEU: 6
; NumVGPRsForWavesPerEU: 1
; AccumOffset: 4
; Occupancy: 8
; WaveLimiterHint : 0
; COMPUTE_PGM_RSRC2:SCRATCH_EN: 0
; COMPUTE_PGM_RSRC2:USER_SGPR: 2
; COMPUTE_PGM_RSRC2:TRAP_HANDLER: 0
; COMPUTE_PGM_RSRC2:TGID_X_EN: 1
; COMPUTE_PGM_RSRC2:TGID_Y_EN: 0
; COMPUTE_PGM_RSRC2:TGID_Z_EN: 0
; COMPUTE_PGM_RSRC2:TIDIG_COMP_CNT: 0
; COMPUTE_PGM_RSRC3_GFX90A:ACCUM_OFFSET: 0
; COMPUTE_PGM_RSRC3_GFX90A:TG_SPLIT: 0
	.section	.text._ZN7rocprim17ROCPRIM_400000_NS6detail17trampoline_kernelINS0_14default_configENS1_33run_length_encode_config_selectorIN3c104HalfEjNS0_4plusIjEEEEZZNS1_33reduce_by_key_impl_wrapped_configILNS1_25lookback_scan_determinismE0ES3_S9_PKS6_NS0_17constant_iteratorIjlEEPS6_PlSH_S8_NS0_8equal_toIS6_EEEE10hipError_tPvRmT2_T3_mT4_T5_T6_T7_T8_P12ihipStream_tbENKUlT_T0_E_clISt17integral_constantIbLb1EES10_IbLb0EEEEDaSW_SX_EUlSW_E_NS1_11comp_targetILNS1_3genE2ELNS1_11target_archE906ELNS1_3gpuE6ELNS1_3repE0EEENS1_30default_config_static_selectorELNS0_4arch9wavefront6targetE1EEEvT1_,"axG",@progbits,_ZN7rocprim17ROCPRIM_400000_NS6detail17trampoline_kernelINS0_14default_configENS1_33run_length_encode_config_selectorIN3c104HalfEjNS0_4plusIjEEEEZZNS1_33reduce_by_key_impl_wrapped_configILNS1_25lookback_scan_determinismE0ES3_S9_PKS6_NS0_17constant_iteratorIjlEEPS6_PlSH_S8_NS0_8equal_toIS6_EEEE10hipError_tPvRmT2_T3_mT4_T5_T6_T7_T8_P12ihipStream_tbENKUlT_T0_E_clISt17integral_constantIbLb1EES10_IbLb0EEEEDaSW_SX_EUlSW_E_NS1_11comp_targetILNS1_3genE2ELNS1_11target_archE906ELNS1_3gpuE6ELNS1_3repE0EEENS1_30default_config_static_selectorELNS0_4arch9wavefront6targetE1EEEvT1_,comdat
	.protected	_ZN7rocprim17ROCPRIM_400000_NS6detail17trampoline_kernelINS0_14default_configENS1_33run_length_encode_config_selectorIN3c104HalfEjNS0_4plusIjEEEEZZNS1_33reduce_by_key_impl_wrapped_configILNS1_25lookback_scan_determinismE0ES3_S9_PKS6_NS0_17constant_iteratorIjlEEPS6_PlSH_S8_NS0_8equal_toIS6_EEEE10hipError_tPvRmT2_T3_mT4_T5_T6_T7_T8_P12ihipStream_tbENKUlT_T0_E_clISt17integral_constantIbLb1EES10_IbLb0EEEEDaSW_SX_EUlSW_E_NS1_11comp_targetILNS1_3genE2ELNS1_11target_archE906ELNS1_3gpuE6ELNS1_3repE0EEENS1_30default_config_static_selectorELNS0_4arch9wavefront6targetE1EEEvT1_ ; -- Begin function _ZN7rocprim17ROCPRIM_400000_NS6detail17trampoline_kernelINS0_14default_configENS1_33run_length_encode_config_selectorIN3c104HalfEjNS0_4plusIjEEEEZZNS1_33reduce_by_key_impl_wrapped_configILNS1_25lookback_scan_determinismE0ES3_S9_PKS6_NS0_17constant_iteratorIjlEEPS6_PlSH_S8_NS0_8equal_toIS6_EEEE10hipError_tPvRmT2_T3_mT4_T5_T6_T7_T8_P12ihipStream_tbENKUlT_T0_E_clISt17integral_constantIbLb1EES10_IbLb0EEEEDaSW_SX_EUlSW_E_NS1_11comp_targetILNS1_3genE2ELNS1_11target_archE906ELNS1_3gpuE6ELNS1_3repE0EEENS1_30default_config_static_selectorELNS0_4arch9wavefront6targetE1EEEvT1_
	.globl	_ZN7rocprim17ROCPRIM_400000_NS6detail17trampoline_kernelINS0_14default_configENS1_33run_length_encode_config_selectorIN3c104HalfEjNS0_4plusIjEEEEZZNS1_33reduce_by_key_impl_wrapped_configILNS1_25lookback_scan_determinismE0ES3_S9_PKS6_NS0_17constant_iteratorIjlEEPS6_PlSH_S8_NS0_8equal_toIS6_EEEE10hipError_tPvRmT2_T3_mT4_T5_T6_T7_T8_P12ihipStream_tbENKUlT_T0_E_clISt17integral_constantIbLb1EES10_IbLb0EEEEDaSW_SX_EUlSW_E_NS1_11comp_targetILNS1_3genE2ELNS1_11target_archE906ELNS1_3gpuE6ELNS1_3repE0EEENS1_30default_config_static_selectorELNS0_4arch9wavefront6targetE1EEEvT1_
	.p2align	8
	.type	_ZN7rocprim17ROCPRIM_400000_NS6detail17trampoline_kernelINS0_14default_configENS1_33run_length_encode_config_selectorIN3c104HalfEjNS0_4plusIjEEEEZZNS1_33reduce_by_key_impl_wrapped_configILNS1_25lookback_scan_determinismE0ES3_S9_PKS6_NS0_17constant_iteratorIjlEEPS6_PlSH_S8_NS0_8equal_toIS6_EEEE10hipError_tPvRmT2_T3_mT4_T5_T6_T7_T8_P12ihipStream_tbENKUlT_T0_E_clISt17integral_constantIbLb1EES10_IbLb0EEEEDaSW_SX_EUlSW_E_NS1_11comp_targetILNS1_3genE2ELNS1_11target_archE906ELNS1_3gpuE6ELNS1_3repE0EEENS1_30default_config_static_selectorELNS0_4arch9wavefront6targetE1EEEvT1_,@function
_ZN7rocprim17ROCPRIM_400000_NS6detail17trampoline_kernelINS0_14default_configENS1_33run_length_encode_config_selectorIN3c104HalfEjNS0_4plusIjEEEEZZNS1_33reduce_by_key_impl_wrapped_configILNS1_25lookback_scan_determinismE0ES3_S9_PKS6_NS0_17constant_iteratorIjlEEPS6_PlSH_S8_NS0_8equal_toIS6_EEEE10hipError_tPvRmT2_T3_mT4_T5_T6_T7_T8_P12ihipStream_tbENKUlT_T0_E_clISt17integral_constantIbLb1EES10_IbLb0EEEEDaSW_SX_EUlSW_E_NS1_11comp_targetILNS1_3genE2ELNS1_11target_archE906ELNS1_3gpuE6ELNS1_3repE0EEENS1_30default_config_static_selectorELNS0_4arch9wavefront6targetE1EEEvT1_: ; @_ZN7rocprim17ROCPRIM_400000_NS6detail17trampoline_kernelINS0_14default_configENS1_33run_length_encode_config_selectorIN3c104HalfEjNS0_4plusIjEEEEZZNS1_33reduce_by_key_impl_wrapped_configILNS1_25lookback_scan_determinismE0ES3_S9_PKS6_NS0_17constant_iteratorIjlEEPS6_PlSH_S8_NS0_8equal_toIS6_EEEE10hipError_tPvRmT2_T3_mT4_T5_T6_T7_T8_P12ihipStream_tbENKUlT_T0_E_clISt17integral_constantIbLb1EES10_IbLb0EEEEDaSW_SX_EUlSW_E_NS1_11comp_targetILNS1_3genE2ELNS1_11target_archE906ELNS1_3gpuE6ELNS1_3repE0EEENS1_30default_config_static_selectorELNS0_4arch9wavefront6targetE1EEEvT1_
; %bb.0:
	.section	.rodata,"a",@progbits
	.p2align	6, 0x0
	.amdhsa_kernel _ZN7rocprim17ROCPRIM_400000_NS6detail17trampoline_kernelINS0_14default_configENS1_33run_length_encode_config_selectorIN3c104HalfEjNS0_4plusIjEEEEZZNS1_33reduce_by_key_impl_wrapped_configILNS1_25lookback_scan_determinismE0ES3_S9_PKS6_NS0_17constant_iteratorIjlEEPS6_PlSH_S8_NS0_8equal_toIS6_EEEE10hipError_tPvRmT2_T3_mT4_T5_T6_T7_T8_P12ihipStream_tbENKUlT_T0_E_clISt17integral_constantIbLb1EES10_IbLb0EEEEDaSW_SX_EUlSW_E_NS1_11comp_targetILNS1_3genE2ELNS1_11target_archE906ELNS1_3gpuE6ELNS1_3repE0EEENS1_30default_config_static_selectorELNS0_4arch9wavefront6targetE1EEEvT1_
		.amdhsa_group_segment_fixed_size 0
		.amdhsa_private_segment_fixed_size 0
		.amdhsa_kernarg_size 128
		.amdhsa_user_sgpr_count 2
		.amdhsa_user_sgpr_dispatch_ptr 0
		.amdhsa_user_sgpr_queue_ptr 0
		.amdhsa_user_sgpr_kernarg_segment_ptr 1
		.amdhsa_user_sgpr_dispatch_id 0
		.amdhsa_user_sgpr_kernarg_preload_length 0
		.amdhsa_user_sgpr_kernarg_preload_offset 0
		.amdhsa_user_sgpr_private_segment_size 0
		.amdhsa_uses_dynamic_stack 0
		.amdhsa_enable_private_segment 0
		.amdhsa_system_sgpr_workgroup_id_x 1
		.amdhsa_system_sgpr_workgroup_id_y 0
		.amdhsa_system_sgpr_workgroup_id_z 0
		.amdhsa_system_sgpr_workgroup_info 0
		.amdhsa_system_vgpr_workitem_id 0
		.amdhsa_next_free_vgpr 1
		.amdhsa_next_free_sgpr 0
		.amdhsa_accum_offset 4
		.amdhsa_reserve_vcc 0
		.amdhsa_float_round_mode_32 0
		.amdhsa_float_round_mode_16_64 0
		.amdhsa_float_denorm_mode_32 3
		.amdhsa_float_denorm_mode_16_64 3
		.amdhsa_dx10_clamp 1
		.amdhsa_ieee_mode 1
		.amdhsa_fp16_overflow 0
		.amdhsa_tg_split 0
		.amdhsa_exception_fp_ieee_invalid_op 0
		.amdhsa_exception_fp_denorm_src 0
		.amdhsa_exception_fp_ieee_div_zero 0
		.amdhsa_exception_fp_ieee_overflow 0
		.amdhsa_exception_fp_ieee_underflow 0
		.amdhsa_exception_fp_ieee_inexact 0
		.amdhsa_exception_int_div_zero 0
	.end_amdhsa_kernel
	.section	.text._ZN7rocprim17ROCPRIM_400000_NS6detail17trampoline_kernelINS0_14default_configENS1_33run_length_encode_config_selectorIN3c104HalfEjNS0_4plusIjEEEEZZNS1_33reduce_by_key_impl_wrapped_configILNS1_25lookback_scan_determinismE0ES3_S9_PKS6_NS0_17constant_iteratorIjlEEPS6_PlSH_S8_NS0_8equal_toIS6_EEEE10hipError_tPvRmT2_T3_mT4_T5_T6_T7_T8_P12ihipStream_tbENKUlT_T0_E_clISt17integral_constantIbLb1EES10_IbLb0EEEEDaSW_SX_EUlSW_E_NS1_11comp_targetILNS1_3genE2ELNS1_11target_archE906ELNS1_3gpuE6ELNS1_3repE0EEENS1_30default_config_static_selectorELNS0_4arch9wavefront6targetE1EEEvT1_,"axG",@progbits,_ZN7rocprim17ROCPRIM_400000_NS6detail17trampoline_kernelINS0_14default_configENS1_33run_length_encode_config_selectorIN3c104HalfEjNS0_4plusIjEEEEZZNS1_33reduce_by_key_impl_wrapped_configILNS1_25lookback_scan_determinismE0ES3_S9_PKS6_NS0_17constant_iteratorIjlEEPS6_PlSH_S8_NS0_8equal_toIS6_EEEE10hipError_tPvRmT2_T3_mT4_T5_T6_T7_T8_P12ihipStream_tbENKUlT_T0_E_clISt17integral_constantIbLb1EES10_IbLb0EEEEDaSW_SX_EUlSW_E_NS1_11comp_targetILNS1_3genE2ELNS1_11target_archE906ELNS1_3gpuE6ELNS1_3repE0EEENS1_30default_config_static_selectorELNS0_4arch9wavefront6targetE1EEEvT1_,comdat
.Lfunc_end947:
	.size	_ZN7rocprim17ROCPRIM_400000_NS6detail17trampoline_kernelINS0_14default_configENS1_33run_length_encode_config_selectorIN3c104HalfEjNS0_4plusIjEEEEZZNS1_33reduce_by_key_impl_wrapped_configILNS1_25lookback_scan_determinismE0ES3_S9_PKS6_NS0_17constant_iteratorIjlEEPS6_PlSH_S8_NS0_8equal_toIS6_EEEE10hipError_tPvRmT2_T3_mT4_T5_T6_T7_T8_P12ihipStream_tbENKUlT_T0_E_clISt17integral_constantIbLb1EES10_IbLb0EEEEDaSW_SX_EUlSW_E_NS1_11comp_targetILNS1_3genE2ELNS1_11target_archE906ELNS1_3gpuE6ELNS1_3repE0EEENS1_30default_config_static_selectorELNS0_4arch9wavefront6targetE1EEEvT1_, .Lfunc_end947-_ZN7rocprim17ROCPRIM_400000_NS6detail17trampoline_kernelINS0_14default_configENS1_33run_length_encode_config_selectorIN3c104HalfEjNS0_4plusIjEEEEZZNS1_33reduce_by_key_impl_wrapped_configILNS1_25lookback_scan_determinismE0ES3_S9_PKS6_NS0_17constant_iteratorIjlEEPS6_PlSH_S8_NS0_8equal_toIS6_EEEE10hipError_tPvRmT2_T3_mT4_T5_T6_T7_T8_P12ihipStream_tbENKUlT_T0_E_clISt17integral_constantIbLb1EES10_IbLb0EEEEDaSW_SX_EUlSW_E_NS1_11comp_targetILNS1_3genE2ELNS1_11target_archE906ELNS1_3gpuE6ELNS1_3repE0EEENS1_30default_config_static_selectorELNS0_4arch9wavefront6targetE1EEEvT1_
                                        ; -- End function
	.section	.AMDGPU.csdata,"",@progbits
; Kernel info:
; codeLenInByte = 0
; NumSgprs: 6
; NumVgprs: 0
; NumAgprs: 0
; TotalNumVgprs: 0
; ScratchSize: 0
; MemoryBound: 0
; FloatMode: 240
; IeeeMode: 1
; LDSByteSize: 0 bytes/workgroup (compile time only)
; SGPRBlocks: 0
; VGPRBlocks: 0
; NumSGPRsForWavesPerEU: 6
; NumVGPRsForWavesPerEU: 1
; AccumOffset: 4
; Occupancy: 8
; WaveLimiterHint : 0
; COMPUTE_PGM_RSRC2:SCRATCH_EN: 0
; COMPUTE_PGM_RSRC2:USER_SGPR: 2
; COMPUTE_PGM_RSRC2:TRAP_HANDLER: 0
; COMPUTE_PGM_RSRC2:TGID_X_EN: 1
; COMPUTE_PGM_RSRC2:TGID_Y_EN: 0
; COMPUTE_PGM_RSRC2:TGID_Z_EN: 0
; COMPUTE_PGM_RSRC2:TIDIG_COMP_CNT: 0
; COMPUTE_PGM_RSRC3_GFX90A:ACCUM_OFFSET: 0
; COMPUTE_PGM_RSRC3_GFX90A:TG_SPLIT: 0
	.section	.text._ZN7rocprim17ROCPRIM_400000_NS6detail17trampoline_kernelINS0_14default_configENS1_33run_length_encode_config_selectorIN3c104HalfEjNS0_4plusIjEEEEZZNS1_33reduce_by_key_impl_wrapped_configILNS1_25lookback_scan_determinismE0ES3_S9_PKS6_NS0_17constant_iteratorIjlEEPS6_PlSH_S8_NS0_8equal_toIS6_EEEE10hipError_tPvRmT2_T3_mT4_T5_T6_T7_T8_P12ihipStream_tbENKUlT_T0_E_clISt17integral_constantIbLb1EES10_IbLb0EEEEDaSW_SX_EUlSW_E_NS1_11comp_targetILNS1_3genE10ELNS1_11target_archE1201ELNS1_3gpuE5ELNS1_3repE0EEENS1_30default_config_static_selectorELNS0_4arch9wavefront6targetE1EEEvT1_,"axG",@progbits,_ZN7rocprim17ROCPRIM_400000_NS6detail17trampoline_kernelINS0_14default_configENS1_33run_length_encode_config_selectorIN3c104HalfEjNS0_4plusIjEEEEZZNS1_33reduce_by_key_impl_wrapped_configILNS1_25lookback_scan_determinismE0ES3_S9_PKS6_NS0_17constant_iteratorIjlEEPS6_PlSH_S8_NS0_8equal_toIS6_EEEE10hipError_tPvRmT2_T3_mT4_T5_T6_T7_T8_P12ihipStream_tbENKUlT_T0_E_clISt17integral_constantIbLb1EES10_IbLb0EEEEDaSW_SX_EUlSW_E_NS1_11comp_targetILNS1_3genE10ELNS1_11target_archE1201ELNS1_3gpuE5ELNS1_3repE0EEENS1_30default_config_static_selectorELNS0_4arch9wavefront6targetE1EEEvT1_,comdat
	.protected	_ZN7rocprim17ROCPRIM_400000_NS6detail17trampoline_kernelINS0_14default_configENS1_33run_length_encode_config_selectorIN3c104HalfEjNS0_4plusIjEEEEZZNS1_33reduce_by_key_impl_wrapped_configILNS1_25lookback_scan_determinismE0ES3_S9_PKS6_NS0_17constant_iteratorIjlEEPS6_PlSH_S8_NS0_8equal_toIS6_EEEE10hipError_tPvRmT2_T3_mT4_T5_T6_T7_T8_P12ihipStream_tbENKUlT_T0_E_clISt17integral_constantIbLb1EES10_IbLb0EEEEDaSW_SX_EUlSW_E_NS1_11comp_targetILNS1_3genE10ELNS1_11target_archE1201ELNS1_3gpuE5ELNS1_3repE0EEENS1_30default_config_static_selectorELNS0_4arch9wavefront6targetE1EEEvT1_ ; -- Begin function _ZN7rocprim17ROCPRIM_400000_NS6detail17trampoline_kernelINS0_14default_configENS1_33run_length_encode_config_selectorIN3c104HalfEjNS0_4plusIjEEEEZZNS1_33reduce_by_key_impl_wrapped_configILNS1_25lookback_scan_determinismE0ES3_S9_PKS6_NS0_17constant_iteratorIjlEEPS6_PlSH_S8_NS0_8equal_toIS6_EEEE10hipError_tPvRmT2_T3_mT4_T5_T6_T7_T8_P12ihipStream_tbENKUlT_T0_E_clISt17integral_constantIbLb1EES10_IbLb0EEEEDaSW_SX_EUlSW_E_NS1_11comp_targetILNS1_3genE10ELNS1_11target_archE1201ELNS1_3gpuE5ELNS1_3repE0EEENS1_30default_config_static_selectorELNS0_4arch9wavefront6targetE1EEEvT1_
	.globl	_ZN7rocprim17ROCPRIM_400000_NS6detail17trampoline_kernelINS0_14default_configENS1_33run_length_encode_config_selectorIN3c104HalfEjNS0_4plusIjEEEEZZNS1_33reduce_by_key_impl_wrapped_configILNS1_25lookback_scan_determinismE0ES3_S9_PKS6_NS0_17constant_iteratorIjlEEPS6_PlSH_S8_NS0_8equal_toIS6_EEEE10hipError_tPvRmT2_T3_mT4_T5_T6_T7_T8_P12ihipStream_tbENKUlT_T0_E_clISt17integral_constantIbLb1EES10_IbLb0EEEEDaSW_SX_EUlSW_E_NS1_11comp_targetILNS1_3genE10ELNS1_11target_archE1201ELNS1_3gpuE5ELNS1_3repE0EEENS1_30default_config_static_selectorELNS0_4arch9wavefront6targetE1EEEvT1_
	.p2align	8
	.type	_ZN7rocprim17ROCPRIM_400000_NS6detail17trampoline_kernelINS0_14default_configENS1_33run_length_encode_config_selectorIN3c104HalfEjNS0_4plusIjEEEEZZNS1_33reduce_by_key_impl_wrapped_configILNS1_25lookback_scan_determinismE0ES3_S9_PKS6_NS0_17constant_iteratorIjlEEPS6_PlSH_S8_NS0_8equal_toIS6_EEEE10hipError_tPvRmT2_T3_mT4_T5_T6_T7_T8_P12ihipStream_tbENKUlT_T0_E_clISt17integral_constantIbLb1EES10_IbLb0EEEEDaSW_SX_EUlSW_E_NS1_11comp_targetILNS1_3genE10ELNS1_11target_archE1201ELNS1_3gpuE5ELNS1_3repE0EEENS1_30default_config_static_selectorELNS0_4arch9wavefront6targetE1EEEvT1_,@function
_ZN7rocprim17ROCPRIM_400000_NS6detail17trampoline_kernelINS0_14default_configENS1_33run_length_encode_config_selectorIN3c104HalfEjNS0_4plusIjEEEEZZNS1_33reduce_by_key_impl_wrapped_configILNS1_25lookback_scan_determinismE0ES3_S9_PKS6_NS0_17constant_iteratorIjlEEPS6_PlSH_S8_NS0_8equal_toIS6_EEEE10hipError_tPvRmT2_T3_mT4_T5_T6_T7_T8_P12ihipStream_tbENKUlT_T0_E_clISt17integral_constantIbLb1EES10_IbLb0EEEEDaSW_SX_EUlSW_E_NS1_11comp_targetILNS1_3genE10ELNS1_11target_archE1201ELNS1_3gpuE5ELNS1_3repE0EEENS1_30default_config_static_selectorELNS0_4arch9wavefront6targetE1EEEvT1_: ; @_ZN7rocprim17ROCPRIM_400000_NS6detail17trampoline_kernelINS0_14default_configENS1_33run_length_encode_config_selectorIN3c104HalfEjNS0_4plusIjEEEEZZNS1_33reduce_by_key_impl_wrapped_configILNS1_25lookback_scan_determinismE0ES3_S9_PKS6_NS0_17constant_iteratorIjlEEPS6_PlSH_S8_NS0_8equal_toIS6_EEEE10hipError_tPvRmT2_T3_mT4_T5_T6_T7_T8_P12ihipStream_tbENKUlT_T0_E_clISt17integral_constantIbLb1EES10_IbLb0EEEEDaSW_SX_EUlSW_E_NS1_11comp_targetILNS1_3genE10ELNS1_11target_archE1201ELNS1_3gpuE5ELNS1_3repE0EEENS1_30default_config_static_selectorELNS0_4arch9wavefront6targetE1EEEvT1_
; %bb.0:
	.section	.rodata,"a",@progbits
	.p2align	6, 0x0
	.amdhsa_kernel _ZN7rocprim17ROCPRIM_400000_NS6detail17trampoline_kernelINS0_14default_configENS1_33run_length_encode_config_selectorIN3c104HalfEjNS0_4plusIjEEEEZZNS1_33reduce_by_key_impl_wrapped_configILNS1_25lookback_scan_determinismE0ES3_S9_PKS6_NS0_17constant_iteratorIjlEEPS6_PlSH_S8_NS0_8equal_toIS6_EEEE10hipError_tPvRmT2_T3_mT4_T5_T6_T7_T8_P12ihipStream_tbENKUlT_T0_E_clISt17integral_constantIbLb1EES10_IbLb0EEEEDaSW_SX_EUlSW_E_NS1_11comp_targetILNS1_3genE10ELNS1_11target_archE1201ELNS1_3gpuE5ELNS1_3repE0EEENS1_30default_config_static_selectorELNS0_4arch9wavefront6targetE1EEEvT1_
		.amdhsa_group_segment_fixed_size 0
		.amdhsa_private_segment_fixed_size 0
		.amdhsa_kernarg_size 128
		.amdhsa_user_sgpr_count 2
		.amdhsa_user_sgpr_dispatch_ptr 0
		.amdhsa_user_sgpr_queue_ptr 0
		.amdhsa_user_sgpr_kernarg_segment_ptr 1
		.amdhsa_user_sgpr_dispatch_id 0
		.amdhsa_user_sgpr_kernarg_preload_length 0
		.amdhsa_user_sgpr_kernarg_preload_offset 0
		.amdhsa_user_sgpr_private_segment_size 0
		.amdhsa_uses_dynamic_stack 0
		.amdhsa_enable_private_segment 0
		.amdhsa_system_sgpr_workgroup_id_x 1
		.amdhsa_system_sgpr_workgroup_id_y 0
		.amdhsa_system_sgpr_workgroup_id_z 0
		.amdhsa_system_sgpr_workgroup_info 0
		.amdhsa_system_vgpr_workitem_id 0
		.amdhsa_next_free_vgpr 1
		.amdhsa_next_free_sgpr 0
		.amdhsa_accum_offset 4
		.amdhsa_reserve_vcc 0
		.amdhsa_float_round_mode_32 0
		.amdhsa_float_round_mode_16_64 0
		.amdhsa_float_denorm_mode_32 3
		.amdhsa_float_denorm_mode_16_64 3
		.amdhsa_dx10_clamp 1
		.amdhsa_ieee_mode 1
		.amdhsa_fp16_overflow 0
		.amdhsa_tg_split 0
		.amdhsa_exception_fp_ieee_invalid_op 0
		.amdhsa_exception_fp_denorm_src 0
		.amdhsa_exception_fp_ieee_div_zero 0
		.amdhsa_exception_fp_ieee_overflow 0
		.amdhsa_exception_fp_ieee_underflow 0
		.amdhsa_exception_fp_ieee_inexact 0
		.amdhsa_exception_int_div_zero 0
	.end_amdhsa_kernel
	.section	.text._ZN7rocprim17ROCPRIM_400000_NS6detail17trampoline_kernelINS0_14default_configENS1_33run_length_encode_config_selectorIN3c104HalfEjNS0_4plusIjEEEEZZNS1_33reduce_by_key_impl_wrapped_configILNS1_25lookback_scan_determinismE0ES3_S9_PKS6_NS0_17constant_iteratorIjlEEPS6_PlSH_S8_NS0_8equal_toIS6_EEEE10hipError_tPvRmT2_T3_mT4_T5_T6_T7_T8_P12ihipStream_tbENKUlT_T0_E_clISt17integral_constantIbLb1EES10_IbLb0EEEEDaSW_SX_EUlSW_E_NS1_11comp_targetILNS1_3genE10ELNS1_11target_archE1201ELNS1_3gpuE5ELNS1_3repE0EEENS1_30default_config_static_selectorELNS0_4arch9wavefront6targetE1EEEvT1_,"axG",@progbits,_ZN7rocprim17ROCPRIM_400000_NS6detail17trampoline_kernelINS0_14default_configENS1_33run_length_encode_config_selectorIN3c104HalfEjNS0_4plusIjEEEEZZNS1_33reduce_by_key_impl_wrapped_configILNS1_25lookback_scan_determinismE0ES3_S9_PKS6_NS0_17constant_iteratorIjlEEPS6_PlSH_S8_NS0_8equal_toIS6_EEEE10hipError_tPvRmT2_T3_mT4_T5_T6_T7_T8_P12ihipStream_tbENKUlT_T0_E_clISt17integral_constantIbLb1EES10_IbLb0EEEEDaSW_SX_EUlSW_E_NS1_11comp_targetILNS1_3genE10ELNS1_11target_archE1201ELNS1_3gpuE5ELNS1_3repE0EEENS1_30default_config_static_selectorELNS0_4arch9wavefront6targetE1EEEvT1_,comdat
.Lfunc_end948:
	.size	_ZN7rocprim17ROCPRIM_400000_NS6detail17trampoline_kernelINS0_14default_configENS1_33run_length_encode_config_selectorIN3c104HalfEjNS0_4plusIjEEEEZZNS1_33reduce_by_key_impl_wrapped_configILNS1_25lookback_scan_determinismE0ES3_S9_PKS6_NS0_17constant_iteratorIjlEEPS6_PlSH_S8_NS0_8equal_toIS6_EEEE10hipError_tPvRmT2_T3_mT4_T5_T6_T7_T8_P12ihipStream_tbENKUlT_T0_E_clISt17integral_constantIbLb1EES10_IbLb0EEEEDaSW_SX_EUlSW_E_NS1_11comp_targetILNS1_3genE10ELNS1_11target_archE1201ELNS1_3gpuE5ELNS1_3repE0EEENS1_30default_config_static_selectorELNS0_4arch9wavefront6targetE1EEEvT1_, .Lfunc_end948-_ZN7rocprim17ROCPRIM_400000_NS6detail17trampoline_kernelINS0_14default_configENS1_33run_length_encode_config_selectorIN3c104HalfEjNS0_4plusIjEEEEZZNS1_33reduce_by_key_impl_wrapped_configILNS1_25lookback_scan_determinismE0ES3_S9_PKS6_NS0_17constant_iteratorIjlEEPS6_PlSH_S8_NS0_8equal_toIS6_EEEE10hipError_tPvRmT2_T3_mT4_T5_T6_T7_T8_P12ihipStream_tbENKUlT_T0_E_clISt17integral_constantIbLb1EES10_IbLb0EEEEDaSW_SX_EUlSW_E_NS1_11comp_targetILNS1_3genE10ELNS1_11target_archE1201ELNS1_3gpuE5ELNS1_3repE0EEENS1_30default_config_static_selectorELNS0_4arch9wavefront6targetE1EEEvT1_
                                        ; -- End function
	.section	.AMDGPU.csdata,"",@progbits
; Kernel info:
; codeLenInByte = 0
; NumSgprs: 6
; NumVgprs: 0
; NumAgprs: 0
; TotalNumVgprs: 0
; ScratchSize: 0
; MemoryBound: 0
; FloatMode: 240
; IeeeMode: 1
; LDSByteSize: 0 bytes/workgroup (compile time only)
; SGPRBlocks: 0
; VGPRBlocks: 0
; NumSGPRsForWavesPerEU: 6
; NumVGPRsForWavesPerEU: 1
; AccumOffset: 4
; Occupancy: 8
; WaveLimiterHint : 0
; COMPUTE_PGM_RSRC2:SCRATCH_EN: 0
; COMPUTE_PGM_RSRC2:USER_SGPR: 2
; COMPUTE_PGM_RSRC2:TRAP_HANDLER: 0
; COMPUTE_PGM_RSRC2:TGID_X_EN: 1
; COMPUTE_PGM_RSRC2:TGID_Y_EN: 0
; COMPUTE_PGM_RSRC2:TGID_Z_EN: 0
; COMPUTE_PGM_RSRC2:TIDIG_COMP_CNT: 0
; COMPUTE_PGM_RSRC3_GFX90A:ACCUM_OFFSET: 0
; COMPUTE_PGM_RSRC3_GFX90A:TG_SPLIT: 0
	.section	.text._ZN7rocprim17ROCPRIM_400000_NS6detail17trampoline_kernelINS0_14default_configENS1_33run_length_encode_config_selectorIN3c104HalfEjNS0_4plusIjEEEEZZNS1_33reduce_by_key_impl_wrapped_configILNS1_25lookback_scan_determinismE0ES3_S9_PKS6_NS0_17constant_iteratorIjlEEPS6_PlSH_S8_NS0_8equal_toIS6_EEEE10hipError_tPvRmT2_T3_mT4_T5_T6_T7_T8_P12ihipStream_tbENKUlT_T0_E_clISt17integral_constantIbLb1EES10_IbLb0EEEEDaSW_SX_EUlSW_E_NS1_11comp_targetILNS1_3genE10ELNS1_11target_archE1200ELNS1_3gpuE4ELNS1_3repE0EEENS1_30default_config_static_selectorELNS0_4arch9wavefront6targetE1EEEvT1_,"axG",@progbits,_ZN7rocprim17ROCPRIM_400000_NS6detail17trampoline_kernelINS0_14default_configENS1_33run_length_encode_config_selectorIN3c104HalfEjNS0_4plusIjEEEEZZNS1_33reduce_by_key_impl_wrapped_configILNS1_25lookback_scan_determinismE0ES3_S9_PKS6_NS0_17constant_iteratorIjlEEPS6_PlSH_S8_NS0_8equal_toIS6_EEEE10hipError_tPvRmT2_T3_mT4_T5_T6_T7_T8_P12ihipStream_tbENKUlT_T0_E_clISt17integral_constantIbLb1EES10_IbLb0EEEEDaSW_SX_EUlSW_E_NS1_11comp_targetILNS1_3genE10ELNS1_11target_archE1200ELNS1_3gpuE4ELNS1_3repE0EEENS1_30default_config_static_selectorELNS0_4arch9wavefront6targetE1EEEvT1_,comdat
	.protected	_ZN7rocprim17ROCPRIM_400000_NS6detail17trampoline_kernelINS0_14default_configENS1_33run_length_encode_config_selectorIN3c104HalfEjNS0_4plusIjEEEEZZNS1_33reduce_by_key_impl_wrapped_configILNS1_25lookback_scan_determinismE0ES3_S9_PKS6_NS0_17constant_iteratorIjlEEPS6_PlSH_S8_NS0_8equal_toIS6_EEEE10hipError_tPvRmT2_T3_mT4_T5_T6_T7_T8_P12ihipStream_tbENKUlT_T0_E_clISt17integral_constantIbLb1EES10_IbLb0EEEEDaSW_SX_EUlSW_E_NS1_11comp_targetILNS1_3genE10ELNS1_11target_archE1200ELNS1_3gpuE4ELNS1_3repE0EEENS1_30default_config_static_selectorELNS0_4arch9wavefront6targetE1EEEvT1_ ; -- Begin function _ZN7rocprim17ROCPRIM_400000_NS6detail17trampoline_kernelINS0_14default_configENS1_33run_length_encode_config_selectorIN3c104HalfEjNS0_4plusIjEEEEZZNS1_33reduce_by_key_impl_wrapped_configILNS1_25lookback_scan_determinismE0ES3_S9_PKS6_NS0_17constant_iteratorIjlEEPS6_PlSH_S8_NS0_8equal_toIS6_EEEE10hipError_tPvRmT2_T3_mT4_T5_T6_T7_T8_P12ihipStream_tbENKUlT_T0_E_clISt17integral_constantIbLb1EES10_IbLb0EEEEDaSW_SX_EUlSW_E_NS1_11comp_targetILNS1_3genE10ELNS1_11target_archE1200ELNS1_3gpuE4ELNS1_3repE0EEENS1_30default_config_static_selectorELNS0_4arch9wavefront6targetE1EEEvT1_
	.globl	_ZN7rocprim17ROCPRIM_400000_NS6detail17trampoline_kernelINS0_14default_configENS1_33run_length_encode_config_selectorIN3c104HalfEjNS0_4plusIjEEEEZZNS1_33reduce_by_key_impl_wrapped_configILNS1_25lookback_scan_determinismE0ES3_S9_PKS6_NS0_17constant_iteratorIjlEEPS6_PlSH_S8_NS0_8equal_toIS6_EEEE10hipError_tPvRmT2_T3_mT4_T5_T6_T7_T8_P12ihipStream_tbENKUlT_T0_E_clISt17integral_constantIbLb1EES10_IbLb0EEEEDaSW_SX_EUlSW_E_NS1_11comp_targetILNS1_3genE10ELNS1_11target_archE1200ELNS1_3gpuE4ELNS1_3repE0EEENS1_30default_config_static_selectorELNS0_4arch9wavefront6targetE1EEEvT1_
	.p2align	8
	.type	_ZN7rocprim17ROCPRIM_400000_NS6detail17trampoline_kernelINS0_14default_configENS1_33run_length_encode_config_selectorIN3c104HalfEjNS0_4plusIjEEEEZZNS1_33reduce_by_key_impl_wrapped_configILNS1_25lookback_scan_determinismE0ES3_S9_PKS6_NS0_17constant_iteratorIjlEEPS6_PlSH_S8_NS0_8equal_toIS6_EEEE10hipError_tPvRmT2_T3_mT4_T5_T6_T7_T8_P12ihipStream_tbENKUlT_T0_E_clISt17integral_constantIbLb1EES10_IbLb0EEEEDaSW_SX_EUlSW_E_NS1_11comp_targetILNS1_3genE10ELNS1_11target_archE1200ELNS1_3gpuE4ELNS1_3repE0EEENS1_30default_config_static_selectorELNS0_4arch9wavefront6targetE1EEEvT1_,@function
_ZN7rocprim17ROCPRIM_400000_NS6detail17trampoline_kernelINS0_14default_configENS1_33run_length_encode_config_selectorIN3c104HalfEjNS0_4plusIjEEEEZZNS1_33reduce_by_key_impl_wrapped_configILNS1_25lookback_scan_determinismE0ES3_S9_PKS6_NS0_17constant_iteratorIjlEEPS6_PlSH_S8_NS0_8equal_toIS6_EEEE10hipError_tPvRmT2_T3_mT4_T5_T6_T7_T8_P12ihipStream_tbENKUlT_T0_E_clISt17integral_constantIbLb1EES10_IbLb0EEEEDaSW_SX_EUlSW_E_NS1_11comp_targetILNS1_3genE10ELNS1_11target_archE1200ELNS1_3gpuE4ELNS1_3repE0EEENS1_30default_config_static_selectorELNS0_4arch9wavefront6targetE1EEEvT1_: ; @_ZN7rocprim17ROCPRIM_400000_NS6detail17trampoline_kernelINS0_14default_configENS1_33run_length_encode_config_selectorIN3c104HalfEjNS0_4plusIjEEEEZZNS1_33reduce_by_key_impl_wrapped_configILNS1_25lookback_scan_determinismE0ES3_S9_PKS6_NS0_17constant_iteratorIjlEEPS6_PlSH_S8_NS0_8equal_toIS6_EEEE10hipError_tPvRmT2_T3_mT4_T5_T6_T7_T8_P12ihipStream_tbENKUlT_T0_E_clISt17integral_constantIbLb1EES10_IbLb0EEEEDaSW_SX_EUlSW_E_NS1_11comp_targetILNS1_3genE10ELNS1_11target_archE1200ELNS1_3gpuE4ELNS1_3repE0EEENS1_30default_config_static_selectorELNS0_4arch9wavefront6targetE1EEEvT1_
; %bb.0:
	.section	.rodata,"a",@progbits
	.p2align	6, 0x0
	.amdhsa_kernel _ZN7rocprim17ROCPRIM_400000_NS6detail17trampoline_kernelINS0_14default_configENS1_33run_length_encode_config_selectorIN3c104HalfEjNS0_4plusIjEEEEZZNS1_33reduce_by_key_impl_wrapped_configILNS1_25lookback_scan_determinismE0ES3_S9_PKS6_NS0_17constant_iteratorIjlEEPS6_PlSH_S8_NS0_8equal_toIS6_EEEE10hipError_tPvRmT2_T3_mT4_T5_T6_T7_T8_P12ihipStream_tbENKUlT_T0_E_clISt17integral_constantIbLb1EES10_IbLb0EEEEDaSW_SX_EUlSW_E_NS1_11comp_targetILNS1_3genE10ELNS1_11target_archE1200ELNS1_3gpuE4ELNS1_3repE0EEENS1_30default_config_static_selectorELNS0_4arch9wavefront6targetE1EEEvT1_
		.amdhsa_group_segment_fixed_size 0
		.amdhsa_private_segment_fixed_size 0
		.amdhsa_kernarg_size 128
		.amdhsa_user_sgpr_count 2
		.amdhsa_user_sgpr_dispatch_ptr 0
		.amdhsa_user_sgpr_queue_ptr 0
		.amdhsa_user_sgpr_kernarg_segment_ptr 1
		.amdhsa_user_sgpr_dispatch_id 0
		.amdhsa_user_sgpr_kernarg_preload_length 0
		.amdhsa_user_sgpr_kernarg_preload_offset 0
		.amdhsa_user_sgpr_private_segment_size 0
		.amdhsa_uses_dynamic_stack 0
		.amdhsa_enable_private_segment 0
		.amdhsa_system_sgpr_workgroup_id_x 1
		.amdhsa_system_sgpr_workgroup_id_y 0
		.amdhsa_system_sgpr_workgroup_id_z 0
		.amdhsa_system_sgpr_workgroup_info 0
		.amdhsa_system_vgpr_workitem_id 0
		.amdhsa_next_free_vgpr 1
		.amdhsa_next_free_sgpr 0
		.amdhsa_accum_offset 4
		.amdhsa_reserve_vcc 0
		.amdhsa_float_round_mode_32 0
		.amdhsa_float_round_mode_16_64 0
		.amdhsa_float_denorm_mode_32 3
		.amdhsa_float_denorm_mode_16_64 3
		.amdhsa_dx10_clamp 1
		.amdhsa_ieee_mode 1
		.amdhsa_fp16_overflow 0
		.amdhsa_tg_split 0
		.amdhsa_exception_fp_ieee_invalid_op 0
		.amdhsa_exception_fp_denorm_src 0
		.amdhsa_exception_fp_ieee_div_zero 0
		.amdhsa_exception_fp_ieee_overflow 0
		.amdhsa_exception_fp_ieee_underflow 0
		.amdhsa_exception_fp_ieee_inexact 0
		.amdhsa_exception_int_div_zero 0
	.end_amdhsa_kernel
	.section	.text._ZN7rocprim17ROCPRIM_400000_NS6detail17trampoline_kernelINS0_14default_configENS1_33run_length_encode_config_selectorIN3c104HalfEjNS0_4plusIjEEEEZZNS1_33reduce_by_key_impl_wrapped_configILNS1_25lookback_scan_determinismE0ES3_S9_PKS6_NS0_17constant_iteratorIjlEEPS6_PlSH_S8_NS0_8equal_toIS6_EEEE10hipError_tPvRmT2_T3_mT4_T5_T6_T7_T8_P12ihipStream_tbENKUlT_T0_E_clISt17integral_constantIbLb1EES10_IbLb0EEEEDaSW_SX_EUlSW_E_NS1_11comp_targetILNS1_3genE10ELNS1_11target_archE1200ELNS1_3gpuE4ELNS1_3repE0EEENS1_30default_config_static_selectorELNS0_4arch9wavefront6targetE1EEEvT1_,"axG",@progbits,_ZN7rocprim17ROCPRIM_400000_NS6detail17trampoline_kernelINS0_14default_configENS1_33run_length_encode_config_selectorIN3c104HalfEjNS0_4plusIjEEEEZZNS1_33reduce_by_key_impl_wrapped_configILNS1_25lookback_scan_determinismE0ES3_S9_PKS6_NS0_17constant_iteratorIjlEEPS6_PlSH_S8_NS0_8equal_toIS6_EEEE10hipError_tPvRmT2_T3_mT4_T5_T6_T7_T8_P12ihipStream_tbENKUlT_T0_E_clISt17integral_constantIbLb1EES10_IbLb0EEEEDaSW_SX_EUlSW_E_NS1_11comp_targetILNS1_3genE10ELNS1_11target_archE1200ELNS1_3gpuE4ELNS1_3repE0EEENS1_30default_config_static_selectorELNS0_4arch9wavefront6targetE1EEEvT1_,comdat
.Lfunc_end949:
	.size	_ZN7rocprim17ROCPRIM_400000_NS6detail17trampoline_kernelINS0_14default_configENS1_33run_length_encode_config_selectorIN3c104HalfEjNS0_4plusIjEEEEZZNS1_33reduce_by_key_impl_wrapped_configILNS1_25lookback_scan_determinismE0ES3_S9_PKS6_NS0_17constant_iteratorIjlEEPS6_PlSH_S8_NS0_8equal_toIS6_EEEE10hipError_tPvRmT2_T3_mT4_T5_T6_T7_T8_P12ihipStream_tbENKUlT_T0_E_clISt17integral_constantIbLb1EES10_IbLb0EEEEDaSW_SX_EUlSW_E_NS1_11comp_targetILNS1_3genE10ELNS1_11target_archE1200ELNS1_3gpuE4ELNS1_3repE0EEENS1_30default_config_static_selectorELNS0_4arch9wavefront6targetE1EEEvT1_, .Lfunc_end949-_ZN7rocprim17ROCPRIM_400000_NS6detail17trampoline_kernelINS0_14default_configENS1_33run_length_encode_config_selectorIN3c104HalfEjNS0_4plusIjEEEEZZNS1_33reduce_by_key_impl_wrapped_configILNS1_25lookback_scan_determinismE0ES3_S9_PKS6_NS0_17constant_iteratorIjlEEPS6_PlSH_S8_NS0_8equal_toIS6_EEEE10hipError_tPvRmT2_T3_mT4_T5_T6_T7_T8_P12ihipStream_tbENKUlT_T0_E_clISt17integral_constantIbLb1EES10_IbLb0EEEEDaSW_SX_EUlSW_E_NS1_11comp_targetILNS1_3genE10ELNS1_11target_archE1200ELNS1_3gpuE4ELNS1_3repE0EEENS1_30default_config_static_selectorELNS0_4arch9wavefront6targetE1EEEvT1_
                                        ; -- End function
	.section	.AMDGPU.csdata,"",@progbits
; Kernel info:
; codeLenInByte = 0
; NumSgprs: 6
; NumVgprs: 0
; NumAgprs: 0
; TotalNumVgprs: 0
; ScratchSize: 0
; MemoryBound: 0
; FloatMode: 240
; IeeeMode: 1
; LDSByteSize: 0 bytes/workgroup (compile time only)
; SGPRBlocks: 0
; VGPRBlocks: 0
; NumSGPRsForWavesPerEU: 6
; NumVGPRsForWavesPerEU: 1
; AccumOffset: 4
; Occupancy: 8
; WaveLimiterHint : 0
; COMPUTE_PGM_RSRC2:SCRATCH_EN: 0
; COMPUTE_PGM_RSRC2:USER_SGPR: 2
; COMPUTE_PGM_RSRC2:TRAP_HANDLER: 0
; COMPUTE_PGM_RSRC2:TGID_X_EN: 1
; COMPUTE_PGM_RSRC2:TGID_Y_EN: 0
; COMPUTE_PGM_RSRC2:TGID_Z_EN: 0
; COMPUTE_PGM_RSRC2:TIDIG_COMP_CNT: 0
; COMPUTE_PGM_RSRC3_GFX90A:ACCUM_OFFSET: 0
; COMPUTE_PGM_RSRC3_GFX90A:TG_SPLIT: 0
	.section	.text._ZN7rocprim17ROCPRIM_400000_NS6detail17trampoline_kernelINS0_14default_configENS1_33run_length_encode_config_selectorIN3c104HalfEjNS0_4plusIjEEEEZZNS1_33reduce_by_key_impl_wrapped_configILNS1_25lookback_scan_determinismE0ES3_S9_PKS6_NS0_17constant_iteratorIjlEEPS6_PlSH_S8_NS0_8equal_toIS6_EEEE10hipError_tPvRmT2_T3_mT4_T5_T6_T7_T8_P12ihipStream_tbENKUlT_T0_E_clISt17integral_constantIbLb1EES10_IbLb0EEEEDaSW_SX_EUlSW_E_NS1_11comp_targetILNS1_3genE9ELNS1_11target_archE1100ELNS1_3gpuE3ELNS1_3repE0EEENS1_30default_config_static_selectorELNS0_4arch9wavefront6targetE1EEEvT1_,"axG",@progbits,_ZN7rocprim17ROCPRIM_400000_NS6detail17trampoline_kernelINS0_14default_configENS1_33run_length_encode_config_selectorIN3c104HalfEjNS0_4plusIjEEEEZZNS1_33reduce_by_key_impl_wrapped_configILNS1_25lookback_scan_determinismE0ES3_S9_PKS6_NS0_17constant_iteratorIjlEEPS6_PlSH_S8_NS0_8equal_toIS6_EEEE10hipError_tPvRmT2_T3_mT4_T5_T6_T7_T8_P12ihipStream_tbENKUlT_T0_E_clISt17integral_constantIbLb1EES10_IbLb0EEEEDaSW_SX_EUlSW_E_NS1_11comp_targetILNS1_3genE9ELNS1_11target_archE1100ELNS1_3gpuE3ELNS1_3repE0EEENS1_30default_config_static_selectorELNS0_4arch9wavefront6targetE1EEEvT1_,comdat
	.protected	_ZN7rocprim17ROCPRIM_400000_NS6detail17trampoline_kernelINS0_14default_configENS1_33run_length_encode_config_selectorIN3c104HalfEjNS0_4plusIjEEEEZZNS1_33reduce_by_key_impl_wrapped_configILNS1_25lookback_scan_determinismE0ES3_S9_PKS6_NS0_17constant_iteratorIjlEEPS6_PlSH_S8_NS0_8equal_toIS6_EEEE10hipError_tPvRmT2_T3_mT4_T5_T6_T7_T8_P12ihipStream_tbENKUlT_T0_E_clISt17integral_constantIbLb1EES10_IbLb0EEEEDaSW_SX_EUlSW_E_NS1_11comp_targetILNS1_3genE9ELNS1_11target_archE1100ELNS1_3gpuE3ELNS1_3repE0EEENS1_30default_config_static_selectorELNS0_4arch9wavefront6targetE1EEEvT1_ ; -- Begin function _ZN7rocprim17ROCPRIM_400000_NS6detail17trampoline_kernelINS0_14default_configENS1_33run_length_encode_config_selectorIN3c104HalfEjNS0_4plusIjEEEEZZNS1_33reduce_by_key_impl_wrapped_configILNS1_25lookback_scan_determinismE0ES3_S9_PKS6_NS0_17constant_iteratorIjlEEPS6_PlSH_S8_NS0_8equal_toIS6_EEEE10hipError_tPvRmT2_T3_mT4_T5_T6_T7_T8_P12ihipStream_tbENKUlT_T0_E_clISt17integral_constantIbLb1EES10_IbLb0EEEEDaSW_SX_EUlSW_E_NS1_11comp_targetILNS1_3genE9ELNS1_11target_archE1100ELNS1_3gpuE3ELNS1_3repE0EEENS1_30default_config_static_selectorELNS0_4arch9wavefront6targetE1EEEvT1_
	.globl	_ZN7rocprim17ROCPRIM_400000_NS6detail17trampoline_kernelINS0_14default_configENS1_33run_length_encode_config_selectorIN3c104HalfEjNS0_4plusIjEEEEZZNS1_33reduce_by_key_impl_wrapped_configILNS1_25lookback_scan_determinismE0ES3_S9_PKS6_NS0_17constant_iteratorIjlEEPS6_PlSH_S8_NS0_8equal_toIS6_EEEE10hipError_tPvRmT2_T3_mT4_T5_T6_T7_T8_P12ihipStream_tbENKUlT_T0_E_clISt17integral_constantIbLb1EES10_IbLb0EEEEDaSW_SX_EUlSW_E_NS1_11comp_targetILNS1_3genE9ELNS1_11target_archE1100ELNS1_3gpuE3ELNS1_3repE0EEENS1_30default_config_static_selectorELNS0_4arch9wavefront6targetE1EEEvT1_
	.p2align	8
	.type	_ZN7rocprim17ROCPRIM_400000_NS6detail17trampoline_kernelINS0_14default_configENS1_33run_length_encode_config_selectorIN3c104HalfEjNS0_4plusIjEEEEZZNS1_33reduce_by_key_impl_wrapped_configILNS1_25lookback_scan_determinismE0ES3_S9_PKS6_NS0_17constant_iteratorIjlEEPS6_PlSH_S8_NS0_8equal_toIS6_EEEE10hipError_tPvRmT2_T3_mT4_T5_T6_T7_T8_P12ihipStream_tbENKUlT_T0_E_clISt17integral_constantIbLb1EES10_IbLb0EEEEDaSW_SX_EUlSW_E_NS1_11comp_targetILNS1_3genE9ELNS1_11target_archE1100ELNS1_3gpuE3ELNS1_3repE0EEENS1_30default_config_static_selectorELNS0_4arch9wavefront6targetE1EEEvT1_,@function
_ZN7rocprim17ROCPRIM_400000_NS6detail17trampoline_kernelINS0_14default_configENS1_33run_length_encode_config_selectorIN3c104HalfEjNS0_4plusIjEEEEZZNS1_33reduce_by_key_impl_wrapped_configILNS1_25lookback_scan_determinismE0ES3_S9_PKS6_NS0_17constant_iteratorIjlEEPS6_PlSH_S8_NS0_8equal_toIS6_EEEE10hipError_tPvRmT2_T3_mT4_T5_T6_T7_T8_P12ihipStream_tbENKUlT_T0_E_clISt17integral_constantIbLb1EES10_IbLb0EEEEDaSW_SX_EUlSW_E_NS1_11comp_targetILNS1_3genE9ELNS1_11target_archE1100ELNS1_3gpuE3ELNS1_3repE0EEENS1_30default_config_static_selectorELNS0_4arch9wavefront6targetE1EEEvT1_: ; @_ZN7rocprim17ROCPRIM_400000_NS6detail17trampoline_kernelINS0_14default_configENS1_33run_length_encode_config_selectorIN3c104HalfEjNS0_4plusIjEEEEZZNS1_33reduce_by_key_impl_wrapped_configILNS1_25lookback_scan_determinismE0ES3_S9_PKS6_NS0_17constant_iteratorIjlEEPS6_PlSH_S8_NS0_8equal_toIS6_EEEE10hipError_tPvRmT2_T3_mT4_T5_T6_T7_T8_P12ihipStream_tbENKUlT_T0_E_clISt17integral_constantIbLb1EES10_IbLb0EEEEDaSW_SX_EUlSW_E_NS1_11comp_targetILNS1_3genE9ELNS1_11target_archE1100ELNS1_3gpuE3ELNS1_3repE0EEENS1_30default_config_static_selectorELNS0_4arch9wavefront6targetE1EEEvT1_
; %bb.0:
	.section	.rodata,"a",@progbits
	.p2align	6, 0x0
	.amdhsa_kernel _ZN7rocprim17ROCPRIM_400000_NS6detail17trampoline_kernelINS0_14default_configENS1_33run_length_encode_config_selectorIN3c104HalfEjNS0_4plusIjEEEEZZNS1_33reduce_by_key_impl_wrapped_configILNS1_25lookback_scan_determinismE0ES3_S9_PKS6_NS0_17constant_iteratorIjlEEPS6_PlSH_S8_NS0_8equal_toIS6_EEEE10hipError_tPvRmT2_T3_mT4_T5_T6_T7_T8_P12ihipStream_tbENKUlT_T0_E_clISt17integral_constantIbLb1EES10_IbLb0EEEEDaSW_SX_EUlSW_E_NS1_11comp_targetILNS1_3genE9ELNS1_11target_archE1100ELNS1_3gpuE3ELNS1_3repE0EEENS1_30default_config_static_selectorELNS0_4arch9wavefront6targetE1EEEvT1_
		.amdhsa_group_segment_fixed_size 0
		.amdhsa_private_segment_fixed_size 0
		.amdhsa_kernarg_size 128
		.amdhsa_user_sgpr_count 2
		.amdhsa_user_sgpr_dispatch_ptr 0
		.amdhsa_user_sgpr_queue_ptr 0
		.amdhsa_user_sgpr_kernarg_segment_ptr 1
		.amdhsa_user_sgpr_dispatch_id 0
		.amdhsa_user_sgpr_kernarg_preload_length 0
		.amdhsa_user_sgpr_kernarg_preload_offset 0
		.amdhsa_user_sgpr_private_segment_size 0
		.amdhsa_uses_dynamic_stack 0
		.amdhsa_enable_private_segment 0
		.amdhsa_system_sgpr_workgroup_id_x 1
		.amdhsa_system_sgpr_workgroup_id_y 0
		.amdhsa_system_sgpr_workgroup_id_z 0
		.amdhsa_system_sgpr_workgroup_info 0
		.amdhsa_system_vgpr_workitem_id 0
		.amdhsa_next_free_vgpr 1
		.amdhsa_next_free_sgpr 0
		.amdhsa_accum_offset 4
		.amdhsa_reserve_vcc 0
		.amdhsa_float_round_mode_32 0
		.amdhsa_float_round_mode_16_64 0
		.amdhsa_float_denorm_mode_32 3
		.amdhsa_float_denorm_mode_16_64 3
		.amdhsa_dx10_clamp 1
		.amdhsa_ieee_mode 1
		.amdhsa_fp16_overflow 0
		.amdhsa_tg_split 0
		.amdhsa_exception_fp_ieee_invalid_op 0
		.amdhsa_exception_fp_denorm_src 0
		.amdhsa_exception_fp_ieee_div_zero 0
		.amdhsa_exception_fp_ieee_overflow 0
		.amdhsa_exception_fp_ieee_underflow 0
		.amdhsa_exception_fp_ieee_inexact 0
		.amdhsa_exception_int_div_zero 0
	.end_amdhsa_kernel
	.section	.text._ZN7rocprim17ROCPRIM_400000_NS6detail17trampoline_kernelINS0_14default_configENS1_33run_length_encode_config_selectorIN3c104HalfEjNS0_4plusIjEEEEZZNS1_33reduce_by_key_impl_wrapped_configILNS1_25lookback_scan_determinismE0ES3_S9_PKS6_NS0_17constant_iteratorIjlEEPS6_PlSH_S8_NS0_8equal_toIS6_EEEE10hipError_tPvRmT2_T3_mT4_T5_T6_T7_T8_P12ihipStream_tbENKUlT_T0_E_clISt17integral_constantIbLb1EES10_IbLb0EEEEDaSW_SX_EUlSW_E_NS1_11comp_targetILNS1_3genE9ELNS1_11target_archE1100ELNS1_3gpuE3ELNS1_3repE0EEENS1_30default_config_static_selectorELNS0_4arch9wavefront6targetE1EEEvT1_,"axG",@progbits,_ZN7rocprim17ROCPRIM_400000_NS6detail17trampoline_kernelINS0_14default_configENS1_33run_length_encode_config_selectorIN3c104HalfEjNS0_4plusIjEEEEZZNS1_33reduce_by_key_impl_wrapped_configILNS1_25lookback_scan_determinismE0ES3_S9_PKS6_NS0_17constant_iteratorIjlEEPS6_PlSH_S8_NS0_8equal_toIS6_EEEE10hipError_tPvRmT2_T3_mT4_T5_T6_T7_T8_P12ihipStream_tbENKUlT_T0_E_clISt17integral_constantIbLb1EES10_IbLb0EEEEDaSW_SX_EUlSW_E_NS1_11comp_targetILNS1_3genE9ELNS1_11target_archE1100ELNS1_3gpuE3ELNS1_3repE0EEENS1_30default_config_static_selectorELNS0_4arch9wavefront6targetE1EEEvT1_,comdat
.Lfunc_end950:
	.size	_ZN7rocprim17ROCPRIM_400000_NS6detail17trampoline_kernelINS0_14default_configENS1_33run_length_encode_config_selectorIN3c104HalfEjNS0_4plusIjEEEEZZNS1_33reduce_by_key_impl_wrapped_configILNS1_25lookback_scan_determinismE0ES3_S9_PKS6_NS0_17constant_iteratorIjlEEPS6_PlSH_S8_NS0_8equal_toIS6_EEEE10hipError_tPvRmT2_T3_mT4_T5_T6_T7_T8_P12ihipStream_tbENKUlT_T0_E_clISt17integral_constantIbLb1EES10_IbLb0EEEEDaSW_SX_EUlSW_E_NS1_11comp_targetILNS1_3genE9ELNS1_11target_archE1100ELNS1_3gpuE3ELNS1_3repE0EEENS1_30default_config_static_selectorELNS0_4arch9wavefront6targetE1EEEvT1_, .Lfunc_end950-_ZN7rocprim17ROCPRIM_400000_NS6detail17trampoline_kernelINS0_14default_configENS1_33run_length_encode_config_selectorIN3c104HalfEjNS0_4plusIjEEEEZZNS1_33reduce_by_key_impl_wrapped_configILNS1_25lookback_scan_determinismE0ES3_S9_PKS6_NS0_17constant_iteratorIjlEEPS6_PlSH_S8_NS0_8equal_toIS6_EEEE10hipError_tPvRmT2_T3_mT4_T5_T6_T7_T8_P12ihipStream_tbENKUlT_T0_E_clISt17integral_constantIbLb1EES10_IbLb0EEEEDaSW_SX_EUlSW_E_NS1_11comp_targetILNS1_3genE9ELNS1_11target_archE1100ELNS1_3gpuE3ELNS1_3repE0EEENS1_30default_config_static_selectorELNS0_4arch9wavefront6targetE1EEEvT1_
                                        ; -- End function
	.section	.AMDGPU.csdata,"",@progbits
; Kernel info:
; codeLenInByte = 0
; NumSgprs: 6
; NumVgprs: 0
; NumAgprs: 0
; TotalNumVgprs: 0
; ScratchSize: 0
; MemoryBound: 0
; FloatMode: 240
; IeeeMode: 1
; LDSByteSize: 0 bytes/workgroup (compile time only)
; SGPRBlocks: 0
; VGPRBlocks: 0
; NumSGPRsForWavesPerEU: 6
; NumVGPRsForWavesPerEU: 1
; AccumOffset: 4
; Occupancy: 8
; WaveLimiterHint : 0
; COMPUTE_PGM_RSRC2:SCRATCH_EN: 0
; COMPUTE_PGM_RSRC2:USER_SGPR: 2
; COMPUTE_PGM_RSRC2:TRAP_HANDLER: 0
; COMPUTE_PGM_RSRC2:TGID_X_EN: 1
; COMPUTE_PGM_RSRC2:TGID_Y_EN: 0
; COMPUTE_PGM_RSRC2:TGID_Z_EN: 0
; COMPUTE_PGM_RSRC2:TIDIG_COMP_CNT: 0
; COMPUTE_PGM_RSRC3_GFX90A:ACCUM_OFFSET: 0
; COMPUTE_PGM_RSRC3_GFX90A:TG_SPLIT: 0
	.section	.text._ZN7rocprim17ROCPRIM_400000_NS6detail17trampoline_kernelINS0_14default_configENS1_33run_length_encode_config_selectorIN3c104HalfEjNS0_4plusIjEEEEZZNS1_33reduce_by_key_impl_wrapped_configILNS1_25lookback_scan_determinismE0ES3_S9_PKS6_NS0_17constant_iteratorIjlEEPS6_PlSH_S8_NS0_8equal_toIS6_EEEE10hipError_tPvRmT2_T3_mT4_T5_T6_T7_T8_P12ihipStream_tbENKUlT_T0_E_clISt17integral_constantIbLb1EES10_IbLb0EEEEDaSW_SX_EUlSW_E_NS1_11comp_targetILNS1_3genE8ELNS1_11target_archE1030ELNS1_3gpuE2ELNS1_3repE0EEENS1_30default_config_static_selectorELNS0_4arch9wavefront6targetE1EEEvT1_,"axG",@progbits,_ZN7rocprim17ROCPRIM_400000_NS6detail17trampoline_kernelINS0_14default_configENS1_33run_length_encode_config_selectorIN3c104HalfEjNS0_4plusIjEEEEZZNS1_33reduce_by_key_impl_wrapped_configILNS1_25lookback_scan_determinismE0ES3_S9_PKS6_NS0_17constant_iteratorIjlEEPS6_PlSH_S8_NS0_8equal_toIS6_EEEE10hipError_tPvRmT2_T3_mT4_T5_T6_T7_T8_P12ihipStream_tbENKUlT_T0_E_clISt17integral_constantIbLb1EES10_IbLb0EEEEDaSW_SX_EUlSW_E_NS1_11comp_targetILNS1_3genE8ELNS1_11target_archE1030ELNS1_3gpuE2ELNS1_3repE0EEENS1_30default_config_static_selectorELNS0_4arch9wavefront6targetE1EEEvT1_,comdat
	.protected	_ZN7rocprim17ROCPRIM_400000_NS6detail17trampoline_kernelINS0_14default_configENS1_33run_length_encode_config_selectorIN3c104HalfEjNS0_4plusIjEEEEZZNS1_33reduce_by_key_impl_wrapped_configILNS1_25lookback_scan_determinismE0ES3_S9_PKS6_NS0_17constant_iteratorIjlEEPS6_PlSH_S8_NS0_8equal_toIS6_EEEE10hipError_tPvRmT2_T3_mT4_T5_T6_T7_T8_P12ihipStream_tbENKUlT_T0_E_clISt17integral_constantIbLb1EES10_IbLb0EEEEDaSW_SX_EUlSW_E_NS1_11comp_targetILNS1_3genE8ELNS1_11target_archE1030ELNS1_3gpuE2ELNS1_3repE0EEENS1_30default_config_static_selectorELNS0_4arch9wavefront6targetE1EEEvT1_ ; -- Begin function _ZN7rocprim17ROCPRIM_400000_NS6detail17trampoline_kernelINS0_14default_configENS1_33run_length_encode_config_selectorIN3c104HalfEjNS0_4plusIjEEEEZZNS1_33reduce_by_key_impl_wrapped_configILNS1_25lookback_scan_determinismE0ES3_S9_PKS6_NS0_17constant_iteratorIjlEEPS6_PlSH_S8_NS0_8equal_toIS6_EEEE10hipError_tPvRmT2_T3_mT4_T5_T6_T7_T8_P12ihipStream_tbENKUlT_T0_E_clISt17integral_constantIbLb1EES10_IbLb0EEEEDaSW_SX_EUlSW_E_NS1_11comp_targetILNS1_3genE8ELNS1_11target_archE1030ELNS1_3gpuE2ELNS1_3repE0EEENS1_30default_config_static_selectorELNS0_4arch9wavefront6targetE1EEEvT1_
	.globl	_ZN7rocprim17ROCPRIM_400000_NS6detail17trampoline_kernelINS0_14default_configENS1_33run_length_encode_config_selectorIN3c104HalfEjNS0_4plusIjEEEEZZNS1_33reduce_by_key_impl_wrapped_configILNS1_25lookback_scan_determinismE0ES3_S9_PKS6_NS0_17constant_iteratorIjlEEPS6_PlSH_S8_NS0_8equal_toIS6_EEEE10hipError_tPvRmT2_T3_mT4_T5_T6_T7_T8_P12ihipStream_tbENKUlT_T0_E_clISt17integral_constantIbLb1EES10_IbLb0EEEEDaSW_SX_EUlSW_E_NS1_11comp_targetILNS1_3genE8ELNS1_11target_archE1030ELNS1_3gpuE2ELNS1_3repE0EEENS1_30default_config_static_selectorELNS0_4arch9wavefront6targetE1EEEvT1_
	.p2align	8
	.type	_ZN7rocprim17ROCPRIM_400000_NS6detail17trampoline_kernelINS0_14default_configENS1_33run_length_encode_config_selectorIN3c104HalfEjNS0_4plusIjEEEEZZNS1_33reduce_by_key_impl_wrapped_configILNS1_25lookback_scan_determinismE0ES3_S9_PKS6_NS0_17constant_iteratorIjlEEPS6_PlSH_S8_NS0_8equal_toIS6_EEEE10hipError_tPvRmT2_T3_mT4_T5_T6_T7_T8_P12ihipStream_tbENKUlT_T0_E_clISt17integral_constantIbLb1EES10_IbLb0EEEEDaSW_SX_EUlSW_E_NS1_11comp_targetILNS1_3genE8ELNS1_11target_archE1030ELNS1_3gpuE2ELNS1_3repE0EEENS1_30default_config_static_selectorELNS0_4arch9wavefront6targetE1EEEvT1_,@function
_ZN7rocprim17ROCPRIM_400000_NS6detail17trampoline_kernelINS0_14default_configENS1_33run_length_encode_config_selectorIN3c104HalfEjNS0_4plusIjEEEEZZNS1_33reduce_by_key_impl_wrapped_configILNS1_25lookback_scan_determinismE0ES3_S9_PKS6_NS0_17constant_iteratorIjlEEPS6_PlSH_S8_NS0_8equal_toIS6_EEEE10hipError_tPvRmT2_T3_mT4_T5_T6_T7_T8_P12ihipStream_tbENKUlT_T0_E_clISt17integral_constantIbLb1EES10_IbLb0EEEEDaSW_SX_EUlSW_E_NS1_11comp_targetILNS1_3genE8ELNS1_11target_archE1030ELNS1_3gpuE2ELNS1_3repE0EEENS1_30default_config_static_selectorELNS0_4arch9wavefront6targetE1EEEvT1_: ; @_ZN7rocprim17ROCPRIM_400000_NS6detail17trampoline_kernelINS0_14default_configENS1_33run_length_encode_config_selectorIN3c104HalfEjNS0_4plusIjEEEEZZNS1_33reduce_by_key_impl_wrapped_configILNS1_25lookback_scan_determinismE0ES3_S9_PKS6_NS0_17constant_iteratorIjlEEPS6_PlSH_S8_NS0_8equal_toIS6_EEEE10hipError_tPvRmT2_T3_mT4_T5_T6_T7_T8_P12ihipStream_tbENKUlT_T0_E_clISt17integral_constantIbLb1EES10_IbLb0EEEEDaSW_SX_EUlSW_E_NS1_11comp_targetILNS1_3genE8ELNS1_11target_archE1030ELNS1_3gpuE2ELNS1_3repE0EEENS1_30default_config_static_selectorELNS0_4arch9wavefront6targetE1EEEvT1_
; %bb.0:
	.section	.rodata,"a",@progbits
	.p2align	6, 0x0
	.amdhsa_kernel _ZN7rocprim17ROCPRIM_400000_NS6detail17trampoline_kernelINS0_14default_configENS1_33run_length_encode_config_selectorIN3c104HalfEjNS0_4plusIjEEEEZZNS1_33reduce_by_key_impl_wrapped_configILNS1_25lookback_scan_determinismE0ES3_S9_PKS6_NS0_17constant_iteratorIjlEEPS6_PlSH_S8_NS0_8equal_toIS6_EEEE10hipError_tPvRmT2_T3_mT4_T5_T6_T7_T8_P12ihipStream_tbENKUlT_T0_E_clISt17integral_constantIbLb1EES10_IbLb0EEEEDaSW_SX_EUlSW_E_NS1_11comp_targetILNS1_3genE8ELNS1_11target_archE1030ELNS1_3gpuE2ELNS1_3repE0EEENS1_30default_config_static_selectorELNS0_4arch9wavefront6targetE1EEEvT1_
		.amdhsa_group_segment_fixed_size 0
		.amdhsa_private_segment_fixed_size 0
		.amdhsa_kernarg_size 128
		.amdhsa_user_sgpr_count 2
		.amdhsa_user_sgpr_dispatch_ptr 0
		.amdhsa_user_sgpr_queue_ptr 0
		.amdhsa_user_sgpr_kernarg_segment_ptr 1
		.amdhsa_user_sgpr_dispatch_id 0
		.amdhsa_user_sgpr_kernarg_preload_length 0
		.amdhsa_user_sgpr_kernarg_preload_offset 0
		.amdhsa_user_sgpr_private_segment_size 0
		.amdhsa_uses_dynamic_stack 0
		.amdhsa_enable_private_segment 0
		.amdhsa_system_sgpr_workgroup_id_x 1
		.amdhsa_system_sgpr_workgroup_id_y 0
		.amdhsa_system_sgpr_workgroup_id_z 0
		.amdhsa_system_sgpr_workgroup_info 0
		.amdhsa_system_vgpr_workitem_id 0
		.amdhsa_next_free_vgpr 1
		.amdhsa_next_free_sgpr 0
		.amdhsa_accum_offset 4
		.amdhsa_reserve_vcc 0
		.amdhsa_float_round_mode_32 0
		.amdhsa_float_round_mode_16_64 0
		.amdhsa_float_denorm_mode_32 3
		.amdhsa_float_denorm_mode_16_64 3
		.amdhsa_dx10_clamp 1
		.amdhsa_ieee_mode 1
		.amdhsa_fp16_overflow 0
		.amdhsa_tg_split 0
		.amdhsa_exception_fp_ieee_invalid_op 0
		.amdhsa_exception_fp_denorm_src 0
		.amdhsa_exception_fp_ieee_div_zero 0
		.amdhsa_exception_fp_ieee_overflow 0
		.amdhsa_exception_fp_ieee_underflow 0
		.amdhsa_exception_fp_ieee_inexact 0
		.amdhsa_exception_int_div_zero 0
	.end_amdhsa_kernel
	.section	.text._ZN7rocprim17ROCPRIM_400000_NS6detail17trampoline_kernelINS0_14default_configENS1_33run_length_encode_config_selectorIN3c104HalfEjNS0_4plusIjEEEEZZNS1_33reduce_by_key_impl_wrapped_configILNS1_25lookback_scan_determinismE0ES3_S9_PKS6_NS0_17constant_iteratorIjlEEPS6_PlSH_S8_NS0_8equal_toIS6_EEEE10hipError_tPvRmT2_T3_mT4_T5_T6_T7_T8_P12ihipStream_tbENKUlT_T0_E_clISt17integral_constantIbLb1EES10_IbLb0EEEEDaSW_SX_EUlSW_E_NS1_11comp_targetILNS1_3genE8ELNS1_11target_archE1030ELNS1_3gpuE2ELNS1_3repE0EEENS1_30default_config_static_selectorELNS0_4arch9wavefront6targetE1EEEvT1_,"axG",@progbits,_ZN7rocprim17ROCPRIM_400000_NS6detail17trampoline_kernelINS0_14default_configENS1_33run_length_encode_config_selectorIN3c104HalfEjNS0_4plusIjEEEEZZNS1_33reduce_by_key_impl_wrapped_configILNS1_25lookback_scan_determinismE0ES3_S9_PKS6_NS0_17constant_iteratorIjlEEPS6_PlSH_S8_NS0_8equal_toIS6_EEEE10hipError_tPvRmT2_T3_mT4_T5_T6_T7_T8_P12ihipStream_tbENKUlT_T0_E_clISt17integral_constantIbLb1EES10_IbLb0EEEEDaSW_SX_EUlSW_E_NS1_11comp_targetILNS1_3genE8ELNS1_11target_archE1030ELNS1_3gpuE2ELNS1_3repE0EEENS1_30default_config_static_selectorELNS0_4arch9wavefront6targetE1EEEvT1_,comdat
.Lfunc_end951:
	.size	_ZN7rocprim17ROCPRIM_400000_NS6detail17trampoline_kernelINS0_14default_configENS1_33run_length_encode_config_selectorIN3c104HalfEjNS0_4plusIjEEEEZZNS1_33reduce_by_key_impl_wrapped_configILNS1_25lookback_scan_determinismE0ES3_S9_PKS6_NS0_17constant_iteratorIjlEEPS6_PlSH_S8_NS0_8equal_toIS6_EEEE10hipError_tPvRmT2_T3_mT4_T5_T6_T7_T8_P12ihipStream_tbENKUlT_T0_E_clISt17integral_constantIbLb1EES10_IbLb0EEEEDaSW_SX_EUlSW_E_NS1_11comp_targetILNS1_3genE8ELNS1_11target_archE1030ELNS1_3gpuE2ELNS1_3repE0EEENS1_30default_config_static_selectorELNS0_4arch9wavefront6targetE1EEEvT1_, .Lfunc_end951-_ZN7rocprim17ROCPRIM_400000_NS6detail17trampoline_kernelINS0_14default_configENS1_33run_length_encode_config_selectorIN3c104HalfEjNS0_4plusIjEEEEZZNS1_33reduce_by_key_impl_wrapped_configILNS1_25lookback_scan_determinismE0ES3_S9_PKS6_NS0_17constant_iteratorIjlEEPS6_PlSH_S8_NS0_8equal_toIS6_EEEE10hipError_tPvRmT2_T3_mT4_T5_T6_T7_T8_P12ihipStream_tbENKUlT_T0_E_clISt17integral_constantIbLb1EES10_IbLb0EEEEDaSW_SX_EUlSW_E_NS1_11comp_targetILNS1_3genE8ELNS1_11target_archE1030ELNS1_3gpuE2ELNS1_3repE0EEENS1_30default_config_static_selectorELNS0_4arch9wavefront6targetE1EEEvT1_
                                        ; -- End function
	.section	.AMDGPU.csdata,"",@progbits
; Kernel info:
; codeLenInByte = 0
; NumSgprs: 6
; NumVgprs: 0
; NumAgprs: 0
; TotalNumVgprs: 0
; ScratchSize: 0
; MemoryBound: 0
; FloatMode: 240
; IeeeMode: 1
; LDSByteSize: 0 bytes/workgroup (compile time only)
; SGPRBlocks: 0
; VGPRBlocks: 0
; NumSGPRsForWavesPerEU: 6
; NumVGPRsForWavesPerEU: 1
; AccumOffset: 4
; Occupancy: 8
; WaveLimiterHint : 0
; COMPUTE_PGM_RSRC2:SCRATCH_EN: 0
; COMPUTE_PGM_RSRC2:USER_SGPR: 2
; COMPUTE_PGM_RSRC2:TRAP_HANDLER: 0
; COMPUTE_PGM_RSRC2:TGID_X_EN: 1
; COMPUTE_PGM_RSRC2:TGID_Y_EN: 0
; COMPUTE_PGM_RSRC2:TGID_Z_EN: 0
; COMPUTE_PGM_RSRC2:TIDIG_COMP_CNT: 0
; COMPUTE_PGM_RSRC3_GFX90A:ACCUM_OFFSET: 0
; COMPUTE_PGM_RSRC3_GFX90A:TG_SPLIT: 0
	.section	.text._ZN7rocprim17ROCPRIM_400000_NS6detail17trampoline_kernelINS0_14default_configENS1_33run_length_encode_config_selectorIN3c104HalfEjNS0_4plusIjEEEEZZNS1_33reduce_by_key_impl_wrapped_configILNS1_25lookback_scan_determinismE0ES3_S9_PKS6_NS0_17constant_iteratorIjlEEPS6_PlSH_S8_NS0_8equal_toIS6_EEEE10hipError_tPvRmT2_T3_mT4_T5_T6_T7_T8_P12ihipStream_tbENKUlT_T0_E_clISt17integral_constantIbLb0EES10_IbLb1EEEEDaSW_SX_EUlSW_E_NS1_11comp_targetILNS1_3genE0ELNS1_11target_archE4294967295ELNS1_3gpuE0ELNS1_3repE0EEENS1_30default_config_static_selectorELNS0_4arch9wavefront6targetE1EEEvT1_,"axG",@progbits,_ZN7rocprim17ROCPRIM_400000_NS6detail17trampoline_kernelINS0_14default_configENS1_33run_length_encode_config_selectorIN3c104HalfEjNS0_4plusIjEEEEZZNS1_33reduce_by_key_impl_wrapped_configILNS1_25lookback_scan_determinismE0ES3_S9_PKS6_NS0_17constant_iteratorIjlEEPS6_PlSH_S8_NS0_8equal_toIS6_EEEE10hipError_tPvRmT2_T3_mT4_T5_T6_T7_T8_P12ihipStream_tbENKUlT_T0_E_clISt17integral_constantIbLb0EES10_IbLb1EEEEDaSW_SX_EUlSW_E_NS1_11comp_targetILNS1_3genE0ELNS1_11target_archE4294967295ELNS1_3gpuE0ELNS1_3repE0EEENS1_30default_config_static_selectorELNS0_4arch9wavefront6targetE1EEEvT1_,comdat
	.protected	_ZN7rocprim17ROCPRIM_400000_NS6detail17trampoline_kernelINS0_14default_configENS1_33run_length_encode_config_selectorIN3c104HalfEjNS0_4plusIjEEEEZZNS1_33reduce_by_key_impl_wrapped_configILNS1_25lookback_scan_determinismE0ES3_S9_PKS6_NS0_17constant_iteratorIjlEEPS6_PlSH_S8_NS0_8equal_toIS6_EEEE10hipError_tPvRmT2_T3_mT4_T5_T6_T7_T8_P12ihipStream_tbENKUlT_T0_E_clISt17integral_constantIbLb0EES10_IbLb1EEEEDaSW_SX_EUlSW_E_NS1_11comp_targetILNS1_3genE0ELNS1_11target_archE4294967295ELNS1_3gpuE0ELNS1_3repE0EEENS1_30default_config_static_selectorELNS0_4arch9wavefront6targetE1EEEvT1_ ; -- Begin function _ZN7rocprim17ROCPRIM_400000_NS6detail17trampoline_kernelINS0_14default_configENS1_33run_length_encode_config_selectorIN3c104HalfEjNS0_4plusIjEEEEZZNS1_33reduce_by_key_impl_wrapped_configILNS1_25lookback_scan_determinismE0ES3_S9_PKS6_NS0_17constant_iteratorIjlEEPS6_PlSH_S8_NS0_8equal_toIS6_EEEE10hipError_tPvRmT2_T3_mT4_T5_T6_T7_T8_P12ihipStream_tbENKUlT_T0_E_clISt17integral_constantIbLb0EES10_IbLb1EEEEDaSW_SX_EUlSW_E_NS1_11comp_targetILNS1_3genE0ELNS1_11target_archE4294967295ELNS1_3gpuE0ELNS1_3repE0EEENS1_30default_config_static_selectorELNS0_4arch9wavefront6targetE1EEEvT1_
	.globl	_ZN7rocprim17ROCPRIM_400000_NS6detail17trampoline_kernelINS0_14default_configENS1_33run_length_encode_config_selectorIN3c104HalfEjNS0_4plusIjEEEEZZNS1_33reduce_by_key_impl_wrapped_configILNS1_25lookback_scan_determinismE0ES3_S9_PKS6_NS0_17constant_iteratorIjlEEPS6_PlSH_S8_NS0_8equal_toIS6_EEEE10hipError_tPvRmT2_T3_mT4_T5_T6_T7_T8_P12ihipStream_tbENKUlT_T0_E_clISt17integral_constantIbLb0EES10_IbLb1EEEEDaSW_SX_EUlSW_E_NS1_11comp_targetILNS1_3genE0ELNS1_11target_archE4294967295ELNS1_3gpuE0ELNS1_3repE0EEENS1_30default_config_static_selectorELNS0_4arch9wavefront6targetE1EEEvT1_
	.p2align	8
	.type	_ZN7rocprim17ROCPRIM_400000_NS6detail17trampoline_kernelINS0_14default_configENS1_33run_length_encode_config_selectorIN3c104HalfEjNS0_4plusIjEEEEZZNS1_33reduce_by_key_impl_wrapped_configILNS1_25lookback_scan_determinismE0ES3_S9_PKS6_NS0_17constant_iteratorIjlEEPS6_PlSH_S8_NS0_8equal_toIS6_EEEE10hipError_tPvRmT2_T3_mT4_T5_T6_T7_T8_P12ihipStream_tbENKUlT_T0_E_clISt17integral_constantIbLb0EES10_IbLb1EEEEDaSW_SX_EUlSW_E_NS1_11comp_targetILNS1_3genE0ELNS1_11target_archE4294967295ELNS1_3gpuE0ELNS1_3repE0EEENS1_30default_config_static_selectorELNS0_4arch9wavefront6targetE1EEEvT1_,@function
_ZN7rocprim17ROCPRIM_400000_NS6detail17trampoline_kernelINS0_14default_configENS1_33run_length_encode_config_selectorIN3c104HalfEjNS0_4plusIjEEEEZZNS1_33reduce_by_key_impl_wrapped_configILNS1_25lookback_scan_determinismE0ES3_S9_PKS6_NS0_17constant_iteratorIjlEEPS6_PlSH_S8_NS0_8equal_toIS6_EEEE10hipError_tPvRmT2_T3_mT4_T5_T6_T7_T8_P12ihipStream_tbENKUlT_T0_E_clISt17integral_constantIbLb0EES10_IbLb1EEEEDaSW_SX_EUlSW_E_NS1_11comp_targetILNS1_3genE0ELNS1_11target_archE4294967295ELNS1_3gpuE0ELNS1_3repE0EEENS1_30default_config_static_selectorELNS0_4arch9wavefront6targetE1EEEvT1_: ; @_ZN7rocprim17ROCPRIM_400000_NS6detail17trampoline_kernelINS0_14default_configENS1_33run_length_encode_config_selectorIN3c104HalfEjNS0_4plusIjEEEEZZNS1_33reduce_by_key_impl_wrapped_configILNS1_25lookback_scan_determinismE0ES3_S9_PKS6_NS0_17constant_iteratorIjlEEPS6_PlSH_S8_NS0_8equal_toIS6_EEEE10hipError_tPvRmT2_T3_mT4_T5_T6_T7_T8_P12ihipStream_tbENKUlT_T0_E_clISt17integral_constantIbLb0EES10_IbLb1EEEEDaSW_SX_EUlSW_E_NS1_11comp_targetILNS1_3genE0ELNS1_11target_archE4294967295ELNS1_3gpuE0ELNS1_3repE0EEENS1_30default_config_static_selectorELNS0_4arch9wavefront6targetE1EEEvT1_
; %bb.0:
	.section	.rodata,"a",@progbits
	.p2align	6, 0x0
	.amdhsa_kernel _ZN7rocprim17ROCPRIM_400000_NS6detail17trampoline_kernelINS0_14default_configENS1_33run_length_encode_config_selectorIN3c104HalfEjNS0_4plusIjEEEEZZNS1_33reduce_by_key_impl_wrapped_configILNS1_25lookback_scan_determinismE0ES3_S9_PKS6_NS0_17constant_iteratorIjlEEPS6_PlSH_S8_NS0_8equal_toIS6_EEEE10hipError_tPvRmT2_T3_mT4_T5_T6_T7_T8_P12ihipStream_tbENKUlT_T0_E_clISt17integral_constantIbLb0EES10_IbLb1EEEEDaSW_SX_EUlSW_E_NS1_11comp_targetILNS1_3genE0ELNS1_11target_archE4294967295ELNS1_3gpuE0ELNS1_3repE0EEENS1_30default_config_static_selectorELNS0_4arch9wavefront6targetE1EEEvT1_
		.amdhsa_group_segment_fixed_size 0
		.amdhsa_private_segment_fixed_size 0
		.amdhsa_kernarg_size 128
		.amdhsa_user_sgpr_count 2
		.amdhsa_user_sgpr_dispatch_ptr 0
		.amdhsa_user_sgpr_queue_ptr 0
		.amdhsa_user_sgpr_kernarg_segment_ptr 1
		.amdhsa_user_sgpr_dispatch_id 0
		.amdhsa_user_sgpr_kernarg_preload_length 0
		.amdhsa_user_sgpr_kernarg_preload_offset 0
		.amdhsa_user_sgpr_private_segment_size 0
		.amdhsa_uses_dynamic_stack 0
		.amdhsa_enable_private_segment 0
		.amdhsa_system_sgpr_workgroup_id_x 1
		.amdhsa_system_sgpr_workgroup_id_y 0
		.amdhsa_system_sgpr_workgroup_id_z 0
		.amdhsa_system_sgpr_workgroup_info 0
		.amdhsa_system_vgpr_workitem_id 0
		.amdhsa_next_free_vgpr 1
		.amdhsa_next_free_sgpr 0
		.amdhsa_accum_offset 4
		.amdhsa_reserve_vcc 0
		.amdhsa_float_round_mode_32 0
		.amdhsa_float_round_mode_16_64 0
		.amdhsa_float_denorm_mode_32 3
		.amdhsa_float_denorm_mode_16_64 3
		.amdhsa_dx10_clamp 1
		.amdhsa_ieee_mode 1
		.amdhsa_fp16_overflow 0
		.amdhsa_tg_split 0
		.amdhsa_exception_fp_ieee_invalid_op 0
		.amdhsa_exception_fp_denorm_src 0
		.amdhsa_exception_fp_ieee_div_zero 0
		.amdhsa_exception_fp_ieee_overflow 0
		.amdhsa_exception_fp_ieee_underflow 0
		.amdhsa_exception_fp_ieee_inexact 0
		.amdhsa_exception_int_div_zero 0
	.end_amdhsa_kernel
	.section	.text._ZN7rocprim17ROCPRIM_400000_NS6detail17trampoline_kernelINS0_14default_configENS1_33run_length_encode_config_selectorIN3c104HalfEjNS0_4plusIjEEEEZZNS1_33reduce_by_key_impl_wrapped_configILNS1_25lookback_scan_determinismE0ES3_S9_PKS6_NS0_17constant_iteratorIjlEEPS6_PlSH_S8_NS0_8equal_toIS6_EEEE10hipError_tPvRmT2_T3_mT4_T5_T6_T7_T8_P12ihipStream_tbENKUlT_T0_E_clISt17integral_constantIbLb0EES10_IbLb1EEEEDaSW_SX_EUlSW_E_NS1_11comp_targetILNS1_3genE0ELNS1_11target_archE4294967295ELNS1_3gpuE0ELNS1_3repE0EEENS1_30default_config_static_selectorELNS0_4arch9wavefront6targetE1EEEvT1_,"axG",@progbits,_ZN7rocprim17ROCPRIM_400000_NS6detail17trampoline_kernelINS0_14default_configENS1_33run_length_encode_config_selectorIN3c104HalfEjNS0_4plusIjEEEEZZNS1_33reduce_by_key_impl_wrapped_configILNS1_25lookback_scan_determinismE0ES3_S9_PKS6_NS0_17constant_iteratorIjlEEPS6_PlSH_S8_NS0_8equal_toIS6_EEEE10hipError_tPvRmT2_T3_mT4_T5_T6_T7_T8_P12ihipStream_tbENKUlT_T0_E_clISt17integral_constantIbLb0EES10_IbLb1EEEEDaSW_SX_EUlSW_E_NS1_11comp_targetILNS1_3genE0ELNS1_11target_archE4294967295ELNS1_3gpuE0ELNS1_3repE0EEENS1_30default_config_static_selectorELNS0_4arch9wavefront6targetE1EEEvT1_,comdat
.Lfunc_end952:
	.size	_ZN7rocprim17ROCPRIM_400000_NS6detail17trampoline_kernelINS0_14default_configENS1_33run_length_encode_config_selectorIN3c104HalfEjNS0_4plusIjEEEEZZNS1_33reduce_by_key_impl_wrapped_configILNS1_25lookback_scan_determinismE0ES3_S9_PKS6_NS0_17constant_iteratorIjlEEPS6_PlSH_S8_NS0_8equal_toIS6_EEEE10hipError_tPvRmT2_T3_mT4_T5_T6_T7_T8_P12ihipStream_tbENKUlT_T0_E_clISt17integral_constantIbLb0EES10_IbLb1EEEEDaSW_SX_EUlSW_E_NS1_11comp_targetILNS1_3genE0ELNS1_11target_archE4294967295ELNS1_3gpuE0ELNS1_3repE0EEENS1_30default_config_static_selectorELNS0_4arch9wavefront6targetE1EEEvT1_, .Lfunc_end952-_ZN7rocprim17ROCPRIM_400000_NS6detail17trampoline_kernelINS0_14default_configENS1_33run_length_encode_config_selectorIN3c104HalfEjNS0_4plusIjEEEEZZNS1_33reduce_by_key_impl_wrapped_configILNS1_25lookback_scan_determinismE0ES3_S9_PKS6_NS0_17constant_iteratorIjlEEPS6_PlSH_S8_NS0_8equal_toIS6_EEEE10hipError_tPvRmT2_T3_mT4_T5_T6_T7_T8_P12ihipStream_tbENKUlT_T0_E_clISt17integral_constantIbLb0EES10_IbLb1EEEEDaSW_SX_EUlSW_E_NS1_11comp_targetILNS1_3genE0ELNS1_11target_archE4294967295ELNS1_3gpuE0ELNS1_3repE0EEENS1_30default_config_static_selectorELNS0_4arch9wavefront6targetE1EEEvT1_
                                        ; -- End function
	.section	.AMDGPU.csdata,"",@progbits
; Kernel info:
; codeLenInByte = 0
; NumSgprs: 6
; NumVgprs: 0
; NumAgprs: 0
; TotalNumVgprs: 0
; ScratchSize: 0
; MemoryBound: 0
; FloatMode: 240
; IeeeMode: 1
; LDSByteSize: 0 bytes/workgroup (compile time only)
; SGPRBlocks: 0
; VGPRBlocks: 0
; NumSGPRsForWavesPerEU: 6
; NumVGPRsForWavesPerEU: 1
; AccumOffset: 4
; Occupancy: 8
; WaveLimiterHint : 0
; COMPUTE_PGM_RSRC2:SCRATCH_EN: 0
; COMPUTE_PGM_RSRC2:USER_SGPR: 2
; COMPUTE_PGM_RSRC2:TRAP_HANDLER: 0
; COMPUTE_PGM_RSRC2:TGID_X_EN: 1
; COMPUTE_PGM_RSRC2:TGID_Y_EN: 0
; COMPUTE_PGM_RSRC2:TGID_Z_EN: 0
; COMPUTE_PGM_RSRC2:TIDIG_COMP_CNT: 0
; COMPUTE_PGM_RSRC3_GFX90A:ACCUM_OFFSET: 0
; COMPUTE_PGM_RSRC3_GFX90A:TG_SPLIT: 0
	.section	.text._ZN7rocprim17ROCPRIM_400000_NS6detail17trampoline_kernelINS0_14default_configENS1_33run_length_encode_config_selectorIN3c104HalfEjNS0_4plusIjEEEEZZNS1_33reduce_by_key_impl_wrapped_configILNS1_25lookback_scan_determinismE0ES3_S9_PKS6_NS0_17constant_iteratorIjlEEPS6_PlSH_S8_NS0_8equal_toIS6_EEEE10hipError_tPvRmT2_T3_mT4_T5_T6_T7_T8_P12ihipStream_tbENKUlT_T0_E_clISt17integral_constantIbLb0EES10_IbLb1EEEEDaSW_SX_EUlSW_E_NS1_11comp_targetILNS1_3genE5ELNS1_11target_archE942ELNS1_3gpuE9ELNS1_3repE0EEENS1_30default_config_static_selectorELNS0_4arch9wavefront6targetE1EEEvT1_,"axG",@progbits,_ZN7rocprim17ROCPRIM_400000_NS6detail17trampoline_kernelINS0_14default_configENS1_33run_length_encode_config_selectorIN3c104HalfEjNS0_4plusIjEEEEZZNS1_33reduce_by_key_impl_wrapped_configILNS1_25lookback_scan_determinismE0ES3_S9_PKS6_NS0_17constant_iteratorIjlEEPS6_PlSH_S8_NS0_8equal_toIS6_EEEE10hipError_tPvRmT2_T3_mT4_T5_T6_T7_T8_P12ihipStream_tbENKUlT_T0_E_clISt17integral_constantIbLb0EES10_IbLb1EEEEDaSW_SX_EUlSW_E_NS1_11comp_targetILNS1_3genE5ELNS1_11target_archE942ELNS1_3gpuE9ELNS1_3repE0EEENS1_30default_config_static_selectorELNS0_4arch9wavefront6targetE1EEEvT1_,comdat
	.protected	_ZN7rocprim17ROCPRIM_400000_NS6detail17trampoline_kernelINS0_14default_configENS1_33run_length_encode_config_selectorIN3c104HalfEjNS0_4plusIjEEEEZZNS1_33reduce_by_key_impl_wrapped_configILNS1_25lookback_scan_determinismE0ES3_S9_PKS6_NS0_17constant_iteratorIjlEEPS6_PlSH_S8_NS0_8equal_toIS6_EEEE10hipError_tPvRmT2_T3_mT4_T5_T6_T7_T8_P12ihipStream_tbENKUlT_T0_E_clISt17integral_constantIbLb0EES10_IbLb1EEEEDaSW_SX_EUlSW_E_NS1_11comp_targetILNS1_3genE5ELNS1_11target_archE942ELNS1_3gpuE9ELNS1_3repE0EEENS1_30default_config_static_selectorELNS0_4arch9wavefront6targetE1EEEvT1_ ; -- Begin function _ZN7rocprim17ROCPRIM_400000_NS6detail17trampoline_kernelINS0_14default_configENS1_33run_length_encode_config_selectorIN3c104HalfEjNS0_4plusIjEEEEZZNS1_33reduce_by_key_impl_wrapped_configILNS1_25lookback_scan_determinismE0ES3_S9_PKS6_NS0_17constant_iteratorIjlEEPS6_PlSH_S8_NS0_8equal_toIS6_EEEE10hipError_tPvRmT2_T3_mT4_T5_T6_T7_T8_P12ihipStream_tbENKUlT_T0_E_clISt17integral_constantIbLb0EES10_IbLb1EEEEDaSW_SX_EUlSW_E_NS1_11comp_targetILNS1_3genE5ELNS1_11target_archE942ELNS1_3gpuE9ELNS1_3repE0EEENS1_30default_config_static_selectorELNS0_4arch9wavefront6targetE1EEEvT1_
	.globl	_ZN7rocprim17ROCPRIM_400000_NS6detail17trampoline_kernelINS0_14default_configENS1_33run_length_encode_config_selectorIN3c104HalfEjNS0_4plusIjEEEEZZNS1_33reduce_by_key_impl_wrapped_configILNS1_25lookback_scan_determinismE0ES3_S9_PKS6_NS0_17constant_iteratorIjlEEPS6_PlSH_S8_NS0_8equal_toIS6_EEEE10hipError_tPvRmT2_T3_mT4_T5_T6_T7_T8_P12ihipStream_tbENKUlT_T0_E_clISt17integral_constantIbLb0EES10_IbLb1EEEEDaSW_SX_EUlSW_E_NS1_11comp_targetILNS1_3genE5ELNS1_11target_archE942ELNS1_3gpuE9ELNS1_3repE0EEENS1_30default_config_static_selectorELNS0_4arch9wavefront6targetE1EEEvT1_
	.p2align	8
	.type	_ZN7rocprim17ROCPRIM_400000_NS6detail17trampoline_kernelINS0_14default_configENS1_33run_length_encode_config_selectorIN3c104HalfEjNS0_4plusIjEEEEZZNS1_33reduce_by_key_impl_wrapped_configILNS1_25lookback_scan_determinismE0ES3_S9_PKS6_NS0_17constant_iteratorIjlEEPS6_PlSH_S8_NS0_8equal_toIS6_EEEE10hipError_tPvRmT2_T3_mT4_T5_T6_T7_T8_P12ihipStream_tbENKUlT_T0_E_clISt17integral_constantIbLb0EES10_IbLb1EEEEDaSW_SX_EUlSW_E_NS1_11comp_targetILNS1_3genE5ELNS1_11target_archE942ELNS1_3gpuE9ELNS1_3repE0EEENS1_30default_config_static_selectorELNS0_4arch9wavefront6targetE1EEEvT1_,@function
_ZN7rocprim17ROCPRIM_400000_NS6detail17trampoline_kernelINS0_14default_configENS1_33run_length_encode_config_selectorIN3c104HalfEjNS0_4plusIjEEEEZZNS1_33reduce_by_key_impl_wrapped_configILNS1_25lookback_scan_determinismE0ES3_S9_PKS6_NS0_17constant_iteratorIjlEEPS6_PlSH_S8_NS0_8equal_toIS6_EEEE10hipError_tPvRmT2_T3_mT4_T5_T6_T7_T8_P12ihipStream_tbENKUlT_T0_E_clISt17integral_constantIbLb0EES10_IbLb1EEEEDaSW_SX_EUlSW_E_NS1_11comp_targetILNS1_3genE5ELNS1_11target_archE942ELNS1_3gpuE9ELNS1_3repE0EEENS1_30default_config_static_selectorELNS0_4arch9wavefront6targetE1EEEvT1_: ; @_ZN7rocprim17ROCPRIM_400000_NS6detail17trampoline_kernelINS0_14default_configENS1_33run_length_encode_config_selectorIN3c104HalfEjNS0_4plusIjEEEEZZNS1_33reduce_by_key_impl_wrapped_configILNS1_25lookback_scan_determinismE0ES3_S9_PKS6_NS0_17constant_iteratorIjlEEPS6_PlSH_S8_NS0_8equal_toIS6_EEEE10hipError_tPvRmT2_T3_mT4_T5_T6_T7_T8_P12ihipStream_tbENKUlT_T0_E_clISt17integral_constantIbLb0EES10_IbLb1EEEEDaSW_SX_EUlSW_E_NS1_11comp_targetILNS1_3genE5ELNS1_11target_archE942ELNS1_3gpuE9ELNS1_3repE0EEENS1_30default_config_static_selectorELNS0_4arch9wavefront6targetE1EEEvT1_
; %bb.0:
	s_load_dword s10, s[0:1], 0x10
	s_load_dwordx4 s[44:47], s[0:1], 0x20
	s_load_dwordx2 s[48:49], s[0:1], 0x30
	s_load_dwordx2 s[50:51], s[0:1], 0x70
	s_load_dwordx4 s[28:31], s[0:1], 0x60
	s_load_dwordx8 s[36:43], s[0:1], 0x40
	v_cmp_ne_u32_e64 s[2:3], 0, v0
	v_cmp_eq_u32_e64 s[34:35], 0, v0
	s_and_saveexec_b64 s[4:5], s[34:35]
	s_cbranch_execz .LBB953_4
; %bb.1:
	s_mov_b64 s[8:9], exec
	v_mbcnt_lo_u32_b32 v1, s8, 0
	v_mbcnt_hi_u32_b32 v1, s9, v1
	v_cmp_eq_u32_e32 vcc, 0, v1
                                        ; implicit-def: $vgpr2
	s_and_saveexec_b64 s[6:7], vcc
	s_cbranch_execz .LBB953_3
; %bb.2:
	s_load_dwordx2 s[12:13], s[0:1], 0x78
	s_bcnt1_i32_b64 s8, s[8:9]
	v_mov_b32_e32 v2, 0
	v_mov_b32_e32 v3, s8
	s_waitcnt lgkmcnt(0)
	global_atomic_add v2, v2, v3, s[12:13] sc0
.LBB953_3:
	s_or_b64 exec, exec, s[6:7]
	s_waitcnt vmcnt(0)
	v_readfirstlane_b32 s6, v2
	v_mov_b32_e32 v2, 0
	s_nop 0
	v_add_u32_e32 v1, s6, v1
	ds_write_b32 v2, v1
.LBB953_4:
	s_or_b64 exec, exec, s[4:5]
	s_load_dwordx4 s[4:7], s[0:1], 0x0
	v_mov_b32_e32 v3, 0
	s_waitcnt lgkmcnt(0)
	s_barrier
	ds_read_b32 v1, v3
	s_mul_i32 s0, s40, s39
	s_mul_hi_u32 s1, s40, s38
	s_add_i32 s0, s1, s0
	s_mul_i32 s1, s41, s38
	s_add_i32 s8, s0, s1
	s_lshl_b64 s[0:1], s[6:7], 1
	s_add_u32 s0, s4, s0
	s_mul_i32 s9, s40, s38
	s_addc_u32 s1, s5, s1
	s_waitcnt lgkmcnt(0)
	v_readfirstlane_b32 s58, v1
	s_movk_i32 s4, 0xf00
	v_mul_lo_u32 v2, v1, s4
	s_add_u32 s4, s9, s58
	s_addc_u32 s5, s8, 0
	s_add_u32 s8, s42, -1
	s_addc_u32 s9, s43, -1
	s_cmp_eq_u64 s[4:5], s[8:9]
	v_lshlrev_b64 v[4:5], 1, v[2:3]
	s_cselect_b64 s[40:41], -1, 0
	s_cmp_lg_u64 s[4:5], s[8:9]
	v_lshl_add_u64 v[32:33], s[0:1], 0, v[4:5]
	s_mov_b64 s[6:7], -1
	s_cselect_b64 s[0:1], -1, 0
	s_mul_i32 s33, s8, 0xfffff100
	s_and_b64 vcc, exec, s[40:41]
	v_mad_u32_u24 v6, v0, 15, 1
	v_mad_u32_u24 v8, v0, 15, 3
	;; [unrolled: 1-line block ×7, first 2 shown]
	s_barrier
	s_cbranch_vccnz .LBB953_6
; %bb.5:
	v_lshlrev_b32_e32 v2, 1, v0
	v_lshl_add_u64 v[4:5], v[32:33], 0, v[2:3]
	v_add_co_u32_e32 v4, vcc, 0x1000, v4
	v_readfirstlane_b32 s6, v32
	v_readfirstlane_b32 s7, v33
	v_addc_co_u32_e32 v5, vcc, 0, v5, vcc
	s_nop 3
	global_load_ushort v1, v2, s[6:7]
	global_load_ushort v3, v2, s[6:7] offset:512
	global_load_ushort v12, v2, s[6:7] offset:1024
	global_load_ushort v13, v2, s[6:7] offset:1536
	global_load_ushort v14, v2, s[6:7] offset:2048
	global_load_ushort v16, v2, s[6:7] offset:2560
	global_load_ushort v17, v2, s[6:7] offset:3072
	global_load_ushort v18, v2, s[6:7] offset:3584
	global_load_ushort v19, v[4:5], off
	global_load_ushort v20, v[4:5], off offset:512
	global_load_ushort v21, v[4:5], off offset:1024
	;; [unrolled: 1-line block ×6, first 2 shown]
	v_mad_u32_u24 v37, v0, 28, v2
	s_movk_i32 s6, 0xffe6
	v_mul_u32_u24_e32 v7, 15, v0
	v_mad_u32_u24 v29, v0, 15, 1
	v_mad_u32_u24 v31, v0, 15, 3
	;; [unrolled: 1-line block ×7, first 2 shown]
	v_mov_b32_e32 v36, s10
	v_mad_i32_i24 v38, v0, s6, v37
	s_waitcnt vmcnt(14)
	ds_write_b16 v2, v1
	s_waitcnt vmcnt(13)
	ds_write_b16 v2, v3 offset:512
	s_waitcnt vmcnt(12)
	ds_write_b16 v2, v12 offset:1024
	;; [unrolled: 2-line block ×14, first 2 shown]
	s_waitcnt lgkmcnt(0)
	s_barrier
	ds_read_u16 v1, v37
	ds_read_b128 v[2:5], v37 offset:2
	ds_read_b96 v[12:14], v37 offset:18
	s_waitcnt lgkmcnt(0)
	s_barrier
	ds_write2st64_b32 v38, v36, v36 offset1:4
	ds_write2st64_b32 v38, v36, v36 offset0:8 offset1:12
	ds_write2st64_b32 v38, v36, v36 offset0:16 offset1:20
	;; [unrolled: 1-line block ×6, first 2 shown]
	ds_write_b32 v38, v36 offset:14336
	s_waitcnt lgkmcnt(0)
	s_barrier
	s_add_i32 s33, s33, s28
	s_cbranch_execz .LBB953_7
	s_branch .LBB953_38
.LBB953_6:
                                        ; implicit-def: $vgpr2
                                        ; implicit-def: $vgpr12
                                        ; implicit-def: $vgpr9
                                        ; implicit-def: $vgpr11
                                        ; implicit-def: $vgpr15
                                        ; implicit-def: $vgpr25
                                        ; implicit-def: $vgpr27
                                        ; implicit-def: $vgpr31
                                        ; implicit-def: $vgpr29
                                        ; implicit-def: $vgpr7
                                        ; implicit-def: $vgpr1
	s_andn2_b64 vcc, exec, s[6:7]
	s_add_i32 s33, s33, s28
	s_cbranch_vccnz .LBB953_38
.LBB953_7:
	v_cmp_gt_u32_e32 vcc, s33, v0
                                        ; implicit-def: $vgpr1
	s_and_saveexec_b64 s[6:7], vcc
	s_cbranch_execz .LBB953_9
; %bb.8:
	v_lshlrev_b32_e32 v1, 1, v0
	v_readfirstlane_b32 s8, v32
	v_readfirstlane_b32 s9, v33
	s_nop 4
	global_load_ushort v1, v1, s[8:9]
.LBB953_9:
	s_or_b64 exec, exec, s[6:7]
	v_or_b32_e32 v2, 0x100, v0
	v_cmp_gt_u32_e32 vcc, s33, v2
                                        ; implicit-def: $vgpr2
	s_and_saveexec_b64 s[6:7], vcc
	s_cbranch_execz .LBB953_11
; %bb.10:
	v_lshlrev_b32_e32 v2, 1, v0
	v_readfirstlane_b32 s8, v32
	v_readfirstlane_b32 s9, v33
	s_nop 4
	global_load_ushort v2, v2, s[8:9] offset:512
.LBB953_11:
	s_or_b64 exec, exec, s[6:7]
	v_or_b32_e32 v3, 0x200, v0
	v_cmp_gt_u32_e32 vcc, s33, v3
                                        ; implicit-def: $vgpr3
	s_and_saveexec_b64 s[6:7], vcc
	s_cbranch_execz .LBB953_13
; %bb.12:
	v_lshlrev_b32_e32 v3, 1, v0
	v_readfirstlane_b32 s8, v32
	v_readfirstlane_b32 s9, v33
	s_nop 4
	global_load_ushort v3, v3, s[8:9] offset:1024
.LBB953_13:
	s_or_b64 exec, exec, s[6:7]
	v_or_b32_e32 v4, 0x300, v0
	v_cmp_gt_u32_e32 vcc, s33, v4
                                        ; implicit-def: $vgpr4
	s_and_saveexec_b64 s[6:7], vcc
	s_cbranch_execz .LBB953_15
; %bb.14:
	v_lshlrev_b32_e32 v4, 1, v0
	v_readfirstlane_b32 s8, v32
	v_readfirstlane_b32 s9, v33
	s_nop 4
	global_load_ushort v4, v4, s[8:9] offset:1536
.LBB953_15:
	s_or_b64 exec, exec, s[6:7]
	v_or_b32_e32 v5, 0x400, v0
	v_cmp_gt_u32_e32 vcc, s33, v5
                                        ; implicit-def: $vgpr5
	s_and_saveexec_b64 s[6:7], vcc
	s_cbranch_execz .LBB953_17
; %bb.16:
	v_lshlrev_b32_e32 v5, 1, v0
	v_readfirstlane_b32 s8, v32
	v_readfirstlane_b32 s9, v33
	s_nop 4
	global_load_ushort v5, v5, s[8:9] offset:2048
.LBB953_17:
	s_or_b64 exec, exec, s[6:7]
	v_or_b32_e32 v7, 0x500, v0
	v_cmp_gt_u32_e32 vcc, s33, v7
                                        ; implicit-def: $vgpr7
	s_and_saveexec_b64 s[6:7], vcc
	s_cbranch_execz .LBB953_19
; %bb.18:
	v_lshlrev_b32_e32 v7, 1, v0
	v_readfirstlane_b32 s8, v32
	v_readfirstlane_b32 s9, v33
	s_nop 4
	global_load_ushort v7, v7, s[8:9] offset:2560
.LBB953_19:
	s_or_b64 exec, exec, s[6:7]
	v_or_b32_e32 v9, 0x600, v0
	v_cmp_gt_u32_e32 vcc, s33, v9
                                        ; implicit-def: $vgpr9
	s_and_saveexec_b64 s[6:7], vcc
	s_cbranch_execz .LBB953_21
; %bb.20:
	v_lshlrev_b32_e32 v9, 1, v0
	v_readfirstlane_b32 s8, v32
	v_readfirstlane_b32 s9, v33
	s_nop 4
	global_load_ushort v9, v9, s[8:9] offset:3072
.LBB953_21:
	s_or_b64 exec, exec, s[6:7]
	v_or_b32_e32 v11, 0x700, v0
	v_cmp_gt_u32_e32 vcc, s33, v11
                                        ; implicit-def: $vgpr11
	s_and_saveexec_b64 s[6:7], vcc
	s_cbranch_execz .LBB953_23
; %bb.22:
	v_lshlrev_b32_e32 v11, 1, v0
	v_readfirstlane_b32 s8, v32
	v_readfirstlane_b32 s9, v33
	s_nop 4
	global_load_ushort v11, v11, s[8:9] offset:3584
.LBB953_23:
	s_or_b64 exec, exec, s[6:7]
	v_or_b32_e32 v13, 0x800, v0
	v_cmp_gt_u32_e32 vcc, s33, v13
                                        ; implicit-def: $vgpr12
	s_and_saveexec_b64 s[6:7], vcc
	s_cbranch_execz .LBB953_25
; %bb.24:
	v_lshlrev_b32_e32 v12, 1, v13
	v_readfirstlane_b32 s8, v32
	v_readfirstlane_b32 s9, v33
	s_nop 4
	global_load_ushort v12, v12, s[8:9]
.LBB953_25:
	s_or_b64 exec, exec, s[6:7]
	v_or_b32_e32 v14, 0x900, v0
	v_cmp_gt_u32_e32 vcc, s33, v14
                                        ; implicit-def: $vgpr13
	s_and_saveexec_b64 s[6:7], vcc
	s_cbranch_execz .LBB953_27
; %bb.26:
	v_lshlrev_b32_e32 v13, 1, v14
	v_readfirstlane_b32 s8, v32
	v_readfirstlane_b32 s9, v33
	s_nop 4
	global_load_ushort v13, v13, s[8:9]
.LBB953_27:
	s_or_b64 exec, exec, s[6:7]
	v_or_b32_e32 v15, 0xa00, v0
	v_cmp_gt_u32_e32 vcc, s33, v15
                                        ; implicit-def: $vgpr14
	s_and_saveexec_b64 s[6:7], vcc
	s_cbranch_execz .LBB953_29
; %bb.28:
	v_lshlrev_b32_e32 v14, 1, v15
	v_readfirstlane_b32 s8, v32
	v_readfirstlane_b32 s9, v33
	s_nop 4
	global_load_ushort v14, v14, s[8:9]
.LBB953_29:
	s_or_b64 exec, exec, s[6:7]
	v_or_b32_e32 v16, 0xb00, v0
	v_cmp_gt_u32_e32 vcc, s33, v16
                                        ; implicit-def: $vgpr15
	s_and_saveexec_b64 s[6:7], vcc
	s_cbranch_execz .LBB953_31
; %bb.30:
	v_lshlrev_b32_e32 v15, 1, v16
	v_readfirstlane_b32 s8, v32
	v_readfirstlane_b32 s9, v33
	s_nop 4
	global_load_ushort v15, v15, s[8:9]
.LBB953_31:
	s_or_b64 exec, exec, s[6:7]
	v_or_b32_e32 v17, 0xc00, v0
	v_cmp_gt_u32_e32 vcc, s33, v17
                                        ; implicit-def: $vgpr16
	s_and_saveexec_b64 s[6:7], vcc
	s_cbranch_execz .LBB953_33
; %bb.32:
	v_lshlrev_b32_e32 v16, 1, v17
	v_readfirstlane_b32 s8, v32
	v_readfirstlane_b32 s9, v33
	s_nop 4
	global_load_ushort v16, v16, s[8:9]
.LBB953_33:
	s_or_b64 exec, exec, s[6:7]
	v_or_b32_e32 v18, 0xd00, v0
	v_cmp_gt_u32_e32 vcc, s33, v18
                                        ; implicit-def: $vgpr17
	s_and_saveexec_b64 s[6:7], vcc
	s_cbranch_execz .LBB953_35
; %bb.34:
	v_lshlrev_b32_e32 v17, 1, v18
	v_readfirstlane_b32 s8, v32
	v_readfirstlane_b32 s9, v33
	s_nop 4
	global_load_ushort v17, v17, s[8:9]
.LBB953_35:
	s_or_b64 exec, exec, s[6:7]
	v_or_b32_e32 v19, 0xe00, v0
	v_cmp_gt_u32_e32 vcc, s33, v19
                                        ; implicit-def: $vgpr18
	s_and_saveexec_b64 s[6:7], vcc
	s_cbranch_execz .LBB953_37
; %bb.36:
	v_lshlrev_b32_e32 v18, 1, v19
	v_readfirstlane_b32 s8, v32
	v_readfirstlane_b32 s9, v33
	s_nop 4
	global_load_ushort v18, v18, s[8:9]
.LBB953_37:
	s_or_b64 exec, exec, s[6:7]
	v_lshlrev_b32_e32 v19, 1, v0
	s_waitcnt vmcnt(0)
	ds_write_b16 v19, v1
	ds_write_b16 v19, v2 offset:512
	ds_write_b16 v19, v3 offset:1024
	;; [unrolled: 1-line block ×14, first 2 shown]
	v_mad_u32_u24 v9, v0, 28, v19
	s_waitcnt lgkmcnt(0)
	s_barrier
	ds_read_u16 v1, v9
	ds_read_b128 v[2:5], v9 offset:2
	ds_read_b96 v[12:14], v9 offset:18
	s_movk_i32 s6, 0xffe6
	v_mad_i32_i24 v9, v0, s6, v9
	v_mov_b32_e32 v11, s10
	v_mul_u32_u24_e32 v7, 15, v0
	s_waitcnt lgkmcnt(0)
	s_barrier
	ds_write2st64_b32 v9, v11, v11 offset1:4
	ds_write2st64_b32 v9, v11, v11 offset0:8 offset1:12
	ds_write2st64_b32 v9, v11, v11 offset0:16 offset1:20
	;; [unrolled: 1-line block ×6, first 2 shown]
	ds_write_b32 v9, v11 offset:14336
	v_mov_b32_e32 v9, v30
	v_mov_b32_e32 v11, v28
	;; [unrolled: 1-line block ×7, first 2 shown]
	s_waitcnt lgkmcnt(0)
	s_barrier
.LBB953_38:
	v_lshlrev_b32_e32 v7, 2, v7
	ds_read2_b32 v[22:23], v7 offset1:2
	ds_read2_b32 v[20:21], v7 offset0:4 offset1:6
	ds_read2_b32 v[18:19], v7 offset0:8 offset1:10
	;; [unrolled: 1-line block ×3, first 2 shown]
	v_lshlrev_b32_e32 v7, 2, v29
	v_lshlrev_b32_e32 v29, 2, v31
	;; [unrolled: 1-line block ×7, first 2 shown]
	ds_read_b32 v76, v7
	ds_read_b32 v75, v29
	;; [unrolled: 1-line block ×7, first 2 shown]
	s_cmp_eq_u64 s[4:5], 0
	s_cselect_b64 s[42:43], -1, 0
	s_cmp_lg_u64 s[4:5], 0
	s_mov_b64 s[6:7], 0
	s_cselect_b64 s[8:9], -1, 0
	s_and_b64 vcc, exec, s[0:1]
	s_waitcnt lgkmcnt(0)
	s_barrier
	s_cbranch_vccz .LBB953_44
; %bb.39:
	s_and_b64 vcc, exec, s[8:9]
	s_cbranch_vccz .LBB953_45
; %bb.40:
	global_load_ushort v7, v[32:33], off offset:-2
	v_lshrrev_b32_e32 v11, 16, v14
	v_lshlrev_b32_e32 v9, 1, v0
	v_cmp_neq_f16_e32 vcc, v14, v11
	v_cmp_neq_f16_sdwa s[6:7], v13, v14 src0_sel:WORD_1 src1_sel:DWORD
	v_cmp_neq_f16_sdwa s[10:11], v13, v13 src0_sel:DWORD src1_sel:WORD_1
	v_cmp_neq_f16_sdwa s[12:13], v12, v13 src0_sel:WORD_1 src1_sel:DWORD
	v_cmp_neq_f16_sdwa s[14:15], v12, v12 src0_sel:DWORD src1_sel:WORD_1
	;; [unrolled: 2-line block ×6, first 2 shown]
	v_cmp_neq_f16_e64 s[0:1], v1, v2
	ds_write_b16 v9, v11
	s_waitcnt lgkmcnt(0)
	s_barrier
	s_and_saveexec_b64 s[56:57], s[2:3]
	s_cbranch_execz .LBB953_42
; %bb.41:
	s_waitcnt vmcnt(0)
	v_add_u32_e32 v7, -2, v9
	ds_read_u16 v7, v7
.LBB953_42:
	s_or_b64 exec, exec, s[56:57]
	v_cndmask_b32_e64 v15, 0, 1, vcc
	v_cndmask_b32_e64 v56, 0, 1, s[6:7]
	v_cndmask_b32_e64 v57, 0, 1, s[10:11]
	;; [unrolled: 1-line block ×13, first 2 shown]
	s_waitcnt vmcnt(0) lgkmcnt(0)
	v_cmp_neq_f16_e64 s[0:1], v1, v7
	s_mov_b64 s[6:7], -1
.LBB953_43:
                                        ; implicit-def: $sgpr12
	s_branch .LBB953_57
.LBB953_44:
                                        ; implicit-def: $sgpr0_sgpr1
                                        ; implicit-def: $vgpr15
                                        ; implicit-def: $vgpr56
                                        ; implicit-def: $vgpr57
                                        ; implicit-def: $vgpr58
                                        ; implicit-def: $vgpr59
                                        ; implicit-def: $vgpr60
                                        ; implicit-def: $vgpr61
                                        ; implicit-def: $vgpr62
                                        ; implicit-def: $vgpr63
                                        ; implicit-def: $vgpr64
                                        ; implicit-def: $vgpr65
                                        ; implicit-def: $vgpr66
                                        ; implicit-def: $vgpr67
                                        ; implicit-def: $vgpr68
                                        ; implicit-def: $sgpr12
	s_cbranch_execnz .LBB953_49
	s_branch .LBB953_57
.LBB953_45:
                                        ; implicit-def: $sgpr0_sgpr1
                                        ; implicit-def: $vgpr15
                                        ; implicit-def: $vgpr56
                                        ; implicit-def: $vgpr57
                                        ; implicit-def: $vgpr58
                                        ; implicit-def: $vgpr59
                                        ; implicit-def: $vgpr60
                                        ; implicit-def: $vgpr61
                                        ; implicit-def: $vgpr62
                                        ; implicit-def: $vgpr63
                                        ; implicit-def: $vgpr64
                                        ; implicit-def: $vgpr65
                                        ; implicit-def: $vgpr66
                                        ; implicit-def: $vgpr67
                                        ; implicit-def: $vgpr68
	s_cbranch_execz .LBB953_43
; %bb.46:
	v_cmp_neq_f16_sdwa s[0:1], v13, v14 src0_sel:WORD_1 src1_sel:DWORD
	v_lshrrev_b32_e32 v9, 16, v14
	v_cmp_neq_f16_e32 vcc, v14, v9
	v_cndmask_b32_e64 v56, 0, 1, s[0:1]
	v_cmp_neq_f16_sdwa s[0:1], v13, v13 src0_sel:DWORD src1_sel:WORD_1
	v_cndmask_b32_e64 v15, 0, 1, vcc
	v_cmp_neq_f16_e32 vcc, v1, v2
	v_cndmask_b32_e64 v57, 0, 1, s[0:1]
	v_cmp_neq_f16_sdwa s[0:1], v12, v13 src0_sel:WORD_1 src1_sel:DWORD
	s_mov_b32 s12, 1
	v_lshlrev_b32_e32 v7, 1, v0
	v_cndmask_b32_e64 v58, 0, 1, s[0:1]
	v_cmp_neq_f16_sdwa s[0:1], v12, v12 src0_sel:DWORD src1_sel:WORD_1
	v_cndmask_b32_e64 v68, 0, 1, vcc
	ds_write_b16 v7, v9
	v_cndmask_b32_e64 v59, 0, 1, s[0:1]
	v_cmp_neq_f16_sdwa s[0:1], v5, v12 src0_sel:WORD_1 src1_sel:DWORD
	s_waitcnt lgkmcnt(0)
	s_barrier
	v_cndmask_b32_e64 v60, 0, 1, s[0:1]
	v_cmp_neq_f16_sdwa s[0:1], v5, v5 src0_sel:DWORD src1_sel:WORD_1
	s_nop 1
	v_cndmask_b32_e64 v61, 0, 1, s[0:1]
	v_cmp_neq_f16_sdwa s[0:1], v4, v5 src0_sel:WORD_1 src1_sel:DWORD
	s_nop 1
	v_cndmask_b32_e64 v62, 0, 1, s[0:1]
	v_cmp_neq_f16_sdwa s[0:1], v4, v4 src0_sel:DWORD src1_sel:WORD_1
	s_nop 1
	v_cndmask_b32_e64 v63, 0, 1, s[0:1]
	v_cmp_neq_f16_sdwa s[0:1], v3, v4 src0_sel:WORD_1 src1_sel:DWORD
	s_nop 1
	;; [unrolled: 6-line block ×3, first 2 shown]
	v_cndmask_b32_e64 v66, 0, 1, s[0:1]
	v_cmp_neq_f16_sdwa s[0:1], v2, v2 src0_sel:DWORD src1_sel:WORD_1
	s_nop 1
	v_cndmask_b32_e64 v67, 0, 1, s[0:1]
                                        ; implicit-def: $sgpr0_sgpr1
	s_and_saveexec_b64 s[10:11], s[2:3]
	s_xor_b64 s[10:11], exec, s[10:11]
	s_cbranch_execz .LBB953_48
; %bb.47:
	v_add_u32_e32 v7, -2, v7
	ds_read_u16 v7, v7
	s_or_b64 s[6:7], s[6:7], exec
	s_waitcnt lgkmcnt(0)
	v_cmp_neq_f16_e32 vcc, v7, v1
	s_and_b64 s[0:1], vcc, exec
.LBB953_48:
	s_or_b64 exec, exec, s[10:11]
	s_branch .LBB953_57
.LBB953_49:
	s_mul_hi_u32 s1, s4, 0xfffff100
	s_mul_i32 s0, s5, 0xfffff100
	s_sub_i32 s1, s1, s4
	s_add_i32 s1, s1, s0
	s_mul_i32 s0, s4, 0xfffff100
	s_add_u32 s10, s0, s28
	s_addc_u32 s11, s1, s29
	s_and_b64 vcc, exec, s[8:9]
	v_lshrrev_b32_e32 v48, 16, v14
	v_mad_u32_u24 v34, v0, 15, 14
	v_cmp_neq_f16_sdwa s[54:55], v13, v14 src0_sel:WORD_1 src1_sel:DWORD
	v_mad_u32_u24 v46, v0, 15, 12
	v_cmp_neq_f16_sdwa s[8:9], v13, v13 src0_sel:DWORD src1_sel:WORD_1
	v_cmp_neq_f16_sdwa s[14:15], v12, v13 src0_sel:WORD_1 src1_sel:DWORD
	v_mad_u32_u24 v44, v0, 15, 10
	v_cmp_neq_f16_sdwa s[18:19], v12, v12 src0_sel:DWORD src1_sel:WORD_1
	;; [unrolled: 3-line block ×6, first 2 shown]
	v_cmp_neq_f16_e64 s[4:5], v1, v2
	s_cbranch_vccz .LBB953_54
; %bb.50:
	global_load_ushort v49, v[32:33], off offset:-2
	v_mov_b32_e32 v35, 0
	v_cmp_gt_u64_e32 vcc, s[10:11], v[34:35]
	v_cmp_neq_f16_e64 s[0:1], v14, v48
	v_mov_b32_e32 v31, v35
	s_and_b64 s[0:1], vcc, s[0:1]
	v_cmp_gt_u64_e32 vcc, s[10:11], v[30:31]
	v_mov_b32_e32 v47, v35
	s_and_b64 s[6:7], vcc, s[54:55]
	v_cmp_gt_u64_e32 vcc, s[10:11], v[46:47]
	;; [unrolled: 3-line block ×13, first 2 shown]
	v_lshlrev_b32_e32 v15, 1, v0
	v_mul_u32_u24_e32 v32, 15, v0
	s_and_b64 s[4:5], vcc, s[4:5]
	ds_write_b16 v15, v48
	s_waitcnt lgkmcnt(0)
	s_barrier
	s_and_saveexec_b64 s[54:55], s[2:3]
	s_cbranch_execz .LBB953_52
; %bb.51:
	v_add_u32_e32 v7, -2, v15
	s_waitcnt vmcnt(0)
	ds_read_u16 v49, v7
.LBB953_52:
	s_or_b64 exec, exec, s[54:55]
	v_mov_b32_e32 v33, v35
	v_cndmask_b32_e64 v15, 0, 1, s[0:1]
	v_cmp_gt_u64_e32 vcc, s[10:11], v[32:33]
	s_waitcnt vmcnt(0) lgkmcnt(0)
	v_cmp_neq_f16_e64 s[0:1], v1, v49
	v_cndmask_b32_e64 v56, 0, 1, s[6:7]
	v_cndmask_b32_e64 v57, 0, 1, s[8:9]
	;; [unrolled: 1-line block ×13, first 2 shown]
	s_and_b64 s[0:1], vcc, s[0:1]
	s_mov_b64 s[6:7], -1
.LBB953_53:
                                        ; implicit-def: $sgpr12
	v_mov_b32_e32 v69, s12
	s_and_saveexec_b64 s[2:3], s[6:7]
	s_cbranch_execnz .LBB953_58
	s_branch .LBB953_59
.LBB953_54:
                                        ; implicit-def: $sgpr0_sgpr1
                                        ; implicit-def: $vgpr15
                                        ; implicit-def: $vgpr56
                                        ; implicit-def: $vgpr57
                                        ; implicit-def: $vgpr58
                                        ; implicit-def: $vgpr59
                                        ; implicit-def: $vgpr60
                                        ; implicit-def: $vgpr61
                                        ; implicit-def: $vgpr62
                                        ; implicit-def: $vgpr63
                                        ; implicit-def: $vgpr64
                                        ; implicit-def: $vgpr65
                                        ; implicit-def: $vgpr66
                                        ; implicit-def: $vgpr67
                                        ; implicit-def: $vgpr68
	s_cbranch_execz .LBB953_53
; %bb.55:
	v_mov_b32_e32 v35, 0
	v_cmp_gt_u64_e32 vcc, s[10:11], v[34:35]
	v_cmp_neq_f16_e64 s[0:1], v14, v48
	s_and_b64 s[0:1], vcc, s[0:1]
	v_mov_b32_e32 v31, v35
	v_cndmask_b32_e64 v15, 0, 1, s[0:1]
	v_cmp_gt_u64_e32 vcc, s[10:11], v[30:31]
	v_cmp_neq_f16_sdwa s[0:1], v13, v14 src0_sel:WORD_1 src1_sel:DWORD
	s_and_b64 s[0:1], vcc, s[0:1]
	v_mov_b32_e32 v47, v35
	v_cndmask_b32_e64 v56, 0, 1, s[0:1]
	v_cmp_gt_u64_e32 vcc, s[10:11], v[46:47]
	v_cmp_neq_f16_sdwa s[0:1], v13, v13 src0_sel:DWORD src1_sel:WORD_1
	s_and_b64 s[0:1], vcc, s[0:1]
	v_mov_b32_e32 v29, v35
	v_cndmask_b32_e64 v57, 0, 1, s[0:1]
	v_cmp_gt_u64_e32 vcc, s[10:11], v[28:29]
	v_cmp_neq_f16_sdwa s[0:1], v12, v13 src0_sel:WORD_1 src1_sel:DWORD
	s_and_b64 s[0:1], vcc, s[0:1]
	v_mov_b32_e32 v45, v35
	v_cndmask_b32_e64 v58, 0, 1, s[0:1]
	v_cmp_gt_u64_e32 vcc, s[10:11], v[44:45]
	v_cmp_neq_f16_sdwa s[0:1], v12, v12 src0_sel:DWORD src1_sel:WORD_1
	;; [unrolled: 10-line block ×6, first 2 shown]
	s_and_b64 s[0:1], vcc, s[0:1]
	v_mov_b32_e32 v7, v35
	v_cndmask_b32_e64 v67, 0, 1, s[0:1]
	v_cmp_gt_u64_e32 vcc, s[10:11], v[6:7]
	v_cmp_neq_f16_e64 s[0:1], v1, v2
	s_and_b64 s[0:1], vcc, s[0:1]
	s_mov_b32 s12, 1
	v_lshlrev_b32_e32 v32, 1, v0
	v_cndmask_b32_e64 v68, 0, 1, s[0:1]
	ds_write_b16 v32, v48
	s_waitcnt lgkmcnt(0)
	s_barrier
	s_waitcnt lgkmcnt(0)
                                        ; implicit-def: $sgpr0_sgpr1
	s_and_saveexec_b64 s[4:5], s[2:3]
	s_cbranch_execz .LBB953_150
; %bb.56:
	v_add_u32_e32 v6, -2, v32
	ds_read_u16 v6, v6
	v_mul_u32_u24_e32 v34, 15, v0
	v_cmp_gt_u64_e32 vcc, s[10:11], v[34:35]
	s_or_b64 s[6:7], s[6:7], exec
	s_waitcnt lgkmcnt(0)
	v_cmp_neq_f16_e64 s[0:1], v6, v1
	s_and_b64 s[0:1], vcc, s[0:1]
	s_and_b64 s[0:1], s[0:1], exec
	s_or_b64 exec, exec, s[4:5]
.LBB953_57:
	v_mov_b32_e32 v69, s12
	s_and_saveexec_b64 s[2:3], s[6:7]
.LBB953_58:
	v_cndmask_b32_e64 v69, 0, 1, s[0:1]
.LBB953_59:
	s_or_b64 exec, exec, s[2:3]
	s_cmp_eq_u64 s[38:39], 0
	v_add3_u32 v6, v68, v69, v67
	s_cselect_b64 s[38:39], -1, 0
	s_cmp_lg_u32 s58, 0
	v_cmp_eq_u32_e64 s[26:27], 0, v68
	v_cmp_eq_u32_e64 s[24:25], 0, v67
	;; [unrolled: 1-line block ×3, first 2 shown]
	v_add3_u32 v80, v6, v66, v65
	v_cmp_eq_u32_e64 s[20:21], 0, v65
	v_cmp_eq_u32_e64 s[18:19], 0, v64
	;; [unrolled: 1-line block ×10, first 2 shown]
	v_cmp_eq_u32_e32 vcc, 0, v15
	v_mbcnt_lo_u32_b32 v79, -1, 0
	v_lshrrev_b32_e32 v77, 6, v0
	v_or_b32_e32 v78, 63, v0
	s_cbranch_scc0 .LBB953_86
; %bb.60:
	v_cndmask_b32_e64 v6, 0, v22, s[26:27]
	v_add_u32_e32 v6, v6, v76
	v_cndmask_b32_e64 v6, 0, v6, s[24:25]
	v_add_u32_e32 v6, v6, v23
	;; [unrolled: 2-line block ×11, first 2 shown]
	v_cndmask_b32_e64 v6, 0, v6, s[4:5]
	v_add3_u32 v7, v80, v64, v63
	v_add_u32_e32 v6, v6, v16
	v_add3_u32 v7, v7, v62, v61
	v_cndmask_b32_e64 v6, 0, v6, s[2:3]
	v_add3_u32 v7, v7, v60, v59
	v_add_u32_e32 v6, v6, v70
	v_add3_u32 v7, v7, v58, v57
	v_cndmask_b32_e32 v6, 0, v6, vcc
	v_add3_u32 v7, v7, v56, v15
	v_add_u32_e32 v6, v6, v17
	v_mbcnt_hi_u32_b32 v27, -1, v79
	v_and_b32_e32 v8, 15, v27
	v_mov_b32_dpp v10, v6 row_shr:1 row_mask:0xf bank_mask:0xf
	v_cmp_eq_u32_e32 vcc, 0, v7
	v_mov_b32_dpp v9, v7 row_shr:1 row_mask:0xf bank_mask:0xf
	v_cmp_lt_u32_e64 s[0:1], 1, v8
	v_cndmask_b32_e32 v10, 0, v10, vcc
	v_cmp_eq_u32_e32 vcc, 0, v8
	s_nop 1
	v_cndmask_b32_e64 v9, v9, 0, vcc
	v_add_u32_e32 v7, v9, v7
	v_cndmask_b32_e64 v9, v10, 0, vcc
	v_add_u32_e32 v6, v9, v6
	v_cmp_eq_u32_e32 vcc, 0, v7
	v_mov_b32_dpp v9, v7 row_shr:2 row_mask:0xf bank_mask:0xf
	v_mov_b32_dpp v10, v6 row_shr:2 row_mask:0xf bank_mask:0xf
	v_cndmask_b32_e64 v9, 0, v9, s[0:1]
	s_and_b64 vcc, s[0:1], vcc
	v_cndmask_b32_e32 v10, 0, v10, vcc
	v_add_u32_e32 v7, v7, v9
	v_add_u32_e32 v6, v10, v6
	v_cmp_eq_u32_e32 vcc, 0, v7
	v_mov_b32_dpp v9, v7 row_shr:4 row_mask:0xf bank_mask:0xf
	v_cmp_lt_u32_e64 s[0:1], 3, v8
	v_mov_b32_dpp v10, v6 row_shr:4 row_mask:0xf bank_mask:0xf
	s_and_b64 vcc, s[0:1], vcc
	v_cndmask_b32_e64 v9, 0, v9, s[0:1]
	v_cndmask_b32_e32 v10, 0, v10, vcc
	v_add_u32_e32 v7, v9, v7
	v_add_u32_e32 v6, v6, v10
	v_cmp_eq_u32_e32 vcc, 0, v7
	v_cmp_lt_u32_e64 s[0:1], 7, v8
	v_mov_b32_dpp v9, v7 row_shr:8 row_mask:0xf bank_mask:0xf
	v_mov_b32_dpp v10, v6 row_shr:8 row_mask:0xf bank_mask:0xf
	s_and_b64 vcc, s[0:1], vcc
	v_cndmask_b32_e64 v8, 0, v9, s[0:1]
	v_cndmask_b32_e32 v9, 0, v10, vcc
	v_add_u32_e32 v6, v9, v6
	v_add_u32_e32 v7, v8, v7
	v_bfe_i32 v10, v27, 4, 1
	v_mov_b32_dpp v9, v6 row_bcast:15 row_mask:0xf bank_mask:0xf
	v_mov_b32_dpp v8, v7 row_bcast:15 row_mask:0xf bank_mask:0xf
	v_cmp_eq_u32_e32 vcc, 0, v7
	v_and_b32_e32 v8, v10, v8
	v_add_u32_e32 v7, v8, v7
	v_cndmask_b32_e32 v9, 0, v9, vcc
	v_and_b32_e32 v8, v10, v9
	v_add_u32_e32 v8, v8, v6
	v_mov_b32_dpp v6, v7 row_bcast:31 row_mask:0xf bank_mask:0xf
	v_cmp_eq_u32_e32 vcc, 0, v7
	v_cmp_lt_u32_e64 s[0:1], 31, v27
	v_mov_b32_dpp v9, v8 row_bcast:31 row_mask:0xf bank_mask:0xf
	s_and_b64 vcc, s[0:1], vcc
	v_cndmask_b32_e64 v6, 0, v6, s[0:1]
	v_add_u32_e32 v6, v6, v7
	v_cndmask_b32_e32 v7, 0, v9, vcc
	v_add_u32_e32 v7, v7, v8
	v_cmp_eq_u32_e32 vcc, v78, v0
	v_lshlrev_b32_e32 v8, 3, v77
	s_and_saveexec_b64 s[0:1], vcc
	s_cbranch_execz .LBB953_62
; %bb.61:
	ds_write_b64 v8, v[6:7] offset:1040
.LBB953_62:
	s_or_b64 exec, exec, s[0:1]
	v_cmp_gt_u32_e32 vcc, 4, v0
	s_waitcnt lgkmcnt(0)
	s_barrier
	s_and_saveexec_b64 s[28:29], vcc
	s_cbranch_execz .LBB953_64
; %bb.63:
	v_lshlrev_b32_e32 v9, 3, v0
	ds_read_b64 v[10:11], v9 offset:1040
	v_and_b32_e32 v24, 3, v27
	v_cmp_lt_u32_e64 s[0:1], 1, v24
	s_waitcnt lgkmcnt(0)
	v_mov_b32_dpp v26, v11 row_shr:1 row_mask:0xf bank_mask:0xf
	v_cmp_eq_u32_e32 vcc, 0, v10
	v_mov_b32_dpp v25, v10 row_shr:1 row_mask:0xf bank_mask:0xf
	s_nop 0
	v_cndmask_b32_e32 v26, 0, v26, vcc
	v_cmp_eq_u32_e32 vcc, 0, v24
	s_nop 1
	v_cndmask_b32_e64 v25, v25, 0, vcc
	v_add_u32_e32 v10, v25, v10
	v_cndmask_b32_e64 v25, v26, 0, vcc
	v_add_u32_e32 v11, v25, v11
	v_cmp_eq_u32_e32 vcc, 0, v10
	v_mov_b32_dpp v25, v10 row_shr:2 row_mask:0xf bank_mask:0xf
	v_mov_b32_dpp v26, v11 row_shr:2 row_mask:0xf bank_mask:0xf
	v_cndmask_b32_e64 v24, 0, v25, s[0:1]
	s_and_b64 vcc, s[0:1], vcc
	v_add_u32_e32 v10, v24, v10
	v_cndmask_b32_e32 v24, 0, v26, vcc
	v_add_u32_e32 v11, v24, v11
	ds_write_b64 v9, v[10:11] offset:1040
.LBB953_64:
	s_or_b64 exec, exec, s[28:29]
	v_cmp_gt_u32_e32 vcc, 64, v0
	v_cmp_lt_u32_e64 s[0:1], 63, v0
	v_mov_b32_e32 v24, 0
	v_mov_b32_e32 v25, 0
	s_waitcnt lgkmcnt(0)
	s_barrier
	s_and_saveexec_b64 s[28:29], s[0:1]
	s_cbranch_execz .LBB953_66
; %bb.65:
	ds_read_b64 v[24:25], v8 offset:1032
	v_cmp_eq_u32_e64 s[0:1], 0, v6
	s_waitcnt lgkmcnt(0)
	v_add_u32_e32 v8, v24, v6
	v_cndmask_b32_e64 v6, 0, v25, s[0:1]
	v_add_u32_e32 v7, v6, v7
	v_mov_b32_e32 v6, v8
.LBB953_66:
	s_or_b64 exec, exec, s[28:29]
	v_add_u32_e32 v8, -1, v27
	v_and_b32_e32 v9, 64, v27
	v_cmp_lt_i32_e64 s[0:1], v8, v9
	v_cmp_eq_u32_e64 s[28:29], 0, v27
	s_nop 0
	v_cndmask_b32_e64 v8, v8, v27, s[0:1]
	v_lshlrev_b32_e32 v8, 2, v8
	ds_bpermute_b32 v32, v8, v6
	ds_bpermute_b32 v33, v8, v7
	s_and_saveexec_b64 s[52:53], vcc
	s_cbranch_execz .LBB953_85
; %bb.67:
	v_mov_b32_e32 v11, 0
	ds_read_b64 v[6:7], v11 offset:1064
	s_waitcnt lgkmcnt(0)
	v_readfirstlane_b32 s56, v6
	v_readfirstlane_b32 s57, v7
	s_and_saveexec_b64 s[0:1], s[28:29]
	s_cbranch_execz .LBB953_69
; %bb.68:
	s_add_i32 s54, s58, 64
	s_mov_b32 s55, 0
	s_lshl_b64 s[60:61], s[54:55], 4
	s_add_u32 s60, s36, s60
	s_addc_u32 s61, s37, s61
	s_and_b32 s63, s57, 0xff000000
	s_mov_b32 s62, s55
	s_and_b32 s65, s57, 0xff0000
	s_mov_b32 s64, s55
	s_or_b64 s[62:63], s[64:65], s[62:63]
	s_and_b32 s65, s57, 0xff00
	s_or_b64 s[62:63], s[62:63], s[64:65]
	s_and_b32 s65, s57, 0xff
	s_or_b64 s[54:55], s[62:63], s[64:65]
	v_mov_b32_e32 v8, s56
	v_mov_b32_e32 v9, s55
	v_mov_b32_e32 v10, 1
	v_mov_b64_e32 v[6:7], s[60:61]
	;;#ASMSTART
	global_store_dwordx4 v[6:7], v[8:11] off sc1	
s_waitcnt vmcnt(0)
	;;#ASMEND
.LBB953_69:
	s_or_b64 exec, exec, s[0:1]
	v_xad_u32 v26, v27, -1, s58
	v_add_u32_e32 v10, 64, v26
	v_lshl_add_u64 v[28:29], v[10:11], 4, s[36:37]
	;;#ASMSTART
	global_load_dwordx4 v[6:9], v[28:29] off sc1	
s_waitcnt vmcnt(0)
	;;#ASMEND
	s_nop 0
	v_and_b32_e32 v9, 0xff, v7
	v_and_b32_e32 v10, 0xff00, v7
	v_or3_b32 v6, v6, 0, 0
	v_and_b32_e32 v30, 0xff000000, v7
	v_or3_b32 v9, 0, v9, v10
	v_and_b32_e32 v7, 0xff0000, v7
	v_or3_b32 v7, v9, v7, v30
	v_or3_b32 v6, v6, 0, 0
	v_cmp_eq_u16_sdwa s[54:55], v8, v11 src0_sel:BYTE_0 src1_sel:DWORD
	s_and_saveexec_b64 s[0:1], s[54:55]
	s_cbranch_execz .LBB953_73
; %bb.70:
	s_mov_b64 s[54:55], 0
	v_mov_b32_e32 v10, 0
.LBB953_71:                             ; =>This Inner Loop Header: Depth=1
	;;#ASMSTART
	global_load_dwordx4 v[6:9], v[28:29] off sc1	
s_waitcnt vmcnt(0)
	;;#ASMEND
	s_nop 0
	v_cmp_ne_u16_sdwa s[60:61], v8, v10 src0_sel:BYTE_0 src1_sel:DWORD
	s_or_b64 s[54:55], s[60:61], s[54:55]
	s_andn2_b64 exec, exec, s[54:55]
	s_cbranch_execnz .LBB953_71
; %bb.72:
	s_or_b64 exec, exec, s[54:55]
.LBB953_73:
	s_or_b64 exec, exec, s[0:1]
	v_mov_b32_e32 v34, 2
	v_cmp_eq_u16_sdwa s[0:1], v8, v34 src0_sel:BYTE_0 src1_sel:DWORD
	v_lshlrev_b64 v[28:29], v27, -1
	v_and_b32_e32 v35, 63, v27
	v_and_b32_e32 v9, s1, v29
	v_or_b32_e32 v9, 0x80000000, v9
	v_cmp_ne_u32_e32 vcc, 63, v35
	v_and_b32_e32 v10, s0, v28
	v_ffbl_b32_e32 v9, v9
	v_addc_co_u32_e32 v11, vcc, 0, v27, vcc
	v_add_u32_e32 v9, 32, v9
	v_ffbl_b32_e32 v10, v10
	v_lshlrev_b32_e32 v36, 2, v11
	v_min_u32_e32 v9, v10, v9
	ds_bpermute_b32 v10, v36, v7
	v_cmp_eq_u32_e32 vcc, 0, v6
	v_cmp_lt_u32_e64 s[0:1], v35, v9
	ds_bpermute_b32 v11, v36, v6
	s_and_b64 vcc, s[0:1], vcc
	s_waitcnt lgkmcnt(1)
	v_cndmask_b32_e32 v10, 0, v10, vcc
	v_cmp_gt_u32_e32 vcc, 62, v35
	v_add_u32_e32 v7, v10, v7
	s_waitcnt lgkmcnt(0)
	v_cndmask_b32_e64 v11, 0, v11, s[0:1]
	v_cndmask_b32_e64 v10, 0, 1, vcc
	v_lshlrev_b32_e32 v10, 1, v10
	v_add_lshl_u32 v37, v10, v27, 2
	ds_bpermute_b32 v10, v37, v7
	v_add_u32_e32 v6, v11, v6
	ds_bpermute_b32 v11, v37, v6
	v_add_u32_e32 v38, 2, v35
	v_cmp_eq_u32_e32 vcc, 0, v6
	v_add_u32_e32 v40, 4, v35
	v_add_u32_e32 v42, 8, v35
	s_waitcnt lgkmcnt(1)
	v_cndmask_b32_e32 v10, 0, v10, vcc
	v_cmp_gt_u32_e32 vcc, v38, v9
	v_add_u32_e32 v44, 16, v35
	v_add_u32_e32 v46, 32, v35
	v_cndmask_b32_e64 v10, v10, 0, vcc
	v_add_u32_e32 v7, v10, v7
	s_waitcnt lgkmcnt(0)
	v_cndmask_b32_e64 v10, v11, 0, vcc
	v_cmp_gt_u32_e32 vcc, 60, v35
	v_add_u32_e32 v6, v6, v10
	s_nop 0
	v_cndmask_b32_e64 v11, 0, 1, vcc
	v_lshlrev_b32_e32 v11, 2, v11
	v_add_lshl_u32 v39, v11, v27, 2
	ds_bpermute_b32 v11, v39, v7
	ds_bpermute_b32 v10, v39, v6
	v_cmp_eq_u32_e32 vcc, 0, v6
	s_waitcnt lgkmcnt(1)
	s_nop 0
	v_cndmask_b32_e32 v11, 0, v11, vcc
	v_cmp_gt_u32_e32 vcc, v40, v9
	s_nop 1
	v_cndmask_b32_e64 v11, v11, 0, vcc
	s_waitcnt lgkmcnt(0)
	v_cndmask_b32_e64 v10, v10, 0, vcc
	v_cmp_gt_u32_e32 vcc, 56, v35
	v_add_u32_e32 v7, v7, v11
	v_add_u32_e32 v6, v6, v10
	v_cndmask_b32_e64 v11, 0, 1, vcc
	v_lshlrev_b32_e32 v11, 3, v11
	v_add_lshl_u32 v41, v11, v27, 2
	ds_bpermute_b32 v11, v41, v7
	ds_bpermute_b32 v10, v41, v6
	v_cmp_eq_u32_e32 vcc, 0, v6
	s_waitcnt lgkmcnt(1)
	s_nop 0
	v_cndmask_b32_e32 v11, 0, v11, vcc
	v_cmp_gt_u32_e32 vcc, v42, v9
	s_nop 1
	v_cndmask_b32_e64 v11, v11, 0, vcc
	s_waitcnt lgkmcnt(0)
	v_cndmask_b32_e64 v10, v10, 0, vcc
	v_cmp_gt_u32_e32 vcc, 48, v35
	v_add_u32_e32 v7, v7, v11
	v_add_u32_e32 v6, v6, v10
	;; [unrolled: 17-line block ×3, first 2 shown]
	v_cndmask_b32_e64 v11, 0, 1, vcc
	v_lshlrev_b32_e32 v11, 5, v11
	v_add_lshl_u32 v45, v11, v27, 2
	ds_bpermute_b32 v11, v45, v7
	ds_bpermute_b32 v10, v45, v6
	v_cmp_eq_u32_e32 vcc, 0, v6
	v_mov_b32_e32 v27, 0
	s_waitcnt lgkmcnt(1)
	v_cndmask_b32_e32 v11, 0, v11, vcc
	v_cmp_gt_u32_e32 vcc, v46, v9
	s_nop 1
	v_cndmask_b32_e64 v9, v11, 0, vcc
	v_add_u32_e32 v7, v9, v7
	s_waitcnt lgkmcnt(0)
	v_cndmask_b32_e64 v9, v10, 0, vcc
	v_add_u32_e32 v6, v9, v6
	s_branch .LBB953_75
.LBB953_74:                             ;   in Loop: Header=BB953_75 Depth=1
	s_or_b64 exec, exec, s[0:1]
	v_cmp_eq_u16_sdwa s[0:1], v8, v34 src0_sel:BYTE_0 src1_sel:DWORD
	v_cmp_eq_u32_e32 vcc, 0, v6
	ds_bpermute_b32 v31, v36, v6
	v_and_b32_e32 v9, s1, v29
	v_or_b32_e32 v9, 0x80000000, v9
	v_and_b32_e32 v30, s0, v28
	v_ffbl_b32_e32 v9, v9
	v_add_u32_e32 v9, 32, v9
	v_ffbl_b32_e32 v30, v30
	v_min_u32_e32 v9, v30, v9
	ds_bpermute_b32 v30, v36, v7
	v_cmp_lt_u32_e64 s[0:1], v35, v9
	s_and_b64 vcc, s[0:1], vcc
	v_subrev_u32_e32 v26, 64, v26
	s_waitcnt lgkmcnt(1)
	v_cndmask_b32_e64 v31, 0, v31, s[0:1]
	s_waitcnt lgkmcnt(0)
	v_cndmask_b32_e32 v30, 0, v30, vcc
	v_add_u32_e32 v7, v30, v7
	ds_bpermute_b32 v30, v37, v7
	v_add_u32_e32 v6, v31, v6
	v_cmp_eq_u32_e32 vcc, 0, v6
	ds_bpermute_b32 v31, v37, v6
	s_waitcnt lgkmcnt(1)
	v_cndmask_b32_e32 v30, 0, v30, vcc
	v_cmp_gt_u32_e32 vcc, v38, v9
	s_nop 1
	v_cndmask_b32_e64 v30, v30, 0, vcc
	v_add_u32_e32 v7, v30, v7
	ds_bpermute_b32 v30, v39, v7
	s_waitcnt lgkmcnt(1)
	v_cndmask_b32_e64 v31, v31, 0, vcc
	v_add_u32_e32 v6, v6, v31
	v_cmp_eq_u32_e32 vcc, 0, v6
	ds_bpermute_b32 v31, v39, v6
	s_waitcnt lgkmcnt(1)
	v_cndmask_b32_e32 v30, 0, v30, vcc
	v_cmp_gt_u32_e32 vcc, v40, v9
	s_nop 1
	v_cndmask_b32_e64 v30, v30, 0, vcc
	v_add_u32_e32 v7, v7, v30
	ds_bpermute_b32 v30, v41, v7
	s_waitcnt lgkmcnt(1)
	v_cndmask_b32_e64 v31, v31, 0, vcc
	v_add_u32_e32 v6, v6, v31
	ds_bpermute_b32 v31, v41, v6
	v_cmp_eq_u32_e32 vcc, 0, v6
	s_waitcnt lgkmcnt(1)
	s_nop 0
	v_cndmask_b32_e32 v30, 0, v30, vcc
	v_cmp_gt_u32_e32 vcc, v42, v9
	s_nop 1
	v_cndmask_b32_e64 v30, v30, 0, vcc
	v_add_u32_e32 v7, v7, v30
	ds_bpermute_b32 v30, v43, v7
	s_waitcnt lgkmcnt(1)
	v_cndmask_b32_e64 v31, v31, 0, vcc
	v_add_u32_e32 v6, v6, v31
	ds_bpermute_b32 v31, v43, v6
	v_cmp_eq_u32_e32 vcc, 0, v6
	s_waitcnt lgkmcnt(1)
	s_nop 0
	v_cndmask_b32_e32 v30, 0, v30, vcc
	v_cmp_gt_u32_e32 vcc, v44, v9
	s_nop 1
	v_cndmask_b32_e64 v30, v30, 0, vcc
	v_add_u32_e32 v7, v7, v30
	ds_bpermute_b32 v30, v45, v7
	s_waitcnt lgkmcnt(1)
	v_cndmask_b32_e64 v31, v31, 0, vcc
	v_add_u32_e32 v6, v6, v31
	ds_bpermute_b32 v31, v45, v6
	v_cmp_eq_u32_e32 vcc, 0, v6
	s_waitcnt lgkmcnt(1)
	s_nop 0
	v_cndmask_b32_e32 v30, 0, v30, vcc
	v_cmp_gt_u32_e32 vcc, v46, v9
	s_nop 1
	v_cndmask_b32_e64 v9, v30, 0, vcc
	v_add_u32_e32 v7, v9, v7
	s_waitcnt lgkmcnt(0)
	v_cndmask_b32_e64 v9, v31, 0, vcc
	v_cmp_eq_u32_e32 vcc, 0, v10
	v_add3_u32 v6, v6, v10, v9
	s_nop 0
	v_cndmask_b32_e32 v7, 0, v7, vcc
	v_add_u32_e32 v7, v7, v11
.LBB953_75:                             ; =>This Loop Header: Depth=1
                                        ;     Child Loop BB953_78 Depth 2
	v_cmp_ne_u16_sdwa s[0:1], v8, v34 src0_sel:BYTE_0 src1_sel:DWORD
	v_mov_b32_e32 v11, v7
	v_mov_b32_e32 v10, v6
	v_cndmask_b32_e64 v7, 0, 1, s[0:1]
	;;#ASMSTART
	;;#ASMEND
	s_nop 0
	v_cmp_ne_u32_e32 vcc, 0, v7
	s_cmp_lg_u64 vcc, exec
	s_cbranch_scc1 .LBB953_80
; %bb.76:                               ;   in Loop: Header=BB953_75 Depth=1
	v_lshl_add_u64 v[30:31], v[26:27], 4, s[36:37]
	;;#ASMSTART
	global_load_dwordx4 v[6:9], v[30:31] off sc1	
s_waitcnt vmcnt(0)
	;;#ASMEND
	s_nop 0
	v_and_b32_e32 v9, 0xff, v7
	v_and_b32_e32 v47, 0xff00, v7
	v_or3_b32 v6, v6, 0, 0
	v_and_b32_e32 v48, 0xff000000, v7
	v_or3_b32 v9, 0, v9, v47
	;; [unrolled: 2-line block ×3, first 2 shown]
	v_or3_b32 v6, v6, 0, 0
	v_cmp_eq_u16_sdwa s[54:55], v8, v27 src0_sel:BYTE_0 src1_sel:DWORD
	s_and_saveexec_b64 s[0:1], s[54:55]
	s_cbranch_execz .LBB953_74
; %bb.77:                               ;   in Loop: Header=BB953_75 Depth=1
	s_mov_b64 s[54:55], 0
.LBB953_78:                             ;   Parent Loop BB953_75 Depth=1
                                        ; =>  This Inner Loop Header: Depth=2
	;;#ASMSTART
	global_load_dwordx4 v[6:9], v[30:31] off sc1	
s_waitcnt vmcnt(0)
	;;#ASMEND
	s_nop 0
	v_cmp_ne_u16_sdwa s[60:61], v8, v27 src0_sel:BYTE_0 src1_sel:DWORD
	s_or_b64 s[54:55], s[60:61], s[54:55]
	s_andn2_b64 exec, exec, s[54:55]
	s_cbranch_execnz .LBB953_78
; %bb.79:                               ;   in Loop: Header=BB953_75 Depth=1
	s_or_b64 exec, exec, s[54:55]
	s_branch .LBB953_74
.LBB953_80:                             ;   in Loop: Header=BB953_75 Depth=1
                                        ; implicit-def: $vgpr7
                                        ; implicit-def: $vgpr6
                                        ; implicit-def: $vgpr8
	s_cbranch_execz .LBB953_75
; %bb.81:
	s_and_saveexec_b64 s[0:1], s[28:29]
	s_cbranch_execz .LBB953_83
; %bb.82:
	s_cmp_eq_u32 s56, 0
	s_cselect_b64 vcc, -1, 0
	s_mov_b32 s55, 0
	v_cndmask_b32_e32 v6, 0, v11, vcc
	s_add_i32 s54, s58, 64
	v_add_u32_e32 v6, s57, v6
	s_lshl_b64 s[54:55], s[54:55], 4
	s_add_u32 s54, s36, s54
	v_and_b32_e32 v7, 0xff000000, v6
	v_and_b32_e32 v8, 0xff0000, v6
	s_addc_u32 s55, s37, s55
	v_or_b32_e32 v7, v8, v7
	v_and_b32_e32 v8, 0xff00, v6
	v_and_b32_e32 v6, 0xff, v6
	v_add_u32_e32 v26, s56, v10
	v_mov_b32_e32 v29, 0
	v_or3_b32 v27, v7, v8, v6
	v_mov_b32_e32 v28, 2
	v_mov_b64_e32 v[6:7], s[54:55]
	;;#ASMSTART
	global_store_dwordx4 v[6:7], v[26:29] off sc1	
s_waitcnt vmcnt(0)
	;;#ASMEND
	v_mov_b32_e32 v8, s56
	v_mov_b32_e32 v9, s57
	ds_write_b128 v29, v[8:11] offset:1024
.LBB953_83:
	s_or_b64 exec, exec, s[0:1]
	s_and_b64 exec, exec, s[34:35]
	s_cbranch_execz .LBB953_85
; %bb.84:
	v_mov_b32_e32 v6, 0
	ds_write_b64 v6, v[10:11] offset:1064
.LBB953_85:
	s_or_b64 exec, exec, s[52:53]
	v_mov_b32_e32 v8, 0
	s_waitcnt lgkmcnt(0)
	s_barrier
	ds_read_b64 v[6:7], v8 offset:1064
	v_cndmask_b32_e64 v10, v32, v24, s[28:29]
	v_cmp_eq_u32_e32 vcc, 0, v10
	v_cndmask_b32_e64 v9, v33, v25, s[28:29]
	s_waitcnt lgkmcnt(0)
	v_cndmask_b32_e32 v11, 0, v7, vcc
	v_add_u32_e32 v9, v11, v9
	v_cndmask_b32_e64 v55, v9, v7, s[34:35]
	v_cndmask_b32_e64 v7, v10, 0, s[34:35]
	v_cmp_eq_u32_e32 vcc, 0, v69
	v_add_u32_e32 v54, v6, v7
	v_add_u32_e32 v52, v54, v69
	v_cndmask_b32_e32 v6, 0, v55, vcc
	v_add_u32_e32 v53, v6, v22
	v_cndmask_b32_e64 v6, 0, v53, s[26:27]
	v_add_u32_e32 v51, v6, v76
	v_cndmask_b32_e64 v6, 0, v51, s[24:25]
	;; [unrolled: 2-line block ×8, first 2 shown]
	v_add_u32_e32 v37, v6, v18
	v_add_u32_e32 v50, v52, v68
	v_cndmask_b32_e64 v6, 0, v37, s[10:11]
	v_add_u32_e32 v48, v50, v67
	v_add_u32_e32 v35, v6, v72
	v_add_u32_e32 v46, v48, v66
	v_cndmask_b32_e64 v6, 0, v35, s[8:9]
	v_add_u32_e32 v44, v46, v65
	;; [unrolled: 4-line block ×3, first 2 shown]
	v_add_u32_e32 v31, v6, v71
	s_barrier
	ds_read_b128 v[6:9], v8 offset:1024
	v_add_u32_e32 v38, v40, v62
	v_add_u32_e32 v36, v38, v61
	;; [unrolled: 1-line block ×4, first 2 shown]
	v_cndmask_b32_e64 v10, 0, v31, s[4:5]
	v_add_u32_e32 v30, v32, v58
	v_add_u32_e32 v29, v10, v16
	s_waitcnt lgkmcnt(0)
	v_cmp_eq_u32_e32 vcc, 0, v6
	v_add_u32_e32 v28, v30, v57
	v_cndmask_b32_e64 v10, 0, v29, s[2:3]
	v_cndmask_b32_e32 v9, 0, v9, vcc
	v_add_u32_e32 v26, v28, v56
	v_add_u32_e32 v27, v10, v70
	;; [unrolled: 1-line block ×3, first 2 shown]
	s_branch .LBB953_98
.LBB953_86:
                                        ; implicit-def: $vgpr6
                                        ; implicit-def: $vgpr24
                                        ; implicit-def: $vgpr54_vgpr55
                                        ; implicit-def: $vgpr52_vgpr53
                                        ; implicit-def: $vgpr50_vgpr51
                                        ; implicit-def: $vgpr48_vgpr49
                                        ; implicit-def: $vgpr46_vgpr47
                                        ; implicit-def: $vgpr44_vgpr45
                                        ; implicit-def: $vgpr42_vgpr43
                                        ; implicit-def: $vgpr40_vgpr41
                                        ; implicit-def: $vgpr38_vgpr39
                                        ; implicit-def: $vgpr36_vgpr37
                                        ; implicit-def: $vgpr34_vgpr35
                                        ; implicit-def: $vgpr32_vgpr33
                                        ; implicit-def: $vgpr30_vgpr31
                                        ; implicit-def: $vgpr28_vgpr29
                                        ; implicit-def: $vgpr26_vgpr27
	s_cbranch_execz .LBB953_98
; %bb.87:
	s_and_b64 s[0:1], s[38:39], exec
	s_cselect_b32 s1, 0, s51
	s_cselect_b32 s0, 0, s50
	s_cmp_eq_u64 s[0:1], 0
	v_mov_b32_e32 v10, v22
	s_cbranch_scc1 .LBB953_89
; %bb.88:
	v_mov_b32_e32 v6, 0
	global_load_dword v10, v6, s[0:1]
.LBB953_89:
	v_cmp_eq_u32_e64 s[2:3], 0, v68
	v_cmp_eq_u32_e64 s[4:5], 0, v67
	v_cmp_eq_u32_e64 s[6:7], 0, v66
	v_cndmask_b32_e64 v6, 0, v22, s[2:3]
	v_add_u32_e32 v6, v6, v76
	v_cndmask_b32_e64 v6, 0, v6, s[4:5]
	v_add_u32_e32 v6, v6, v23
	v_cndmask_b32_e64 v6, 0, v6, s[6:7]
	v_add_u32_e32 v6, v6, v75
	v_cmp_eq_u32_e64 s[8:9], 0, v65
	v_cmp_eq_u32_e64 s[10:11], 0, v64
	v_cmp_eq_u32_e64 s[12:13], 0, v63
	v_cndmask_b32_e64 v6, 0, v6, s[8:9]
	v_add_u32_e32 v6, v6, v20
	v_cndmask_b32_e64 v6, 0, v6, s[10:11]
	v_add_u32_e32 v6, v6, v74
	v_cndmask_b32_e64 v6, 0, v6, s[12:13]
	v_add_u32_e32 v6, v6, v21
	;; [unrolled: 9-line block ×3, first 2 shown]
	v_cmp_eq_u32_e64 s[20:21], 0, v59
	v_cmp_eq_u32_e64 s[22:23], 0, v58
	;; [unrolled: 1-line block ×3, first 2 shown]
	v_cndmask_b32_e64 v6, 0, v6, s[20:21]
	v_add_u32_e32 v6, v6, v19
	v_cndmask_b32_e64 v6, 0, v6, s[22:23]
	v_add_u32_e32 v6, v6, v71
	v_cndmask_b32_e64 v6, 0, v6, s[24:25]
	v_add3_u32 v7, v80, v64, v63
	v_add_u32_e32 v6, v6, v16
	v_cmp_eq_u32_e32 vcc, 0, v56
	v_add3_u32 v7, v7, v62, v61
	v_add3_u32 v7, v7, v60, v59
	v_cndmask_b32_e32 v6, 0, v6, vcc
	v_add_u32_e32 v6, v6, v70
	v_cmp_eq_u32_e64 s[0:1], 0, v15
	v_add3_u32 v7, v7, v58, v57
	v_add3_u32 v7, v7, v56, v15
	v_cndmask_b32_e64 v6, 0, v6, s[0:1]
	v_add_u32_e32 v6, v6, v17
	v_mbcnt_hi_u32_b32 v11, -1, v79
	v_and_b32_e32 v8, 15, v11
	v_mov_b32_dpp v17, v6 row_shr:1 row_mask:0xf bank_mask:0xf
	v_cmp_eq_u32_e64 s[0:1], 0, v7
	v_mov_b32_dpp v9, v7 row_shr:1 row_mask:0xf bank_mask:0xf
	v_cmp_lt_u32_e64 s[26:27], 1, v8
	v_cndmask_b32_e64 v17, 0, v17, s[0:1]
	v_cmp_eq_u32_e64 s[0:1], 0, v8
	s_nop 1
	v_cndmask_b32_e64 v9, v9, 0, s[0:1]
	v_add_u32_e32 v7, v9, v7
	v_cndmask_b32_e64 v9, v17, 0, s[0:1]
	v_add_u32_e32 v6, v9, v6
	v_cmp_eq_u32_e64 s[0:1], 0, v7
	v_mov_b32_dpp v9, v7 row_shr:2 row_mask:0xf bank_mask:0xf
	v_mov_b32_dpp v17, v6 row_shr:2 row_mask:0xf bank_mask:0xf
	v_cndmask_b32_e64 v9, 0, v9, s[26:27]
	s_and_b64 s[0:1], s[26:27], s[0:1]
	v_cndmask_b32_e64 v17, 0, v17, s[0:1]
	v_add_u32_e32 v7, v7, v9
	v_add_u32_e32 v6, v17, v6
	v_cmp_eq_u32_e64 s[0:1], 0, v7
	v_mov_b32_dpp v9, v7 row_shr:4 row_mask:0xf bank_mask:0xf
	v_cmp_lt_u32_e64 s[26:27], 3, v8
	v_mov_b32_dpp v17, v6 row_shr:4 row_mask:0xf bank_mask:0xf
	s_and_b64 s[0:1], s[26:27], s[0:1]
	v_cndmask_b32_e64 v9, 0, v9, s[26:27]
	v_cndmask_b32_e64 v17, 0, v17, s[0:1]
	v_add_u32_e32 v7, v9, v7
	v_add_u32_e32 v6, v6, v17
	v_cmp_eq_u32_e64 s[0:1], 0, v7
	v_cmp_lt_u32_e64 s[26:27], 7, v8
	v_mov_b32_dpp v9, v7 row_shr:8 row_mask:0xf bank_mask:0xf
	v_mov_b32_dpp v17, v6 row_shr:8 row_mask:0xf bank_mask:0xf
	s_and_b64 s[0:1], s[26:27], s[0:1]
	v_cndmask_b32_e64 v8, 0, v9, s[26:27]
	v_cndmask_b32_e64 v9, 0, v17, s[0:1]
	v_add_u32_e32 v6, v9, v6
	v_add_u32_e32 v7, v8, v7
	v_bfe_i32 v17, v11, 4, 1
	v_mov_b32_dpp v9, v6 row_bcast:15 row_mask:0xf bank_mask:0xf
	v_mov_b32_dpp v8, v7 row_bcast:15 row_mask:0xf bank_mask:0xf
	v_cmp_eq_u32_e64 s[0:1], 0, v7
	v_and_b32_e32 v8, v17, v8
	v_add_u32_e32 v7, v8, v7
	v_cndmask_b32_e64 v9, 0, v9, s[0:1]
	v_and_b32_e32 v8, v17, v9
	v_add_u32_e32 v8, v8, v6
	v_mov_b32_dpp v6, v7 row_bcast:31 row_mask:0xf bank_mask:0xf
	v_cmp_eq_u32_e64 s[0:1], 0, v7
	v_cmp_lt_u32_e64 s[26:27], 31, v11
	v_mov_b32_dpp v9, v8 row_bcast:31 row_mask:0xf bank_mask:0xf
	s_and_b64 s[0:1], s[26:27], s[0:1]
	v_cndmask_b32_e64 v6, 0, v6, s[26:27]
	v_add_u32_e32 v6, v6, v7
	v_cndmask_b32_e64 v7, 0, v9, s[0:1]
	v_add_u32_e32 v7, v7, v8
	v_cmp_eq_u32_e64 s[0:1], v78, v0
	v_lshlrev_b32_e32 v9, 3, v77
	s_and_saveexec_b64 s[26:27], s[0:1]
	s_cbranch_execz .LBB953_91
; %bb.90:
	ds_write_b64 v9, v[6:7] offset:1040
.LBB953_91:
	s_or_b64 exec, exec, s[26:27]
	v_cmp_gt_u32_e64 s[0:1], 4, v0
	s_waitcnt lgkmcnt(0)
	s_barrier
	s_and_saveexec_b64 s[28:29], s[0:1]
	s_cbranch_execz .LBB953_93
; %bb.92:
	v_lshlrev_b32_e32 v8, 3, v0
	ds_read_b64 v[24:25], v8 offset:1040
	v_and_b32_e32 v17, 3, v11
	v_cmp_lt_u32_e64 s[26:27], 1, v17
	s_waitcnt lgkmcnt(0)
	v_mov_b32_dpp v27, v25 row_shr:1 row_mask:0xf bank_mask:0xf
	v_cmp_eq_u32_e64 s[0:1], 0, v24
	v_mov_b32_dpp v26, v24 row_shr:1 row_mask:0xf bank_mask:0xf
	s_nop 0
	v_cndmask_b32_e64 v27, 0, v27, s[0:1]
	v_cmp_eq_u32_e64 s[0:1], 0, v17
	s_nop 1
	v_cndmask_b32_e64 v26, v26, 0, s[0:1]
	v_add_u32_e32 v24, v26, v24
	v_cndmask_b32_e64 v26, v27, 0, s[0:1]
	v_add_u32_e32 v25, v26, v25
	v_cmp_eq_u32_e64 s[0:1], 0, v24
	v_mov_b32_dpp v26, v24 row_shr:2 row_mask:0xf bank_mask:0xf
	v_mov_b32_dpp v27, v25 row_shr:2 row_mask:0xf bank_mask:0xf
	v_cndmask_b32_e64 v17, 0, v26, s[26:27]
	s_and_b64 s[0:1], s[26:27], s[0:1]
	v_add_u32_e32 v24, v17, v24
	v_cndmask_b32_e64 v17, 0, v27, s[0:1]
	v_add_u32_e32 v25, v17, v25
	ds_write_b64 v8, v[24:25] offset:1040
.LBB953_93:
	s_or_b64 exec, exec, s[28:29]
	v_cmp_lt_u32_e64 s[0:1], 63, v0
	v_mov_b32_e32 v17, 0
	v_mov_b32_e32 v8, 0
	s_waitcnt vmcnt(0)
	v_mov_b32_e32 v24, v10
	s_waitcnt lgkmcnt(0)
	s_barrier
	s_and_saveexec_b64 s[26:27], s[0:1]
	s_cbranch_execz .LBB953_95
; %bb.94:
	ds_read_b64 v[8:9], v9 offset:1032
	s_waitcnt lgkmcnt(0)
	v_cmp_eq_u32_e64 s[0:1], 0, v8
	s_nop 1
	v_cndmask_b32_e64 v24, 0, v10, s[0:1]
	v_add_u32_e32 v24, v24, v9
.LBB953_95:
	s_or_b64 exec, exec, s[26:27]
	v_cmp_eq_u32_e64 s[0:1], 0, v6
	v_add_u32_e32 v9, v8, v6
	v_and_b32_e32 v25, 64, v11
	v_cndmask_b32_e64 v6, 0, v24, s[0:1]
	v_add_u32_e32 v6, v6, v7
	v_add_u32_e32 v7, -1, v11
	v_cmp_lt_i32_e64 s[0:1], v7, v25
	s_nop 1
	v_cndmask_b32_e64 v7, v7, v11, s[0:1]
	v_lshlrev_b32_e32 v7, 2, v7
	ds_bpermute_b32 v6, v7, v6
	ds_bpermute_b32 v9, v7, v9
	v_cmp_eq_u32_e64 s[0:1], 0, v11
	s_waitcnt lgkmcnt(1)
	s_nop 0
	v_cndmask_b32_e64 v6, v6, v24, s[0:1]
	s_waitcnt lgkmcnt(0)
	v_cndmask_b32_e64 v7, v9, v8, s[0:1]
	v_cndmask_b32_e64 v55, v6, v10, s[34:35]
	v_cmp_eq_u32_e64 s[0:1], 0, v69
	v_cndmask_b32_e64 v54, v7, 0, s[34:35]
	v_add_u32_e32 v52, v54, v69
	v_cndmask_b32_e64 v6, 0, v55, s[0:1]
	v_add_u32_e32 v53, v6, v22
	;; [unrolled: 2-line block ×10, first 2 shown]
	v_add_u32_e32 v50, v52, v68
	v_cndmask_b32_e64 v6, 0, v37, s[18:19]
	v_add_u32_e32 v48, v50, v67
	v_add_u32_e32 v35, v6, v72
	v_add_u32_e32 v46, v48, v66
	v_cndmask_b32_e64 v6, 0, v35, s[20:21]
	v_add_u32_e32 v44, v46, v65
	v_add_u32_e32 v33, v6, v19
	;; [unrolled: 4-line block ×3, first 2 shown]
	ds_read_b64 v[6:7], v17 offset:1064
	v_add_u32_e32 v38, v40, v62
	v_add_u32_e32 v36, v38, v61
	;; [unrolled: 1-line block ×3, first 2 shown]
	v_cndmask_b32_e64 v8, 0, v31, s[24:25]
	v_add_u32_e32 v32, v34, v59
	v_add_u32_e32 v29, v8, v16
	;; [unrolled: 1-line block ×3, first 2 shown]
	v_cndmask_b32_e32 v8, 0, v29, vcc
	s_waitcnt lgkmcnt(0)
	v_cmp_eq_u32_e32 vcc, 0, v6
	v_add_u32_e32 v28, v30, v57
	v_add_u32_e32 v27, v8, v70
	v_cndmask_b32_e32 v8, 0, v10, vcc
	v_add_u32_e32 v26, v28, v56
	v_add_u32_e32 v24, v8, v7
	s_and_saveexec_b64 s[0:1], s[34:35]
	s_cbranch_execz .LBB953_97
; %bb.96:
	s_add_u32 s2, s36, 0x400
	v_and_b32_e32 v7, 0xff000000, v24
	v_and_b32_e32 v8, 0xff0000, v24
	s_addc_u32 s3, s37, 0
	v_or_b32_e32 v7, v8, v7
	v_and_b32_e32 v8, 0xff00, v24
	v_and_b32_e32 v10, 0xff, v24
	v_mov_b32_e32 v9, 0
	v_or3_b32 v7, v7, v8, v10
	v_mov_b32_e32 v8, 2
	v_mov_b64_e32 v[10:11], s[2:3]
	;;#ASMSTART
	global_store_dwordx4 v[10:11], v[6:9] off sc1	
s_waitcnt vmcnt(0)
	;;#ASMEND
.LBB953_97:
	s_or_b64 exec, exec, s[0:1]
	v_mov_b32_e32 v8, 0
.LBB953_98:
	s_and_b64 s[0:1], s[38:39], exec
	s_cselect_b32 s1, 0, s31
	s_cselect_b32 s0, 0, s30
	s_cmp_eq_u64 s[0:1], 0
	v_mov_b64_e32 v[16:17], 0
	s_barrier
	s_cbranch_scc1 .LBB953_100
; %bb.99:
	v_mov_b32_e32 v7, 0
	global_load_dwordx2 v[16:17], v7, s[0:1]
.LBB953_100:
	s_waitcnt vmcnt(0)
	v_lshlrev_b64 v[10:11], 1, v[16:17]
	v_mov_b32_e32 v9, 0
	v_cmp_eq_u32_e32 vcc, 0, v69
	v_lshl_add_u64 v[10:11], s[44:45], 0, v[10:11]
	v_lshlrev_b64 v[18:19], 1, v[8:9]
	v_cndmask_b32_e64 v7, 1, 2, vcc
	v_cmp_eq_u32_e32 vcc, 0, v68
	v_lshl_add_u64 v[18:19], v[10:11], 0, v[18:19]
	s_movk_i32 s0, 0x100
	v_cndmask_b32_e64 v10, 1, 2, vcc
	v_cmp_eq_u32_e32 vcc, 0, v67
	v_and_b32_e32 v7, v10, v7
	v_cmp_ne_u32_e64 s[30:31], 0, v69
	v_cndmask_b32_e64 v10, 1, 2, vcc
	v_cmp_eq_u32_e32 vcc, 0, v66
	v_and_b32_e32 v7, v7, v10
	v_cmp_ne_u32_e64 s[28:29], 0, v68
	;; [unrolled: 4-line block ×13, first 2 shown]
	v_cndmask_b32_e64 v10, 1, 2, vcc
	v_and_b32_e32 v7, v7, v10
	v_cmp_gt_u32_e32 vcc, s0, v6
	v_cmp_ne_u32_e64 s[4:5], 0, v56
	v_cmp_ne_u32_e64 s[2:3], 0, v15
	s_mov_b64 s[36:37], -1
	v_cmp_gt_i16_e64 s[0:1], 2, v7
	s_cbranch_vccz .LBB953_107
; %bb.101:
	s_and_saveexec_b64 s[36:37], s[0:1]
	s_cbranch_execz .LBB953_106
; %bb.102:
	v_cmp_ne_u16_e32 vcc, 1, v7
	s_mov_b64 s[38:39], 0
	s_and_saveexec_b64 s[0:1], vcc
	s_xor_b64 s[0:1], exec, s[0:1]
	s_cbranch_execnz .LBB953_151
; %bb.103:
	s_andn2_saveexec_b64 s[0:1], s[0:1]
	s_cbranch_execnz .LBB953_167
.LBB953_104:
	s_or_b64 exec, exec, s[0:1]
	s_and_b64 exec, exec, s[38:39]
	s_cbranch_execz .LBB953_106
.LBB953_105:
	v_sub_u32_e32 v10, v26, v8
	v_mov_b32_e32 v11, 0
	v_lshl_add_u64 v[10:11], v[10:11], 1, v[18:19]
	global_store_short_d16_hi v[10:11], v14, off
.LBB953_106:
	s_or_b64 exec, exec, s[36:37]
	s_mov_b64 s[36:37], 0
.LBB953_107:
	s_and_b64 vcc, exec, s[36:37]
	s_cbranch_vccz .LBB953_129
; %bb.108:
	v_cmp_gt_i16_e32 vcc, 2, v7
	s_and_saveexec_b64 s[0:1], vcc
	s_cbranch_execz .LBB953_113
; %bb.109:
	v_cmp_ne_u16_e32 vcc, 1, v7
	s_mov_b64 s[38:39], 0
	s_and_saveexec_b64 s[36:37], vcc
	s_xor_b64 s[36:37], exec, s[36:37]
	s_cbranch_execnz .LBB953_168
; %bb.110:
	s_andn2_saveexec_b64 s[2:3], s[36:37]
	s_cbranch_execnz .LBB953_184
.LBB953_111:
	s_or_b64 exec, exec, s[2:3]
	s_and_b64 exec, exec, s[38:39]
	s_cbranch_execz .LBB953_113
.LBB953_112:
	v_sub_u32_e32 v1, v26, v8
	v_lshlrev_b32_e32 v1, 1, v1
	ds_write_b16_d16_hi v1, v14
.LBB953_113:
	s_or_b64 exec, exec, s[0:1]
	v_cmp_lt_u32_e32 vcc, v0, v6
	s_waitcnt lgkmcnt(0)
	s_barrier
	s_and_saveexec_b64 s[0:1], vcc
	s_cbranch_execz .LBB953_128
; %bb.114:
	v_xad_u32 v1, v0, -1, v6
	s_movk_i32 s2, 0x1700
	s_movk_i32 s4, 0x16ff
	v_cmp_gt_u32_e64 s[2:3], s2, v1
	v_cmp_lt_u32_e32 vcc, s4, v1
	v_mov_b32_e32 v2, v0
	s_and_saveexec_b64 s[4:5], vcc
	s_cbranch_execz .LBB953_125
; %bb.115:
	v_sub_u32_e32 v2, v0, v6
	v_or_b32_e32 v2, 0xff, v2
	v_cmp_ge_u32_e32 vcc, v2, v0
	s_mov_b64 s[8:9], -1
	v_mov_b32_e32 v2, v0
	s_and_saveexec_b64 s[6:7], vcc
	s_cbranch_execz .LBB953_124
; %bb.116:
	v_lshrrev_b32_e32 v7, 8, v1
	v_or_b32_e32 v3, 0x300, v0
	v_or_b32_e32 v2, 0x200, v0
	v_add_u32_e32 v4, -3, v7
	v_or_b32_e32 v1, 0x100, v0
	v_lshrrev_b32_e32 v5, 2, v4
	v_mov_b64_e32 v[12:13], v[2:3]
	v_add_u32_e32 v20, 1, v5
	v_cmp_lt_u32_e32 vcc, 11, v4
	v_mov_b32_e32 v23, 0
	v_lshlrev_b32_e32 v14, 1, v0
	v_mov_b64_e32 v[10:11], v[0:1]
	s_and_saveexec_b64 s[8:9], vcc
	s_cbranch_execz .LBB953_120
; %bb.117:
	v_mov_b64_e32 v[12:13], v[2:3]
	v_and_b32_e32 v21, 0x7ffffffc, v20
	s_mov_b32 s12, 0
	s_mov_b64 s[10:11], 0
	v_mov_b32_e32 v5, 0
	v_mov_b32_e32 v22, v14
	v_mov_b64_e32 v[10:11], v[0:1]
.LBB953_118:                            ; =>This Inner Loop Header: Depth=1
	v_mov_b32_e32 v4, v10
	ds_read_u16 v1, v22
	ds_read_u16 v25, v22 offset:512
	ds_read_u16 v94, v22 offset:1024
	;; [unrolled: 1-line block ×7, first 2 shown]
	v_lshl_add_u64 v[86:87], v[4:5], 1, v[18:19]
	v_mov_b32_e32 v4, v11
	v_lshl_add_u64 v[88:89], v[4:5], 1, v[18:19]
	v_mov_b32_e32 v4, v12
	ds_read_u16 v100, v22 offset:4096
	ds_read_u16 v101, v22 offset:4608
	;; [unrolled: 1-line block ×8, first 2 shown]
	v_lshl_add_u64 v[90:91], v[4:5], 1, v[18:19]
	v_mov_b32_e32 v4, v13
	v_add_u32_e32 v2, 0x400, v13
	v_mov_b32_e32 v3, v5
	v_lshl_add_u64 v[92:93], v[4:5], 1, v[18:19]
	v_add_u32_e32 v4, 0x400, v10
	v_add_u32_e32 v70, 0x400, v12
	;; [unrolled: 1-line block ×3, first 2 shown]
	v_mov_b32_e32 v73, v5
	v_mov_b32_e32 v71, v5
	v_add_u32_e32 v21, -4, v21
	v_lshl_add_u64 v[2:3], v[2:3], 1, v[18:19]
	s_waitcnt lgkmcnt(14)
	global_store_short v[86:87], v1, off
	global_store_short v[88:89], v25, off
	s_waitcnt lgkmcnt(13)
	global_store_short v[90:91], v94, off
	s_waitcnt lgkmcnt(12)
	global_store_short v[92:93], v95, off
	v_lshl_add_u64 v[86:87], v[4:5], 1, v[18:19]
	v_add_u32_e32 v4, 0x800, v10
	v_add_u32_e32 v74, 0x800, v13
	v_add_u32_e32 v76, 0x800, v12
	v_add_u32_e32 v78, 0x800, v11
	v_mov_b32_e32 v79, v5
	v_mov_b32_e32 v77, v5
	;; [unrolled: 1-line block ×3, first 2 shown]
	s_add_i32 s12, s12, 16
	v_lshl_add_u64 v[72:73], v[72:73], 1, v[18:19]
	v_lshl_add_u64 v[70:71], v[70:71], 1, v[18:19]
	v_cmp_eq_u32_e32 vcc, 0, v21
	s_waitcnt lgkmcnt(11)
	global_store_short v[86:87], v96, off
	s_waitcnt lgkmcnt(10)
	global_store_short v[72:73], v97, off
	;; [unrolled: 2-line block ×4, first 2 shown]
	v_lshl_add_u64 v[2:3], v[4:5], 1, v[18:19]
	v_add_u32_e32 v4, 0xc00, v10
	v_add_u32_e32 v80, 0xc00, v13
	;; [unrolled: 1-line block ×4, first 2 shown]
	v_mov_b32_e32 v85, v5
	v_mov_b32_e32 v83, v5
	;; [unrolled: 1-line block ×3, first 2 shown]
	v_add_u32_e32 v22, 0x2000, v22
	v_lshl_add_u64 v[78:79], v[78:79], 1, v[18:19]
	v_lshl_add_u64 v[76:77], v[76:77], 1, v[18:19]
	;; [unrolled: 1-line block ×3, first 2 shown]
	v_add_u32_e32 v11, 0x1000, v11
	v_mov_b32_e32 v23, s12
	v_add_u32_e32 v12, 0x1000, v12
	s_or_b64 s[10:11], vcc, s[10:11]
	v_add_u32_e32 v13, 0x1000, v13
	v_add_u32_e32 v10, 0x1000, v10
	s_waitcnt lgkmcnt(7)
	global_store_short v[2:3], v100, off
	s_waitcnt lgkmcnt(6)
	global_store_short v[78:79], v101, off
	;; [unrolled: 2-line block ×4, first 2 shown]
	v_lshl_add_u64 v[2:3], v[4:5], 1, v[18:19]
	v_lshl_add_u64 v[84:85], v[84:85], 1, v[18:19]
	;; [unrolled: 1-line block ×4, first 2 shown]
	s_waitcnt lgkmcnt(3)
	global_store_short v[2:3], v104, off
	s_waitcnt lgkmcnt(2)
	global_store_short v[84:85], v105, off
	;; [unrolled: 2-line block ×4, first 2 shown]
	s_andn2_b64 exec, exec, s[10:11]
	s_cbranch_execnz .LBB953_118
; %bb.119:
	s_or_b64 exec, exec, s[10:11]
.LBB953_120:
	s_or_b64 exec, exec, s[8:9]
	v_and_b32_e32 v1, 3, v20
	v_cmp_ne_u32_e32 vcc, 0, v1
	s_and_saveexec_b64 s[8:9], vcc
	s_cbranch_execz .LBB953_123
; %bb.121:
	v_lshl_or_b32 v4, v23, 9, v14
	s_mov_b64 s[10:11], 0
	v_mov_b32_e32 v3, 0
.LBB953_122:                            ; =>This Inner Loop Header: Depth=1
	ds_read_u16 v5, v4
	ds_read_u16 v14, v4 offset:512
	ds_read_u16 v25, v4 offset:1024
	ds_read_u16 v74, v4 offset:1536
	v_mov_b32_e32 v2, v10
	v_add_u32_e32 v1, -1, v1
	v_lshl_add_u64 v[20:21], v[2:3], 1, v[18:19]
	v_mov_b32_e32 v2, v11
	v_cmp_eq_u32_e32 vcc, 0, v1
	v_lshl_add_u64 v[22:23], v[2:3], 1, v[18:19]
	v_mov_b32_e32 v2, v12
	v_add_u32_e32 v10, 0x400, v10
	v_add_u32_e32 v4, 0x800, v4
	;; [unrolled: 1-line block ×4, first 2 shown]
	s_or_b64 s[10:11], vcc, s[10:11]
	v_lshl_add_u64 v[70:71], v[2:3], 1, v[18:19]
	v_mov_b32_e32 v2, v13
	v_add_u32_e32 v13, 0x400, v13
	v_lshl_add_u64 v[72:73], v[2:3], 1, v[18:19]
	s_waitcnt lgkmcnt(3)
	global_store_short v[20:21], v5, off
	s_waitcnt lgkmcnt(2)
	global_store_short v[22:23], v14, off
	;; [unrolled: 2-line block ×4, first 2 shown]
	s_andn2_b64 exec, exec, s[10:11]
	s_cbranch_execnz .LBB953_122
.LBB953_123:
	s_or_b64 exec, exec, s[8:9]
	v_add_u32_e32 v1, 1, v7
	v_and_b32_e32 v3, 0x1fffffc, v1
	v_cmp_ne_u32_e32 vcc, v1, v3
	v_lshl_or_b32 v2, v3, 8, v0
	s_orn2_b64 s[8:9], vcc, exec
.LBB953_124:
	s_or_b64 exec, exec, s[6:7]
	s_andn2_b64 s[2:3], s[2:3], exec
	s_and_b64 s[6:7], s[8:9], exec
	s_or_b64 s[2:3], s[2:3], s[6:7]
.LBB953_125:
	s_or_b64 exec, exec, s[4:5]
	s_and_b64 exec, exec, s[2:3]
	s_cbranch_execz .LBB953_128
; %bb.126:
	v_lshlrev_b32_e32 v1, 1, v2
	s_mov_b64 s[2:3], 0
	v_mov_b32_e32 v3, 0
.LBB953_127:                            ; =>This Inner Loop Header: Depth=1
	ds_read_u16 v7, v1
	v_lshl_add_u64 v[4:5], v[2:3], 1, v[18:19]
	v_add_u32_e32 v2, 0x100, v2
	v_cmp_ge_u32_e32 vcc, v2, v6
	v_add_u32_e32 v1, 0x200, v1
	s_or_b64 s[2:3], vcc, s[2:3]
	s_waitcnt lgkmcnt(0)
	global_store_short v[4:5], v7, off
	s_andn2_b64 exec, exec, s[2:3]
	s_cbranch_execnz .LBB953_127
.LBB953_128:
	s_or_b64 exec, exec, s[0:1]
.LBB953_129:
	s_cmpk_lg_i32 s33, 0xf00
	s_cselect_b64 s[0:1], -1, 0
	v_cndmask_b32_e64 v7, 0, 1, s[42:43]
	s_and_b64 s[0:1], s[0:1], s[40:41]
	v_sub_u32_e32 v1, v6, v7
	v_cndmask_b32_e64 v2, 0, 1, s[0:1]
	s_and_b64 s[0:1], s[34:35], s[42:43]
	v_add_u32_e32 v1, v1, v2
	v_cndmask_b32_e64 v2, v69, 0, s[0:1]
	s_mul_hi_u32 s0, s33, 0x88888889
	s_lshr_b32 s0, s0, 3
	v_mad_i32_i24 v3, v0, -15, s33
	v_cmp_eq_u32_e32 vcc, s0, v0
	v_cmp_ne_u32_e64 s[0:1], 0, v3
	s_and_b64 vcc, vcc, s[40:41]
	s_movk_i32 s30, 0x100
	v_cndmask_b32_e64 v4, 1, v2, s[0:1]
	v_cmp_ne_u32_e64 s[0:1], 1, v3
	s_mov_b64 s[34:35], -1
	s_nop 0
	v_cndmask_b32_e64 v5, 1, v68, s[0:1]
	v_cmp_ne_u32_e64 s[0:1], 2, v3
	s_barrier
	s_nop 0
	v_cndmask_b32_e64 v10, 1, v67, s[0:1]
	v_cmp_ne_u32_e64 s[0:1], 3, v3
	v_cndmask_b32_e32 v10, v67, v10, vcc
	v_cmp_ne_u32_e64 s[24:25], 0, v10
	v_cndmask_b32_e64 v11, 1, v66, s[0:1]
	v_cmp_ne_u32_e64 s[0:1], 4, v3
	v_cndmask_b32_e32 v11, v66, v11, vcc
	v_cmp_ne_u32_e64 s[22:23], 0, v11
	;; [unrolled: 4-line block ×10, first 2 shown]
	v_cndmask_b32_e64 v23, 1, v57, s[0:1]
	v_cmp_ne_u32_e64 s[0:1], 13, v3
	v_cndmask_b32_e32 v23, v57, v23, vcc
	v_cndmask_b32_e32 v57, v2, v4, vcc
	v_cndmask_b32_e64 v25, 1, v56, s[0:1]
	v_cmp_ne_u32_e64 s[0:1], 14, v3
	v_cndmask_b32_e32 v25, v56, v25, vcc
	v_cndmask_b32_e32 v56, v68, v5, vcc
	v_cndmask_b32_e64 v3, 1, v15, s[0:1]
	v_cndmask_b32_e32 v15, v15, v3, vcc
	v_cmp_eq_u32_e32 vcc, 0, v57
	v_cmp_ne_u32_e64 s[28:29], 0, v57
	v_cmp_ne_u32_e64 s[26:27], 0, v56
	v_cndmask_b32_e64 v57, 1, 2, vcc
	v_cmp_eq_u32_e32 vcc, 0, v56
	v_lshlrev_b64 v[2:3], 3, v[16:17]
	v_lshl_add_u64 v[2:3], s[46:47], 0, v[2:3]
	v_cndmask_b32_e64 v56, 1, 2, vcc
	v_cmp_eq_u32_e32 vcc, 0, v10
	v_and_b32_e32 v56, v56, v57
	v_lshlrev_b64 v[4:5], 3, v[8:9]
	v_cndmask_b32_e64 v10, 1, 2, vcc
	v_cmp_eq_u32_e32 vcc, 0, v11
	v_and_b32_e32 v10, v56, v10
	v_lshl_add_u64 v[2:3], v[2:3], 0, v[4:5]
	v_cndmask_b32_e64 v11, 1, 2, vcc
	v_cmp_eq_u32_e32 vcc, 0, v12
	v_and_b32_e32 v10, v10, v11
	v_lshlrev_b32_e32 v4, 3, v7
	v_cndmask_b32_e64 v11, 1, 2, vcc
	v_cmp_eq_u32_e32 vcc, 0, v13
	v_and_b32_e32 v10, v10, v11
	v_mov_b32_e32 v5, 0
	v_cndmask_b32_e64 v11, 1, 2, vcc
	v_cmp_eq_u32_e32 vcc, 0, v14
	v_and_b32_e32 v10, v10, v11
	v_lshl_add_u64 v[4:5], v[4:5], 0, v[2:3]
	v_cndmask_b32_e64 v11, 1, 2, vcc
	v_cmp_eq_u32_e32 vcc, 0, v18
	v_and_b32_e32 v10, v10, v11
	v_lshl_add_u64 v[4:5], v[4:5], 0, -8
	v_cndmask_b32_e64 v11, 1, 2, vcc
	v_cmp_eq_u32_e32 vcc, 0, v19
	v_and_b32_e32 v10, v10, v11
	v_add_u32_e32 v7, v8, v7
	v_cndmask_b32_e64 v11, 1, 2, vcc
	v_cmp_eq_u32_e32 vcc, 0, v20
	v_and_b32_e32 v10, v10, v11
	v_cmp_ne_u32_e64 s[4:5], 0, v23
	v_cndmask_b32_e64 v11, 1, 2, vcc
	v_cmp_eq_u32_e32 vcc, 0, v21
	v_and_b32_e32 v10, v10, v11
	v_cmp_ne_u32_e64 s[2:3], 0, v25
	;; [unrolled: 4-line block ×3, first 2 shown]
	v_cndmask_b32_e64 v11, 1, 2, vcc
	v_cmp_eq_u32_e32 vcc, 0, v23
	v_and_b32_e32 v10, v10, v11
	s_nop 0
	v_cndmask_b32_e64 v11, 1, 2, vcc
	v_cmp_eq_u32_e32 vcc, 0, v25
	v_and_b32_e32 v10, v10, v11
	s_nop 0
	;; [unrolled: 4-line block ×3, first 2 shown]
	v_cndmask_b32_e64 v11, 1, 2, vcc
	v_and_b32_e32 v10, v10, v11
	v_cmp_gt_u32_e32 vcc, s30, v1
	v_cmp_gt_i16_e64 s[30:31], 2, v10
	s_cbranch_vccz .LBB953_136
; %bb.130:
	s_and_saveexec_b64 s[34:35], s[30:31]
	s_cbranch_execz .LBB953_135
; %bb.131:
	v_cmp_ne_u16_e32 vcc, 1, v10
	s_mov_b64 s[36:37], 0
	s_and_saveexec_b64 s[30:31], vcc
	s_xor_b64 s[30:31], exec, s[30:31]
	s_cbranch_execnz .LBB953_185
; %bb.132:
	s_andn2_saveexec_b64 s[30:31], s[30:31]
	s_cbranch_execnz .LBB953_201
.LBB953_133:
	s_or_b64 exec, exec, s[30:31]
	s_and_b64 exec, exec, s[36:37]
	s_cbranch_execz .LBB953_135
.LBB953_134:
	v_mov_b32_e32 v13, 0
	v_sub_u32_e32 v14, v26, v7
	v_mov_b32_e32 v15, v13
	v_mov_b32_e32 v12, v27
	v_lshl_add_u64 v[14:15], v[14:15], 3, v[4:5]
	global_store_dwordx2 v[14:15], v[12:13], off
.LBB953_135:
	s_or_b64 exec, exec, s[34:35]
	s_mov_b64 s[34:35], 0
.LBB953_136:
	s_and_b64 vcc, exec, s[34:35]
	s_cbranch_vccz .LBB953_146
; %bb.137:
	v_cmp_gt_i16_e32 vcc, 2, v10
	s_and_saveexec_b64 s[30:31], vcc
	s_cbranch_execz .LBB953_142
; %bb.138:
	v_cmp_ne_u16_e32 vcc, 1, v10
	s_mov_b64 s[36:37], 0
	s_and_saveexec_b64 s[34:35], vcc
	s_xor_b64 s[34:35], exec, s[34:35]
	s_cbranch_execnz .LBB953_202
; %bb.139:
	s_andn2_saveexec_b64 s[0:1], s[34:35]
	s_cbranch_execnz .LBB953_218
.LBB953_140:
	s_or_b64 exec, exec, s[0:1]
	s_and_b64 exec, exec, s[36:37]
	s_cbranch_execz .LBB953_142
.LBB953_141:
	v_sub_u32_e32 v7, v26, v7
	v_lshlrev_b32_e32 v7, 2, v7
	ds_write_b32 v7, v27
.LBB953_142:
	s_or_b64 exec, exec, s[30:31]
	v_cmp_lt_u32_e32 vcc, v0, v1
	s_waitcnt lgkmcnt(0)
	s_barrier
	s_and_saveexec_b64 s[0:1], vcc
	s_cbranch_execz .LBB953_145
; %bb.143:
	v_lshlrev_b32_e32 v7, 2, v0
	s_mov_b64 s[2:3], 0
	v_mov_b32_e32 v11, 0
	v_mov_b32_e32 v10, v0
.LBB953_144:                            ; =>This Inner Loop Header: Depth=1
	ds_read_b32 v12, v7
	v_lshl_add_u64 v[14:15], v[10:11], 3, v[4:5]
	v_add_u32_e32 v10, 0x100, v10
	v_cmp_ge_u32_e32 vcc, v10, v1
	v_mov_b32_e32 v13, v11
	v_add_u32_e32 v7, 0x400, v7
	s_or_b64 s[2:3], vcc, s[2:3]
	s_waitcnt lgkmcnt(0)
	global_store_dwordx2 v[14:15], v[12:13], off
	s_andn2_b64 exec, exec, s[2:3]
	s_cbranch_execnz .LBB953_144
.LBB953_145:
	s_or_b64 exec, exec, s[0:1]
.LBB953_146:
	s_movk_i32 s0, 0xff
	v_cmp_eq_u32_e32 vcc, s0, v0
	s_and_b64 s[0:1], vcc, s[40:41]
	s_and_saveexec_b64 s[2:3], s[0:1]
	s_cbranch_execz .LBB953_149
; %bb.147:
	v_mov_b32_e32 v7, 0
	v_lshl_add_u64 v[0:1], v[6:7], 0, v[8:9]
	v_lshl_add_u64 v[0:1], v[0:1], 0, v[16:17]
	s_cmpk_lg_i32 s33, 0xf00
	global_store_dwordx2 v7, v[0:1], s[48:49]
	s_cbranch_scc1 .LBB953_149
; %bb.148:
	v_lshlrev_b64 v[0:1], 3, v[6:7]
	v_mov_b32_e32 v25, v7
	v_lshl_add_u64 v[0:1], v[2:3], 0, v[0:1]
	global_store_dwordx2 v[0:1], v[24:25], off offset:-8
.LBB953_149:
	s_endpgm
.LBB953_150:
	s_or_b64 exec, exec, s[4:5]
	v_mov_b32_e32 v69, s12
	s_and_saveexec_b64 s[2:3], s[6:7]
	s_cbranch_execnz .LBB953_58
	s_branch .LBB953_59
.LBB953_151:
	s_and_saveexec_b64 s[38:39], s[30:31]
	s_cbranch_execnz .LBB953_219
; %bb.152:
	s_or_b64 exec, exec, s[38:39]
	s_and_saveexec_b64 s[38:39], s[28:29]
	s_cbranch_execnz .LBB953_220
.LBB953_153:
	s_or_b64 exec, exec, s[38:39]
	s_and_saveexec_b64 s[38:39], s[26:27]
	s_cbranch_execnz .LBB953_221
.LBB953_154:
	s_or_b64 exec, exec, s[38:39]
	s_and_saveexec_b64 s[38:39], s[24:25]
	s_cbranch_execnz .LBB953_222
.LBB953_155:
	s_or_b64 exec, exec, s[38:39]
	s_and_saveexec_b64 s[38:39], s[22:23]
	s_cbranch_execnz .LBB953_223
.LBB953_156:
	s_or_b64 exec, exec, s[38:39]
	s_and_saveexec_b64 s[38:39], s[20:21]
	s_cbranch_execnz .LBB953_224
.LBB953_157:
	s_or_b64 exec, exec, s[38:39]
	s_and_saveexec_b64 s[38:39], s[18:19]
	s_cbranch_execnz .LBB953_225
.LBB953_158:
	s_or_b64 exec, exec, s[38:39]
	s_and_saveexec_b64 s[38:39], s[16:17]
	s_cbranch_execnz .LBB953_226
.LBB953_159:
	s_or_b64 exec, exec, s[38:39]
	s_and_saveexec_b64 s[38:39], s[14:15]
	s_cbranch_execnz .LBB953_227
.LBB953_160:
	s_or_b64 exec, exec, s[38:39]
	s_and_saveexec_b64 s[38:39], s[12:13]
	s_cbranch_execnz .LBB953_228
.LBB953_161:
	s_or_b64 exec, exec, s[38:39]
	s_and_saveexec_b64 s[38:39], s[10:11]
	s_cbranch_execnz .LBB953_229
.LBB953_162:
	s_or_b64 exec, exec, s[38:39]
	s_and_saveexec_b64 s[38:39], s[8:9]
	s_cbranch_execnz .LBB953_230
.LBB953_163:
	s_or_b64 exec, exec, s[38:39]
	s_and_saveexec_b64 s[38:39], s[6:7]
	s_cbranch_execnz .LBB953_231
.LBB953_164:
	s_or_b64 exec, exec, s[38:39]
	s_and_saveexec_b64 s[38:39], s[4:5]
	s_cbranch_execz .LBB953_166
.LBB953_165:
	v_sub_u32_e32 v10, v28, v8
	v_mov_b32_e32 v11, 0
	v_lshl_add_u64 v[10:11], v[10:11], 1, v[18:19]
	global_store_short v[10:11], v14, off
.LBB953_166:
	s_or_b64 exec, exec, s[38:39]
	s_and_b64 s[38:39], s[2:3], exec
	s_andn2_saveexec_b64 s[0:1], s[0:1]
	s_cbranch_execz .LBB953_104
.LBB953_167:
	v_sub_u32_e32 v10, v54, v8
	v_mov_b32_e32 v11, 0
	v_lshl_add_u64 v[20:21], v[10:11], 1, v[18:19]
	v_sub_u32_e32 v10, v52, v8
	global_store_short v[20:21], v1, off
	v_lshl_add_u64 v[20:21], v[10:11], 1, v[18:19]
	v_sub_u32_e32 v10, v50, v8
	global_store_short v[20:21], v2, off
	v_lshl_add_u64 v[20:21], v[10:11], 1, v[18:19]
	v_sub_u32_e32 v10, v48, v8
	global_store_short_d16_hi v[20:21], v2, off
	v_lshl_add_u64 v[20:21], v[10:11], 1, v[18:19]
	v_sub_u32_e32 v10, v46, v8
	global_store_short v[20:21], v3, off
	v_lshl_add_u64 v[20:21], v[10:11], 1, v[18:19]
	v_sub_u32_e32 v10, v44, v8
	global_store_short_d16_hi v[20:21], v3, off
	;; [unrolled: 6-line block ×5, first 2 shown]
	v_lshl_add_u64 v[20:21], v[10:11], 1, v[18:19]
	v_sub_u32_e32 v10, v30, v8
	global_store_short v[20:21], v13, off
	v_lshl_add_u64 v[20:21], v[10:11], 1, v[18:19]
	v_sub_u32_e32 v10, v28, v8
	v_lshl_add_u64 v[10:11], v[10:11], 1, v[18:19]
	s_or_b64 s[38:39], s[38:39], exec
	global_store_short_d16_hi v[20:21], v13, off
	global_store_short v[10:11], v14, off
	s_or_b64 exec, exec, s[0:1]
	s_and_b64 exec, exec, s[38:39]
	s_cbranch_execnz .LBB953_105
	s_branch .LBB953_106
.LBB953_168:
	s_and_saveexec_b64 s[38:39], s[30:31]
	s_cbranch_execnz .LBB953_232
; %bb.169:
	s_or_b64 exec, exec, s[38:39]
	s_and_saveexec_b64 s[30:31], s[28:29]
	s_cbranch_execnz .LBB953_233
.LBB953_170:
	s_or_b64 exec, exec, s[30:31]
	s_and_saveexec_b64 s[28:29], s[26:27]
	s_cbranch_execnz .LBB953_234
.LBB953_171:
	s_or_b64 exec, exec, s[28:29]
	s_and_saveexec_b64 s[26:27], s[24:25]
	s_cbranch_execnz .LBB953_235
.LBB953_172:
	s_or_b64 exec, exec, s[26:27]
	s_and_saveexec_b64 s[24:25], s[22:23]
	s_cbranch_execnz .LBB953_236
.LBB953_173:
	s_or_b64 exec, exec, s[24:25]
	s_and_saveexec_b64 s[22:23], s[20:21]
	s_cbranch_execnz .LBB953_237
.LBB953_174:
	s_or_b64 exec, exec, s[22:23]
	s_and_saveexec_b64 s[20:21], s[18:19]
	s_cbranch_execnz .LBB953_238
.LBB953_175:
	s_or_b64 exec, exec, s[20:21]
	s_and_saveexec_b64 s[18:19], s[16:17]
	s_cbranch_execnz .LBB953_239
.LBB953_176:
	s_or_b64 exec, exec, s[18:19]
	s_and_saveexec_b64 s[16:17], s[14:15]
	s_cbranch_execnz .LBB953_240
.LBB953_177:
	s_or_b64 exec, exec, s[16:17]
	s_and_saveexec_b64 s[14:15], s[12:13]
	s_cbranch_execnz .LBB953_241
.LBB953_178:
	s_or_b64 exec, exec, s[14:15]
	s_and_saveexec_b64 s[12:13], s[10:11]
	s_cbranch_execnz .LBB953_242
.LBB953_179:
	s_or_b64 exec, exec, s[12:13]
	s_and_saveexec_b64 s[10:11], s[8:9]
	s_cbranch_execnz .LBB953_243
.LBB953_180:
	s_or_b64 exec, exec, s[10:11]
	s_and_saveexec_b64 s[8:9], s[6:7]
	s_cbranch_execnz .LBB953_244
.LBB953_181:
	s_or_b64 exec, exec, s[8:9]
	s_and_saveexec_b64 s[6:7], s[4:5]
	s_cbranch_execz .LBB953_183
.LBB953_182:
	v_sub_u32_e32 v1, v28, v8
	v_lshlrev_b32_e32 v1, 1, v1
	ds_write_b16 v1, v14
.LBB953_183:
	s_or_b64 exec, exec, s[6:7]
	s_and_b64 s[38:39], s[2:3], exec
                                        ; implicit-def: $vgpr1
                                        ; implicit-def: $vgpr2
	s_andn2_saveexec_b64 s[2:3], s[36:37]
	s_cbranch_execz .LBB953_111
.LBB953_184:
	v_sub_u32_e32 v7, v54, v8
	v_lshlrev_b32_e32 v7, 1, v7
	ds_write_b16 v7, v1
	v_sub_u32_e32 v1, v52, v8
	v_lshlrev_b32_e32 v1, 1, v1
	ds_write_b16 v1, v2
	v_sub_u32_e32 v1, v50, v8
	v_lshlrev_b32_e32 v1, 1, v1
	ds_write_b16_d16_hi v1, v2
	v_sub_u32_e32 v1, v48, v8
	v_lshlrev_b32_e32 v1, 1, v1
	ds_write_b16 v1, v3
	v_sub_u32_e32 v1, v46, v8
	v_lshlrev_b32_e32 v1, 1, v1
	ds_write_b16_d16_hi v1, v3
	;; [unrolled: 6-line block ×6, first 2 shown]
	v_sub_u32_e32 v1, v28, v8
	v_lshlrev_b32_e32 v1, 1, v1
	s_or_b64 s[38:39], s[38:39], exec
	ds_write_b16 v1, v14
	s_or_b64 exec, exec, s[2:3]
	s_and_b64 exec, exec, s[38:39]
	s_cbranch_execnz .LBB953_112
	s_branch .LBB953_113
.LBB953_185:
	s_and_saveexec_b64 s[36:37], s[28:29]
	s_cbranch_execnz .LBB953_245
; %bb.186:
	s_or_b64 exec, exec, s[36:37]
	s_and_saveexec_b64 s[36:37], s[26:27]
	s_cbranch_execnz .LBB953_246
.LBB953_187:
	s_or_b64 exec, exec, s[36:37]
	s_and_saveexec_b64 s[36:37], s[24:25]
	s_cbranch_execnz .LBB953_247
.LBB953_188:
	s_or_b64 exec, exec, s[36:37]
	s_and_saveexec_b64 s[36:37], s[22:23]
	s_cbranch_execnz .LBB953_248
.LBB953_189:
	s_or_b64 exec, exec, s[36:37]
	s_and_saveexec_b64 s[36:37], s[20:21]
	s_cbranch_execnz .LBB953_249
.LBB953_190:
	s_or_b64 exec, exec, s[36:37]
	s_and_saveexec_b64 s[36:37], s[18:19]
	s_cbranch_execnz .LBB953_250
.LBB953_191:
	s_or_b64 exec, exec, s[36:37]
	s_and_saveexec_b64 s[36:37], s[16:17]
	s_cbranch_execnz .LBB953_251
.LBB953_192:
	s_or_b64 exec, exec, s[36:37]
	s_and_saveexec_b64 s[36:37], s[14:15]
	s_cbranch_execnz .LBB953_252
.LBB953_193:
	s_or_b64 exec, exec, s[36:37]
	s_and_saveexec_b64 s[36:37], s[12:13]
	s_cbranch_execnz .LBB953_253
.LBB953_194:
	s_or_b64 exec, exec, s[36:37]
	s_and_saveexec_b64 s[36:37], s[10:11]
	s_cbranch_execnz .LBB953_254
.LBB953_195:
	s_or_b64 exec, exec, s[36:37]
	s_and_saveexec_b64 s[36:37], s[8:9]
	s_cbranch_execnz .LBB953_255
.LBB953_196:
	s_or_b64 exec, exec, s[36:37]
	s_and_saveexec_b64 s[36:37], s[6:7]
	s_cbranch_execnz .LBB953_256
.LBB953_197:
	s_or_b64 exec, exec, s[36:37]
	s_and_saveexec_b64 s[36:37], s[4:5]
	s_cbranch_execnz .LBB953_257
.LBB953_198:
	s_or_b64 exec, exec, s[36:37]
	s_and_saveexec_b64 s[36:37], s[2:3]
	s_cbranch_execz .LBB953_200
.LBB953_199:
	v_sub_u32_e32 v12, v28, v7
	v_mov_b32_e32 v13, 0
	v_lshl_add_u64 v[14:15], v[12:13], 3, v[4:5]
	v_mov_b32_e32 v12, v29
	global_store_dwordx2 v[14:15], v[12:13], off
.LBB953_200:
	s_or_b64 exec, exec, s[36:37]
	s_and_b64 s[36:37], s[0:1], exec
	s_andn2_saveexec_b64 s[30:31], s[30:31]
	s_cbranch_execz .LBB953_133
.LBB953_201:
	v_mov_b32_e32 v13, 0
	v_sub_u32_e32 v14, v54, v7
	v_mov_b32_e32 v15, v13
	v_mov_b32_e32 v12, v55
	v_lshl_add_u64 v[14:15], v[14:15], 3, v[4:5]
	global_store_dwordx2 v[14:15], v[12:13], off
	v_sub_u32_e32 v14, v52, v7
	v_mov_b32_e32 v15, v13
	v_mov_b32_e32 v12, v53
	v_lshl_add_u64 v[14:15], v[14:15], 3, v[4:5]
	global_store_dwordx2 v[14:15], v[12:13], off
	;; [unrolled: 5-line block ×13, first 2 shown]
	v_sub_u32_e32 v14, v28, v7
	v_mov_b32_e32 v15, v13
	v_mov_b32_e32 v12, v29
	v_lshl_add_u64 v[14:15], v[14:15], 3, v[4:5]
	s_or_b64 s[36:37], s[36:37], exec
	global_store_dwordx2 v[14:15], v[12:13], off
	s_or_b64 exec, exec, s[30:31]
	s_and_b64 exec, exec, s[36:37]
	s_cbranch_execnz .LBB953_134
	s_branch .LBB953_135
.LBB953_202:
	s_and_saveexec_b64 s[36:37], s[28:29]
	s_cbranch_execnz .LBB953_258
; %bb.203:
	s_or_b64 exec, exec, s[36:37]
	s_and_saveexec_b64 s[28:29], s[26:27]
	s_cbranch_execnz .LBB953_259
.LBB953_204:
	s_or_b64 exec, exec, s[28:29]
	s_and_saveexec_b64 s[26:27], s[24:25]
	s_cbranch_execnz .LBB953_260
.LBB953_205:
	s_or_b64 exec, exec, s[26:27]
	s_and_saveexec_b64 s[24:25], s[22:23]
	s_cbranch_execnz .LBB953_261
.LBB953_206:
	s_or_b64 exec, exec, s[24:25]
	s_and_saveexec_b64 s[22:23], s[20:21]
	s_cbranch_execnz .LBB953_262
.LBB953_207:
	s_or_b64 exec, exec, s[22:23]
	s_and_saveexec_b64 s[20:21], s[18:19]
	s_cbranch_execnz .LBB953_263
.LBB953_208:
	s_or_b64 exec, exec, s[20:21]
	s_and_saveexec_b64 s[18:19], s[16:17]
	s_cbranch_execnz .LBB953_264
.LBB953_209:
	s_or_b64 exec, exec, s[18:19]
	s_and_saveexec_b64 s[16:17], s[14:15]
	s_cbranch_execnz .LBB953_265
.LBB953_210:
	s_or_b64 exec, exec, s[16:17]
	s_and_saveexec_b64 s[14:15], s[12:13]
	s_cbranch_execnz .LBB953_266
.LBB953_211:
	s_or_b64 exec, exec, s[14:15]
	s_and_saveexec_b64 s[12:13], s[10:11]
	s_cbranch_execnz .LBB953_267
.LBB953_212:
	s_or_b64 exec, exec, s[12:13]
	s_and_saveexec_b64 s[10:11], s[8:9]
	s_cbranch_execnz .LBB953_268
.LBB953_213:
	s_or_b64 exec, exec, s[10:11]
	s_and_saveexec_b64 s[8:9], s[6:7]
	s_cbranch_execnz .LBB953_269
.LBB953_214:
	s_or_b64 exec, exec, s[8:9]
	s_and_saveexec_b64 s[6:7], s[4:5]
	s_cbranch_execnz .LBB953_270
.LBB953_215:
	s_or_b64 exec, exec, s[6:7]
	s_and_saveexec_b64 s[4:5], s[2:3]
	s_cbranch_execz .LBB953_217
.LBB953_216:
	v_sub_u32_e32 v10, v28, v7
	v_lshlrev_b32_e32 v10, 2, v10
	ds_write_b32 v10, v29
.LBB953_217:
	s_or_b64 exec, exec, s[4:5]
	s_and_b64 s[36:37], s[0:1], exec
                                        ; implicit-def: $vgpr54_vgpr55
                                        ; implicit-def: $vgpr52_vgpr53
                                        ; implicit-def: $vgpr50_vgpr51
                                        ; implicit-def: $vgpr48_vgpr49
                                        ; implicit-def: $vgpr46_vgpr47
                                        ; implicit-def: $vgpr44_vgpr45
                                        ; implicit-def: $vgpr42_vgpr43
                                        ; implicit-def: $vgpr40_vgpr41
                                        ; implicit-def: $vgpr38_vgpr39
                                        ; implicit-def: $vgpr36_vgpr37
                                        ; implicit-def: $vgpr34_vgpr35
                                        ; implicit-def: $vgpr32_vgpr33
                                        ; implicit-def: $vgpr30_vgpr31
                                        ; implicit-def: $vgpr28_vgpr29
	s_andn2_saveexec_b64 s[0:1], s[34:35]
	s_cbranch_execz .LBB953_140
.LBB953_218:
	v_sub_u32_e32 v10, v54, v7
	v_lshlrev_b32_e32 v10, 2, v10
	ds_write_b32 v10, v55
	v_sub_u32_e32 v10, v52, v7
	v_lshlrev_b32_e32 v10, 2, v10
	ds_write_b32 v10, v53
	;; [unrolled: 3-line block ×13, first 2 shown]
	v_sub_u32_e32 v10, v28, v7
	v_lshlrev_b32_e32 v10, 2, v10
	s_or_b64 s[36:37], s[36:37], exec
	ds_write_b32 v10, v29
	s_or_b64 exec, exec, s[0:1]
	s_and_b64 exec, exec, s[36:37]
	s_cbranch_execnz .LBB953_141
	s_branch .LBB953_142
.LBB953_219:
	v_sub_u32_e32 v10, v54, v8
	v_mov_b32_e32 v11, 0
	v_lshl_add_u64 v[10:11], v[10:11], 1, v[18:19]
	global_store_short v[10:11], v1, off
	s_or_b64 exec, exec, s[38:39]
	s_and_saveexec_b64 s[38:39], s[28:29]
	s_cbranch_execz .LBB953_153
.LBB953_220:
	v_sub_u32_e32 v10, v52, v8
	v_mov_b32_e32 v11, 0
	v_lshl_add_u64 v[10:11], v[10:11], 1, v[18:19]
	global_store_short v[10:11], v2, off
	s_or_b64 exec, exec, s[38:39]
	s_and_saveexec_b64 s[38:39], s[26:27]
	s_cbranch_execz .LBB953_154
.LBB953_221:
	v_sub_u32_e32 v10, v50, v8
	v_mov_b32_e32 v11, 0
	v_lshl_add_u64 v[10:11], v[10:11], 1, v[18:19]
	global_store_short_d16_hi v[10:11], v2, off
	s_or_b64 exec, exec, s[38:39]
	s_and_saveexec_b64 s[38:39], s[24:25]
	s_cbranch_execz .LBB953_155
.LBB953_222:
	v_sub_u32_e32 v10, v48, v8
	v_mov_b32_e32 v11, 0
	v_lshl_add_u64 v[10:11], v[10:11], 1, v[18:19]
	global_store_short v[10:11], v3, off
	s_or_b64 exec, exec, s[38:39]
	s_and_saveexec_b64 s[38:39], s[22:23]
	s_cbranch_execz .LBB953_156
.LBB953_223:
	v_sub_u32_e32 v10, v46, v8
	v_mov_b32_e32 v11, 0
	v_lshl_add_u64 v[10:11], v[10:11], 1, v[18:19]
	global_store_short_d16_hi v[10:11], v3, off
	s_or_b64 exec, exec, s[38:39]
	s_and_saveexec_b64 s[38:39], s[20:21]
	s_cbranch_execz .LBB953_157
.LBB953_224:
	v_sub_u32_e32 v10, v44, v8
	v_mov_b32_e32 v11, 0
	v_lshl_add_u64 v[10:11], v[10:11], 1, v[18:19]
	global_store_short v[10:11], v4, off
	s_or_b64 exec, exec, s[38:39]
	s_and_saveexec_b64 s[38:39], s[18:19]
	s_cbranch_execz .LBB953_158
.LBB953_225:
	v_sub_u32_e32 v10, v42, v8
	v_mov_b32_e32 v11, 0
	v_lshl_add_u64 v[10:11], v[10:11], 1, v[18:19]
	global_store_short_d16_hi v[10:11], v4, off
	s_or_b64 exec, exec, s[38:39]
	s_and_saveexec_b64 s[38:39], s[16:17]
	s_cbranch_execz .LBB953_159
.LBB953_226:
	v_sub_u32_e32 v10, v40, v8
	v_mov_b32_e32 v11, 0
	v_lshl_add_u64 v[10:11], v[10:11], 1, v[18:19]
	global_store_short v[10:11], v5, off
	s_or_b64 exec, exec, s[38:39]
	s_and_saveexec_b64 s[38:39], s[14:15]
	s_cbranch_execz .LBB953_160
.LBB953_227:
	v_sub_u32_e32 v10, v38, v8
	v_mov_b32_e32 v11, 0
	v_lshl_add_u64 v[10:11], v[10:11], 1, v[18:19]
	global_store_short_d16_hi v[10:11], v5, off
	s_or_b64 exec, exec, s[38:39]
	s_and_saveexec_b64 s[38:39], s[12:13]
	s_cbranch_execz .LBB953_161
.LBB953_228:
	v_sub_u32_e32 v10, v36, v8
	v_mov_b32_e32 v11, 0
	v_lshl_add_u64 v[10:11], v[10:11], 1, v[18:19]
	global_store_short v[10:11], v12, off
	s_or_b64 exec, exec, s[38:39]
	s_and_saveexec_b64 s[38:39], s[10:11]
	s_cbranch_execz .LBB953_162
.LBB953_229:
	v_sub_u32_e32 v10, v34, v8
	v_mov_b32_e32 v11, 0
	v_lshl_add_u64 v[10:11], v[10:11], 1, v[18:19]
	global_store_short_d16_hi v[10:11], v12, off
	s_or_b64 exec, exec, s[38:39]
	s_and_saveexec_b64 s[38:39], s[8:9]
	s_cbranch_execz .LBB953_163
.LBB953_230:
	v_sub_u32_e32 v10, v32, v8
	v_mov_b32_e32 v11, 0
	v_lshl_add_u64 v[10:11], v[10:11], 1, v[18:19]
	global_store_short v[10:11], v13, off
	s_or_b64 exec, exec, s[38:39]
	s_and_saveexec_b64 s[38:39], s[6:7]
	s_cbranch_execz .LBB953_164
.LBB953_231:
	v_sub_u32_e32 v10, v30, v8
	v_mov_b32_e32 v11, 0
	v_lshl_add_u64 v[10:11], v[10:11], 1, v[18:19]
	global_store_short_d16_hi v[10:11], v13, off
	s_or_b64 exec, exec, s[38:39]
	s_and_saveexec_b64 s[38:39], s[4:5]
	s_cbranch_execnz .LBB953_165
	s_branch .LBB953_166
.LBB953_232:
	v_sub_u32_e32 v7, v54, v8
	v_lshlrev_b32_e32 v7, 1, v7
	ds_write_b16 v7, v1
	s_or_b64 exec, exec, s[38:39]
	s_and_saveexec_b64 s[30:31], s[28:29]
	s_cbranch_execz .LBB953_170
.LBB953_233:
	v_sub_u32_e32 v1, v52, v8
	v_lshlrev_b32_e32 v1, 1, v1
	ds_write_b16 v1, v2
	s_or_b64 exec, exec, s[30:31]
	s_and_saveexec_b64 s[28:29], s[26:27]
	s_cbranch_execz .LBB953_171
.LBB953_234:
	v_sub_u32_e32 v1, v50, v8
	v_lshlrev_b32_e32 v1, 1, v1
	ds_write_b16_d16_hi v1, v2
	s_or_b64 exec, exec, s[28:29]
	s_and_saveexec_b64 s[26:27], s[24:25]
	s_cbranch_execz .LBB953_172
.LBB953_235:
	v_sub_u32_e32 v1, v48, v8
	v_lshlrev_b32_e32 v1, 1, v1
	ds_write_b16 v1, v3
	s_or_b64 exec, exec, s[26:27]
	s_and_saveexec_b64 s[24:25], s[22:23]
	s_cbranch_execz .LBB953_173
.LBB953_236:
	v_sub_u32_e32 v1, v46, v8
	v_lshlrev_b32_e32 v1, 1, v1
	ds_write_b16_d16_hi v1, v3
	s_or_b64 exec, exec, s[24:25]
	s_and_saveexec_b64 s[22:23], s[20:21]
	s_cbranch_execz .LBB953_174
.LBB953_237:
	v_sub_u32_e32 v1, v44, v8
	v_lshlrev_b32_e32 v1, 1, v1
	ds_write_b16 v1, v4
	s_or_b64 exec, exec, s[22:23]
	s_and_saveexec_b64 s[20:21], s[18:19]
	s_cbranch_execz .LBB953_175
.LBB953_238:
	v_sub_u32_e32 v1, v42, v8
	v_lshlrev_b32_e32 v1, 1, v1
	ds_write_b16_d16_hi v1, v4
	s_or_b64 exec, exec, s[20:21]
	s_and_saveexec_b64 s[18:19], s[16:17]
	s_cbranch_execz .LBB953_176
.LBB953_239:
	v_sub_u32_e32 v1, v40, v8
	v_lshlrev_b32_e32 v1, 1, v1
	ds_write_b16 v1, v5
	s_or_b64 exec, exec, s[18:19]
	s_and_saveexec_b64 s[16:17], s[14:15]
	s_cbranch_execz .LBB953_177
.LBB953_240:
	v_sub_u32_e32 v1, v38, v8
	v_lshlrev_b32_e32 v1, 1, v1
	ds_write_b16_d16_hi v1, v5
	s_or_b64 exec, exec, s[16:17]
	s_and_saveexec_b64 s[14:15], s[12:13]
	s_cbranch_execz .LBB953_178
.LBB953_241:
	v_sub_u32_e32 v1, v36, v8
	v_lshlrev_b32_e32 v1, 1, v1
	ds_write_b16 v1, v12
	s_or_b64 exec, exec, s[14:15]
	s_and_saveexec_b64 s[12:13], s[10:11]
	s_cbranch_execz .LBB953_179
.LBB953_242:
	v_sub_u32_e32 v1, v34, v8
	v_lshlrev_b32_e32 v1, 1, v1
	ds_write_b16_d16_hi v1, v12
	s_or_b64 exec, exec, s[12:13]
	s_and_saveexec_b64 s[10:11], s[8:9]
	s_cbranch_execz .LBB953_180
.LBB953_243:
	v_sub_u32_e32 v1, v32, v8
	v_lshlrev_b32_e32 v1, 1, v1
	ds_write_b16 v1, v13
	s_or_b64 exec, exec, s[10:11]
	s_and_saveexec_b64 s[8:9], s[6:7]
	s_cbranch_execz .LBB953_181
.LBB953_244:
	v_sub_u32_e32 v1, v30, v8
	v_lshlrev_b32_e32 v1, 1, v1
	ds_write_b16_d16_hi v1, v13
	s_or_b64 exec, exec, s[8:9]
	s_and_saveexec_b64 s[6:7], s[4:5]
	s_cbranch_execnz .LBB953_182
	s_branch .LBB953_183
.LBB953_245:
	v_sub_u32_e32 v12, v54, v7
	v_mov_b32_e32 v13, 0
	v_lshl_add_u64 v[14:15], v[12:13], 3, v[4:5]
	v_mov_b32_e32 v12, v55
	global_store_dwordx2 v[14:15], v[12:13], off
	s_or_b64 exec, exec, s[36:37]
	s_and_saveexec_b64 s[36:37], s[26:27]
	s_cbranch_execz .LBB953_187
.LBB953_246:
	v_sub_u32_e32 v12, v52, v7
	v_mov_b32_e32 v13, 0
	v_lshl_add_u64 v[14:15], v[12:13], 3, v[4:5]
	v_mov_b32_e32 v12, v53
	global_store_dwordx2 v[14:15], v[12:13], off
	s_or_b64 exec, exec, s[36:37]
	s_and_saveexec_b64 s[36:37], s[24:25]
	s_cbranch_execz .LBB953_188
.LBB953_247:
	v_sub_u32_e32 v12, v50, v7
	v_mov_b32_e32 v13, 0
	v_lshl_add_u64 v[14:15], v[12:13], 3, v[4:5]
	v_mov_b32_e32 v12, v51
	global_store_dwordx2 v[14:15], v[12:13], off
	s_or_b64 exec, exec, s[36:37]
	s_and_saveexec_b64 s[36:37], s[22:23]
	s_cbranch_execz .LBB953_189
.LBB953_248:
	v_sub_u32_e32 v12, v48, v7
	v_mov_b32_e32 v13, 0
	v_lshl_add_u64 v[14:15], v[12:13], 3, v[4:5]
	v_mov_b32_e32 v12, v49
	global_store_dwordx2 v[14:15], v[12:13], off
	s_or_b64 exec, exec, s[36:37]
	s_and_saveexec_b64 s[36:37], s[20:21]
	s_cbranch_execz .LBB953_190
.LBB953_249:
	v_sub_u32_e32 v12, v46, v7
	v_mov_b32_e32 v13, 0
	v_lshl_add_u64 v[14:15], v[12:13], 3, v[4:5]
	v_mov_b32_e32 v12, v47
	global_store_dwordx2 v[14:15], v[12:13], off
	s_or_b64 exec, exec, s[36:37]
	s_and_saveexec_b64 s[36:37], s[18:19]
	s_cbranch_execz .LBB953_191
.LBB953_250:
	v_sub_u32_e32 v12, v44, v7
	v_mov_b32_e32 v13, 0
	v_lshl_add_u64 v[14:15], v[12:13], 3, v[4:5]
	v_mov_b32_e32 v12, v45
	global_store_dwordx2 v[14:15], v[12:13], off
	s_or_b64 exec, exec, s[36:37]
	s_and_saveexec_b64 s[36:37], s[16:17]
	s_cbranch_execz .LBB953_192
.LBB953_251:
	v_sub_u32_e32 v12, v42, v7
	v_mov_b32_e32 v13, 0
	v_lshl_add_u64 v[14:15], v[12:13], 3, v[4:5]
	v_mov_b32_e32 v12, v43
	global_store_dwordx2 v[14:15], v[12:13], off
	s_or_b64 exec, exec, s[36:37]
	s_and_saveexec_b64 s[36:37], s[14:15]
	s_cbranch_execz .LBB953_193
.LBB953_252:
	v_sub_u32_e32 v12, v40, v7
	v_mov_b32_e32 v13, 0
	v_lshl_add_u64 v[14:15], v[12:13], 3, v[4:5]
	v_mov_b32_e32 v12, v41
	global_store_dwordx2 v[14:15], v[12:13], off
	s_or_b64 exec, exec, s[36:37]
	s_and_saveexec_b64 s[36:37], s[12:13]
	s_cbranch_execz .LBB953_194
.LBB953_253:
	v_sub_u32_e32 v12, v38, v7
	v_mov_b32_e32 v13, 0
	v_lshl_add_u64 v[14:15], v[12:13], 3, v[4:5]
	v_mov_b32_e32 v12, v39
	global_store_dwordx2 v[14:15], v[12:13], off
	s_or_b64 exec, exec, s[36:37]
	s_and_saveexec_b64 s[36:37], s[10:11]
	s_cbranch_execz .LBB953_195
.LBB953_254:
	v_sub_u32_e32 v12, v36, v7
	v_mov_b32_e32 v13, 0
	v_lshl_add_u64 v[14:15], v[12:13], 3, v[4:5]
	v_mov_b32_e32 v12, v37
	global_store_dwordx2 v[14:15], v[12:13], off
	s_or_b64 exec, exec, s[36:37]
	s_and_saveexec_b64 s[36:37], s[8:9]
	s_cbranch_execz .LBB953_196
.LBB953_255:
	v_sub_u32_e32 v12, v34, v7
	v_mov_b32_e32 v13, 0
	v_lshl_add_u64 v[14:15], v[12:13], 3, v[4:5]
	v_mov_b32_e32 v12, v35
	global_store_dwordx2 v[14:15], v[12:13], off
	s_or_b64 exec, exec, s[36:37]
	s_and_saveexec_b64 s[36:37], s[6:7]
	s_cbranch_execz .LBB953_197
.LBB953_256:
	v_sub_u32_e32 v12, v32, v7
	v_mov_b32_e32 v13, 0
	v_lshl_add_u64 v[14:15], v[12:13], 3, v[4:5]
	v_mov_b32_e32 v12, v33
	global_store_dwordx2 v[14:15], v[12:13], off
	s_or_b64 exec, exec, s[36:37]
	s_and_saveexec_b64 s[36:37], s[4:5]
	s_cbranch_execz .LBB953_198
.LBB953_257:
	v_sub_u32_e32 v12, v30, v7
	v_mov_b32_e32 v13, 0
	v_lshl_add_u64 v[14:15], v[12:13], 3, v[4:5]
	v_mov_b32_e32 v12, v31
	global_store_dwordx2 v[14:15], v[12:13], off
	s_or_b64 exec, exec, s[36:37]
	s_and_saveexec_b64 s[36:37], s[2:3]
	s_cbranch_execnz .LBB953_199
	s_branch .LBB953_200
.LBB953_258:
	v_sub_u32_e32 v10, v54, v7
	v_lshlrev_b32_e32 v10, 2, v10
	ds_write_b32 v10, v55
	s_or_b64 exec, exec, s[36:37]
	s_and_saveexec_b64 s[28:29], s[26:27]
	s_cbranch_execz .LBB953_204
.LBB953_259:
	v_sub_u32_e32 v10, v52, v7
	v_lshlrev_b32_e32 v10, 2, v10
	ds_write_b32 v10, v53
	s_or_b64 exec, exec, s[28:29]
	s_and_saveexec_b64 s[26:27], s[24:25]
	s_cbranch_execz .LBB953_205
.LBB953_260:
	v_sub_u32_e32 v10, v50, v7
	v_lshlrev_b32_e32 v10, 2, v10
	ds_write_b32 v10, v51
	s_or_b64 exec, exec, s[26:27]
	s_and_saveexec_b64 s[24:25], s[22:23]
	s_cbranch_execz .LBB953_206
.LBB953_261:
	v_sub_u32_e32 v10, v48, v7
	v_lshlrev_b32_e32 v10, 2, v10
	ds_write_b32 v10, v49
	s_or_b64 exec, exec, s[24:25]
	s_and_saveexec_b64 s[22:23], s[20:21]
	s_cbranch_execz .LBB953_207
.LBB953_262:
	v_sub_u32_e32 v10, v46, v7
	v_lshlrev_b32_e32 v10, 2, v10
	ds_write_b32 v10, v47
	s_or_b64 exec, exec, s[22:23]
	s_and_saveexec_b64 s[20:21], s[18:19]
	s_cbranch_execz .LBB953_208
.LBB953_263:
	v_sub_u32_e32 v10, v44, v7
	v_lshlrev_b32_e32 v10, 2, v10
	ds_write_b32 v10, v45
	s_or_b64 exec, exec, s[20:21]
	s_and_saveexec_b64 s[18:19], s[16:17]
	s_cbranch_execz .LBB953_209
.LBB953_264:
	v_sub_u32_e32 v10, v42, v7
	v_lshlrev_b32_e32 v10, 2, v10
	ds_write_b32 v10, v43
	s_or_b64 exec, exec, s[18:19]
	s_and_saveexec_b64 s[16:17], s[14:15]
	s_cbranch_execz .LBB953_210
.LBB953_265:
	v_sub_u32_e32 v10, v40, v7
	v_lshlrev_b32_e32 v10, 2, v10
	ds_write_b32 v10, v41
	s_or_b64 exec, exec, s[16:17]
	s_and_saveexec_b64 s[14:15], s[12:13]
	s_cbranch_execz .LBB953_211
.LBB953_266:
	v_sub_u32_e32 v10, v38, v7
	v_lshlrev_b32_e32 v10, 2, v10
	ds_write_b32 v10, v39
	s_or_b64 exec, exec, s[14:15]
	s_and_saveexec_b64 s[12:13], s[10:11]
	s_cbranch_execz .LBB953_212
.LBB953_267:
	v_sub_u32_e32 v10, v36, v7
	v_lshlrev_b32_e32 v10, 2, v10
	ds_write_b32 v10, v37
	s_or_b64 exec, exec, s[12:13]
	s_and_saveexec_b64 s[10:11], s[8:9]
	s_cbranch_execz .LBB953_213
.LBB953_268:
	v_sub_u32_e32 v10, v34, v7
	v_lshlrev_b32_e32 v10, 2, v10
	ds_write_b32 v10, v35
	s_or_b64 exec, exec, s[10:11]
	s_and_saveexec_b64 s[8:9], s[6:7]
	s_cbranch_execz .LBB953_214
.LBB953_269:
	v_sub_u32_e32 v10, v32, v7
	v_lshlrev_b32_e32 v10, 2, v10
	ds_write_b32 v10, v33
	s_or_b64 exec, exec, s[8:9]
	s_and_saveexec_b64 s[6:7], s[4:5]
	s_cbranch_execz .LBB953_215
.LBB953_270:
	v_sub_u32_e32 v10, v30, v7
	v_lshlrev_b32_e32 v10, 2, v10
	ds_write_b32 v10, v31
	s_or_b64 exec, exec, s[6:7]
	s_and_saveexec_b64 s[4:5], s[2:3]
	s_cbranch_execnz .LBB953_216
	s_branch .LBB953_217
	.section	.rodata,"a",@progbits
	.p2align	6, 0x0
	.amdhsa_kernel _ZN7rocprim17ROCPRIM_400000_NS6detail17trampoline_kernelINS0_14default_configENS1_33run_length_encode_config_selectorIN3c104HalfEjNS0_4plusIjEEEEZZNS1_33reduce_by_key_impl_wrapped_configILNS1_25lookback_scan_determinismE0ES3_S9_PKS6_NS0_17constant_iteratorIjlEEPS6_PlSH_S8_NS0_8equal_toIS6_EEEE10hipError_tPvRmT2_T3_mT4_T5_T6_T7_T8_P12ihipStream_tbENKUlT_T0_E_clISt17integral_constantIbLb0EES10_IbLb1EEEEDaSW_SX_EUlSW_E_NS1_11comp_targetILNS1_3genE5ELNS1_11target_archE942ELNS1_3gpuE9ELNS1_3repE0EEENS1_30default_config_static_selectorELNS0_4arch9wavefront6targetE1EEEvT1_
		.amdhsa_group_segment_fixed_size 15360
		.amdhsa_private_segment_fixed_size 0
		.amdhsa_kernarg_size 128
		.amdhsa_user_sgpr_count 2
		.amdhsa_user_sgpr_dispatch_ptr 0
		.amdhsa_user_sgpr_queue_ptr 0
		.amdhsa_user_sgpr_kernarg_segment_ptr 1
		.amdhsa_user_sgpr_dispatch_id 0
		.amdhsa_user_sgpr_kernarg_preload_length 0
		.amdhsa_user_sgpr_kernarg_preload_offset 0
		.amdhsa_user_sgpr_private_segment_size 0
		.amdhsa_uses_dynamic_stack 0
		.amdhsa_enable_private_segment 0
		.amdhsa_system_sgpr_workgroup_id_x 1
		.amdhsa_system_sgpr_workgroup_id_y 0
		.amdhsa_system_sgpr_workgroup_id_z 0
		.amdhsa_system_sgpr_workgroup_info 0
		.amdhsa_system_vgpr_workitem_id 0
		.amdhsa_next_free_vgpr 108
		.amdhsa_next_free_sgpr 66
		.amdhsa_accum_offset 108
		.amdhsa_reserve_vcc 1
		.amdhsa_float_round_mode_32 0
		.amdhsa_float_round_mode_16_64 0
		.amdhsa_float_denorm_mode_32 3
		.amdhsa_float_denorm_mode_16_64 3
		.amdhsa_dx10_clamp 1
		.amdhsa_ieee_mode 1
		.amdhsa_fp16_overflow 0
		.amdhsa_tg_split 0
		.amdhsa_exception_fp_ieee_invalid_op 0
		.amdhsa_exception_fp_denorm_src 0
		.amdhsa_exception_fp_ieee_div_zero 0
		.amdhsa_exception_fp_ieee_overflow 0
		.amdhsa_exception_fp_ieee_underflow 0
		.amdhsa_exception_fp_ieee_inexact 0
		.amdhsa_exception_int_div_zero 0
	.end_amdhsa_kernel
	.section	.text._ZN7rocprim17ROCPRIM_400000_NS6detail17trampoline_kernelINS0_14default_configENS1_33run_length_encode_config_selectorIN3c104HalfEjNS0_4plusIjEEEEZZNS1_33reduce_by_key_impl_wrapped_configILNS1_25lookback_scan_determinismE0ES3_S9_PKS6_NS0_17constant_iteratorIjlEEPS6_PlSH_S8_NS0_8equal_toIS6_EEEE10hipError_tPvRmT2_T3_mT4_T5_T6_T7_T8_P12ihipStream_tbENKUlT_T0_E_clISt17integral_constantIbLb0EES10_IbLb1EEEEDaSW_SX_EUlSW_E_NS1_11comp_targetILNS1_3genE5ELNS1_11target_archE942ELNS1_3gpuE9ELNS1_3repE0EEENS1_30default_config_static_selectorELNS0_4arch9wavefront6targetE1EEEvT1_,"axG",@progbits,_ZN7rocprim17ROCPRIM_400000_NS6detail17trampoline_kernelINS0_14default_configENS1_33run_length_encode_config_selectorIN3c104HalfEjNS0_4plusIjEEEEZZNS1_33reduce_by_key_impl_wrapped_configILNS1_25lookback_scan_determinismE0ES3_S9_PKS6_NS0_17constant_iteratorIjlEEPS6_PlSH_S8_NS0_8equal_toIS6_EEEE10hipError_tPvRmT2_T3_mT4_T5_T6_T7_T8_P12ihipStream_tbENKUlT_T0_E_clISt17integral_constantIbLb0EES10_IbLb1EEEEDaSW_SX_EUlSW_E_NS1_11comp_targetILNS1_3genE5ELNS1_11target_archE942ELNS1_3gpuE9ELNS1_3repE0EEENS1_30default_config_static_selectorELNS0_4arch9wavefront6targetE1EEEvT1_,comdat
.Lfunc_end953:
	.size	_ZN7rocprim17ROCPRIM_400000_NS6detail17trampoline_kernelINS0_14default_configENS1_33run_length_encode_config_selectorIN3c104HalfEjNS0_4plusIjEEEEZZNS1_33reduce_by_key_impl_wrapped_configILNS1_25lookback_scan_determinismE0ES3_S9_PKS6_NS0_17constant_iteratorIjlEEPS6_PlSH_S8_NS0_8equal_toIS6_EEEE10hipError_tPvRmT2_T3_mT4_T5_T6_T7_T8_P12ihipStream_tbENKUlT_T0_E_clISt17integral_constantIbLb0EES10_IbLb1EEEEDaSW_SX_EUlSW_E_NS1_11comp_targetILNS1_3genE5ELNS1_11target_archE942ELNS1_3gpuE9ELNS1_3repE0EEENS1_30default_config_static_selectorELNS0_4arch9wavefront6targetE1EEEvT1_, .Lfunc_end953-_ZN7rocprim17ROCPRIM_400000_NS6detail17trampoline_kernelINS0_14default_configENS1_33run_length_encode_config_selectorIN3c104HalfEjNS0_4plusIjEEEEZZNS1_33reduce_by_key_impl_wrapped_configILNS1_25lookback_scan_determinismE0ES3_S9_PKS6_NS0_17constant_iteratorIjlEEPS6_PlSH_S8_NS0_8equal_toIS6_EEEE10hipError_tPvRmT2_T3_mT4_T5_T6_T7_T8_P12ihipStream_tbENKUlT_T0_E_clISt17integral_constantIbLb0EES10_IbLb1EEEEDaSW_SX_EUlSW_E_NS1_11comp_targetILNS1_3genE5ELNS1_11target_archE942ELNS1_3gpuE9ELNS1_3repE0EEENS1_30default_config_static_selectorELNS0_4arch9wavefront6targetE1EEEvT1_
                                        ; -- End function
	.section	.AMDGPU.csdata,"",@progbits
; Kernel info:
; codeLenInByte = 15252
; NumSgprs: 72
; NumVgprs: 108
; NumAgprs: 0
; TotalNumVgprs: 108
; ScratchSize: 0
; MemoryBound: 0
; FloatMode: 240
; IeeeMode: 1
; LDSByteSize: 15360 bytes/workgroup (compile time only)
; SGPRBlocks: 8
; VGPRBlocks: 13
; NumSGPRsForWavesPerEU: 72
; NumVGPRsForWavesPerEU: 108
; AccumOffset: 108
; Occupancy: 4
; WaveLimiterHint : 1
; COMPUTE_PGM_RSRC2:SCRATCH_EN: 0
; COMPUTE_PGM_RSRC2:USER_SGPR: 2
; COMPUTE_PGM_RSRC2:TRAP_HANDLER: 0
; COMPUTE_PGM_RSRC2:TGID_X_EN: 1
; COMPUTE_PGM_RSRC2:TGID_Y_EN: 0
; COMPUTE_PGM_RSRC2:TGID_Z_EN: 0
; COMPUTE_PGM_RSRC2:TIDIG_COMP_CNT: 0
; COMPUTE_PGM_RSRC3_GFX90A:ACCUM_OFFSET: 26
; COMPUTE_PGM_RSRC3_GFX90A:TG_SPLIT: 0
	.section	.text._ZN7rocprim17ROCPRIM_400000_NS6detail17trampoline_kernelINS0_14default_configENS1_33run_length_encode_config_selectorIN3c104HalfEjNS0_4plusIjEEEEZZNS1_33reduce_by_key_impl_wrapped_configILNS1_25lookback_scan_determinismE0ES3_S9_PKS6_NS0_17constant_iteratorIjlEEPS6_PlSH_S8_NS0_8equal_toIS6_EEEE10hipError_tPvRmT2_T3_mT4_T5_T6_T7_T8_P12ihipStream_tbENKUlT_T0_E_clISt17integral_constantIbLb0EES10_IbLb1EEEEDaSW_SX_EUlSW_E_NS1_11comp_targetILNS1_3genE4ELNS1_11target_archE910ELNS1_3gpuE8ELNS1_3repE0EEENS1_30default_config_static_selectorELNS0_4arch9wavefront6targetE1EEEvT1_,"axG",@progbits,_ZN7rocprim17ROCPRIM_400000_NS6detail17trampoline_kernelINS0_14default_configENS1_33run_length_encode_config_selectorIN3c104HalfEjNS0_4plusIjEEEEZZNS1_33reduce_by_key_impl_wrapped_configILNS1_25lookback_scan_determinismE0ES3_S9_PKS6_NS0_17constant_iteratorIjlEEPS6_PlSH_S8_NS0_8equal_toIS6_EEEE10hipError_tPvRmT2_T3_mT4_T5_T6_T7_T8_P12ihipStream_tbENKUlT_T0_E_clISt17integral_constantIbLb0EES10_IbLb1EEEEDaSW_SX_EUlSW_E_NS1_11comp_targetILNS1_3genE4ELNS1_11target_archE910ELNS1_3gpuE8ELNS1_3repE0EEENS1_30default_config_static_selectorELNS0_4arch9wavefront6targetE1EEEvT1_,comdat
	.protected	_ZN7rocprim17ROCPRIM_400000_NS6detail17trampoline_kernelINS0_14default_configENS1_33run_length_encode_config_selectorIN3c104HalfEjNS0_4plusIjEEEEZZNS1_33reduce_by_key_impl_wrapped_configILNS1_25lookback_scan_determinismE0ES3_S9_PKS6_NS0_17constant_iteratorIjlEEPS6_PlSH_S8_NS0_8equal_toIS6_EEEE10hipError_tPvRmT2_T3_mT4_T5_T6_T7_T8_P12ihipStream_tbENKUlT_T0_E_clISt17integral_constantIbLb0EES10_IbLb1EEEEDaSW_SX_EUlSW_E_NS1_11comp_targetILNS1_3genE4ELNS1_11target_archE910ELNS1_3gpuE8ELNS1_3repE0EEENS1_30default_config_static_selectorELNS0_4arch9wavefront6targetE1EEEvT1_ ; -- Begin function _ZN7rocprim17ROCPRIM_400000_NS6detail17trampoline_kernelINS0_14default_configENS1_33run_length_encode_config_selectorIN3c104HalfEjNS0_4plusIjEEEEZZNS1_33reduce_by_key_impl_wrapped_configILNS1_25lookback_scan_determinismE0ES3_S9_PKS6_NS0_17constant_iteratorIjlEEPS6_PlSH_S8_NS0_8equal_toIS6_EEEE10hipError_tPvRmT2_T3_mT4_T5_T6_T7_T8_P12ihipStream_tbENKUlT_T0_E_clISt17integral_constantIbLb0EES10_IbLb1EEEEDaSW_SX_EUlSW_E_NS1_11comp_targetILNS1_3genE4ELNS1_11target_archE910ELNS1_3gpuE8ELNS1_3repE0EEENS1_30default_config_static_selectorELNS0_4arch9wavefront6targetE1EEEvT1_
	.globl	_ZN7rocprim17ROCPRIM_400000_NS6detail17trampoline_kernelINS0_14default_configENS1_33run_length_encode_config_selectorIN3c104HalfEjNS0_4plusIjEEEEZZNS1_33reduce_by_key_impl_wrapped_configILNS1_25lookback_scan_determinismE0ES3_S9_PKS6_NS0_17constant_iteratorIjlEEPS6_PlSH_S8_NS0_8equal_toIS6_EEEE10hipError_tPvRmT2_T3_mT4_T5_T6_T7_T8_P12ihipStream_tbENKUlT_T0_E_clISt17integral_constantIbLb0EES10_IbLb1EEEEDaSW_SX_EUlSW_E_NS1_11comp_targetILNS1_3genE4ELNS1_11target_archE910ELNS1_3gpuE8ELNS1_3repE0EEENS1_30default_config_static_selectorELNS0_4arch9wavefront6targetE1EEEvT1_
	.p2align	8
	.type	_ZN7rocprim17ROCPRIM_400000_NS6detail17trampoline_kernelINS0_14default_configENS1_33run_length_encode_config_selectorIN3c104HalfEjNS0_4plusIjEEEEZZNS1_33reduce_by_key_impl_wrapped_configILNS1_25lookback_scan_determinismE0ES3_S9_PKS6_NS0_17constant_iteratorIjlEEPS6_PlSH_S8_NS0_8equal_toIS6_EEEE10hipError_tPvRmT2_T3_mT4_T5_T6_T7_T8_P12ihipStream_tbENKUlT_T0_E_clISt17integral_constantIbLb0EES10_IbLb1EEEEDaSW_SX_EUlSW_E_NS1_11comp_targetILNS1_3genE4ELNS1_11target_archE910ELNS1_3gpuE8ELNS1_3repE0EEENS1_30default_config_static_selectorELNS0_4arch9wavefront6targetE1EEEvT1_,@function
_ZN7rocprim17ROCPRIM_400000_NS6detail17trampoline_kernelINS0_14default_configENS1_33run_length_encode_config_selectorIN3c104HalfEjNS0_4plusIjEEEEZZNS1_33reduce_by_key_impl_wrapped_configILNS1_25lookback_scan_determinismE0ES3_S9_PKS6_NS0_17constant_iteratorIjlEEPS6_PlSH_S8_NS0_8equal_toIS6_EEEE10hipError_tPvRmT2_T3_mT4_T5_T6_T7_T8_P12ihipStream_tbENKUlT_T0_E_clISt17integral_constantIbLb0EES10_IbLb1EEEEDaSW_SX_EUlSW_E_NS1_11comp_targetILNS1_3genE4ELNS1_11target_archE910ELNS1_3gpuE8ELNS1_3repE0EEENS1_30default_config_static_selectorELNS0_4arch9wavefront6targetE1EEEvT1_: ; @_ZN7rocprim17ROCPRIM_400000_NS6detail17trampoline_kernelINS0_14default_configENS1_33run_length_encode_config_selectorIN3c104HalfEjNS0_4plusIjEEEEZZNS1_33reduce_by_key_impl_wrapped_configILNS1_25lookback_scan_determinismE0ES3_S9_PKS6_NS0_17constant_iteratorIjlEEPS6_PlSH_S8_NS0_8equal_toIS6_EEEE10hipError_tPvRmT2_T3_mT4_T5_T6_T7_T8_P12ihipStream_tbENKUlT_T0_E_clISt17integral_constantIbLb0EES10_IbLb1EEEEDaSW_SX_EUlSW_E_NS1_11comp_targetILNS1_3genE4ELNS1_11target_archE910ELNS1_3gpuE8ELNS1_3repE0EEENS1_30default_config_static_selectorELNS0_4arch9wavefront6targetE1EEEvT1_
; %bb.0:
	.section	.rodata,"a",@progbits
	.p2align	6, 0x0
	.amdhsa_kernel _ZN7rocprim17ROCPRIM_400000_NS6detail17trampoline_kernelINS0_14default_configENS1_33run_length_encode_config_selectorIN3c104HalfEjNS0_4plusIjEEEEZZNS1_33reduce_by_key_impl_wrapped_configILNS1_25lookback_scan_determinismE0ES3_S9_PKS6_NS0_17constant_iteratorIjlEEPS6_PlSH_S8_NS0_8equal_toIS6_EEEE10hipError_tPvRmT2_T3_mT4_T5_T6_T7_T8_P12ihipStream_tbENKUlT_T0_E_clISt17integral_constantIbLb0EES10_IbLb1EEEEDaSW_SX_EUlSW_E_NS1_11comp_targetILNS1_3genE4ELNS1_11target_archE910ELNS1_3gpuE8ELNS1_3repE0EEENS1_30default_config_static_selectorELNS0_4arch9wavefront6targetE1EEEvT1_
		.amdhsa_group_segment_fixed_size 0
		.amdhsa_private_segment_fixed_size 0
		.amdhsa_kernarg_size 128
		.amdhsa_user_sgpr_count 2
		.amdhsa_user_sgpr_dispatch_ptr 0
		.amdhsa_user_sgpr_queue_ptr 0
		.amdhsa_user_sgpr_kernarg_segment_ptr 1
		.amdhsa_user_sgpr_dispatch_id 0
		.amdhsa_user_sgpr_kernarg_preload_length 0
		.amdhsa_user_sgpr_kernarg_preload_offset 0
		.amdhsa_user_sgpr_private_segment_size 0
		.amdhsa_uses_dynamic_stack 0
		.amdhsa_enable_private_segment 0
		.amdhsa_system_sgpr_workgroup_id_x 1
		.amdhsa_system_sgpr_workgroup_id_y 0
		.amdhsa_system_sgpr_workgroup_id_z 0
		.amdhsa_system_sgpr_workgroup_info 0
		.amdhsa_system_vgpr_workitem_id 0
		.amdhsa_next_free_vgpr 1
		.amdhsa_next_free_sgpr 0
		.amdhsa_accum_offset 4
		.amdhsa_reserve_vcc 0
		.amdhsa_float_round_mode_32 0
		.amdhsa_float_round_mode_16_64 0
		.amdhsa_float_denorm_mode_32 3
		.amdhsa_float_denorm_mode_16_64 3
		.amdhsa_dx10_clamp 1
		.amdhsa_ieee_mode 1
		.amdhsa_fp16_overflow 0
		.amdhsa_tg_split 0
		.amdhsa_exception_fp_ieee_invalid_op 0
		.amdhsa_exception_fp_denorm_src 0
		.amdhsa_exception_fp_ieee_div_zero 0
		.amdhsa_exception_fp_ieee_overflow 0
		.amdhsa_exception_fp_ieee_underflow 0
		.amdhsa_exception_fp_ieee_inexact 0
		.amdhsa_exception_int_div_zero 0
	.end_amdhsa_kernel
	.section	.text._ZN7rocprim17ROCPRIM_400000_NS6detail17trampoline_kernelINS0_14default_configENS1_33run_length_encode_config_selectorIN3c104HalfEjNS0_4plusIjEEEEZZNS1_33reduce_by_key_impl_wrapped_configILNS1_25lookback_scan_determinismE0ES3_S9_PKS6_NS0_17constant_iteratorIjlEEPS6_PlSH_S8_NS0_8equal_toIS6_EEEE10hipError_tPvRmT2_T3_mT4_T5_T6_T7_T8_P12ihipStream_tbENKUlT_T0_E_clISt17integral_constantIbLb0EES10_IbLb1EEEEDaSW_SX_EUlSW_E_NS1_11comp_targetILNS1_3genE4ELNS1_11target_archE910ELNS1_3gpuE8ELNS1_3repE0EEENS1_30default_config_static_selectorELNS0_4arch9wavefront6targetE1EEEvT1_,"axG",@progbits,_ZN7rocprim17ROCPRIM_400000_NS6detail17trampoline_kernelINS0_14default_configENS1_33run_length_encode_config_selectorIN3c104HalfEjNS0_4plusIjEEEEZZNS1_33reduce_by_key_impl_wrapped_configILNS1_25lookback_scan_determinismE0ES3_S9_PKS6_NS0_17constant_iteratorIjlEEPS6_PlSH_S8_NS0_8equal_toIS6_EEEE10hipError_tPvRmT2_T3_mT4_T5_T6_T7_T8_P12ihipStream_tbENKUlT_T0_E_clISt17integral_constantIbLb0EES10_IbLb1EEEEDaSW_SX_EUlSW_E_NS1_11comp_targetILNS1_3genE4ELNS1_11target_archE910ELNS1_3gpuE8ELNS1_3repE0EEENS1_30default_config_static_selectorELNS0_4arch9wavefront6targetE1EEEvT1_,comdat
.Lfunc_end954:
	.size	_ZN7rocprim17ROCPRIM_400000_NS6detail17trampoline_kernelINS0_14default_configENS1_33run_length_encode_config_selectorIN3c104HalfEjNS0_4plusIjEEEEZZNS1_33reduce_by_key_impl_wrapped_configILNS1_25lookback_scan_determinismE0ES3_S9_PKS6_NS0_17constant_iteratorIjlEEPS6_PlSH_S8_NS0_8equal_toIS6_EEEE10hipError_tPvRmT2_T3_mT4_T5_T6_T7_T8_P12ihipStream_tbENKUlT_T0_E_clISt17integral_constantIbLb0EES10_IbLb1EEEEDaSW_SX_EUlSW_E_NS1_11comp_targetILNS1_3genE4ELNS1_11target_archE910ELNS1_3gpuE8ELNS1_3repE0EEENS1_30default_config_static_selectorELNS0_4arch9wavefront6targetE1EEEvT1_, .Lfunc_end954-_ZN7rocprim17ROCPRIM_400000_NS6detail17trampoline_kernelINS0_14default_configENS1_33run_length_encode_config_selectorIN3c104HalfEjNS0_4plusIjEEEEZZNS1_33reduce_by_key_impl_wrapped_configILNS1_25lookback_scan_determinismE0ES3_S9_PKS6_NS0_17constant_iteratorIjlEEPS6_PlSH_S8_NS0_8equal_toIS6_EEEE10hipError_tPvRmT2_T3_mT4_T5_T6_T7_T8_P12ihipStream_tbENKUlT_T0_E_clISt17integral_constantIbLb0EES10_IbLb1EEEEDaSW_SX_EUlSW_E_NS1_11comp_targetILNS1_3genE4ELNS1_11target_archE910ELNS1_3gpuE8ELNS1_3repE0EEENS1_30default_config_static_selectorELNS0_4arch9wavefront6targetE1EEEvT1_
                                        ; -- End function
	.section	.AMDGPU.csdata,"",@progbits
; Kernel info:
; codeLenInByte = 0
; NumSgprs: 6
; NumVgprs: 0
; NumAgprs: 0
; TotalNumVgprs: 0
; ScratchSize: 0
; MemoryBound: 0
; FloatMode: 240
; IeeeMode: 1
; LDSByteSize: 0 bytes/workgroup (compile time only)
; SGPRBlocks: 0
; VGPRBlocks: 0
; NumSGPRsForWavesPerEU: 6
; NumVGPRsForWavesPerEU: 1
; AccumOffset: 4
; Occupancy: 8
; WaveLimiterHint : 0
; COMPUTE_PGM_RSRC2:SCRATCH_EN: 0
; COMPUTE_PGM_RSRC2:USER_SGPR: 2
; COMPUTE_PGM_RSRC2:TRAP_HANDLER: 0
; COMPUTE_PGM_RSRC2:TGID_X_EN: 1
; COMPUTE_PGM_RSRC2:TGID_Y_EN: 0
; COMPUTE_PGM_RSRC2:TGID_Z_EN: 0
; COMPUTE_PGM_RSRC2:TIDIG_COMP_CNT: 0
; COMPUTE_PGM_RSRC3_GFX90A:ACCUM_OFFSET: 0
; COMPUTE_PGM_RSRC3_GFX90A:TG_SPLIT: 0
	.section	.text._ZN7rocprim17ROCPRIM_400000_NS6detail17trampoline_kernelINS0_14default_configENS1_33run_length_encode_config_selectorIN3c104HalfEjNS0_4plusIjEEEEZZNS1_33reduce_by_key_impl_wrapped_configILNS1_25lookback_scan_determinismE0ES3_S9_PKS6_NS0_17constant_iteratorIjlEEPS6_PlSH_S8_NS0_8equal_toIS6_EEEE10hipError_tPvRmT2_T3_mT4_T5_T6_T7_T8_P12ihipStream_tbENKUlT_T0_E_clISt17integral_constantIbLb0EES10_IbLb1EEEEDaSW_SX_EUlSW_E_NS1_11comp_targetILNS1_3genE3ELNS1_11target_archE908ELNS1_3gpuE7ELNS1_3repE0EEENS1_30default_config_static_selectorELNS0_4arch9wavefront6targetE1EEEvT1_,"axG",@progbits,_ZN7rocprim17ROCPRIM_400000_NS6detail17trampoline_kernelINS0_14default_configENS1_33run_length_encode_config_selectorIN3c104HalfEjNS0_4plusIjEEEEZZNS1_33reduce_by_key_impl_wrapped_configILNS1_25lookback_scan_determinismE0ES3_S9_PKS6_NS0_17constant_iteratorIjlEEPS6_PlSH_S8_NS0_8equal_toIS6_EEEE10hipError_tPvRmT2_T3_mT4_T5_T6_T7_T8_P12ihipStream_tbENKUlT_T0_E_clISt17integral_constantIbLb0EES10_IbLb1EEEEDaSW_SX_EUlSW_E_NS1_11comp_targetILNS1_3genE3ELNS1_11target_archE908ELNS1_3gpuE7ELNS1_3repE0EEENS1_30default_config_static_selectorELNS0_4arch9wavefront6targetE1EEEvT1_,comdat
	.protected	_ZN7rocprim17ROCPRIM_400000_NS6detail17trampoline_kernelINS0_14default_configENS1_33run_length_encode_config_selectorIN3c104HalfEjNS0_4plusIjEEEEZZNS1_33reduce_by_key_impl_wrapped_configILNS1_25lookback_scan_determinismE0ES3_S9_PKS6_NS0_17constant_iteratorIjlEEPS6_PlSH_S8_NS0_8equal_toIS6_EEEE10hipError_tPvRmT2_T3_mT4_T5_T6_T7_T8_P12ihipStream_tbENKUlT_T0_E_clISt17integral_constantIbLb0EES10_IbLb1EEEEDaSW_SX_EUlSW_E_NS1_11comp_targetILNS1_3genE3ELNS1_11target_archE908ELNS1_3gpuE7ELNS1_3repE0EEENS1_30default_config_static_selectorELNS0_4arch9wavefront6targetE1EEEvT1_ ; -- Begin function _ZN7rocprim17ROCPRIM_400000_NS6detail17trampoline_kernelINS0_14default_configENS1_33run_length_encode_config_selectorIN3c104HalfEjNS0_4plusIjEEEEZZNS1_33reduce_by_key_impl_wrapped_configILNS1_25lookback_scan_determinismE0ES3_S9_PKS6_NS0_17constant_iteratorIjlEEPS6_PlSH_S8_NS0_8equal_toIS6_EEEE10hipError_tPvRmT2_T3_mT4_T5_T6_T7_T8_P12ihipStream_tbENKUlT_T0_E_clISt17integral_constantIbLb0EES10_IbLb1EEEEDaSW_SX_EUlSW_E_NS1_11comp_targetILNS1_3genE3ELNS1_11target_archE908ELNS1_3gpuE7ELNS1_3repE0EEENS1_30default_config_static_selectorELNS0_4arch9wavefront6targetE1EEEvT1_
	.globl	_ZN7rocprim17ROCPRIM_400000_NS6detail17trampoline_kernelINS0_14default_configENS1_33run_length_encode_config_selectorIN3c104HalfEjNS0_4plusIjEEEEZZNS1_33reduce_by_key_impl_wrapped_configILNS1_25lookback_scan_determinismE0ES3_S9_PKS6_NS0_17constant_iteratorIjlEEPS6_PlSH_S8_NS0_8equal_toIS6_EEEE10hipError_tPvRmT2_T3_mT4_T5_T6_T7_T8_P12ihipStream_tbENKUlT_T0_E_clISt17integral_constantIbLb0EES10_IbLb1EEEEDaSW_SX_EUlSW_E_NS1_11comp_targetILNS1_3genE3ELNS1_11target_archE908ELNS1_3gpuE7ELNS1_3repE0EEENS1_30default_config_static_selectorELNS0_4arch9wavefront6targetE1EEEvT1_
	.p2align	8
	.type	_ZN7rocprim17ROCPRIM_400000_NS6detail17trampoline_kernelINS0_14default_configENS1_33run_length_encode_config_selectorIN3c104HalfEjNS0_4plusIjEEEEZZNS1_33reduce_by_key_impl_wrapped_configILNS1_25lookback_scan_determinismE0ES3_S9_PKS6_NS0_17constant_iteratorIjlEEPS6_PlSH_S8_NS0_8equal_toIS6_EEEE10hipError_tPvRmT2_T3_mT4_T5_T6_T7_T8_P12ihipStream_tbENKUlT_T0_E_clISt17integral_constantIbLb0EES10_IbLb1EEEEDaSW_SX_EUlSW_E_NS1_11comp_targetILNS1_3genE3ELNS1_11target_archE908ELNS1_3gpuE7ELNS1_3repE0EEENS1_30default_config_static_selectorELNS0_4arch9wavefront6targetE1EEEvT1_,@function
_ZN7rocprim17ROCPRIM_400000_NS6detail17trampoline_kernelINS0_14default_configENS1_33run_length_encode_config_selectorIN3c104HalfEjNS0_4plusIjEEEEZZNS1_33reduce_by_key_impl_wrapped_configILNS1_25lookback_scan_determinismE0ES3_S9_PKS6_NS0_17constant_iteratorIjlEEPS6_PlSH_S8_NS0_8equal_toIS6_EEEE10hipError_tPvRmT2_T3_mT4_T5_T6_T7_T8_P12ihipStream_tbENKUlT_T0_E_clISt17integral_constantIbLb0EES10_IbLb1EEEEDaSW_SX_EUlSW_E_NS1_11comp_targetILNS1_3genE3ELNS1_11target_archE908ELNS1_3gpuE7ELNS1_3repE0EEENS1_30default_config_static_selectorELNS0_4arch9wavefront6targetE1EEEvT1_: ; @_ZN7rocprim17ROCPRIM_400000_NS6detail17trampoline_kernelINS0_14default_configENS1_33run_length_encode_config_selectorIN3c104HalfEjNS0_4plusIjEEEEZZNS1_33reduce_by_key_impl_wrapped_configILNS1_25lookback_scan_determinismE0ES3_S9_PKS6_NS0_17constant_iteratorIjlEEPS6_PlSH_S8_NS0_8equal_toIS6_EEEE10hipError_tPvRmT2_T3_mT4_T5_T6_T7_T8_P12ihipStream_tbENKUlT_T0_E_clISt17integral_constantIbLb0EES10_IbLb1EEEEDaSW_SX_EUlSW_E_NS1_11comp_targetILNS1_3genE3ELNS1_11target_archE908ELNS1_3gpuE7ELNS1_3repE0EEENS1_30default_config_static_selectorELNS0_4arch9wavefront6targetE1EEEvT1_
; %bb.0:
	.section	.rodata,"a",@progbits
	.p2align	6, 0x0
	.amdhsa_kernel _ZN7rocprim17ROCPRIM_400000_NS6detail17trampoline_kernelINS0_14default_configENS1_33run_length_encode_config_selectorIN3c104HalfEjNS0_4plusIjEEEEZZNS1_33reduce_by_key_impl_wrapped_configILNS1_25lookback_scan_determinismE0ES3_S9_PKS6_NS0_17constant_iteratorIjlEEPS6_PlSH_S8_NS0_8equal_toIS6_EEEE10hipError_tPvRmT2_T3_mT4_T5_T6_T7_T8_P12ihipStream_tbENKUlT_T0_E_clISt17integral_constantIbLb0EES10_IbLb1EEEEDaSW_SX_EUlSW_E_NS1_11comp_targetILNS1_3genE3ELNS1_11target_archE908ELNS1_3gpuE7ELNS1_3repE0EEENS1_30default_config_static_selectorELNS0_4arch9wavefront6targetE1EEEvT1_
		.amdhsa_group_segment_fixed_size 0
		.amdhsa_private_segment_fixed_size 0
		.amdhsa_kernarg_size 128
		.amdhsa_user_sgpr_count 2
		.amdhsa_user_sgpr_dispatch_ptr 0
		.amdhsa_user_sgpr_queue_ptr 0
		.amdhsa_user_sgpr_kernarg_segment_ptr 1
		.amdhsa_user_sgpr_dispatch_id 0
		.amdhsa_user_sgpr_kernarg_preload_length 0
		.amdhsa_user_sgpr_kernarg_preload_offset 0
		.amdhsa_user_sgpr_private_segment_size 0
		.amdhsa_uses_dynamic_stack 0
		.amdhsa_enable_private_segment 0
		.amdhsa_system_sgpr_workgroup_id_x 1
		.amdhsa_system_sgpr_workgroup_id_y 0
		.amdhsa_system_sgpr_workgroup_id_z 0
		.amdhsa_system_sgpr_workgroup_info 0
		.amdhsa_system_vgpr_workitem_id 0
		.amdhsa_next_free_vgpr 1
		.amdhsa_next_free_sgpr 0
		.amdhsa_accum_offset 4
		.amdhsa_reserve_vcc 0
		.amdhsa_float_round_mode_32 0
		.amdhsa_float_round_mode_16_64 0
		.amdhsa_float_denorm_mode_32 3
		.amdhsa_float_denorm_mode_16_64 3
		.amdhsa_dx10_clamp 1
		.amdhsa_ieee_mode 1
		.amdhsa_fp16_overflow 0
		.amdhsa_tg_split 0
		.amdhsa_exception_fp_ieee_invalid_op 0
		.amdhsa_exception_fp_denorm_src 0
		.amdhsa_exception_fp_ieee_div_zero 0
		.amdhsa_exception_fp_ieee_overflow 0
		.amdhsa_exception_fp_ieee_underflow 0
		.amdhsa_exception_fp_ieee_inexact 0
		.amdhsa_exception_int_div_zero 0
	.end_amdhsa_kernel
	.section	.text._ZN7rocprim17ROCPRIM_400000_NS6detail17trampoline_kernelINS0_14default_configENS1_33run_length_encode_config_selectorIN3c104HalfEjNS0_4plusIjEEEEZZNS1_33reduce_by_key_impl_wrapped_configILNS1_25lookback_scan_determinismE0ES3_S9_PKS6_NS0_17constant_iteratorIjlEEPS6_PlSH_S8_NS0_8equal_toIS6_EEEE10hipError_tPvRmT2_T3_mT4_T5_T6_T7_T8_P12ihipStream_tbENKUlT_T0_E_clISt17integral_constantIbLb0EES10_IbLb1EEEEDaSW_SX_EUlSW_E_NS1_11comp_targetILNS1_3genE3ELNS1_11target_archE908ELNS1_3gpuE7ELNS1_3repE0EEENS1_30default_config_static_selectorELNS0_4arch9wavefront6targetE1EEEvT1_,"axG",@progbits,_ZN7rocprim17ROCPRIM_400000_NS6detail17trampoline_kernelINS0_14default_configENS1_33run_length_encode_config_selectorIN3c104HalfEjNS0_4plusIjEEEEZZNS1_33reduce_by_key_impl_wrapped_configILNS1_25lookback_scan_determinismE0ES3_S9_PKS6_NS0_17constant_iteratorIjlEEPS6_PlSH_S8_NS0_8equal_toIS6_EEEE10hipError_tPvRmT2_T3_mT4_T5_T6_T7_T8_P12ihipStream_tbENKUlT_T0_E_clISt17integral_constantIbLb0EES10_IbLb1EEEEDaSW_SX_EUlSW_E_NS1_11comp_targetILNS1_3genE3ELNS1_11target_archE908ELNS1_3gpuE7ELNS1_3repE0EEENS1_30default_config_static_selectorELNS0_4arch9wavefront6targetE1EEEvT1_,comdat
.Lfunc_end955:
	.size	_ZN7rocprim17ROCPRIM_400000_NS6detail17trampoline_kernelINS0_14default_configENS1_33run_length_encode_config_selectorIN3c104HalfEjNS0_4plusIjEEEEZZNS1_33reduce_by_key_impl_wrapped_configILNS1_25lookback_scan_determinismE0ES3_S9_PKS6_NS0_17constant_iteratorIjlEEPS6_PlSH_S8_NS0_8equal_toIS6_EEEE10hipError_tPvRmT2_T3_mT4_T5_T6_T7_T8_P12ihipStream_tbENKUlT_T0_E_clISt17integral_constantIbLb0EES10_IbLb1EEEEDaSW_SX_EUlSW_E_NS1_11comp_targetILNS1_3genE3ELNS1_11target_archE908ELNS1_3gpuE7ELNS1_3repE0EEENS1_30default_config_static_selectorELNS0_4arch9wavefront6targetE1EEEvT1_, .Lfunc_end955-_ZN7rocprim17ROCPRIM_400000_NS6detail17trampoline_kernelINS0_14default_configENS1_33run_length_encode_config_selectorIN3c104HalfEjNS0_4plusIjEEEEZZNS1_33reduce_by_key_impl_wrapped_configILNS1_25lookback_scan_determinismE0ES3_S9_PKS6_NS0_17constant_iteratorIjlEEPS6_PlSH_S8_NS0_8equal_toIS6_EEEE10hipError_tPvRmT2_T3_mT4_T5_T6_T7_T8_P12ihipStream_tbENKUlT_T0_E_clISt17integral_constantIbLb0EES10_IbLb1EEEEDaSW_SX_EUlSW_E_NS1_11comp_targetILNS1_3genE3ELNS1_11target_archE908ELNS1_3gpuE7ELNS1_3repE0EEENS1_30default_config_static_selectorELNS0_4arch9wavefront6targetE1EEEvT1_
                                        ; -- End function
	.section	.AMDGPU.csdata,"",@progbits
; Kernel info:
; codeLenInByte = 0
; NumSgprs: 6
; NumVgprs: 0
; NumAgprs: 0
; TotalNumVgprs: 0
; ScratchSize: 0
; MemoryBound: 0
; FloatMode: 240
; IeeeMode: 1
; LDSByteSize: 0 bytes/workgroup (compile time only)
; SGPRBlocks: 0
; VGPRBlocks: 0
; NumSGPRsForWavesPerEU: 6
; NumVGPRsForWavesPerEU: 1
; AccumOffset: 4
; Occupancy: 8
; WaveLimiterHint : 0
; COMPUTE_PGM_RSRC2:SCRATCH_EN: 0
; COMPUTE_PGM_RSRC2:USER_SGPR: 2
; COMPUTE_PGM_RSRC2:TRAP_HANDLER: 0
; COMPUTE_PGM_RSRC2:TGID_X_EN: 1
; COMPUTE_PGM_RSRC2:TGID_Y_EN: 0
; COMPUTE_PGM_RSRC2:TGID_Z_EN: 0
; COMPUTE_PGM_RSRC2:TIDIG_COMP_CNT: 0
; COMPUTE_PGM_RSRC3_GFX90A:ACCUM_OFFSET: 0
; COMPUTE_PGM_RSRC3_GFX90A:TG_SPLIT: 0
	.section	.text._ZN7rocprim17ROCPRIM_400000_NS6detail17trampoline_kernelINS0_14default_configENS1_33run_length_encode_config_selectorIN3c104HalfEjNS0_4plusIjEEEEZZNS1_33reduce_by_key_impl_wrapped_configILNS1_25lookback_scan_determinismE0ES3_S9_PKS6_NS0_17constant_iteratorIjlEEPS6_PlSH_S8_NS0_8equal_toIS6_EEEE10hipError_tPvRmT2_T3_mT4_T5_T6_T7_T8_P12ihipStream_tbENKUlT_T0_E_clISt17integral_constantIbLb0EES10_IbLb1EEEEDaSW_SX_EUlSW_E_NS1_11comp_targetILNS1_3genE2ELNS1_11target_archE906ELNS1_3gpuE6ELNS1_3repE0EEENS1_30default_config_static_selectorELNS0_4arch9wavefront6targetE1EEEvT1_,"axG",@progbits,_ZN7rocprim17ROCPRIM_400000_NS6detail17trampoline_kernelINS0_14default_configENS1_33run_length_encode_config_selectorIN3c104HalfEjNS0_4plusIjEEEEZZNS1_33reduce_by_key_impl_wrapped_configILNS1_25lookback_scan_determinismE0ES3_S9_PKS6_NS0_17constant_iteratorIjlEEPS6_PlSH_S8_NS0_8equal_toIS6_EEEE10hipError_tPvRmT2_T3_mT4_T5_T6_T7_T8_P12ihipStream_tbENKUlT_T0_E_clISt17integral_constantIbLb0EES10_IbLb1EEEEDaSW_SX_EUlSW_E_NS1_11comp_targetILNS1_3genE2ELNS1_11target_archE906ELNS1_3gpuE6ELNS1_3repE0EEENS1_30default_config_static_selectorELNS0_4arch9wavefront6targetE1EEEvT1_,comdat
	.protected	_ZN7rocprim17ROCPRIM_400000_NS6detail17trampoline_kernelINS0_14default_configENS1_33run_length_encode_config_selectorIN3c104HalfEjNS0_4plusIjEEEEZZNS1_33reduce_by_key_impl_wrapped_configILNS1_25lookback_scan_determinismE0ES3_S9_PKS6_NS0_17constant_iteratorIjlEEPS6_PlSH_S8_NS0_8equal_toIS6_EEEE10hipError_tPvRmT2_T3_mT4_T5_T6_T7_T8_P12ihipStream_tbENKUlT_T0_E_clISt17integral_constantIbLb0EES10_IbLb1EEEEDaSW_SX_EUlSW_E_NS1_11comp_targetILNS1_3genE2ELNS1_11target_archE906ELNS1_3gpuE6ELNS1_3repE0EEENS1_30default_config_static_selectorELNS0_4arch9wavefront6targetE1EEEvT1_ ; -- Begin function _ZN7rocprim17ROCPRIM_400000_NS6detail17trampoline_kernelINS0_14default_configENS1_33run_length_encode_config_selectorIN3c104HalfEjNS0_4plusIjEEEEZZNS1_33reduce_by_key_impl_wrapped_configILNS1_25lookback_scan_determinismE0ES3_S9_PKS6_NS0_17constant_iteratorIjlEEPS6_PlSH_S8_NS0_8equal_toIS6_EEEE10hipError_tPvRmT2_T3_mT4_T5_T6_T7_T8_P12ihipStream_tbENKUlT_T0_E_clISt17integral_constantIbLb0EES10_IbLb1EEEEDaSW_SX_EUlSW_E_NS1_11comp_targetILNS1_3genE2ELNS1_11target_archE906ELNS1_3gpuE6ELNS1_3repE0EEENS1_30default_config_static_selectorELNS0_4arch9wavefront6targetE1EEEvT1_
	.globl	_ZN7rocprim17ROCPRIM_400000_NS6detail17trampoline_kernelINS0_14default_configENS1_33run_length_encode_config_selectorIN3c104HalfEjNS0_4plusIjEEEEZZNS1_33reduce_by_key_impl_wrapped_configILNS1_25lookback_scan_determinismE0ES3_S9_PKS6_NS0_17constant_iteratorIjlEEPS6_PlSH_S8_NS0_8equal_toIS6_EEEE10hipError_tPvRmT2_T3_mT4_T5_T6_T7_T8_P12ihipStream_tbENKUlT_T0_E_clISt17integral_constantIbLb0EES10_IbLb1EEEEDaSW_SX_EUlSW_E_NS1_11comp_targetILNS1_3genE2ELNS1_11target_archE906ELNS1_3gpuE6ELNS1_3repE0EEENS1_30default_config_static_selectorELNS0_4arch9wavefront6targetE1EEEvT1_
	.p2align	8
	.type	_ZN7rocprim17ROCPRIM_400000_NS6detail17trampoline_kernelINS0_14default_configENS1_33run_length_encode_config_selectorIN3c104HalfEjNS0_4plusIjEEEEZZNS1_33reduce_by_key_impl_wrapped_configILNS1_25lookback_scan_determinismE0ES3_S9_PKS6_NS0_17constant_iteratorIjlEEPS6_PlSH_S8_NS0_8equal_toIS6_EEEE10hipError_tPvRmT2_T3_mT4_T5_T6_T7_T8_P12ihipStream_tbENKUlT_T0_E_clISt17integral_constantIbLb0EES10_IbLb1EEEEDaSW_SX_EUlSW_E_NS1_11comp_targetILNS1_3genE2ELNS1_11target_archE906ELNS1_3gpuE6ELNS1_3repE0EEENS1_30default_config_static_selectorELNS0_4arch9wavefront6targetE1EEEvT1_,@function
_ZN7rocprim17ROCPRIM_400000_NS6detail17trampoline_kernelINS0_14default_configENS1_33run_length_encode_config_selectorIN3c104HalfEjNS0_4plusIjEEEEZZNS1_33reduce_by_key_impl_wrapped_configILNS1_25lookback_scan_determinismE0ES3_S9_PKS6_NS0_17constant_iteratorIjlEEPS6_PlSH_S8_NS0_8equal_toIS6_EEEE10hipError_tPvRmT2_T3_mT4_T5_T6_T7_T8_P12ihipStream_tbENKUlT_T0_E_clISt17integral_constantIbLb0EES10_IbLb1EEEEDaSW_SX_EUlSW_E_NS1_11comp_targetILNS1_3genE2ELNS1_11target_archE906ELNS1_3gpuE6ELNS1_3repE0EEENS1_30default_config_static_selectorELNS0_4arch9wavefront6targetE1EEEvT1_: ; @_ZN7rocprim17ROCPRIM_400000_NS6detail17trampoline_kernelINS0_14default_configENS1_33run_length_encode_config_selectorIN3c104HalfEjNS0_4plusIjEEEEZZNS1_33reduce_by_key_impl_wrapped_configILNS1_25lookback_scan_determinismE0ES3_S9_PKS6_NS0_17constant_iteratorIjlEEPS6_PlSH_S8_NS0_8equal_toIS6_EEEE10hipError_tPvRmT2_T3_mT4_T5_T6_T7_T8_P12ihipStream_tbENKUlT_T0_E_clISt17integral_constantIbLb0EES10_IbLb1EEEEDaSW_SX_EUlSW_E_NS1_11comp_targetILNS1_3genE2ELNS1_11target_archE906ELNS1_3gpuE6ELNS1_3repE0EEENS1_30default_config_static_selectorELNS0_4arch9wavefront6targetE1EEEvT1_
; %bb.0:
	.section	.rodata,"a",@progbits
	.p2align	6, 0x0
	.amdhsa_kernel _ZN7rocprim17ROCPRIM_400000_NS6detail17trampoline_kernelINS0_14default_configENS1_33run_length_encode_config_selectorIN3c104HalfEjNS0_4plusIjEEEEZZNS1_33reduce_by_key_impl_wrapped_configILNS1_25lookback_scan_determinismE0ES3_S9_PKS6_NS0_17constant_iteratorIjlEEPS6_PlSH_S8_NS0_8equal_toIS6_EEEE10hipError_tPvRmT2_T3_mT4_T5_T6_T7_T8_P12ihipStream_tbENKUlT_T0_E_clISt17integral_constantIbLb0EES10_IbLb1EEEEDaSW_SX_EUlSW_E_NS1_11comp_targetILNS1_3genE2ELNS1_11target_archE906ELNS1_3gpuE6ELNS1_3repE0EEENS1_30default_config_static_selectorELNS0_4arch9wavefront6targetE1EEEvT1_
		.amdhsa_group_segment_fixed_size 0
		.amdhsa_private_segment_fixed_size 0
		.amdhsa_kernarg_size 128
		.amdhsa_user_sgpr_count 2
		.amdhsa_user_sgpr_dispatch_ptr 0
		.amdhsa_user_sgpr_queue_ptr 0
		.amdhsa_user_sgpr_kernarg_segment_ptr 1
		.amdhsa_user_sgpr_dispatch_id 0
		.amdhsa_user_sgpr_kernarg_preload_length 0
		.amdhsa_user_sgpr_kernarg_preload_offset 0
		.amdhsa_user_sgpr_private_segment_size 0
		.amdhsa_uses_dynamic_stack 0
		.amdhsa_enable_private_segment 0
		.amdhsa_system_sgpr_workgroup_id_x 1
		.amdhsa_system_sgpr_workgroup_id_y 0
		.amdhsa_system_sgpr_workgroup_id_z 0
		.amdhsa_system_sgpr_workgroup_info 0
		.amdhsa_system_vgpr_workitem_id 0
		.amdhsa_next_free_vgpr 1
		.amdhsa_next_free_sgpr 0
		.amdhsa_accum_offset 4
		.amdhsa_reserve_vcc 0
		.amdhsa_float_round_mode_32 0
		.amdhsa_float_round_mode_16_64 0
		.amdhsa_float_denorm_mode_32 3
		.amdhsa_float_denorm_mode_16_64 3
		.amdhsa_dx10_clamp 1
		.amdhsa_ieee_mode 1
		.amdhsa_fp16_overflow 0
		.amdhsa_tg_split 0
		.amdhsa_exception_fp_ieee_invalid_op 0
		.amdhsa_exception_fp_denorm_src 0
		.amdhsa_exception_fp_ieee_div_zero 0
		.amdhsa_exception_fp_ieee_overflow 0
		.amdhsa_exception_fp_ieee_underflow 0
		.amdhsa_exception_fp_ieee_inexact 0
		.amdhsa_exception_int_div_zero 0
	.end_amdhsa_kernel
	.section	.text._ZN7rocprim17ROCPRIM_400000_NS6detail17trampoline_kernelINS0_14default_configENS1_33run_length_encode_config_selectorIN3c104HalfEjNS0_4plusIjEEEEZZNS1_33reduce_by_key_impl_wrapped_configILNS1_25lookback_scan_determinismE0ES3_S9_PKS6_NS0_17constant_iteratorIjlEEPS6_PlSH_S8_NS0_8equal_toIS6_EEEE10hipError_tPvRmT2_T3_mT4_T5_T6_T7_T8_P12ihipStream_tbENKUlT_T0_E_clISt17integral_constantIbLb0EES10_IbLb1EEEEDaSW_SX_EUlSW_E_NS1_11comp_targetILNS1_3genE2ELNS1_11target_archE906ELNS1_3gpuE6ELNS1_3repE0EEENS1_30default_config_static_selectorELNS0_4arch9wavefront6targetE1EEEvT1_,"axG",@progbits,_ZN7rocprim17ROCPRIM_400000_NS6detail17trampoline_kernelINS0_14default_configENS1_33run_length_encode_config_selectorIN3c104HalfEjNS0_4plusIjEEEEZZNS1_33reduce_by_key_impl_wrapped_configILNS1_25lookback_scan_determinismE0ES3_S9_PKS6_NS0_17constant_iteratorIjlEEPS6_PlSH_S8_NS0_8equal_toIS6_EEEE10hipError_tPvRmT2_T3_mT4_T5_T6_T7_T8_P12ihipStream_tbENKUlT_T0_E_clISt17integral_constantIbLb0EES10_IbLb1EEEEDaSW_SX_EUlSW_E_NS1_11comp_targetILNS1_3genE2ELNS1_11target_archE906ELNS1_3gpuE6ELNS1_3repE0EEENS1_30default_config_static_selectorELNS0_4arch9wavefront6targetE1EEEvT1_,comdat
.Lfunc_end956:
	.size	_ZN7rocprim17ROCPRIM_400000_NS6detail17trampoline_kernelINS0_14default_configENS1_33run_length_encode_config_selectorIN3c104HalfEjNS0_4plusIjEEEEZZNS1_33reduce_by_key_impl_wrapped_configILNS1_25lookback_scan_determinismE0ES3_S9_PKS6_NS0_17constant_iteratorIjlEEPS6_PlSH_S8_NS0_8equal_toIS6_EEEE10hipError_tPvRmT2_T3_mT4_T5_T6_T7_T8_P12ihipStream_tbENKUlT_T0_E_clISt17integral_constantIbLb0EES10_IbLb1EEEEDaSW_SX_EUlSW_E_NS1_11comp_targetILNS1_3genE2ELNS1_11target_archE906ELNS1_3gpuE6ELNS1_3repE0EEENS1_30default_config_static_selectorELNS0_4arch9wavefront6targetE1EEEvT1_, .Lfunc_end956-_ZN7rocprim17ROCPRIM_400000_NS6detail17trampoline_kernelINS0_14default_configENS1_33run_length_encode_config_selectorIN3c104HalfEjNS0_4plusIjEEEEZZNS1_33reduce_by_key_impl_wrapped_configILNS1_25lookback_scan_determinismE0ES3_S9_PKS6_NS0_17constant_iteratorIjlEEPS6_PlSH_S8_NS0_8equal_toIS6_EEEE10hipError_tPvRmT2_T3_mT4_T5_T6_T7_T8_P12ihipStream_tbENKUlT_T0_E_clISt17integral_constantIbLb0EES10_IbLb1EEEEDaSW_SX_EUlSW_E_NS1_11comp_targetILNS1_3genE2ELNS1_11target_archE906ELNS1_3gpuE6ELNS1_3repE0EEENS1_30default_config_static_selectorELNS0_4arch9wavefront6targetE1EEEvT1_
                                        ; -- End function
	.section	.AMDGPU.csdata,"",@progbits
; Kernel info:
; codeLenInByte = 0
; NumSgprs: 6
; NumVgprs: 0
; NumAgprs: 0
; TotalNumVgprs: 0
; ScratchSize: 0
; MemoryBound: 0
; FloatMode: 240
; IeeeMode: 1
; LDSByteSize: 0 bytes/workgroup (compile time only)
; SGPRBlocks: 0
; VGPRBlocks: 0
; NumSGPRsForWavesPerEU: 6
; NumVGPRsForWavesPerEU: 1
; AccumOffset: 4
; Occupancy: 8
; WaveLimiterHint : 0
; COMPUTE_PGM_RSRC2:SCRATCH_EN: 0
; COMPUTE_PGM_RSRC2:USER_SGPR: 2
; COMPUTE_PGM_RSRC2:TRAP_HANDLER: 0
; COMPUTE_PGM_RSRC2:TGID_X_EN: 1
; COMPUTE_PGM_RSRC2:TGID_Y_EN: 0
; COMPUTE_PGM_RSRC2:TGID_Z_EN: 0
; COMPUTE_PGM_RSRC2:TIDIG_COMP_CNT: 0
; COMPUTE_PGM_RSRC3_GFX90A:ACCUM_OFFSET: 0
; COMPUTE_PGM_RSRC3_GFX90A:TG_SPLIT: 0
	.section	.text._ZN7rocprim17ROCPRIM_400000_NS6detail17trampoline_kernelINS0_14default_configENS1_33run_length_encode_config_selectorIN3c104HalfEjNS0_4plusIjEEEEZZNS1_33reduce_by_key_impl_wrapped_configILNS1_25lookback_scan_determinismE0ES3_S9_PKS6_NS0_17constant_iteratorIjlEEPS6_PlSH_S8_NS0_8equal_toIS6_EEEE10hipError_tPvRmT2_T3_mT4_T5_T6_T7_T8_P12ihipStream_tbENKUlT_T0_E_clISt17integral_constantIbLb0EES10_IbLb1EEEEDaSW_SX_EUlSW_E_NS1_11comp_targetILNS1_3genE10ELNS1_11target_archE1201ELNS1_3gpuE5ELNS1_3repE0EEENS1_30default_config_static_selectorELNS0_4arch9wavefront6targetE1EEEvT1_,"axG",@progbits,_ZN7rocprim17ROCPRIM_400000_NS6detail17trampoline_kernelINS0_14default_configENS1_33run_length_encode_config_selectorIN3c104HalfEjNS0_4plusIjEEEEZZNS1_33reduce_by_key_impl_wrapped_configILNS1_25lookback_scan_determinismE0ES3_S9_PKS6_NS0_17constant_iteratorIjlEEPS6_PlSH_S8_NS0_8equal_toIS6_EEEE10hipError_tPvRmT2_T3_mT4_T5_T6_T7_T8_P12ihipStream_tbENKUlT_T0_E_clISt17integral_constantIbLb0EES10_IbLb1EEEEDaSW_SX_EUlSW_E_NS1_11comp_targetILNS1_3genE10ELNS1_11target_archE1201ELNS1_3gpuE5ELNS1_3repE0EEENS1_30default_config_static_selectorELNS0_4arch9wavefront6targetE1EEEvT1_,comdat
	.protected	_ZN7rocprim17ROCPRIM_400000_NS6detail17trampoline_kernelINS0_14default_configENS1_33run_length_encode_config_selectorIN3c104HalfEjNS0_4plusIjEEEEZZNS1_33reduce_by_key_impl_wrapped_configILNS1_25lookback_scan_determinismE0ES3_S9_PKS6_NS0_17constant_iteratorIjlEEPS6_PlSH_S8_NS0_8equal_toIS6_EEEE10hipError_tPvRmT2_T3_mT4_T5_T6_T7_T8_P12ihipStream_tbENKUlT_T0_E_clISt17integral_constantIbLb0EES10_IbLb1EEEEDaSW_SX_EUlSW_E_NS1_11comp_targetILNS1_3genE10ELNS1_11target_archE1201ELNS1_3gpuE5ELNS1_3repE0EEENS1_30default_config_static_selectorELNS0_4arch9wavefront6targetE1EEEvT1_ ; -- Begin function _ZN7rocprim17ROCPRIM_400000_NS6detail17trampoline_kernelINS0_14default_configENS1_33run_length_encode_config_selectorIN3c104HalfEjNS0_4plusIjEEEEZZNS1_33reduce_by_key_impl_wrapped_configILNS1_25lookback_scan_determinismE0ES3_S9_PKS6_NS0_17constant_iteratorIjlEEPS6_PlSH_S8_NS0_8equal_toIS6_EEEE10hipError_tPvRmT2_T3_mT4_T5_T6_T7_T8_P12ihipStream_tbENKUlT_T0_E_clISt17integral_constantIbLb0EES10_IbLb1EEEEDaSW_SX_EUlSW_E_NS1_11comp_targetILNS1_3genE10ELNS1_11target_archE1201ELNS1_3gpuE5ELNS1_3repE0EEENS1_30default_config_static_selectorELNS0_4arch9wavefront6targetE1EEEvT1_
	.globl	_ZN7rocprim17ROCPRIM_400000_NS6detail17trampoline_kernelINS0_14default_configENS1_33run_length_encode_config_selectorIN3c104HalfEjNS0_4plusIjEEEEZZNS1_33reduce_by_key_impl_wrapped_configILNS1_25lookback_scan_determinismE0ES3_S9_PKS6_NS0_17constant_iteratorIjlEEPS6_PlSH_S8_NS0_8equal_toIS6_EEEE10hipError_tPvRmT2_T3_mT4_T5_T6_T7_T8_P12ihipStream_tbENKUlT_T0_E_clISt17integral_constantIbLb0EES10_IbLb1EEEEDaSW_SX_EUlSW_E_NS1_11comp_targetILNS1_3genE10ELNS1_11target_archE1201ELNS1_3gpuE5ELNS1_3repE0EEENS1_30default_config_static_selectorELNS0_4arch9wavefront6targetE1EEEvT1_
	.p2align	8
	.type	_ZN7rocprim17ROCPRIM_400000_NS6detail17trampoline_kernelINS0_14default_configENS1_33run_length_encode_config_selectorIN3c104HalfEjNS0_4plusIjEEEEZZNS1_33reduce_by_key_impl_wrapped_configILNS1_25lookback_scan_determinismE0ES3_S9_PKS6_NS0_17constant_iteratorIjlEEPS6_PlSH_S8_NS0_8equal_toIS6_EEEE10hipError_tPvRmT2_T3_mT4_T5_T6_T7_T8_P12ihipStream_tbENKUlT_T0_E_clISt17integral_constantIbLb0EES10_IbLb1EEEEDaSW_SX_EUlSW_E_NS1_11comp_targetILNS1_3genE10ELNS1_11target_archE1201ELNS1_3gpuE5ELNS1_3repE0EEENS1_30default_config_static_selectorELNS0_4arch9wavefront6targetE1EEEvT1_,@function
_ZN7rocprim17ROCPRIM_400000_NS6detail17trampoline_kernelINS0_14default_configENS1_33run_length_encode_config_selectorIN3c104HalfEjNS0_4plusIjEEEEZZNS1_33reduce_by_key_impl_wrapped_configILNS1_25lookback_scan_determinismE0ES3_S9_PKS6_NS0_17constant_iteratorIjlEEPS6_PlSH_S8_NS0_8equal_toIS6_EEEE10hipError_tPvRmT2_T3_mT4_T5_T6_T7_T8_P12ihipStream_tbENKUlT_T0_E_clISt17integral_constantIbLb0EES10_IbLb1EEEEDaSW_SX_EUlSW_E_NS1_11comp_targetILNS1_3genE10ELNS1_11target_archE1201ELNS1_3gpuE5ELNS1_3repE0EEENS1_30default_config_static_selectorELNS0_4arch9wavefront6targetE1EEEvT1_: ; @_ZN7rocprim17ROCPRIM_400000_NS6detail17trampoline_kernelINS0_14default_configENS1_33run_length_encode_config_selectorIN3c104HalfEjNS0_4plusIjEEEEZZNS1_33reduce_by_key_impl_wrapped_configILNS1_25lookback_scan_determinismE0ES3_S9_PKS6_NS0_17constant_iteratorIjlEEPS6_PlSH_S8_NS0_8equal_toIS6_EEEE10hipError_tPvRmT2_T3_mT4_T5_T6_T7_T8_P12ihipStream_tbENKUlT_T0_E_clISt17integral_constantIbLb0EES10_IbLb1EEEEDaSW_SX_EUlSW_E_NS1_11comp_targetILNS1_3genE10ELNS1_11target_archE1201ELNS1_3gpuE5ELNS1_3repE0EEENS1_30default_config_static_selectorELNS0_4arch9wavefront6targetE1EEEvT1_
; %bb.0:
	.section	.rodata,"a",@progbits
	.p2align	6, 0x0
	.amdhsa_kernel _ZN7rocprim17ROCPRIM_400000_NS6detail17trampoline_kernelINS0_14default_configENS1_33run_length_encode_config_selectorIN3c104HalfEjNS0_4plusIjEEEEZZNS1_33reduce_by_key_impl_wrapped_configILNS1_25lookback_scan_determinismE0ES3_S9_PKS6_NS0_17constant_iteratorIjlEEPS6_PlSH_S8_NS0_8equal_toIS6_EEEE10hipError_tPvRmT2_T3_mT4_T5_T6_T7_T8_P12ihipStream_tbENKUlT_T0_E_clISt17integral_constantIbLb0EES10_IbLb1EEEEDaSW_SX_EUlSW_E_NS1_11comp_targetILNS1_3genE10ELNS1_11target_archE1201ELNS1_3gpuE5ELNS1_3repE0EEENS1_30default_config_static_selectorELNS0_4arch9wavefront6targetE1EEEvT1_
		.amdhsa_group_segment_fixed_size 0
		.amdhsa_private_segment_fixed_size 0
		.amdhsa_kernarg_size 128
		.amdhsa_user_sgpr_count 2
		.amdhsa_user_sgpr_dispatch_ptr 0
		.amdhsa_user_sgpr_queue_ptr 0
		.amdhsa_user_sgpr_kernarg_segment_ptr 1
		.amdhsa_user_sgpr_dispatch_id 0
		.amdhsa_user_sgpr_kernarg_preload_length 0
		.amdhsa_user_sgpr_kernarg_preload_offset 0
		.amdhsa_user_sgpr_private_segment_size 0
		.amdhsa_uses_dynamic_stack 0
		.amdhsa_enable_private_segment 0
		.amdhsa_system_sgpr_workgroup_id_x 1
		.amdhsa_system_sgpr_workgroup_id_y 0
		.amdhsa_system_sgpr_workgroup_id_z 0
		.amdhsa_system_sgpr_workgroup_info 0
		.amdhsa_system_vgpr_workitem_id 0
		.amdhsa_next_free_vgpr 1
		.amdhsa_next_free_sgpr 0
		.amdhsa_accum_offset 4
		.amdhsa_reserve_vcc 0
		.amdhsa_float_round_mode_32 0
		.amdhsa_float_round_mode_16_64 0
		.amdhsa_float_denorm_mode_32 3
		.amdhsa_float_denorm_mode_16_64 3
		.amdhsa_dx10_clamp 1
		.amdhsa_ieee_mode 1
		.amdhsa_fp16_overflow 0
		.amdhsa_tg_split 0
		.amdhsa_exception_fp_ieee_invalid_op 0
		.amdhsa_exception_fp_denorm_src 0
		.amdhsa_exception_fp_ieee_div_zero 0
		.amdhsa_exception_fp_ieee_overflow 0
		.amdhsa_exception_fp_ieee_underflow 0
		.amdhsa_exception_fp_ieee_inexact 0
		.amdhsa_exception_int_div_zero 0
	.end_amdhsa_kernel
	.section	.text._ZN7rocprim17ROCPRIM_400000_NS6detail17trampoline_kernelINS0_14default_configENS1_33run_length_encode_config_selectorIN3c104HalfEjNS0_4plusIjEEEEZZNS1_33reduce_by_key_impl_wrapped_configILNS1_25lookback_scan_determinismE0ES3_S9_PKS6_NS0_17constant_iteratorIjlEEPS6_PlSH_S8_NS0_8equal_toIS6_EEEE10hipError_tPvRmT2_T3_mT4_T5_T6_T7_T8_P12ihipStream_tbENKUlT_T0_E_clISt17integral_constantIbLb0EES10_IbLb1EEEEDaSW_SX_EUlSW_E_NS1_11comp_targetILNS1_3genE10ELNS1_11target_archE1201ELNS1_3gpuE5ELNS1_3repE0EEENS1_30default_config_static_selectorELNS0_4arch9wavefront6targetE1EEEvT1_,"axG",@progbits,_ZN7rocprim17ROCPRIM_400000_NS6detail17trampoline_kernelINS0_14default_configENS1_33run_length_encode_config_selectorIN3c104HalfEjNS0_4plusIjEEEEZZNS1_33reduce_by_key_impl_wrapped_configILNS1_25lookback_scan_determinismE0ES3_S9_PKS6_NS0_17constant_iteratorIjlEEPS6_PlSH_S8_NS0_8equal_toIS6_EEEE10hipError_tPvRmT2_T3_mT4_T5_T6_T7_T8_P12ihipStream_tbENKUlT_T0_E_clISt17integral_constantIbLb0EES10_IbLb1EEEEDaSW_SX_EUlSW_E_NS1_11comp_targetILNS1_3genE10ELNS1_11target_archE1201ELNS1_3gpuE5ELNS1_3repE0EEENS1_30default_config_static_selectorELNS0_4arch9wavefront6targetE1EEEvT1_,comdat
.Lfunc_end957:
	.size	_ZN7rocprim17ROCPRIM_400000_NS6detail17trampoline_kernelINS0_14default_configENS1_33run_length_encode_config_selectorIN3c104HalfEjNS0_4plusIjEEEEZZNS1_33reduce_by_key_impl_wrapped_configILNS1_25lookback_scan_determinismE0ES3_S9_PKS6_NS0_17constant_iteratorIjlEEPS6_PlSH_S8_NS0_8equal_toIS6_EEEE10hipError_tPvRmT2_T3_mT4_T5_T6_T7_T8_P12ihipStream_tbENKUlT_T0_E_clISt17integral_constantIbLb0EES10_IbLb1EEEEDaSW_SX_EUlSW_E_NS1_11comp_targetILNS1_3genE10ELNS1_11target_archE1201ELNS1_3gpuE5ELNS1_3repE0EEENS1_30default_config_static_selectorELNS0_4arch9wavefront6targetE1EEEvT1_, .Lfunc_end957-_ZN7rocprim17ROCPRIM_400000_NS6detail17trampoline_kernelINS0_14default_configENS1_33run_length_encode_config_selectorIN3c104HalfEjNS0_4plusIjEEEEZZNS1_33reduce_by_key_impl_wrapped_configILNS1_25lookback_scan_determinismE0ES3_S9_PKS6_NS0_17constant_iteratorIjlEEPS6_PlSH_S8_NS0_8equal_toIS6_EEEE10hipError_tPvRmT2_T3_mT4_T5_T6_T7_T8_P12ihipStream_tbENKUlT_T0_E_clISt17integral_constantIbLb0EES10_IbLb1EEEEDaSW_SX_EUlSW_E_NS1_11comp_targetILNS1_3genE10ELNS1_11target_archE1201ELNS1_3gpuE5ELNS1_3repE0EEENS1_30default_config_static_selectorELNS0_4arch9wavefront6targetE1EEEvT1_
                                        ; -- End function
	.section	.AMDGPU.csdata,"",@progbits
; Kernel info:
; codeLenInByte = 0
; NumSgprs: 6
; NumVgprs: 0
; NumAgprs: 0
; TotalNumVgprs: 0
; ScratchSize: 0
; MemoryBound: 0
; FloatMode: 240
; IeeeMode: 1
; LDSByteSize: 0 bytes/workgroup (compile time only)
; SGPRBlocks: 0
; VGPRBlocks: 0
; NumSGPRsForWavesPerEU: 6
; NumVGPRsForWavesPerEU: 1
; AccumOffset: 4
; Occupancy: 8
; WaveLimiterHint : 0
; COMPUTE_PGM_RSRC2:SCRATCH_EN: 0
; COMPUTE_PGM_RSRC2:USER_SGPR: 2
; COMPUTE_PGM_RSRC2:TRAP_HANDLER: 0
; COMPUTE_PGM_RSRC2:TGID_X_EN: 1
; COMPUTE_PGM_RSRC2:TGID_Y_EN: 0
; COMPUTE_PGM_RSRC2:TGID_Z_EN: 0
; COMPUTE_PGM_RSRC2:TIDIG_COMP_CNT: 0
; COMPUTE_PGM_RSRC3_GFX90A:ACCUM_OFFSET: 0
; COMPUTE_PGM_RSRC3_GFX90A:TG_SPLIT: 0
	.section	.text._ZN7rocprim17ROCPRIM_400000_NS6detail17trampoline_kernelINS0_14default_configENS1_33run_length_encode_config_selectorIN3c104HalfEjNS0_4plusIjEEEEZZNS1_33reduce_by_key_impl_wrapped_configILNS1_25lookback_scan_determinismE0ES3_S9_PKS6_NS0_17constant_iteratorIjlEEPS6_PlSH_S8_NS0_8equal_toIS6_EEEE10hipError_tPvRmT2_T3_mT4_T5_T6_T7_T8_P12ihipStream_tbENKUlT_T0_E_clISt17integral_constantIbLb0EES10_IbLb1EEEEDaSW_SX_EUlSW_E_NS1_11comp_targetILNS1_3genE10ELNS1_11target_archE1200ELNS1_3gpuE4ELNS1_3repE0EEENS1_30default_config_static_selectorELNS0_4arch9wavefront6targetE1EEEvT1_,"axG",@progbits,_ZN7rocprim17ROCPRIM_400000_NS6detail17trampoline_kernelINS0_14default_configENS1_33run_length_encode_config_selectorIN3c104HalfEjNS0_4plusIjEEEEZZNS1_33reduce_by_key_impl_wrapped_configILNS1_25lookback_scan_determinismE0ES3_S9_PKS6_NS0_17constant_iteratorIjlEEPS6_PlSH_S8_NS0_8equal_toIS6_EEEE10hipError_tPvRmT2_T3_mT4_T5_T6_T7_T8_P12ihipStream_tbENKUlT_T0_E_clISt17integral_constantIbLb0EES10_IbLb1EEEEDaSW_SX_EUlSW_E_NS1_11comp_targetILNS1_3genE10ELNS1_11target_archE1200ELNS1_3gpuE4ELNS1_3repE0EEENS1_30default_config_static_selectorELNS0_4arch9wavefront6targetE1EEEvT1_,comdat
	.protected	_ZN7rocprim17ROCPRIM_400000_NS6detail17trampoline_kernelINS0_14default_configENS1_33run_length_encode_config_selectorIN3c104HalfEjNS0_4plusIjEEEEZZNS1_33reduce_by_key_impl_wrapped_configILNS1_25lookback_scan_determinismE0ES3_S9_PKS6_NS0_17constant_iteratorIjlEEPS6_PlSH_S8_NS0_8equal_toIS6_EEEE10hipError_tPvRmT2_T3_mT4_T5_T6_T7_T8_P12ihipStream_tbENKUlT_T0_E_clISt17integral_constantIbLb0EES10_IbLb1EEEEDaSW_SX_EUlSW_E_NS1_11comp_targetILNS1_3genE10ELNS1_11target_archE1200ELNS1_3gpuE4ELNS1_3repE0EEENS1_30default_config_static_selectorELNS0_4arch9wavefront6targetE1EEEvT1_ ; -- Begin function _ZN7rocprim17ROCPRIM_400000_NS6detail17trampoline_kernelINS0_14default_configENS1_33run_length_encode_config_selectorIN3c104HalfEjNS0_4plusIjEEEEZZNS1_33reduce_by_key_impl_wrapped_configILNS1_25lookback_scan_determinismE0ES3_S9_PKS6_NS0_17constant_iteratorIjlEEPS6_PlSH_S8_NS0_8equal_toIS6_EEEE10hipError_tPvRmT2_T3_mT4_T5_T6_T7_T8_P12ihipStream_tbENKUlT_T0_E_clISt17integral_constantIbLb0EES10_IbLb1EEEEDaSW_SX_EUlSW_E_NS1_11comp_targetILNS1_3genE10ELNS1_11target_archE1200ELNS1_3gpuE4ELNS1_3repE0EEENS1_30default_config_static_selectorELNS0_4arch9wavefront6targetE1EEEvT1_
	.globl	_ZN7rocprim17ROCPRIM_400000_NS6detail17trampoline_kernelINS0_14default_configENS1_33run_length_encode_config_selectorIN3c104HalfEjNS0_4plusIjEEEEZZNS1_33reduce_by_key_impl_wrapped_configILNS1_25lookback_scan_determinismE0ES3_S9_PKS6_NS0_17constant_iteratorIjlEEPS6_PlSH_S8_NS0_8equal_toIS6_EEEE10hipError_tPvRmT2_T3_mT4_T5_T6_T7_T8_P12ihipStream_tbENKUlT_T0_E_clISt17integral_constantIbLb0EES10_IbLb1EEEEDaSW_SX_EUlSW_E_NS1_11comp_targetILNS1_3genE10ELNS1_11target_archE1200ELNS1_3gpuE4ELNS1_3repE0EEENS1_30default_config_static_selectorELNS0_4arch9wavefront6targetE1EEEvT1_
	.p2align	8
	.type	_ZN7rocprim17ROCPRIM_400000_NS6detail17trampoline_kernelINS0_14default_configENS1_33run_length_encode_config_selectorIN3c104HalfEjNS0_4plusIjEEEEZZNS1_33reduce_by_key_impl_wrapped_configILNS1_25lookback_scan_determinismE0ES3_S9_PKS6_NS0_17constant_iteratorIjlEEPS6_PlSH_S8_NS0_8equal_toIS6_EEEE10hipError_tPvRmT2_T3_mT4_T5_T6_T7_T8_P12ihipStream_tbENKUlT_T0_E_clISt17integral_constantIbLb0EES10_IbLb1EEEEDaSW_SX_EUlSW_E_NS1_11comp_targetILNS1_3genE10ELNS1_11target_archE1200ELNS1_3gpuE4ELNS1_3repE0EEENS1_30default_config_static_selectorELNS0_4arch9wavefront6targetE1EEEvT1_,@function
_ZN7rocprim17ROCPRIM_400000_NS6detail17trampoline_kernelINS0_14default_configENS1_33run_length_encode_config_selectorIN3c104HalfEjNS0_4plusIjEEEEZZNS1_33reduce_by_key_impl_wrapped_configILNS1_25lookback_scan_determinismE0ES3_S9_PKS6_NS0_17constant_iteratorIjlEEPS6_PlSH_S8_NS0_8equal_toIS6_EEEE10hipError_tPvRmT2_T3_mT4_T5_T6_T7_T8_P12ihipStream_tbENKUlT_T0_E_clISt17integral_constantIbLb0EES10_IbLb1EEEEDaSW_SX_EUlSW_E_NS1_11comp_targetILNS1_3genE10ELNS1_11target_archE1200ELNS1_3gpuE4ELNS1_3repE0EEENS1_30default_config_static_selectorELNS0_4arch9wavefront6targetE1EEEvT1_: ; @_ZN7rocprim17ROCPRIM_400000_NS6detail17trampoline_kernelINS0_14default_configENS1_33run_length_encode_config_selectorIN3c104HalfEjNS0_4plusIjEEEEZZNS1_33reduce_by_key_impl_wrapped_configILNS1_25lookback_scan_determinismE0ES3_S9_PKS6_NS0_17constant_iteratorIjlEEPS6_PlSH_S8_NS0_8equal_toIS6_EEEE10hipError_tPvRmT2_T3_mT4_T5_T6_T7_T8_P12ihipStream_tbENKUlT_T0_E_clISt17integral_constantIbLb0EES10_IbLb1EEEEDaSW_SX_EUlSW_E_NS1_11comp_targetILNS1_3genE10ELNS1_11target_archE1200ELNS1_3gpuE4ELNS1_3repE0EEENS1_30default_config_static_selectorELNS0_4arch9wavefront6targetE1EEEvT1_
; %bb.0:
	.section	.rodata,"a",@progbits
	.p2align	6, 0x0
	.amdhsa_kernel _ZN7rocprim17ROCPRIM_400000_NS6detail17trampoline_kernelINS0_14default_configENS1_33run_length_encode_config_selectorIN3c104HalfEjNS0_4plusIjEEEEZZNS1_33reduce_by_key_impl_wrapped_configILNS1_25lookback_scan_determinismE0ES3_S9_PKS6_NS0_17constant_iteratorIjlEEPS6_PlSH_S8_NS0_8equal_toIS6_EEEE10hipError_tPvRmT2_T3_mT4_T5_T6_T7_T8_P12ihipStream_tbENKUlT_T0_E_clISt17integral_constantIbLb0EES10_IbLb1EEEEDaSW_SX_EUlSW_E_NS1_11comp_targetILNS1_3genE10ELNS1_11target_archE1200ELNS1_3gpuE4ELNS1_3repE0EEENS1_30default_config_static_selectorELNS0_4arch9wavefront6targetE1EEEvT1_
		.amdhsa_group_segment_fixed_size 0
		.amdhsa_private_segment_fixed_size 0
		.amdhsa_kernarg_size 128
		.amdhsa_user_sgpr_count 2
		.amdhsa_user_sgpr_dispatch_ptr 0
		.amdhsa_user_sgpr_queue_ptr 0
		.amdhsa_user_sgpr_kernarg_segment_ptr 1
		.amdhsa_user_sgpr_dispatch_id 0
		.amdhsa_user_sgpr_kernarg_preload_length 0
		.amdhsa_user_sgpr_kernarg_preload_offset 0
		.amdhsa_user_sgpr_private_segment_size 0
		.amdhsa_uses_dynamic_stack 0
		.amdhsa_enable_private_segment 0
		.amdhsa_system_sgpr_workgroup_id_x 1
		.amdhsa_system_sgpr_workgroup_id_y 0
		.amdhsa_system_sgpr_workgroup_id_z 0
		.amdhsa_system_sgpr_workgroup_info 0
		.amdhsa_system_vgpr_workitem_id 0
		.amdhsa_next_free_vgpr 1
		.amdhsa_next_free_sgpr 0
		.amdhsa_accum_offset 4
		.amdhsa_reserve_vcc 0
		.amdhsa_float_round_mode_32 0
		.amdhsa_float_round_mode_16_64 0
		.amdhsa_float_denorm_mode_32 3
		.amdhsa_float_denorm_mode_16_64 3
		.amdhsa_dx10_clamp 1
		.amdhsa_ieee_mode 1
		.amdhsa_fp16_overflow 0
		.amdhsa_tg_split 0
		.amdhsa_exception_fp_ieee_invalid_op 0
		.amdhsa_exception_fp_denorm_src 0
		.amdhsa_exception_fp_ieee_div_zero 0
		.amdhsa_exception_fp_ieee_overflow 0
		.amdhsa_exception_fp_ieee_underflow 0
		.amdhsa_exception_fp_ieee_inexact 0
		.amdhsa_exception_int_div_zero 0
	.end_amdhsa_kernel
	.section	.text._ZN7rocprim17ROCPRIM_400000_NS6detail17trampoline_kernelINS0_14default_configENS1_33run_length_encode_config_selectorIN3c104HalfEjNS0_4plusIjEEEEZZNS1_33reduce_by_key_impl_wrapped_configILNS1_25lookback_scan_determinismE0ES3_S9_PKS6_NS0_17constant_iteratorIjlEEPS6_PlSH_S8_NS0_8equal_toIS6_EEEE10hipError_tPvRmT2_T3_mT4_T5_T6_T7_T8_P12ihipStream_tbENKUlT_T0_E_clISt17integral_constantIbLb0EES10_IbLb1EEEEDaSW_SX_EUlSW_E_NS1_11comp_targetILNS1_3genE10ELNS1_11target_archE1200ELNS1_3gpuE4ELNS1_3repE0EEENS1_30default_config_static_selectorELNS0_4arch9wavefront6targetE1EEEvT1_,"axG",@progbits,_ZN7rocprim17ROCPRIM_400000_NS6detail17trampoline_kernelINS0_14default_configENS1_33run_length_encode_config_selectorIN3c104HalfEjNS0_4plusIjEEEEZZNS1_33reduce_by_key_impl_wrapped_configILNS1_25lookback_scan_determinismE0ES3_S9_PKS6_NS0_17constant_iteratorIjlEEPS6_PlSH_S8_NS0_8equal_toIS6_EEEE10hipError_tPvRmT2_T3_mT4_T5_T6_T7_T8_P12ihipStream_tbENKUlT_T0_E_clISt17integral_constantIbLb0EES10_IbLb1EEEEDaSW_SX_EUlSW_E_NS1_11comp_targetILNS1_3genE10ELNS1_11target_archE1200ELNS1_3gpuE4ELNS1_3repE0EEENS1_30default_config_static_selectorELNS0_4arch9wavefront6targetE1EEEvT1_,comdat
.Lfunc_end958:
	.size	_ZN7rocprim17ROCPRIM_400000_NS6detail17trampoline_kernelINS0_14default_configENS1_33run_length_encode_config_selectorIN3c104HalfEjNS0_4plusIjEEEEZZNS1_33reduce_by_key_impl_wrapped_configILNS1_25lookback_scan_determinismE0ES3_S9_PKS6_NS0_17constant_iteratorIjlEEPS6_PlSH_S8_NS0_8equal_toIS6_EEEE10hipError_tPvRmT2_T3_mT4_T5_T6_T7_T8_P12ihipStream_tbENKUlT_T0_E_clISt17integral_constantIbLb0EES10_IbLb1EEEEDaSW_SX_EUlSW_E_NS1_11comp_targetILNS1_3genE10ELNS1_11target_archE1200ELNS1_3gpuE4ELNS1_3repE0EEENS1_30default_config_static_selectorELNS0_4arch9wavefront6targetE1EEEvT1_, .Lfunc_end958-_ZN7rocprim17ROCPRIM_400000_NS6detail17trampoline_kernelINS0_14default_configENS1_33run_length_encode_config_selectorIN3c104HalfEjNS0_4plusIjEEEEZZNS1_33reduce_by_key_impl_wrapped_configILNS1_25lookback_scan_determinismE0ES3_S9_PKS6_NS0_17constant_iteratorIjlEEPS6_PlSH_S8_NS0_8equal_toIS6_EEEE10hipError_tPvRmT2_T3_mT4_T5_T6_T7_T8_P12ihipStream_tbENKUlT_T0_E_clISt17integral_constantIbLb0EES10_IbLb1EEEEDaSW_SX_EUlSW_E_NS1_11comp_targetILNS1_3genE10ELNS1_11target_archE1200ELNS1_3gpuE4ELNS1_3repE0EEENS1_30default_config_static_selectorELNS0_4arch9wavefront6targetE1EEEvT1_
                                        ; -- End function
	.section	.AMDGPU.csdata,"",@progbits
; Kernel info:
; codeLenInByte = 0
; NumSgprs: 6
; NumVgprs: 0
; NumAgprs: 0
; TotalNumVgprs: 0
; ScratchSize: 0
; MemoryBound: 0
; FloatMode: 240
; IeeeMode: 1
; LDSByteSize: 0 bytes/workgroup (compile time only)
; SGPRBlocks: 0
; VGPRBlocks: 0
; NumSGPRsForWavesPerEU: 6
; NumVGPRsForWavesPerEU: 1
; AccumOffset: 4
; Occupancy: 8
; WaveLimiterHint : 0
; COMPUTE_PGM_RSRC2:SCRATCH_EN: 0
; COMPUTE_PGM_RSRC2:USER_SGPR: 2
; COMPUTE_PGM_RSRC2:TRAP_HANDLER: 0
; COMPUTE_PGM_RSRC2:TGID_X_EN: 1
; COMPUTE_PGM_RSRC2:TGID_Y_EN: 0
; COMPUTE_PGM_RSRC2:TGID_Z_EN: 0
; COMPUTE_PGM_RSRC2:TIDIG_COMP_CNT: 0
; COMPUTE_PGM_RSRC3_GFX90A:ACCUM_OFFSET: 0
; COMPUTE_PGM_RSRC3_GFX90A:TG_SPLIT: 0
	.section	.text._ZN7rocprim17ROCPRIM_400000_NS6detail17trampoline_kernelINS0_14default_configENS1_33run_length_encode_config_selectorIN3c104HalfEjNS0_4plusIjEEEEZZNS1_33reduce_by_key_impl_wrapped_configILNS1_25lookback_scan_determinismE0ES3_S9_PKS6_NS0_17constant_iteratorIjlEEPS6_PlSH_S8_NS0_8equal_toIS6_EEEE10hipError_tPvRmT2_T3_mT4_T5_T6_T7_T8_P12ihipStream_tbENKUlT_T0_E_clISt17integral_constantIbLb0EES10_IbLb1EEEEDaSW_SX_EUlSW_E_NS1_11comp_targetILNS1_3genE9ELNS1_11target_archE1100ELNS1_3gpuE3ELNS1_3repE0EEENS1_30default_config_static_selectorELNS0_4arch9wavefront6targetE1EEEvT1_,"axG",@progbits,_ZN7rocprim17ROCPRIM_400000_NS6detail17trampoline_kernelINS0_14default_configENS1_33run_length_encode_config_selectorIN3c104HalfEjNS0_4plusIjEEEEZZNS1_33reduce_by_key_impl_wrapped_configILNS1_25lookback_scan_determinismE0ES3_S9_PKS6_NS0_17constant_iteratorIjlEEPS6_PlSH_S8_NS0_8equal_toIS6_EEEE10hipError_tPvRmT2_T3_mT4_T5_T6_T7_T8_P12ihipStream_tbENKUlT_T0_E_clISt17integral_constantIbLb0EES10_IbLb1EEEEDaSW_SX_EUlSW_E_NS1_11comp_targetILNS1_3genE9ELNS1_11target_archE1100ELNS1_3gpuE3ELNS1_3repE0EEENS1_30default_config_static_selectorELNS0_4arch9wavefront6targetE1EEEvT1_,comdat
	.protected	_ZN7rocprim17ROCPRIM_400000_NS6detail17trampoline_kernelINS0_14default_configENS1_33run_length_encode_config_selectorIN3c104HalfEjNS0_4plusIjEEEEZZNS1_33reduce_by_key_impl_wrapped_configILNS1_25lookback_scan_determinismE0ES3_S9_PKS6_NS0_17constant_iteratorIjlEEPS6_PlSH_S8_NS0_8equal_toIS6_EEEE10hipError_tPvRmT2_T3_mT4_T5_T6_T7_T8_P12ihipStream_tbENKUlT_T0_E_clISt17integral_constantIbLb0EES10_IbLb1EEEEDaSW_SX_EUlSW_E_NS1_11comp_targetILNS1_3genE9ELNS1_11target_archE1100ELNS1_3gpuE3ELNS1_3repE0EEENS1_30default_config_static_selectorELNS0_4arch9wavefront6targetE1EEEvT1_ ; -- Begin function _ZN7rocprim17ROCPRIM_400000_NS6detail17trampoline_kernelINS0_14default_configENS1_33run_length_encode_config_selectorIN3c104HalfEjNS0_4plusIjEEEEZZNS1_33reduce_by_key_impl_wrapped_configILNS1_25lookback_scan_determinismE0ES3_S9_PKS6_NS0_17constant_iteratorIjlEEPS6_PlSH_S8_NS0_8equal_toIS6_EEEE10hipError_tPvRmT2_T3_mT4_T5_T6_T7_T8_P12ihipStream_tbENKUlT_T0_E_clISt17integral_constantIbLb0EES10_IbLb1EEEEDaSW_SX_EUlSW_E_NS1_11comp_targetILNS1_3genE9ELNS1_11target_archE1100ELNS1_3gpuE3ELNS1_3repE0EEENS1_30default_config_static_selectorELNS0_4arch9wavefront6targetE1EEEvT1_
	.globl	_ZN7rocprim17ROCPRIM_400000_NS6detail17trampoline_kernelINS0_14default_configENS1_33run_length_encode_config_selectorIN3c104HalfEjNS0_4plusIjEEEEZZNS1_33reduce_by_key_impl_wrapped_configILNS1_25lookback_scan_determinismE0ES3_S9_PKS6_NS0_17constant_iteratorIjlEEPS6_PlSH_S8_NS0_8equal_toIS6_EEEE10hipError_tPvRmT2_T3_mT4_T5_T6_T7_T8_P12ihipStream_tbENKUlT_T0_E_clISt17integral_constantIbLb0EES10_IbLb1EEEEDaSW_SX_EUlSW_E_NS1_11comp_targetILNS1_3genE9ELNS1_11target_archE1100ELNS1_3gpuE3ELNS1_3repE0EEENS1_30default_config_static_selectorELNS0_4arch9wavefront6targetE1EEEvT1_
	.p2align	8
	.type	_ZN7rocprim17ROCPRIM_400000_NS6detail17trampoline_kernelINS0_14default_configENS1_33run_length_encode_config_selectorIN3c104HalfEjNS0_4plusIjEEEEZZNS1_33reduce_by_key_impl_wrapped_configILNS1_25lookback_scan_determinismE0ES3_S9_PKS6_NS0_17constant_iteratorIjlEEPS6_PlSH_S8_NS0_8equal_toIS6_EEEE10hipError_tPvRmT2_T3_mT4_T5_T6_T7_T8_P12ihipStream_tbENKUlT_T0_E_clISt17integral_constantIbLb0EES10_IbLb1EEEEDaSW_SX_EUlSW_E_NS1_11comp_targetILNS1_3genE9ELNS1_11target_archE1100ELNS1_3gpuE3ELNS1_3repE0EEENS1_30default_config_static_selectorELNS0_4arch9wavefront6targetE1EEEvT1_,@function
_ZN7rocprim17ROCPRIM_400000_NS6detail17trampoline_kernelINS0_14default_configENS1_33run_length_encode_config_selectorIN3c104HalfEjNS0_4plusIjEEEEZZNS1_33reduce_by_key_impl_wrapped_configILNS1_25lookback_scan_determinismE0ES3_S9_PKS6_NS0_17constant_iteratorIjlEEPS6_PlSH_S8_NS0_8equal_toIS6_EEEE10hipError_tPvRmT2_T3_mT4_T5_T6_T7_T8_P12ihipStream_tbENKUlT_T0_E_clISt17integral_constantIbLb0EES10_IbLb1EEEEDaSW_SX_EUlSW_E_NS1_11comp_targetILNS1_3genE9ELNS1_11target_archE1100ELNS1_3gpuE3ELNS1_3repE0EEENS1_30default_config_static_selectorELNS0_4arch9wavefront6targetE1EEEvT1_: ; @_ZN7rocprim17ROCPRIM_400000_NS6detail17trampoline_kernelINS0_14default_configENS1_33run_length_encode_config_selectorIN3c104HalfEjNS0_4plusIjEEEEZZNS1_33reduce_by_key_impl_wrapped_configILNS1_25lookback_scan_determinismE0ES3_S9_PKS6_NS0_17constant_iteratorIjlEEPS6_PlSH_S8_NS0_8equal_toIS6_EEEE10hipError_tPvRmT2_T3_mT4_T5_T6_T7_T8_P12ihipStream_tbENKUlT_T0_E_clISt17integral_constantIbLb0EES10_IbLb1EEEEDaSW_SX_EUlSW_E_NS1_11comp_targetILNS1_3genE9ELNS1_11target_archE1100ELNS1_3gpuE3ELNS1_3repE0EEENS1_30default_config_static_selectorELNS0_4arch9wavefront6targetE1EEEvT1_
; %bb.0:
	.section	.rodata,"a",@progbits
	.p2align	6, 0x0
	.amdhsa_kernel _ZN7rocprim17ROCPRIM_400000_NS6detail17trampoline_kernelINS0_14default_configENS1_33run_length_encode_config_selectorIN3c104HalfEjNS0_4plusIjEEEEZZNS1_33reduce_by_key_impl_wrapped_configILNS1_25lookback_scan_determinismE0ES3_S9_PKS6_NS0_17constant_iteratorIjlEEPS6_PlSH_S8_NS0_8equal_toIS6_EEEE10hipError_tPvRmT2_T3_mT4_T5_T6_T7_T8_P12ihipStream_tbENKUlT_T0_E_clISt17integral_constantIbLb0EES10_IbLb1EEEEDaSW_SX_EUlSW_E_NS1_11comp_targetILNS1_3genE9ELNS1_11target_archE1100ELNS1_3gpuE3ELNS1_3repE0EEENS1_30default_config_static_selectorELNS0_4arch9wavefront6targetE1EEEvT1_
		.amdhsa_group_segment_fixed_size 0
		.amdhsa_private_segment_fixed_size 0
		.amdhsa_kernarg_size 128
		.amdhsa_user_sgpr_count 2
		.amdhsa_user_sgpr_dispatch_ptr 0
		.amdhsa_user_sgpr_queue_ptr 0
		.amdhsa_user_sgpr_kernarg_segment_ptr 1
		.amdhsa_user_sgpr_dispatch_id 0
		.amdhsa_user_sgpr_kernarg_preload_length 0
		.amdhsa_user_sgpr_kernarg_preload_offset 0
		.amdhsa_user_sgpr_private_segment_size 0
		.amdhsa_uses_dynamic_stack 0
		.amdhsa_enable_private_segment 0
		.amdhsa_system_sgpr_workgroup_id_x 1
		.amdhsa_system_sgpr_workgroup_id_y 0
		.amdhsa_system_sgpr_workgroup_id_z 0
		.amdhsa_system_sgpr_workgroup_info 0
		.amdhsa_system_vgpr_workitem_id 0
		.amdhsa_next_free_vgpr 1
		.amdhsa_next_free_sgpr 0
		.amdhsa_accum_offset 4
		.amdhsa_reserve_vcc 0
		.amdhsa_float_round_mode_32 0
		.amdhsa_float_round_mode_16_64 0
		.amdhsa_float_denorm_mode_32 3
		.amdhsa_float_denorm_mode_16_64 3
		.amdhsa_dx10_clamp 1
		.amdhsa_ieee_mode 1
		.amdhsa_fp16_overflow 0
		.amdhsa_tg_split 0
		.amdhsa_exception_fp_ieee_invalid_op 0
		.amdhsa_exception_fp_denorm_src 0
		.amdhsa_exception_fp_ieee_div_zero 0
		.amdhsa_exception_fp_ieee_overflow 0
		.amdhsa_exception_fp_ieee_underflow 0
		.amdhsa_exception_fp_ieee_inexact 0
		.amdhsa_exception_int_div_zero 0
	.end_amdhsa_kernel
	.section	.text._ZN7rocprim17ROCPRIM_400000_NS6detail17trampoline_kernelINS0_14default_configENS1_33run_length_encode_config_selectorIN3c104HalfEjNS0_4plusIjEEEEZZNS1_33reduce_by_key_impl_wrapped_configILNS1_25lookback_scan_determinismE0ES3_S9_PKS6_NS0_17constant_iteratorIjlEEPS6_PlSH_S8_NS0_8equal_toIS6_EEEE10hipError_tPvRmT2_T3_mT4_T5_T6_T7_T8_P12ihipStream_tbENKUlT_T0_E_clISt17integral_constantIbLb0EES10_IbLb1EEEEDaSW_SX_EUlSW_E_NS1_11comp_targetILNS1_3genE9ELNS1_11target_archE1100ELNS1_3gpuE3ELNS1_3repE0EEENS1_30default_config_static_selectorELNS0_4arch9wavefront6targetE1EEEvT1_,"axG",@progbits,_ZN7rocprim17ROCPRIM_400000_NS6detail17trampoline_kernelINS0_14default_configENS1_33run_length_encode_config_selectorIN3c104HalfEjNS0_4plusIjEEEEZZNS1_33reduce_by_key_impl_wrapped_configILNS1_25lookback_scan_determinismE0ES3_S9_PKS6_NS0_17constant_iteratorIjlEEPS6_PlSH_S8_NS0_8equal_toIS6_EEEE10hipError_tPvRmT2_T3_mT4_T5_T6_T7_T8_P12ihipStream_tbENKUlT_T0_E_clISt17integral_constantIbLb0EES10_IbLb1EEEEDaSW_SX_EUlSW_E_NS1_11comp_targetILNS1_3genE9ELNS1_11target_archE1100ELNS1_3gpuE3ELNS1_3repE0EEENS1_30default_config_static_selectorELNS0_4arch9wavefront6targetE1EEEvT1_,comdat
.Lfunc_end959:
	.size	_ZN7rocprim17ROCPRIM_400000_NS6detail17trampoline_kernelINS0_14default_configENS1_33run_length_encode_config_selectorIN3c104HalfEjNS0_4plusIjEEEEZZNS1_33reduce_by_key_impl_wrapped_configILNS1_25lookback_scan_determinismE0ES3_S9_PKS6_NS0_17constant_iteratorIjlEEPS6_PlSH_S8_NS0_8equal_toIS6_EEEE10hipError_tPvRmT2_T3_mT4_T5_T6_T7_T8_P12ihipStream_tbENKUlT_T0_E_clISt17integral_constantIbLb0EES10_IbLb1EEEEDaSW_SX_EUlSW_E_NS1_11comp_targetILNS1_3genE9ELNS1_11target_archE1100ELNS1_3gpuE3ELNS1_3repE0EEENS1_30default_config_static_selectorELNS0_4arch9wavefront6targetE1EEEvT1_, .Lfunc_end959-_ZN7rocprim17ROCPRIM_400000_NS6detail17trampoline_kernelINS0_14default_configENS1_33run_length_encode_config_selectorIN3c104HalfEjNS0_4plusIjEEEEZZNS1_33reduce_by_key_impl_wrapped_configILNS1_25lookback_scan_determinismE0ES3_S9_PKS6_NS0_17constant_iteratorIjlEEPS6_PlSH_S8_NS0_8equal_toIS6_EEEE10hipError_tPvRmT2_T3_mT4_T5_T6_T7_T8_P12ihipStream_tbENKUlT_T0_E_clISt17integral_constantIbLb0EES10_IbLb1EEEEDaSW_SX_EUlSW_E_NS1_11comp_targetILNS1_3genE9ELNS1_11target_archE1100ELNS1_3gpuE3ELNS1_3repE0EEENS1_30default_config_static_selectorELNS0_4arch9wavefront6targetE1EEEvT1_
                                        ; -- End function
	.section	.AMDGPU.csdata,"",@progbits
; Kernel info:
; codeLenInByte = 0
; NumSgprs: 6
; NumVgprs: 0
; NumAgprs: 0
; TotalNumVgprs: 0
; ScratchSize: 0
; MemoryBound: 0
; FloatMode: 240
; IeeeMode: 1
; LDSByteSize: 0 bytes/workgroup (compile time only)
; SGPRBlocks: 0
; VGPRBlocks: 0
; NumSGPRsForWavesPerEU: 6
; NumVGPRsForWavesPerEU: 1
; AccumOffset: 4
; Occupancy: 8
; WaveLimiterHint : 0
; COMPUTE_PGM_RSRC2:SCRATCH_EN: 0
; COMPUTE_PGM_RSRC2:USER_SGPR: 2
; COMPUTE_PGM_RSRC2:TRAP_HANDLER: 0
; COMPUTE_PGM_RSRC2:TGID_X_EN: 1
; COMPUTE_PGM_RSRC2:TGID_Y_EN: 0
; COMPUTE_PGM_RSRC2:TGID_Z_EN: 0
; COMPUTE_PGM_RSRC2:TIDIG_COMP_CNT: 0
; COMPUTE_PGM_RSRC3_GFX90A:ACCUM_OFFSET: 0
; COMPUTE_PGM_RSRC3_GFX90A:TG_SPLIT: 0
	.section	.text._ZN7rocprim17ROCPRIM_400000_NS6detail17trampoline_kernelINS0_14default_configENS1_33run_length_encode_config_selectorIN3c104HalfEjNS0_4plusIjEEEEZZNS1_33reduce_by_key_impl_wrapped_configILNS1_25lookback_scan_determinismE0ES3_S9_PKS6_NS0_17constant_iteratorIjlEEPS6_PlSH_S8_NS0_8equal_toIS6_EEEE10hipError_tPvRmT2_T3_mT4_T5_T6_T7_T8_P12ihipStream_tbENKUlT_T0_E_clISt17integral_constantIbLb0EES10_IbLb1EEEEDaSW_SX_EUlSW_E_NS1_11comp_targetILNS1_3genE8ELNS1_11target_archE1030ELNS1_3gpuE2ELNS1_3repE0EEENS1_30default_config_static_selectorELNS0_4arch9wavefront6targetE1EEEvT1_,"axG",@progbits,_ZN7rocprim17ROCPRIM_400000_NS6detail17trampoline_kernelINS0_14default_configENS1_33run_length_encode_config_selectorIN3c104HalfEjNS0_4plusIjEEEEZZNS1_33reduce_by_key_impl_wrapped_configILNS1_25lookback_scan_determinismE0ES3_S9_PKS6_NS0_17constant_iteratorIjlEEPS6_PlSH_S8_NS0_8equal_toIS6_EEEE10hipError_tPvRmT2_T3_mT4_T5_T6_T7_T8_P12ihipStream_tbENKUlT_T0_E_clISt17integral_constantIbLb0EES10_IbLb1EEEEDaSW_SX_EUlSW_E_NS1_11comp_targetILNS1_3genE8ELNS1_11target_archE1030ELNS1_3gpuE2ELNS1_3repE0EEENS1_30default_config_static_selectorELNS0_4arch9wavefront6targetE1EEEvT1_,comdat
	.protected	_ZN7rocprim17ROCPRIM_400000_NS6detail17trampoline_kernelINS0_14default_configENS1_33run_length_encode_config_selectorIN3c104HalfEjNS0_4plusIjEEEEZZNS1_33reduce_by_key_impl_wrapped_configILNS1_25lookback_scan_determinismE0ES3_S9_PKS6_NS0_17constant_iteratorIjlEEPS6_PlSH_S8_NS0_8equal_toIS6_EEEE10hipError_tPvRmT2_T3_mT4_T5_T6_T7_T8_P12ihipStream_tbENKUlT_T0_E_clISt17integral_constantIbLb0EES10_IbLb1EEEEDaSW_SX_EUlSW_E_NS1_11comp_targetILNS1_3genE8ELNS1_11target_archE1030ELNS1_3gpuE2ELNS1_3repE0EEENS1_30default_config_static_selectorELNS0_4arch9wavefront6targetE1EEEvT1_ ; -- Begin function _ZN7rocprim17ROCPRIM_400000_NS6detail17trampoline_kernelINS0_14default_configENS1_33run_length_encode_config_selectorIN3c104HalfEjNS0_4plusIjEEEEZZNS1_33reduce_by_key_impl_wrapped_configILNS1_25lookback_scan_determinismE0ES3_S9_PKS6_NS0_17constant_iteratorIjlEEPS6_PlSH_S8_NS0_8equal_toIS6_EEEE10hipError_tPvRmT2_T3_mT4_T5_T6_T7_T8_P12ihipStream_tbENKUlT_T0_E_clISt17integral_constantIbLb0EES10_IbLb1EEEEDaSW_SX_EUlSW_E_NS1_11comp_targetILNS1_3genE8ELNS1_11target_archE1030ELNS1_3gpuE2ELNS1_3repE0EEENS1_30default_config_static_selectorELNS0_4arch9wavefront6targetE1EEEvT1_
	.globl	_ZN7rocprim17ROCPRIM_400000_NS6detail17trampoline_kernelINS0_14default_configENS1_33run_length_encode_config_selectorIN3c104HalfEjNS0_4plusIjEEEEZZNS1_33reduce_by_key_impl_wrapped_configILNS1_25lookback_scan_determinismE0ES3_S9_PKS6_NS0_17constant_iteratorIjlEEPS6_PlSH_S8_NS0_8equal_toIS6_EEEE10hipError_tPvRmT2_T3_mT4_T5_T6_T7_T8_P12ihipStream_tbENKUlT_T0_E_clISt17integral_constantIbLb0EES10_IbLb1EEEEDaSW_SX_EUlSW_E_NS1_11comp_targetILNS1_3genE8ELNS1_11target_archE1030ELNS1_3gpuE2ELNS1_3repE0EEENS1_30default_config_static_selectorELNS0_4arch9wavefront6targetE1EEEvT1_
	.p2align	8
	.type	_ZN7rocprim17ROCPRIM_400000_NS6detail17trampoline_kernelINS0_14default_configENS1_33run_length_encode_config_selectorIN3c104HalfEjNS0_4plusIjEEEEZZNS1_33reduce_by_key_impl_wrapped_configILNS1_25lookback_scan_determinismE0ES3_S9_PKS6_NS0_17constant_iteratorIjlEEPS6_PlSH_S8_NS0_8equal_toIS6_EEEE10hipError_tPvRmT2_T3_mT4_T5_T6_T7_T8_P12ihipStream_tbENKUlT_T0_E_clISt17integral_constantIbLb0EES10_IbLb1EEEEDaSW_SX_EUlSW_E_NS1_11comp_targetILNS1_3genE8ELNS1_11target_archE1030ELNS1_3gpuE2ELNS1_3repE0EEENS1_30default_config_static_selectorELNS0_4arch9wavefront6targetE1EEEvT1_,@function
_ZN7rocprim17ROCPRIM_400000_NS6detail17trampoline_kernelINS0_14default_configENS1_33run_length_encode_config_selectorIN3c104HalfEjNS0_4plusIjEEEEZZNS1_33reduce_by_key_impl_wrapped_configILNS1_25lookback_scan_determinismE0ES3_S9_PKS6_NS0_17constant_iteratorIjlEEPS6_PlSH_S8_NS0_8equal_toIS6_EEEE10hipError_tPvRmT2_T3_mT4_T5_T6_T7_T8_P12ihipStream_tbENKUlT_T0_E_clISt17integral_constantIbLb0EES10_IbLb1EEEEDaSW_SX_EUlSW_E_NS1_11comp_targetILNS1_3genE8ELNS1_11target_archE1030ELNS1_3gpuE2ELNS1_3repE0EEENS1_30default_config_static_selectorELNS0_4arch9wavefront6targetE1EEEvT1_: ; @_ZN7rocprim17ROCPRIM_400000_NS6detail17trampoline_kernelINS0_14default_configENS1_33run_length_encode_config_selectorIN3c104HalfEjNS0_4plusIjEEEEZZNS1_33reduce_by_key_impl_wrapped_configILNS1_25lookback_scan_determinismE0ES3_S9_PKS6_NS0_17constant_iteratorIjlEEPS6_PlSH_S8_NS0_8equal_toIS6_EEEE10hipError_tPvRmT2_T3_mT4_T5_T6_T7_T8_P12ihipStream_tbENKUlT_T0_E_clISt17integral_constantIbLb0EES10_IbLb1EEEEDaSW_SX_EUlSW_E_NS1_11comp_targetILNS1_3genE8ELNS1_11target_archE1030ELNS1_3gpuE2ELNS1_3repE0EEENS1_30default_config_static_selectorELNS0_4arch9wavefront6targetE1EEEvT1_
; %bb.0:
	.section	.rodata,"a",@progbits
	.p2align	6, 0x0
	.amdhsa_kernel _ZN7rocprim17ROCPRIM_400000_NS6detail17trampoline_kernelINS0_14default_configENS1_33run_length_encode_config_selectorIN3c104HalfEjNS0_4plusIjEEEEZZNS1_33reduce_by_key_impl_wrapped_configILNS1_25lookback_scan_determinismE0ES3_S9_PKS6_NS0_17constant_iteratorIjlEEPS6_PlSH_S8_NS0_8equal_toIS6_EEEE10hipError_tPvRmT2_T3_mT4_T5_T6_T7_T8_P12ihipStream_tbENKUlT_T0_E_clISt17integral_constantIbLb0EES10_IbLb1EEEEDaSW_SX_EUlSW_E_NS1_11comp_targetILNS1_3genE8ELNS1_11target_archE1030ELNS1_3gpuE2ELNS1_3repE0EEENS1_30default_config_static_selectorELNS0_4arch9wavefront6targetE1EEEvT1_
		.amdhsa_group_segment_fixed_size 0
		.amdhsa_private_segment_fixed_size 0
		.amdhsa_kernarg_size 128
		.amdhsa_user_sgpr_count 2
		.amdhsa_user_sgpr_dispatch_ptr 0
		.amdhsa_user_sgpr_queue_ptr 0
		.amdhsa_user_sgpr_kernarg_segment_ptr 1
		.amdhsa_user_sgpr_dispatch_id 0
		.amdhsa_user_sgpr_kernarg_preload_length 0
		.amdhsa_user_sgpr_kernarg_preload_offset 0
		.amdhsa_user_sgpr_private_segment_size 0
		.amdhsa_uses_dynamic_stack 0
		.amdhsa_enable_private_segment 0
		.amdhsa_system_sgpr_workgroup_id_x 1
		.amdhsa_system_sgpr_workgroup_id_y 0
		.amdhsa_system_sgpr_workgroup_id_z 0
		.amdhsa_system_sgpr_workgroup_info 0
		.amdhsa_system_vgpr_workitem_id 0
		.amdhsa_next_free_vgpr 1
		.amdhsa_next_free_sgpr 0
		.amdhsa_accum_offset 4
		.amdhsa_reserve_vcc 0
		.amdhsa_float_round_mode_32 0
		.amdhsa_float_round_mode_16_64 0
		.amdhsa_float_denorm_mode_32 3
		.amdhsa_float_denorm_mode_16_64 3
		.amdhsa_dx10_clamp 1
		.amdhsa_ieee_mode 1
		.amdhsa_fp16_overflow 0
		.amdhsa_tg_split 0
		.amdhsa_exception_fp_ieee_invalid_op 0
		.amdhsa_exception_fp_denorm_src 0
		.amdhsa_exception_fp_ieee_div_zero 0
		.amdhsa_exception_fp_ieee_overflow 0
		.amdhsa_exception_fp_ieee_underflow 0
		.amdhsa_exception_fp_ieee_inexact 0
		.amdhsa_exception_int_div_zero 0
	.end_amdhsa_kernel
	.section	.text._ZN7rocprim17ROCPRIM_400000_NS6detail17trampoline_kernelINS0_14default_configENS1_33run_length_encode_config_selectorIN3c104HalfEjNS0_4plusIjEEEEZZNS1_33reduce_by_key_impl_wrapped_configILNS1_25lookback_scan_determinismE0ES3_S9_PKS6_NS0_17constant_iteratorIjlEEPS6_PlSH_S8_NS0_8equal_toIS6_EEEE10hipError_tPvRmT2_T3_mT4_T5_T6_T7_T8_P12ihipStream_tbENKUlT_T0_E_clISt17integral_constantIbLb0EES10_IbLb1EEEEDaSW_SX_EUlSW_E_NS1_11comp_targetILNS1_3genE8ELNS1_11target_archE1030ELNS1_3gpuE2ELNS1_3repE0EEENS1_30default_config_static_selectorELNS0_4arch9wavefront6targetE1EEEvT1_,"axG",@progbits,_ZN7rocprim17ROCPRIM_400000_NS6detail17trampoline_kernelINS0_14default_configENS1_33run_length_encode_config_selectorIN3c104HalfEjNS0_4plusIjEEEEZZNS1_33reduce_by_key_impl_wrapped_configILNS1_25lookback_scan_determinismE0ES3_S9_PKS6_NS0_17constant_iteratorIjlEEPS6_PlSH_S8_NS0_8equal_toIS6_EEEE10hipError_tPvRmT2_T3_mT4_T5_T6_T7_T8_P12ihipStream_tbENKUlT_T0_E_clISt17integral_constantIbLb0EES10_IbLb1EEEEDaSW_SX_EUlSW_E_NS1_11comp_targetILNS1_3genE8ELNS1_11target_archE1030ELNS1_3gpuE2ELNS1_3repE0EEENS1_30default_config_static_selectorELNS0_4arch9wavefront6targetE1EEEvT1_,comdat
.Lfunc_end960:
	.size	_ZN7rocprim17ROCPRIM_400000_NS6detail17trampoline_kernelINS0_14default_configENS1_33run_length_encode_config_selectorIN3c104HalfEjNS0_4plusIjEEEEZZNS1_33reduce_by_key_impl_wrapped_configILNS1_25lookback_scan_determinismE0ES3_S9_PKS6_NS0_17constant_iteratorIjlEEPS6_PlSH_S8_NS0_8equal_toIS6_EEEE10hipError_tPvRmT2_T3_mT4_T5_T6_T7_T8_P12ihipStream_tbENKUlT_T0_E_clISt17integral_constantIbLb0EES10_IbLb1EEEEDaSW_SX_EUlSW_E_NS1_11comp_targetILNS1_3genE8ELNS1_11target_archE1030ELNS1_3gpuE2ELNS1_3repE0EEENS1_30default_config_static_selectorELNS0_4arch9wavefront6targetE1EEEvT1_, .Lfunc_end960-_ZN7rocprim17ROCPRIM_400000_NS6detail17trampoline_kernelINS0_14default_configENS1_33run_length_encode_config_selectorIN3c104HalfEjNS0_4plusIjEEEEZZNS1_33reduce_by_key_impl_wrapped_configILNS1_25lookback_scan_determinismE0ES3_S9_PKS6_NS0_17constant_iteratorIjlEEPS6_PlSH_S8_NS0_8equal_toIS6_EEEE10hipError_tPvRmT2_T3_mT4_T5_T6_T7_T8_P12ihipStream_tbENKUlT_T0_E_clISt17integral_constantIbLb0EES10_IbLb1EEEEDaSW_SX_EUlSW_E_NS1_11comp_targetILNS1_3genE8ELNS1_11target_archE1030ELNS1_3gpuE2ELNS1_3repE0EEENS1_30default_config_static_selectorELNS0_4arch9wavefront6targetE1EEEvT1_
                                        ; -- End function
	.section	.AMDGPU.csdata,"",@progbits
; Kernel info:
; codeLenInByte = 0
; NumSgprs: 6
; NumVgprs: 0
; NumAgprs: 0
; TotalNumVgprs: 0
; ScratchSize: 0
; MemoryBound: 0
; FloatMode: 240
; IeeeMode: 1
; LDSByteSize: 0 bytes/workgroup (compile time only)
; SGPRBlocks: 0
; VGPRBlocks: 0
; NumSGPRsForWavesPerEU: 6
; NumVGPRsForWavesPerEU: 1
; AccumOffset: 4
; Occupancy: 8
; WaveLimiterHint : 0
; COMPUTE_PGM_RSRC2:SCRATCH_EN: 0
; COMPUTE_PGM_RSRC2:USER_SGPR: 2
; COMPUTE_PGM_RSRC2:TRAP_HANDLER: 0
; COMPUTE_PGM_RSRC2:TGID_X_EN: 1
; COMPUTE_PGM_RSRC2:TGID_Y_EN: 0
; COMPUTE_PGM_RSRC2:TGID_Z_EN: 0
; COMPUTE_PGM_RSRC2:TIDIG_COMP_CNT: 0
; COMPUTE_PGM_RSRC3_GFX90A:ACCUM_OFFSET: 0
; COMPUTE_PGM_RSRC3_GFX90A:TG_SPLIT: 0
	.text
	.p2alignl 6, 3212836864
	.fill 256, 4, 3212836864
	.type	__hip_cuid_debe3ce52a16196d,@object ; @__hip_cuid_debe3ce52a16196d
	.section	.bss,"aw",@nobits
	.globl	__hip_cuid_debe3ce52a16196d
__hip_cuid_debe3ce52a16196d:
	.byte	0                               ; 0x0
	.size	__hip_cuid_debe3ce52a16196d, 1

	.ident	"AMD clang version 19.0.0git (https://github.com/RadeonOpenCompute/llvm-project roc-6.4.0 25133 c7fe45cf4b819c5991fe208aaa96edf142730f1d)"
	.section	".note.GNU-stack","",@progbits
	.addrsig
	.addrsig_sym __hip_cuid_debe3ce52a16196d
	.amdgpu_metadata
---
amdhsa.kernels:
  - .agpr_count:     0
    .args:
      - .offset:         0
        .size:           8
        .value_kind:     by_value
      - .address_space:  global
        .offset:         8
        .size:           8
        .value_kind:     global_buffer
      - .address_space:  global
        .offset:         16
        .size:           8
        .value_kind:     global_buffer
      - .address_space:  global
        .offset:         24
        .size:           8
        .value_kind:     global_buffer
      - .offset:         32
        .size:           4
        .value_kind:     hidden_block_count_x
      - .offset:         36
        .size:           4
        .value_kind:     hidden_block_count_y
      - .offset:         40
        .size:           4
        .value_kind:     hidden_block_count_z
      - .offset:         44
        .size:           2
        .value_kind:     hidden_group_size_x
      - .offset:         46
        .size:           2
        .value_kind:     hidden_group_size_y
      - .offset:         48
        .size:           2
        .value_kind:     hidden_group_size_z
      - .offset:         50
        .size:           2
        .value_kind:     hidden_remainder_x
      - .offset:         52
        .size:           2
        .value_kind:     hidden_remainder_y
      - .offset:         54
        .size:           2
        .value_kind:     hidden_remainder_z
      - .offset:         72
        .size:           8
        .value_kind:     hidden_global_offset_x
      - .offset:         80
        .size:           8
        .value_kind:     hidden_global_offset_y
      - .offset:         88
        .size:           8
        .value_kind:     hidden_global_offset_z
      - .offset:         96
        .size:           2
        .value_kind:     hidden_grid_dims
    .group_segment_fixed_size: 0
    .kernarg_segment_align: 8
    .kernarg_segment_size: 288
    .language:       OpenCL C
    .language_version:
      - 2
      - 0
    .max_flat_workgroup_size: 1024
    .name:           _ZN2at6native8internal12_GLOBAL__N_114scatter_kernelElPKlS4_Pl
    .private_segment_fixed_size: 0
    .sgpr_count:     20
    .sgpr_spill_count: 0
    .symbol:         _ZN2at6native8internal12_GLOBAL__N_114scatter_kernelElPKlS4_Pl.kd
    .uniform_work_group_size: 1
    .uses_dynamic_stack: false
    .vgpr_count:     12
    .vgpr_spill_count: 0
    .wavefront_size: 64
  - .agpr_count:     0
    .args:
      - .offset:         0
        .size:           4
        .value_kind:     by_value
      - .address_space:  global
        .offset:         8
        .size:           8
        .value_kind:     global_buffer
      - .address_space:  global
        .offset:         16
        .size:           8
        .value_kind:     global_buffer
      - .address_space:  global
        .offset:         24
        .size:           8
        .value_kind:     global_buffer
      - .offset:         32
        .size:           4
        .value_kind:     hidden_block_count_x
      - .offset:         36
        .size:           4
        .value_kind:     hidden_block_count_y
      - .offset:         40
        .size:           4
        .value_kind:     hidden_block_count_z
      - .offset:         44
        .size:           2
        .value_kind:     hidden_group_size_x
      - .offset:         46
        .size:           2
        .value_kind:     hidden_group_size_y
      - .offset:         48
        .size:           2
        .value_kind:     hidden_group_size_z
      - .offset:         50
        .size:           2
        .value_kind:     hidden_remainder_x
      - .offset:         52
        .size:           2
        .value_kind:     hidden_remainder_y
      - .offset:         54
        .size:           2
        .value_kind:     hidden_remainder_z
      - .offset:         72
        .size:           8
        .value_kind:     hidden_global_offset_x
      - .offset:         80
        .size:           8
        .value_kind:     hidden_global_offset_y
      - .offset:         88
        .size:           8
        .value_kind:     hidden_global_offset_z
      - .offset:         96
        .size:           2
        .value_kind:     hidden_grid_dims
    .group_segment_fixed_size: 0
    .kernarg_segment_align: 8
    .kernarg_segment_size: 288
    .language:       OpenCL C
    .language_version:
      - 2
      - 0
    .max_flat_workgroup_size: 1024
    .name:           _ZN2at6native8internal33unique_bool_write_inverse_indicesEiPKiPKbPl
    .private_segment_fixed_size: 0
    .sgpr_count:     22
    .sgpr_spill_count: 0
    .symbol:         _ZN2at6native8internal33unique_bool_write_inverse_indicesEiPKiPKbPl.kd
    .uniform_work_group_size: 1
    .uses_dynamic_stack: false
    .vgpr_count:     8
    .vgpr_spill_count: 0
    .wavefront_size: 64
  - .agpr_count:     0
    .args:
      - .offset:         0
        .size:           4
        .value_kind:     by_value
      - .address_space:  global
        .offset:         8
        .size:           8
        .value_kind:     global_buffer
      - .address_space:  global
        .offset:         16
        .size:           8
        .value_kind:     global_buffer
      - .address_space:  global
        .offset:         24
        .size:           8
        .value_kind:     global_buffer
    .group_segment_fixed_size: 0
    .kernarg_segment_align: 8
    .kernarg_segment_size: 32
    .language:       OpenCL C
    .language_version:
      - 2
      - 0
    .max_flat_workgroup_size: 1
    .name:           _ZN2at6native8internal24unique_bool_write_outputEiPKiPbPl
    .private_segment_fixed_size: 0
    .sgpr_count:     16
    .sgpr_spill_count: 0
    .symbol:         _ZN2at6native8internal24unique_bool_write_outputEiPKiPbPl.kd
    .uniform_work_group_size: 1
    .uses_dynamic_stack: false
    .vgpr_count:     4
    .vgpr_spill_count: 0
    .wavefront_size: 64
  - .agpr_count:     0
    .args:
      - .offset:         0
        .size:           8
        .value_kind:     by_value
      - .offset:         8
        .size:           16
        .value_kind:     by_value
      - .address_space:  global
        .offset:         24
        .size:           8
        .value_kind:     global_buffer
      - .offset:         32
        .size:           4
        .value_kind:     hidden_block_count_x
      - .offset:         36
        .size:           4
        .value_kind:     hidden_block_count_y
      - .offset:         40
        .size:           4
        .value_kind:     hidden_block_count_z
      - .offset:         44
        .size:           2
        .value_kind:     hidden_group_size_x
      - .offset:         46
        .size:           2
        .value_kind:     hidden_group_size_y
      - .offset:         48
        .size:           2
        .value_kind:     hidden_group_size_z
      - .offset:         50
        .size:           2
        .value_kind:     hidden_remainder_x
      - .offset:         52
        .size:           2
        .value_kind:     hidden_remainder_y
      - .offset:         54
        .size:           2
        .value_kind:     hidden_remainder_z
      - .offset:         72
        .size:           8
        .value_kind:     hidden_global_offset_x
      - .offset:         80
        .size:           8
        .value_kind:     hidden_global_offset_y
      - .offset:         88
        .size:           8
        .value_kind:     hidden_global_offset_z
      - .offset:         96
        .size:           2
        .value_kind:     hidden_grid_dims
    .group_segment_fixed_size: 0
    .kernarg_segment_align: 8
    .kernarg_segment_size: 288
    .language:       OpenCL C
    .language_version:
      - 2
      - 0
    .max_flat_workgroup_size: 1024
    .name:           _ZN2at6native8internal12_GLOBAL__N_126adjacent_difference_kernelIN6hipcub16HIPCUB_304000_NS22TransformInputIteratorIbNS2_10LoadBoolOpEPKhlEEEEvlT_Pi
    .private_segment_fixed_size: 0
    .sgpr_count:     24
    .sgpr_spill_count: 0
    .symbol:         _ZN2at6native8internal12_GLOBAL__N_126adjacent_difference_kernelIN6hipcub16HIPCUB_304000_NS22TransformInputIteratorIbNS2_10LoadBoolOpEPKhlEEEEvlT_Pi.kd
    .uniform_work_group_size: 1
    .uses_dynamic_stack: false
    .vgpr_count:     10
    .vgpr_spill_count: 0
    .wavefront_size: 64
  - .agpr_count:     0
    .args:
      - .address_space:  global
        .offset:         0
        .size:           8
        .value_kind:     global_buffer
      - .offset:         8
        .size:           4
        .value_kind:     by_value
      - .offset:         12
        .size:           1
        .value_kind:     by_value
      - .offset:         16
        .size:           4
        .value_kind:     by_value
      - .address_space:  global
        .offset:         24
        .size:           8
        .value_kind:     global_buffer
      - .offset:         32
        .size:           4
        .value_kind:     hidden_block_count_x
      - .offset:         36
        .size:           4
        .value_kind:     hidden_block_count_y
      - .offset:         40
        .size:           4
        .value_kind:     hidden_block_count_z
      - .offset:         44
        .size:           2
        .value_kind:     hidden_group_size_x
      - .offset:         46
        .size:           2
        .value_kind:     hidden_group_size_y
      - .offset:         48
        .size:           2
        .value_kind:     hidden_group_size_z
      - .offset:         50
        .size:           2
        .value_kind:     hidden_remainder_x
      - .offset:         52
        .size:           2
        .value_kind:     hidden_remainder_y
      - .offset:         54
        .size:           2
        .value_kind:     hidden_remainder_z
      - .offset:         72
        .size:           8
        .value_kind:     hidden_global_offset_x
      - .offset:         80
        .size:           8
        .value_kind:     hidden_global_offset_y
      - .offset:         88
        .size:           8
        .value_kind:     hidden_global_offset_z
      - .offset:         96
        .size:           2
        .value_kind:     hidden_grid_dims
    .group_segment_fixed_size: 0
    .kernarg_segment_align: 8
    .kernarg_segment_size: 288
    .language:       OpenCL C
    .language_version:
      - 2
      - 0
    .max_flat_workgroup_size: 256
    .name:           _ZN7rocprim17ROCPRIM_400000_NS6detail31init_lookback_scan_state_kernelINS1_19lookback_scan_stateIjLb0ELb1EEENS1_16block_id_wrapperIjLb0EEEEEvT_jT0_jPNS7_10value_typeE
    .private_segment_fixed_size: 0
    .sgpr_count:     15
    .sgpr_spill_count: 0
    .symbol:         _ZN7rocprim17ROCPRIM_400000_NS6detail31init_lookback_scan_state_kernelINS1_19lookback_scan_stateIjLb0ELb1EEENS1_16block_id_wrapperIjLb0EEEEEvT_jT0_jPNS7_10value_typeE.kd
    .uniform_work_group_size: 1
    .uses_dynamic_stack: false
    .vgpr_count:     6
    .vgpr_spill_count: 0
    .wavefront_size: 64
  - .agpr_count:     0
    .args:
      - .offset:         0
        .size:           120
        .value_kind:     by_value
    .group_segment_fixed_size: 0
    .kernarg_segment_align: 8
    .kernarg_segment_size: 120
    .language:       OpenCL C
    .language_version:
      - 2
      - 0
    .max_flat_workgroup_size: 256
    .name:           _ZN7rocprim17ROCPRIM_400000_NS6detail17trampoline_kernelINS0_14default_configENS1_25partition_config_selectorILNS1_17partition_subalgoE8EbNS0_10empty_typeEbEEZZNS1_14partition_implILS5_8ELb0ES3_jN6hipcub16HIPCUB_304000_NS22TransformInputIteratorIbN2at6native8internal12_GLOBAL__N_110LoadBoolOpEPKhlEEPS6_PKS6_NS0_5tupleIJPbS6_EEENSN_IJSK_SK_EEENS0_18inequality_wrapperINSA_8EqualityEEEPlJS6_EEE10hipError_tPvRmT3_T4_T5_T6_T7_T9_mT8_P12ihipStream_tbDpT10_ENKUlT_T0_E_clISt17integral_constantIbLb0EES1E_EEDaS19_S1A_EUlS19_E_NS1_11comp_targetILNS1_3genE0ELNS1_11target_archE4294967295ELNS1_3gpuE0ELNS1_3repE0EEENS1_30default_config_static_selectorELNS0_4arch9wavefront6targetE1EEEvT1_
    .private_segment_fixed_size: 0
    .sgpr_count:     6
    .sgpr_spill_count: 0
    .symbol:         _ZN7rocprim17ROCPRIM_400000_NS6detail17trampoline_kernelINS0_14default_configENS1_25partition_config_selectorILNS1_17partition_subalgoE8EbNS0_10empty_typeEbEEZZNS1_14partition_implILS5_8ELb0ES3_jN6hipcub16HIPCUB_304000_NS22TransformInputIteratorIbN2at6native8internal12_GLOBAL__N_110LoadBoolOpEPKhlEEPS6_PKS6_NS0_5tupleIJPbS6_EEENSN_IJSK_SK_EEENS0_18inequality_wrapperINSA_8EqualityEEEPlJS6_EEE10hipError_tPvRmT3_T4_T5_T6_T7_T9_mT8_P12ihipStream_tbDpT10_ENKUlT_T0_E_clISt17integral_constantIbLb0EES1E_EEDaS19_S1A_EUlS19_E_NS1_11comp_targetILNS1_3genE0ELNS1_11target_archE4294967295ELNS1_3gpuE0ELNS1_3repE0EEENS1_30default_config_static_selectorELNS0_4arch9wavefront6targetE1EEEvT1_.kd
    .uniform_work_group_size: 1
    .uses_dynamic_stack: false
    .vgpr_count:     0
    .vgpr_spill_count: 0
    .wavefront_size: 64
  - .agpr_count:     0
    .args:
      - .offset:         0
        .size:           120
        .value_kind:     by_value
    .group_segment_fixed_size: 16908
    .kernarg_segment_align: 8
    .kernarg_segment_size: 120
    .language:       OpenCL C
    .language_version:
      - 2
      - 0
    .max_flat_workgroup_size: 512
    .name:           _ZN7rocprim17ROCPRIM_400000_NS6detail17trampoline_kernelINS0_14default_configENS1_25partition_config_selectorILNS1_17partition_subalgoE8EbNS0_10empty_typeEbEEZZNS1_14partition_implILS5_8ELb0ES3_jN6hipcub16HIPCUB_304000_NS22TransformInputIteratorIbN2at6native8internal12_GLOBAL__N_110LoadBoolOpEPKhlEEPS6_PKS6_NS0_5tupleIJPbS6_EEENSN_IJSK_SK_EEENS0_18inequality_wrapperINSA_8EqualityEEEPlJS6_EEE10hipError_tPvRmT3_T4_T5_T6_T7_T9_mT8_P12ihipStream_tbDpT10_ENKUlT_T0_E_clISt17integral_constantIbLb0EES1E_EEDaS19_S1A_EUlS19_E_NS1_11comp_targetILNS1_3genE5ELNS1_11target_archE942ELNS1_3gpuE9ELNS1_3repE0EEENS1_30default_config_static_selectorELNS0_4arch9wavefront6targetE1EEEvT1_
    .private_segment_fixed_size: 0
    .sgpr_count:     88
    .sgpr_spill_count: 0
    .symbol:         _ZN7rocprim17ROCPRIM_400000_NS6detail17trampoline_kernelINS0_14default_configENS1_25partition_config_selectorILNS1_17partition_subalgoE8EbNS0_10empty_typeEbEEZZNS1_14partition_implILS5_8ELb0ES3_jN6hipcub16HIPCUB_304000_NS22TransformInputIteratorIbN2at6native8internal12_GLOBAL__N_110LoadBoolOpEPKhlEEPS6_PKS6_NS0_5tupleIJPbS6_EEENSN_IJSK_SK_EEENS0_18inequality_wrapperINSA_8EqualityEEEPlJS6_EEE10hipError_tPvRmT3_T4_T5_T6_T7_T9_mT8_P12ihipStream_tbDpT10_ENKUlT_T0_E_clISt17integral_constantIbLb0EES1E_EEDaS19_S1A_EUlS19_E_NS1_11comp_targetILNS1_3genE5ELNS1_11target_archE942ELNS1_3gpuE9ELNS1_3repE0EEENS1_30default_config_static_selectorELNS0_4arch9wavefront6targetE1EEEvT1_.kd
    .uniform_work_group_size: 1
    .uses_dynamic_stack: false
    .vgpr_count:     125
    .vgpr_spill_count: 0
    .wavefront_size: 64
  - .agpr_count:     0
    .args:
      - .offset:         0
        .size:           120
        .value_kind:     by_value
    .group_segment_fixed_size: 0
    .kernarg_segment_align: 8
    .kernarg_segment_size: 120
    .language:       OpenCL C
    .language_version:
      - 2
      - 0
    .max_flat_workgroup_size: 128
    .name:           _ZN7rocprim17ROCPRIM_400000_NS6detail17trampoline_kernelINS0_14default_configENS1_25partition_config_selectorILNS1_17partition_subalgoE8EbNS0_10empty_typeEbEEZZNS1_14partition_implILS5_8ELb0ES3_jN6hipcub16HIPCUB_304000_NS22TransformInputIteratorIbN2at6native8internal12_GLOBAL__N_110LoadBoolOpEPKhlEEPS6_PKS6_NS0_5tupleIJPbS6_EEENSN_IJSK_SK_EEENS0_18inequality_wrapperINSA_8EqualityEEEPlJS6_EEE10hipError_tPvRmT3_T4_T5_T6_T7_T9_mT8_P12ihipStream_tbDpT10_ENKUlT_T0_E_clISt17integral_constantIbLb0EES1E_EEDaS19_S1A_EUlS19_E_NS1_11comp_targetILNS1_3genE4ELNS1_11target_archE910ELNS1_3gpuE8ELNS1_3repE0EEENS1_30default_config_static_selectorELNS0_4arch9wavefront6targetE1EEEvT1_
    .private_segment_fixed_size: 0
    .sgpr_count:     6
    .sgpr_spill_count: 0
    .symbol:         _ZN7rocprim17ROCPRIM_400000_NS6detail17trampoline_kernelINS0_14default_configENS1_25partition_config_selectorILNS1_17partition_subalgoE8EbNS0_10empty_typeEbEEZZNS1_14partition_implILS5_8ELb0ES3_jN6hipcub16HIPCUB_304000_NS22TransformInputIteratorIbN2at6native8internal12_GLOBAL__N_110LoadBoolOpEPKhlEEPS6_PKS6_NS0_5tupleIJPbS6_EEENSN_IJSK_SK_EEENS0_18inequality_wrapperINSA_8EqualityEEEPlJS6_EEE10hipError_tPvRmT3_T4_T5_T6_T7_T9_mT8_P12ihipStream_tbDpT10_ENKUlT_T0_E_clISt17integral_constantIbLb0EES1E_EEDaS19_S1A_EUlS19_E_NS1_11comp_targetILNS1_3genE4ELNS1_11target_archE910ELNS1_3gpuE8ELNS1_3repE0EEENS1_30default_config_static_selectorELNS0_4arch9wavefront6targetE1EEEvT1_.kd
    .uniform_work_group_size: 1
    .uses_dynamic_stack: false
    .vgpr_count:     0
    .vgpr_spill_count: 0
    .wavefront_size: 64
  - .agpr_count:     0
    .args:
      - .offset:         0
        .size:           120
        .value_kind:     by_value
    .group_segment_fixed_size: 0
    .kernarg_segment_align: 8
    .kernarg_segment_size: 120
    .language:       OpenCL C
    .language_version:
      - 2
      - 0
    .max_flat_workgroup_size: 256
    .name:           _ZN7rocprim17ROCPRIM_400000_NS6detail17trampoline_kernelINS0_14default_configENS1_25partition_config_selectorILNS1_17partition_subalgoE8EbNS0_10empty_typeEbEEZZNS1_14partition_implILS5_8ELb0ES3_jN6hipcub16HIPCUB_304000_NS22TransformInputIteratorIbN2at6native8internal12_GLOBAL__N_110LoadBoolOpEPKhlEEPS6_PKS6_NS0_5tupleIJPbS6_EEENSN_IJSK_SK_EEENS0_18inequality_wrapperINSA_8EqualityEEEPlJS6_EEE10hipError_tPvRmT3_T4_T5_T6_T7_T9_mT8_P12ihipStream_tbDpT10_ENKUlT_T0_E_clISt17integral_constantIbLb0EES1E_EEDaS19_S1A_EUlS19_E_NS1_11comp_targetILNS1_3genE3ELNS1_11target_archE908ELNS1_3gpuE7ELNS1_3repE0EEENS1_30default_config_static_selectorELNS0_4arch9wavefront6targetE1EEEvT1_
    .private_segment_fixed_size: 0
    .sgpr_count:     6
    .sgpr_spill_count: 0
    .symbol:         _ZN7rocprim17ROCPRIM_400000_NS6detail17trampoline_kernelINS0_14default_configENS1_25partition_config_selectorILNS1_17partition_subalgoE8EbNS0_10empty_typeEbEEZZNS1_14partition_implILS5_8ELb0ES3_jN6hipcub16HIPCUB_304000_NS22TransformInputIteratorIbN2at6native8internal12_GLOBAL__N_110LoadBoolOpEPKhlEEPS6_PKS6_NS0_5tupleIJPbS6_EEENSN_IJSK_SK_EEENS0_18inequality_wrapperINSA_8EqualityEEEPlJS6_EEE10hipError_tPvRmT3_T4_T5_T6_T7_T9_mT8_P12ihipStream_tbDpT10_ENKUlT_T0_E_clISt17integral_constantIbLb0EES1E_EEDaS19_S1A_EUlS19_E_NS1_11comp_targetILNS1_3genE3ELNS1_11target_archE908ELNS1_3gpuE7ELNS1_3repE0EEENS1_30default_config_static_selectorELNS0_4arch9wavefront6targetE1EEEvT1_.kd
    .uniform_work_group_size: 1
    .uses_dynamic_stack: false
    .vgpr_count:     0
    .vgpr_spill_count: 0
    .wavefront_size: 64
  - .agpr_count:     0
    .args:
      - .offset:         0
        .size:           120
        .value_kind:     by_value
    .group_segment_fixed_size: 0
    .kernarg_segment_align: 8
    .kernarg_segment_size: 120
    .language:       OpenCL C
    .language_version:
      - 2
      - 0
    .max_flat_workgroup_size: 192
    .name:           _ZN7rocprim17ROCPRIM_400000_NS6detail17trampoline_kernelINS0_14default_configENS1_25partition_config_selectorILNS1_17partition_subalgoE8EbNS0_10empty_typeEbEEZZNS1_14partition_implILS5_8ELb0ES3_jN6hipcub16HIPCUB_304000_NS22TransformInputIteratorIbN2at6native8internal12_GLOBAL__N_110LoadBoolOpEPKhlEEPS6_PKS6_NS0_5tupleIJPbS6_EEENSN_IJSK_SK_EEENS0_18inequality_wrapperINSA_8EqualityEEEPlJS6_EEE10hipError_tPvRmT3_T4_T5_T6_T7_T9_mT8_P12ihipStream_tbDpT10_ENKUlT_T0_E_clISt17integral_constantIbLb0EES1E_EEDaS19_S1A_EUlS19_E_NS1_11comp_targetILNS1_3genE2ELNS1_11target_archE906ELNS1_3gpuE6ELNS1_3repE0EEENS1_30default_config_static_selectorELNS0_4arch9wavefront6targetE1EEEvT1_
    .private_segment_fixed_size: 0
    .sgpr_count:     6
    .sgpr_spill_count: 0
    .symbol:         _ZN7rocprim17ROCPRIM_400000_NS6detail17trampoline_kernelINS0_14default_configENS1_25partition_config_selectorILNS1_17partition_subalgoE8EbNS0_10empty_typeEbEEZZNS1_14partition_implILS5_8ELb0ES3_jN6hipcub16HIPCUB_304000_NS22TransformInputIteratorIbN2at6native8internal12_GLOBAL__N_110LoadBoolOpEPKhlEEPS6_PKS6_NS0_5tupleIJPbS6_EEENSN_IJSK_SK_EEENS0_18inequality_wrapperINSA_8EqualityEEEPlJS6_EEE10hipError_tPvRmT3_T4_T5_T6_T7_T9_mT8_P12ihipStream_tbDpT10_ENKUlT_T0_E_clISt17integral_constantIbLb0EES1E_EEDaS19_S1A_EUlS19_E_NS1_11comp_targetILNS1_3genE2ELNS1_11target_archE906ELNS1_3gpuE6ELNS1_3repE0EEENS1_30default_config_static_selectorELNS0_4arch9wavefront6targetE1EEEvT1_.kd
    .uniform_work_group_size: 1
    .uses_dynamic_stack: false
    .vgpr_count:     0
    .vgpr_spill_count: 0
    .wavefront_size: 64
  - .agpr_count:     0
    .args:
      - .offset:         0
        .size:           120
        .value_kind:     by_value
    .group_segment_fixed_size: 0
    .kernarg_segment_align: 8
    .kernarg_segment_size: 120
    .language:       OpenCL C
    .language_version:
      - 2
      - 0
    .max_flat_workgroup_size: 256
    .name:           _ZN7rocprim17ROCPRIM_400000_NS6detail17trampoline_kernelINS0_14default_configENS1_25partition_config_selectorILNS1_17partition_subalgoE8EbNS0_10empty_typeEbEEZZNS1_14partition_implILS5_8ELb0ES3_jN6hipcub16HIPCUB_304000_NS22TransformInputIteratorIbN2at6native8internal12_GLOBAL__N_110LoadBoolOpEPKhlEEPS6_PKS6_NS0_5tupleIJPbS6_EEENSN_IJSK_SK_EEENS0_18inequality_wrapperINSA_8EqualityEEEPlJS6_EEE10hipError_tPvRmT3_T4_T5_T6_T7_T9_mT8_P12ihipStream_tbDpT10_ENKUlT_T0_E_clISt17integral_constantIbLb0EES1E_EEDaS19_S1A_EUlS19_E_NS1_11comp_targetILNS1_3genE10ELNS1_11target_archE1200ELNS1_3gpuE4ELNS1_3repE0EEENS1_30default_config_static_selectorELNS0_4arch9wavefront6targetE1EEEvT1_
    .private_segment_fixed_size: 0
    .sgpr_count:     6
    .sgpr_spill_count: 0
    .symbol:         _ZN7rocprim17ROCPRIM_400000_NS6detail17trampoline_kernelINS0_14default_configENS1_25partition_config_selectorILNS1_17partition_subalgoE8EbNS0_10empty_typeEbEEZZNS1_14partition_implILS5_8ELb0ES3_jN6hipcub16HIPCUB_304000_NS22TransformInputIteratorIbN2at6native8internal12_GLOBAL__N_110LoadBoolOpEPKhlEEPS6_PKS6_NS0_5tupleIJPbS6_EEENSN_IJSK_SK_EEENS0_18inequality_wrapperINSA_8EqualityEEEPlJS6_EEE10hipError_tPvRmT3_T4_T5_T6_T7_T9_mT8_P12ihipStream_tbDpT10_ENKUlT_T0_E_clISt17integral_constantIbLb0EES1E_EEDaS19_S1A_EUlS19_E_NS1_11comp_targetILNS1_3genE10ELNS1_11target_archE1200ELNS1_3gpuE4ELNS1_3repE0EEENS1_30default_config_static_selectorELNS0_4arch9wavefront6targetE1EEEvT1_.kd
    .uniform_work_group_size: 1
    .uses_dynamic_stack: false
    .vgpr_count:     0
    .vgpr_spill_count: 0
    .wavefront_size: 64
  - .agpr_count:     0
    .args:
      - .offset:         0
        .size:           120
        .value_kind:     by_value
    .group_segment_fixed_size: 0
    .kernarg_segment_align: 8
    .kernarg_segment_size: 120
    .language:       OpenCL C
    .language_version:
      - 2
      - 0
    .max_flat_workgroup_size: 384
    .name:           _ZN7rocprim17ROCPRIM_400000_NS6detail17trampoline_kernelINS0_14default_configENS1_25partition_config_selectorILNS1_17partition_subalgoE8EbNS0_10empty_typeEbEEZZNS1_14partition_implILS5_8ELb0ES3_jN6hipcub16HIPCUB_304000_NS22TransformInputIteratorIbN2at6native8internal12_GLOBAL__N_110LoadBoolOpEPKhlEEPS6_PKS6_NS0_5tupleIJPbS6_EEENSN_IJSK_SK_EEENS0_18inequality_wrapperINSA_8EqualityEEEPlJS6_EEE10hipError_tPvRmT3_T4_T5_T6_T7_T9_mT8_P12ihipStream_tbDpT10_ENKUlT_T0_E_clISt17integral_constantIbLb0EES1E_EEDaS19_S1A_EUlS19_E_NS1_11comp_targetILNS1_3genE9ELNS1_11target_archE1100ELNS1_3gpuE3ELNS1_3repE0EEENS1_30default_config_static_selectorELNS0_4arch9wavefront6targetE1EEEvT1_
    .private_segment_fixed_size: 0
    .sgpr_count:     6
    .sgpr_spill_count: 0
    .symbol:         _ZN7rocprim17ROCPRIM_400000_NS6detail17trampoline_kernelINS0_14default_configENS1_25partition_config_selectorILNS1_17partition_subalgoE8EbNS0_10empty_typeEbEEZZNS1_14partition_implILS5_8ELb0ES3_jN6hipcub16HIPCUB_304000_NS22TransformInputIteratorIbN2at6native8internal12_GLOBAL__N_110LoadBoolOpEPKhlEEPS6_PKS6_NS0_5tupleIJPbS6_EEENSN_IJSK_SK_EEENS0_18inequality_wrapperINSA_8EqualityEEEPlJS6_EEE10hipError_tPvRmT3_T4_T5_T6_T7_T9_mT8_P12ihipStream_tbDpT10_ENKUlT_T0_E_clISt17integral_constantIbLb0EES1E_EEDaS19_S1A_EUlS19_E_NS1_11comp_targetILNS1_3genE9ELNS1_11target_archE1100ELNS1_3gpuE3ELNS1_3repE0EEENS1_30default_config_static_selectorELNS0_4arch9wavefront6targetE1EEEvT1_.kd
    .uniform_work_group_size: 1
    .uses_dynamic_stack: false
    .vgpr_count:     0
    .vgpr_spill_count: 0
    .wavefront_size: 64
  - .agpr_count:     0
    .args:
      - .offset:         0
        .size:           120
        .value_kind:     by_value
    .group_segment_fixed_size: 0
    .kernarg_segment_align: 8
    .kernarg_segment_size: 120
    .language:       OpenCL C
    .language_version:
      - 2
      - 0
    .max_flat_workgroup_size: 384
    .name:           _ZN7rocprim17ROCPRIM_400000_NS6detail17trampoline_kernelINS0_14default_configENS1_25partition_config_selectorILNS1_17partition_subalgoE8EbNS0_10empty_typeEbEEZZNS1_14partition_implILS5_8ELb0ES3_jN6hipcub16HIPCUB_304000_NS22TransformInputIteratorIbN2at6native8internal12_GLOBAL__N_110LoadBoolOpEPKhlEEPS6_PKS6_NS0_5tupleIJPbS6_EEENSN_IJSK_SK_EEENS0_18inequality_wrapperINSA_8EqualityEEEPlJS6_EEE10hipError_tPvRmT3_T4_T5_T6_T7_T9_mT8_P12ihipStream_tbDpT10_ENKUlT_T0_E_clISt17integral_constantIbLb0EES1E_EEDaS19_S1A_EUlS19_E_NS1_11comp_targetILNS1_3genE8ELNS1_11target_archE1030ELNS1_3gpuE2ELNS1_3repE0EEENS1_30default_config_static_selectorELNS0_4arch9wavefront6targetE1EEEvT1_
    .private_segment_fixed_size: 0
    .sgpr_count:     6
    .sgpr_spill_count: 0
    .symbol:         _ZN7rocprim17ROCPRIM_400000_NS6detail17trampoline_kernelINS0_14default_configENS1_25partition_config_selectorILNS1_17partition_subalgoE8EbNS0_10empty_typeEbEEZZNS1_14partition_implILS5_8ELb0ES3_jN6hipcub16HIPCUB_304000_NS22TransformInputIteratorIbN2at6native8internal12_GLOBAL__N_110LoadBoolOpEPKhlEEPS6_PKS6_NS0_5tupleIJPbS6_EEENSN_IJSK_SK_EEENS0_18inequality_wrapperINSA_8EqualityEEEPlJS6_EEE10hipError_tPvRmT3_T4_T5_T6_T7_T9_mT8_P12ihipStream_tbDpT10_ENKUlT_T0_E_clISt17integral_constantIbLb0EES1E_EEDaS19_S1A_EUlS19_E_NS1_11comp_targetILNS1_3genE8ELNS1_11target_archE1030ELNS1_3gpuE2ELNS1_3repE0EEENS1_30default_config_static_selectorELNS0_4arch9wavefront6targetE1EEEvT1_.kd
    .uniform_work_group_size: 1
    .uses_dynamic_stack: false
    .vgpr_count:     0
    .vgpr_spill_count: 0
    .wavefront_size: 64
  - .agpr_count:     0
    .args:
      - .offset:         0
        .size:           40
        .value_kind:     by_value
    .group_segment_fixed_size: 0
    .kernarg_segment_align: 8
    .kernarg_segment_size: 40
    .language:       OpenCL C
    .language_version:
      - 2
      - 0
    .max_flat_workgroup_size: 128
    .name:           _ZN7rocprim17ROCPRIM_400000_NS6detail17trampoline_kernelINS0_14default_configENS1_25transform_config_selectorImLb1EEEZNS1_14transform_implILb1ES3_S5_PmPlNS0_8identityIvEEEE10hipError_tT2_T3_mT4_P12ihipStream_tbEUlT_E_NS1_11comp_targetILNS1_3genE0ELNS1_11target_archE4294967295ELNS1_3gpuE0ELNS1_3repE0EEENS1_30default_config_static_selectorELNS0_4arch9wavefront6targetE1EEEvT1_
    .private_segment_fixed_size: 0
    .sgpr_count:     6
    .sgpr_spill_count: 0
    .symbol:         _ZN7rocprim17ROCPRIM_400000_NS6detail17trampoline_kernelINS0_14default_configENS1_25transform_config_selectorImLb1EEEZNS1_14transform_implILb1ES3_S5_PmPlNS0_8identityIvEEEE10hipError_tT2_T3_mT4_P12ihipStream_tbEUlT_E_NS1_11comp_targetILNS1_3genE0ELNS1_11target_archE4294967295ELNS1_3gpuE0ELNS1_3repE0EEENS1_30default_config_static_selectorELNS0_4arch9wavefront6targetE1EEEvT1_.kd
    .uniform_work_group_size: 1
    .uses_dynamic_stack: false
    .vgpr_count:     0
    .vgpr_spill_count: 0
    .wavefront_size: 64
  - .agpr_count:     0
    .args:
      - .offset:         0
        .size:           40
        .value_kind:     by_value
    .group_segment_fixed_size: 0
    .kernarg_segment_align: 8
    .kernarg_segment_size: 40
    .language:       OpenCL C
    .language_version:
      - 2
      - 0
    .max_flat_workgroup_size: 1024
    .name:           _ZN7rocprim17ROCPRIM_400000_NS6detail17trampoline_kernelINS0_14default_configENS1_25transform_config_selectorImLb1EEEZNS1_14transform_implILb1ES3_S5_PmPlNS0_8identityIvEEEE10hipError_tT2_T3_mT4_P12ihipStream_tbEUlT_E_NS1_11comp_targetILNS1_3genE10ELNS1_11target_archE1201ELNS1_3gpuE5ELNS1_3repE0EEENS1_30default_config_static_selectorELNS0_4arch9wavefront6targetE1EEEvT1_
    .private_segment_fixed_size: 0
    .sgpr_count:     6
    .sgpr_spill_count: 0
    .symbol:         _ZN7rocprim17ROCPRIM_400000_NS6detail17trampoline_kernelINS0_14default_configENS1_25transform_config_selectorImLb1EEEZNS1_14transform_implILb1ES3_S5_PmPlNS0_8identityIvEEEE10hipError_tT2_T3_mT4_P12ihipStream_tbEUlT_E_NS1_11comp_targetILNS1_3genE10ELNS1_11target_archE1201ELNS1_3gpuE5ELNS1_3repE0EEENS1_30default_config_static_selectorELNS0_4arch9wavefront6targetE1EEEvT1_.kd
    .uniform_work_group_size: 1
    .uses_dynamic_stack: false
    .vgpr_count:     0
    .vgpr_spill_count: 0
    .wavefront_size: 64
  - .agpr_count:     0
    .args:
      - .offset:         0
        .size:           40
        .value_kind:     by_value
      - .offset:         40
        .size:           4
        .value_kind:     hidden_block_count_x
      - .offset:         44
        .size:           4
        .value_kind:     hidden_block_count_y
      - .offset:         48
        .size:           4
        .value_kind:     hidden_block_count_z
      - .offset:         52
        .size:           2
        .value_kind:     hidden_group_size_x
      - .offset:         54
        .size:           2
        .value_kind:     hidden_group_size_y
      - .offset:         56
        .size:           2
        .value_kind:     hidden_group_size_z
      - .offset:         58
        .size:           2
        .value_kind:     hidden_remainder_x
      - .offset:         60
        .size:           2
        .value_kind:     hidden_remainder_y
      - .offset:         62
        .size:           2
        .value_kind:     hidden_remainder_z
      - .offset:         80
        .size:           8
        .value_kind:     hidden_global_offset_x
      - .offset:         88
        .size:           8
        .value_kind:     hidden_global_offset_y
      - .offset:         96
        .size:           8
        .value_kind:     hidden_global_offset_z
      - .offset:         104
        .size:           2
        .value_kind:     hidden_grid_dims
    .group_segment_fixed_size: 0
    .kernarg_segment_align: 8
    .kernarg_segment_size: 296
    .language:       OpenCL C
    .language_version:
      - 2
      - 0
    .max_flat_workgroup_size: 512
    .name:           _ZN7rocprim17ROCPRIM_400000_NS6detail17trampoline_kernelINS0_14default_configENS1_25transform_config_selectorImLb1EEEZNS1_14transform_implILb1ES3_S5_PmPlNS0_8identityIvEEEE10hipError_tT2_T3_mT4_P12ihipStream_tbEUlT_E_NS1_11comp_targetILNS1_3genE5ELNS1_11target_archE942ELNS1_3gpuE9ELNS1_3repE0EEENS1_30default_config_static_selectorELNS0_4arch9wavefront6targetE1EEEvT1_
    .private_segment_fixed_size: 0
    .sgpr_count:     18
    .sgpr_spill_count: 0
    .symbol:         _ZN7rocprim17ROCPRIM_400000_NS6detail17trampoline_kernelINS0_14default_configENS1_25transform_config_selectorImLb1EEEZNS1_14transform_implILb1ES3_S5_PmPlNS0_8identityIvEEEE10hipError_tT2_T3_mT4_P12ihipStream_tbEUlT_E_NS1_11comp_targetILNS1_3genE5ELNS1_11target_archE942ELNS1_3gpuE9ELNS1_3repE0EEENS1_30default_config_static_selectorELNS0_4arch9wavefront6targetE1EEEvT1_.kd
    .uniform_work_group_size: 1
    .uses_dynamic_stack: false
    .vgpr_count:     8
    .vgpr_spill_count: 0
    .wavefront_size: 64
  - .agpr_count:     0
    .args:
      - .offset:         0
        .size:           40
        .value_kind:     by_value
    .group_segment_fixed_size: 0
    .kernarg_segment_align: 8
    .kernarg_segment_size: 40
    .language:       OpenCL C
    .language_version:
      - 2
      - 0
    .max_flat_workgroup_size: 1024
    .name:           _ZN7rocprim17ROCPRIM_400000_NS6detail17trampoline_kernelINS0_14default_configENS1_25transform_config_selectorImLb1EEEZNS1_14transform_implILb1ES3_S5_PmPlNS0_8identityIvEEEE10hipError_tT2_T3_mT4_P12ihipStream_tbEUlT_E_NS1_11comp_targetILNS1_3genE4ELNS1_11target_archE910ELNS1_3gpuE8ELNS1_3repE0EEENS1_30default_config_static_selectorELNS0_4arch9wavefront6targetE1EEEvT1_
    .private_segment_fixed_size: 0
    .sgpr_count:     6
    .sgpr_spill_count: 0
    .symbol:         _ZN7rocprim17ROCPRIM_400000_NS6detail17trampoline_kernelINS0_14default_configENS1_25transform_config_selectorImLb1EEEZNS1_14transform_implILb1ES3_S5_PmPlNS0_8identityIvEEEE10hipError_tT2_T3_mT4_P12ihipStream_tbEUlT_E_NS1_11comp_targetILNS1_3genE4ELNS1_11target_archE910ELNS1_3gpuE8ELNS1_3repE0EEENS1_30default_config_static_selectorELNS0_4arch9wavefront6targetE1EEEvT1_.kd
    .uniform_work_group_size: 1
    .uses_dynamic_stack: false
    .vgpr_count:     0
    .vgpr_spill_count: 0
    .wavefront_size: 64
  - .agpr_count:     0
    .args:
      - .offset:         0
        .size:           40
        .value_kind:     by_value
    .group_segment_fixed_size: 0
    .kernarg_segment_align: 8
    .kernarg_segment_size: 40
    .language:       OpenCL C
    .language_version:
      - 2
      - 0
    .max_flat_workgroup_size: 128
    .name:           _ZN7rocprim17ROCPRIM_400000_NS6detail17trampoline_kernelINS0_14default_configENS1_25transform_config_selectorImLb1EEEZNS1_14transform_implILb1ES3_S5_PmPlNS0_8identityIvEEEE10hipError_tT2_T3_mT4_P12ihipStream_tbEUlT_E_NS1_11comp_targetILNS1_3genE3ELNS1_11target_archE908ELNS1_3gpuE7ELNS1_3repE0EEENS1_30default_config_static_selectorELNS0_4arch9wavefront6targetE1EEEvT1_
    .private_segment_fixed_size: 0
    .sgpr_count:     6
    .sgpr_spill_count: 0
    .symbol:         _ZN7rocprim17ROCPRIM_400000_NS6detail17trampoline_kernelINS0_14default_configENS1_25transform_config_selectorImLb1EEEZNS1_14transform_implILb1ES3_S5_PmPlNS0_8identityIvEEEE10hipError_tT2_T3_mT4_P12ihipStream_tbEUlT_E_NS1_11comp_targetILNS1_3genE3ELNS1_11target_archE908ELNS1_3gpuE7ELNS1_3repE0EEENS1_30default_config_static_selectorELNS0_4arch9wavefront6targetE1EEEvT1_.kd
    .uniform_work_group_size: 1
    .uses_dynamic_stack: false
    .vgpr_count:     0
    .vgpr_spill_count: 0
    .wavefront_size: 64
  - .agpr_count:     0
    .args:
      - .offset:         0
        .size:           40
        .value_kind:     by_value
    .group_segment_fixed_size: 0
    .kernarg_segment_align: 8
    .kernarg_segment_size: 40
    .language:       OpenCL C
    .language_version:
      - 2
      - 0
    .max_flat_workgroup_size: 512
    .name:           _ZN7rocprim17ROCPRIM_400000_NS6detail17trampoline_kernelINS0_14default_configENS1_25transform_config_selectorImLb1EEEZNS1_14transform_implILb1ES3_S5_PmPlNS0_8identityIvEEEE10hipError_tT2_T3_mT4_P12ihipStream_tbEUlT_E_NS1_11comp_targetILNS1_3genE2ELNS1_11target_archE906ELNS1_3gpuE6ELNS1_3repE0EEENS1_30default_config_static_selectorELNS0_4arch9wavefront6targetE1EEEvT1_
    .private_segment_fixed_size: 0
    .sgpr_count:     6
    .sgpr_spill_count: 0
    .symbol:         _ZN7rocprim17ROCPRIM_400000_NS6detail17trampoline_kernelINS0_14default_configENS1_25transform_config_selectorImLb1EEEZNS1_14transform_implILb1ES3_S5_PmPlNS0_8identityIvEEEE10hipError_tT2_T3_mT4_P12ihipStream_tbEUlT_E_NS1_11comp_targetILNS1_3genE2ELNS1_11target_archE906ELNS1_3gpuE6ELNS1_3repE0EEENS1_30default_config_static_selectorELNS0_4arch9wavefront6targetE1EEEvT1_.kd
    .uniform_work_group_size: 1
    .uses_dynamic_stack: false
    .vgpr_count:     0
    .vgpr_spill_count: 0
    .wavefront_size: 64
  - .agpr_count:     0
    .args:
      - .offset:         0
        .size:           40
        .value_kind:     by_value
    .group_segment_fixed_size: 0
    .kernarg_segment_align: 8
    .kernarg_segment_size: 40
    .language:       OpenCL C
    .language_version:
      - 2
      - 0
    .max_flat_workgroup_size: 1024
    .name:           _ZN7rocprim17ROCPRIM_400000_NS6detail17trampoline_kernelINS0_14default_configENS1_25transform_config_selectorImLb1EEEZNS1_14transform_implILb1ES3_S5_PmPlNS0_8identityIvEEEE10hipError_tT2_T3_mT4_P12ihipStream_tbEUlT_E_NS1_11comp_targetILNS1_3genE9ELNS1_11target_archE1100ELNS1_3gpuE3ELNS1_3repE0EEENS1_30default_config_static_selectorELNS0_4arch9wavefront6targetE1EEEvT1_
    .private_segment_fixed_size: 0
    .sgpr_count:     6
    .sgpr_spill_count: 0
    .symbol:         _ZN7rocprim17ROCPRIM_400000_NS6detail17trampoline_kernelINS0_14default_configENS1_25transform_config_selectorImLb1EEEZNS1_14transform_implILb1ES3_S5_PmPlNS0_8identityIvEEEE10hipError_tT2_T3_mT4_P12ihipStream_tbEUlT_E_NS1_11comp_targetILNS1_3genE9ELNS1_11target_archE1100ELNS1_3gpuE3ELNS1_3repE0EEENS1_30default_config_static_selectorELNS0_4arch9wavefront6targetE1EEEvT1_.kd
    .uniform_work_group_size: 1
    .uses_dynamic_stack: false
    .vgpr_count:     0
    .vgpr_spill_count: 0
    .wavefront_size: 64
  - .agpr_count:     0
    .args:
      - .offset:         0
        .size:           40
        .value_kind:     by_value
    .group_segment_fixed_size: 0
    .kernarg_segment_align: 8
    .kernarg_segment_size: 40
    .language:       OpenCL C
    .language_version:
      - 2
      - 0
    .max_flat_workgroup_size: 1024
    .name:           _ZN7rocprim17ROCPRIM_400000_NS6detail17trampoline_kernelINS0_14default_configENS1_25transform_config_selectorImLb1EEEZNS1_14transform_implILb1ES3_S5_PmPlNS0_8identityIvEEEE10hipError_tT2_T3_mT4_P12ihipStream_tbEUlT_E_NS1_11comp_targetILNS1_3genE8ELNS1_11target_archE1030ELNS1_3gpuE2ELNS1_3repE0EEENS1_30default_config_static_selectorELNS0_4arch9wavefront6targetE1EEEvT1_
    .private_segment_fixed_size: 0
    .sgpr_count:     6
    .sgpr_spill_count: 0
    .symbol:         _ZN7rocprim17ROCPRIM_400000_NS6detail17trampoline_kernelINS0_14default_configENS1_25transform_config_selectorImLb1EEEZNS1_14transform_implILb1ES3_S5_PmPlNS0_8identityIvEEEE10hipError_tT2_T3_mT4_P12ihipStream_tbEUlT_E_NS1_11comp_targetILNS1_3genE8ELNS1_11target_archE1030ELNS1_3gpuE2ELNS1_3repE0EEENS1_30default_config_static_selectorELNS0_4arch9wavefront6targetE1EEEvT1_.kd
    .uniform_work_group_size: 1
    .uses_dynamic_stack: false
    .vgpr_count:     0
    .vgpr_spill_count: 0
    .wavefront_size: 64
  - .agpr_count:     0
    .args:
      - .address_space:  global
        .offset:         0
        .size:           8
        .value_kind:     global_buffer
      - .offset:         8
        .size:           4
        .value_kind:     by_value
      - .address_space:  global
        .offset:         16
        .size:           8
        .value_kind:     global_buffer
      - .offset:         24
        .size:           4
        .value_kind:     by_value
      - .address_space:  global
        .offset:         32
        .size:           8
        .value_kind:     global_buffer
      - .offset:         40
        .size:           4
        .value_kind:     hidden_block_count_x
      - .offset:         44
        .size:           4
        .value_kind:     hidden_block_count_y
      - .offset:         48
        .size:           4
        .value_kind:     hidden_block_count_z
      - .offset:         52
        .size:           2
        .value_kind:     hidden_group_size_x
      - .offset:         54
        .size:           2
        .value_kind:     hidden_group_size_y
      - .offset:         56
        .size:           2
        .value_kind:     hidden_group_size_z
      - .offset:         58
        .size:           2
        .value_kind:     hidden_remainder_x
      - .offset:         60
        .size:           2
        .value_kind:     hidden_remainder_y
      - .offset:         62
        .size:           2
        .value_kind:     hidden_remainder_z
      - .offset:         80
        .size:           8
        .value_kind:     hidden_global_offset_x
      - .offset:         88
        .size:           8
        .value_kind:     hidden_global_offset_y
      - .offset:         96
        .size:           8
        .value_kind:     hidden_global_offset_z
      - .offset:         104
        .size:           2
        .value_kind:     hidden_grid_dims
    .group_segment_fixed_size: 0
    .kernarg_segment_align: 8
    .kernarg_segment_size: 296
    .language:       OpenCL C
    .language_version:
      - 2
      - 0
    .max_flat_workgroup_size: 256
    .name:           _ZN7rocprim17ROCPRIM_400000_NS6detail31init_lookback_scan_state_kernelINS1_19lookback_scan_stateIjLb1ELb1EEENS1_16block_id_wrapperIjLb1EEEEEvT_jT0_jPNS7_10value_typeE
    .private_segment_fixed_size: 0
    .sgpr_count:     20
    .sgpr_spill_count: 0
    .symbol:         _ZN7rocprim17ROCPRIM_400000_NS6detail31init_lookback_scan_state_kernelINS1_19lookback_scan_stateIjLb1ELb1EEENS1_16block_id_wrapperIjLb1EEEEEvT_jT0_jPNS7_10value_typeE.kd
    .uniform_work_group_size: 1
    .uses_dynamic_stack: false
    .vgpr_count:     6
    .vgpr_spill_count: 0
    .wavefront_size: 64
  - .agpr_count:     0
    .args:
      - .offset:         0
        .size:           136
        .value_kind:     by_value
    .group_segment_fixed_size: 0
    .kernarg_segment_align: 8
    .kernarg_segment_size: 136
    .language:       OpenCL C
    .language_version:
      - 2
      - 0
    .max_flat_workgroup_size: 256
    .name:           _ZN7rocprim17ROCPRIM_400000_NS6detail17trampoline_kernelINS0_14default_configENS1_25partition_config_selectorILNS1_17partition_subalgoE8EbNS0_10empty_typeEbEEZZNS1_14partition_implILS5_8ELb0ES3_jN6hipcub16HIPCUB_304000_NS22TransformInputIteratorIbN2at6native8internal12_GLOBAL__N_110LoadBoolOpEPKhlEEPS6_PKS6_NS0_5tupleIJPbS6_EEENSN_IJSK_SK_EEENS0_18inequality_wrapperINSA_8EqualityEEEPlJS6_EEE10hipError_tPvRmT3_T4_T5_T6_T7_T9_mT8_P12ihipStream_tbDpT10_ENKUlT_T0_E_clISt17integral_constantIbLb1EES1E_EEDaS19_S1A_EUlS19_E_NS1_11comp_targetILNS1_3genE0ELNS1_11target_archE4294967295ELNS1_3gpuE0ELNS1_3repE0EEENS1_30default_config_static_selectorELNS0_4arch9wavefront6targetE1EEEvT1_
    .private_segment_fixed_size: 0
    .sgpr_count:     6
    .sgpr_spill_count: 0
    .symbol:         _ZN7rocprim17ROCPRIM_400000_NS6detail17trampoline_kernelINS0_14default_configENS1_25partition_config_selectorILNS1_17partition_subalgoE8EbNS0_10empty_typeEbEEZZNS1_14partition_implILS5_8ELb0ES3_jN6hipcub16HIPCUB_304000_NS22TransformInputIteratorIbN2at6native8internal12_GLOBAL__N_110LoadBoolOpEPKhlEEPS6_PKS6_NS0_5tupleIJPbS6_EEENSN_IJSK_SK_EEENS0_18inequality_wrapperINSA_8EqualityEEEPlJS6_EEE10hipError_tPvRmT3_T4_T5_T6_T7_T9_mT8_P12ihipStream_tbDpT10_ENKUlT_T0_E_clISt17integral_constantIbLb1EES1E_EEDaS19_S1A_EUlS19_E_NS1_11comp_targetILNS1_3genE0ELNS1_11target_archE4294967295ELNS1_3gpuE0ELNS1_3repE0EEENS1_30default_config_static_selectorELNS0_4arch9wavefront6targetE1EEEvT1_.kd
    .uniform_work_group_size: 1
    .uses_dynamic_stack: false
    .vgpr_count:     0
    .vgpr_spill_count: 0
    .wavefront_size: 64
  - .agpr_count:     0
    .args:
      - .offset:         0
        .size:           136
        .value_kind:     by_value
    .group_segment_fixed_size: 16908
    .kernarg_segment_align: 8
    .kernarg_segment_size: 136
    .language:       OpenCL C
    .language_version:
      - 2
      - 0
    .max_flat_workgroup_size: 512
    .name:           _ZN7rocprim17ROCPRIM_400000_NS6detail17trampoline_kernelINS0_14default_configENS1_25partition_config_selectorILNS1_17partition_subalgoE8EbNS0_10empty_typeEbEEZZNS1_14partition_implILS5_8ELb0ES3_jN6hipcub16HIPCUB_304000_NS22TransformInputIteratorIbN2at6native8internal12_GLOBAL__N_110LoadBoolOpEPKhlEEPS6_PKS6_NS0_5tupleIJPbS6_EEENSN_IJSK_SK_EEENS0_18inequality_wrapperINSA_8EqualityEEEPlJS6_EEE10hipError_tPvRmT3_T4_T5_T6_T7_T9_mT8_P12ihipStream_tbDpT10_ENKUlT_T0_E_clISt17integral_constantIbLb1EES1E_EEDaS19_S1A_EUlS19_E_NS1_11comp_targetILNS1_3genE5ELNS1_11target_archE942ELNS1_3gpuE9ELNS1_3repE0EEENS1_30default_config_static_selectorELNS0_4arch9wavefront6targetE1EEEvT1_
    .private_segment_fixed_size: 0
    .sgpr_count:     91
    .sgpr_spill_count: 0
    .symbol:         _ZN7rocprim17ROCPRIM_400000_NS6detail17trampoline_kernelINS0_14default_configENS1_25partition_config_selectorILNS1_17partition_subalgoE8EbNS0_10empty_typeEbEEZZNS1_14partition_implILS5_8ELb0ES3_jN6hipcub16HIPCUB_304000_NS22TransformInputIteratorIbN2at6native8internal12_GLOBAL__N_110LoadBoolOpEPKhlEEPS6_PKS6_NS0_5tupleIJPbS6_EEENSN_IJSK_SK_EEENS0_18inequality_wrapperINSA_8EqualityEEEPlJS6_EEE10hipError_tPvRmT3_T4_T5_T6_T7_T9_mT8_P12ihipStream_tbDpT10_ENKUlT_T0_E_clISt17integral_constantIbLb1EES1E_EEDaS19_S1A_EUlS19_E_NS1_11comp_targetILNS1_3genE5ELNS1_11target_archE942ELNS1_3gpuE9ELNS1_3repE0EEENS1_30default_config_static_selectorELNS0_4arch9wavefront6targetE1EEEvT1_.kd
    .uniform_work_group_size: 1
    .uses_dynamic_stack: false
    .vgpr_count:     126
    .vgpr_spill_count: 0
    .wavefront_size: 64
  - .agpr_count:     0
    .args:
      - .offset:         0
        .size:           136
        .value_kind:     by_value
    .group_segment_fixed_size: 0
    .kernarg_segment_align: 8
    .kernarg_segment_size: 136
    .language:       OpenCL C
    .language_version:
      - 2
      - 0
    .max_flat_workgroup_size: 128
    .name:           _ZN7rocprim17ROCPRIM_400000_NS6detail17trampoline_kernelINS0_14default_configENS1_25partition_config_selectorILNS1_17partition_subalgoE8EbNS0_10empty_typeEbEEZZNS1_14partition_implILS5_8ELb0ES3_jN6hipcub16HIPCUB_304000_NS22TransformInputIteratorIbN2at6native8internal12_GLOBAL__N_110LoadBoolOpEPKhlEEPS6_PKS6_NS0_5tupleIJPbS6_EEENSN_IJSK_SK_EEENS0_18inequality_wrapperINSA_8EqualityEEEPlJS6_EEE10hipError_tPvRmT3_T4_T5_T6_T7_T9_mT8_P12ihipStream_tbDpT10_ENKUlT_T0_E_clISt17integral_constantIbLb1EES1E_EEDaS19_S1A_EUlS19_E_NS1_11comp_targetILNS1_3genE4ELNS1_11target_archE910ELNS1_3gpuE8ELNS1_3repE0EEENS1_30default_config_static_selectorELNS0_4arch9wavefront6targetE1EEEvT1_
    .private_segment_fixed_size: 0
    .sgpr_count:     6
    .sgpr_spill_count: 0
    .symbol:         _ZN7rocprim17ROCPRIM_400000_NS6detail17trampoline_kernelINS0_14default_configENS1_25partition_config_selectorILNS1_17partition_subalgoE8EbNS0_10empty_typeEbEEZZNS1_14partition_implILS5_8ELb0ES3_jN6hipcub16HIPCUB_304000_NS22TransformInputIteratorIbN2at6native8internal12_GLOBAL__N_110LoadBoolOpEPKhlEEPS6_PKS6_NS0_5tupleIJPbS6_EEENSN_IJSK_SK_EEENS0_18inequality_wrapperINSA_8EqualityEEEPlJS6_EEE10hipError_tPvRmT3_T4_T5_T6_T7_T9_mT8_P12ihipStream_tbDpT10_ENKUlT_T0_E_clISt17integral_constantIbLb1EES1E_EEDaS19_S1A_EUlS19_E_NS1_11comp_targetILNS1_3genE4ELNS1_11target_archE910ELNS1_3gpuE8ELNS1_3repE0EEENS1_30default_config_static_selectorELNS0_4arch9wavefront6targetE1EEEvT1_.kd
    .uniform_work_group_size: 1
    .uses_dynamic_stack: false
    .vgpr_count:     0
    .vgpr_spill_count: 0
    .wavefront_size: 64
  - .agpr_count:     0
    .args:
      - .offset:         0
        .size:           136
        .value_kind:     by_value
    .group_segment_fixed_size: 0
    .kernarg_segment_align: 8
    .kernarg_segment_size: 136
    .language:       OpenCL C
    .language_version:
      - 2
      - 0
    .max_flat_workgroup_size: 256
    .name:           _ZN7rocprim17ROCPRIM_400000_NS6detail17trampoline_kernelINS0_14default_configENS1_25partition_config_selectorILNS1_17partition_subalgoE8EbNS0_10empty_typeEbEEZZNS1_14partition_implILS5_8ELb0ES3_jN6hipcub16HIPCUB_304000_NS22TransformInputIteratorIbN2at6native8internal12_GLOBAL__N_110LoadBoolOpEPKhlEEPS6_PKS6_NS0_5tupleIJPbS6_EEENSN_IJSK_SK_EEENS0_18inequality_wrapperINSA_8EqualityEEEPlJS6_EEE10hipError_tPvRmT3_T4_T5_T6_T7_T9_mT8_P12ihipStream_tbDpT10_ENKUlT_T0_E_clISt17integral_constantIbLb1EES1E_EEDaS19_S1A_EUlS19_E_NS1_11comp_targetILNS1_3genE3ELNS1_11target_archE908ELNS1_3gpuE7ELNS1_3repE0EEENS1_30default_config_static_selectorELNS0_4arch9wavefront6targetE1EEEvT1_
    .private_segment_fixed_size: 0
    .sgpr_count:     6
    .sgpr_spill_count: 0
    .symbol:         _ZN7rocprim17ROCPRIM_400000_NS6detail17trampoline_kernelINS0_14default_configENS1_25partition_config_selectorILNS1_17partition_subalgoE8EbNS0_10empty_typeEbEEZZNS1_14partition_implILS5_8ELb0ES3_jN6hipcub16HIPCUB_304000_NS22TransformInputIteratorIbN2at6native8internal12_GLOBAL__N_110LoadBoolOpEPKhlEEPS6_PKS6_NS0_5tupleIJPbS6_EEENSN_IJSK_SK_EEENS0_18inequality_wrapperINSA_8EqualityEEEPlJS6_EEE10hipError_tPvRmT3_T4_T5_T6_T7_T9_mT8_P12ihipStream_tbDpT10_ENKUlT_T0_E_clISt17integral_constantIbLb1EES1E_EEDaS19_S1A_EUlS19_E_NS1_11comp_targetILNS1_3genE3ELNS1_11target_archE908ELNS1_3gpuE7ELNS1_3repE0EEENS1_30default_config_static_selectorELNS0_4arch9wavefront6targetE1EEEvT1_.kd
    .uniform_work_group_size: 1
    .uses_dynamic_stack: false
    .vgpr_count:     0
    .vgpr_spill_count: 0
    .wavefront_size: 64
  - .agpr_count:     0
    .args:
      - .offset:         0
        .size:           136
        .value_kind:     by_value
    .group_segment_fixed_size: 0
    .kernarg_segment_align: 8
    .kernarg_segment_size: 136
    .language:       OpenCL C
    .language_version:
      - 2
      - 0
    .max_flat_workgroup_size: 192
    .name:           _ZN7rocprim17ROCPRIM_400000_NS6detail17trampoline_kernelINS0_14default_configENS1_25partition_config_selectorILNS1_17partition_subalgoE8EbNS0_10empty_typeEbEEZZNS1_14partition_implILS5_8ELb0ES3_jN6hipcub16HIPCUB_304000_NS22TransformInputIteratorIbN2at6native8internal12_GLOBAL__N_110LoadBoolOpEPKhlEEPS6_PKS6_NS0_5tupleIJPbS6_EEENSN_IJSK_SK_EEENS0_18inequality_wrapperINSA_8EqualityEEEPlJS6_EEE10hipError_tPvRmT3_T4_T5_T6_T7_T9_mT8_P12ihipStream_tbDpT10_ENKUlT_T0_E_clISt17integral_constantIbLb1EES1E_EEDaS19_S1A_EUlS19_E_NS1_11comp_targetILNS1_3genE2ELNS1_11target_archE906ELNS1_3gpuE6ELNS1_3repE0EEENS1_30default_config_static_selectorELNS0_4arch9wavefront6targetE1EEEvT1_
    .private_segment_fixed_size: 0
    .sgpr_count:     6
    .sgpr_spill_count: 0
    .symbol:         _ZN7rocprim17ROCPRIM_400000_NS6detail17trampoline_kernelINS0_14default_configENS1_25partition_config_selectorILNS1_17partition_subalgoE8EbNS0_10empty_typeEbEEZZNS1_14partition_implILS5_8ELb0ES3_jN6hipcub16HIPCUB_304000_NS22TransformInputIteratorIbN2at6native8internal12_GLOBAL__N_110LoadBoolOpEPKhlEEPS6_PKS6_NS0_5tupleIJPbS6_EEENSN_IJSK_SK_EEENS0_18inequality_wrapperINSA_8EqualityEEEPlJS6_EEE10hipError_tPvRmT3_T4_T5_T6_T7_T9_mT8_P12ihipStream_tbDpT10_ENKUlT_T0_E_clISt17integral_constantIbLb1EES1E_EEDaS19_S1A_EUlS19_E_NS1_11comp_targetILNS1_3genE2ELNS1_11target_archE906ELNS1_3gpuE6ELNS1_3repE0EEENS1_30default_config_static_selectorELNS0_4arch9wavefront6targetE1EEEvT1_.kd
    .uniform_work_group_size: 1
    .uses_dynamic_stack: false
    .vgpr_count:     0
    .vgpr_spill_count: 0
    .wavefront_size: 64
  - .agpr_count:     0
    .args:
      - .offset:         0
        .size:           136
        .value_kind:     by_value
    .group_segment_fixed_size: 0
    .kernarg_segment_align: 8
    .kernarg_segment_size: 136
    .language:       OpenCL C
    .language_version:
      - 2
      - 0
    .max_flat_workgroup_size: 256
    .name:           _ZN7rocprim17ROCPRIM_400000_NS6detail17trampoline_kernelINS0_14default_configENS1_25partition_config_selectorILNS1_17partition_subalgoE8EbNS0_10empty_typeEbEEZZNS1_14partition_implILS5_8ELb0ES3_jN6hipcub16HIPCUB_304000_NS22TransformInputIteratorIbN2at6native8internal12_GLOBAL__N_110LoadBoolOpEPKhlEEPS6_PKS6_NS0_5tupleIJPbS6_EEENSN_IJSK_SK_EEENS0_18inequality_wrapperINSA_8EqualityEEEPlJS6_EEE10hipError_tPvRmT3_T4_T5_T6_T7_T9_mT8_P12ihipStream_tbDpT10_ENKUlT_T0_E_clISt17integral_constantIbLb1EES1E_EEDaS19_S1A_EUlS19_E_NS1_11comp_targetILNS1_3genE10ELNS1_11target_archE1200ELNS1_3gpuE4ELNS1_3repE0EEENS1_30default_config_static_selectorELNS0_4arch9wavefront6targetE1EEEvT1_
    .private_segment_fixed_size: 0
    .sgpr_count:     6
    .sgpr_spill_count: 0
    .symbol:         _ZN7rocprim17ROCPRIM_400000_NS6detail17trampoline_kernelINS0_14default_configENS1_25partition_config_selectorILNS1_17partition_subalgoE8EbNS0_10empty_typeEbEEZZNS1_14partition_implILS5_8ELb0ES3_jN6hipcub16HIPCUB_304000_NS22TransformInputIteratorIbN2at6native8internal12_GLOBAL__N_110LoadBoolOpEPKhlEEPS6_PKS6_NS0_5tupleIJPbS6_EEENSN_IJSK_SK_EEENS0_18inequality_wrapperINSA_8EqualityEEEPlJS6_EEE10hipError_tPvRmT3_T4_T5_T6_T7_T9_mT8_P12ihipStream_tbDpT10_ENKUlT_T0_E_clISt17integral_constantIbLb1EES1E_EEDaS19_S1A_EUlS19_E_NS1_11comp_targetILNS1_3genE10ELNS1_11target_archE1200ELNS1_3gpuE4ELNS1_3repE0EEENS1_30default_config_static_selectorELNS0_4arch9wavefront6targetE1EEEvT1_.kd
    .uniform_work_group_size: 1
    .uses_dynamic_stack: false
    .vgpr_count:     0
    .vgpr_spill_count: 0
    .wavefront_size: 64
  - .agpr_count:     0
    .args:
      - .offset:         0
        .size:           136
        .value_kind:     by_value
    .group_segment_fixed_size: 0
    .kernarg_segment_align: 8
    .kernarg_segment_size: 136
    .language:       OpenCL C
    .language_version:
      - 2
      - 0
    .max_flat_workgroup_size: 384
    .name:           _ZN7rocprim17ROCPRIM_400000_NS6detail17trampoline_kernelINS0_14default_configENS1_25partition_config_selectorILNS1_17partition_subalgoE8EbNS0_10empty_typeEbEEZZNS1_14partition_implILS5_8ELb0ES3_jN6hipcub16HIPCUB_304000_NS22TransformInputIteratorIbN2at6native8internal12_GLOBAL__N_110LoadBoolOpEPKhlEEPS6_PKS6_NS0_5tupleIJPbS6_EEENSN_IJSK_SK_EEENS0_18inequality_wrapperINSA_8EqualityEEEPlJS6_EEE10hipError_tPvRmT3_T4_T5_T6_T7_T9_mT8_P12ihipStream_tbDpT10_ENKUlT_T0_E_clISt17integral_constantIbLb1EES1E_EEDaS19_S1A_EUlS19_E_NS1_11comp_targetILNS1_3genE9ELNS1_11target_archE1100ELNS1_3gpuE3ELNS1_3repE0EEENS1_30default_config_static_selectorELNS0_4arch9wavefront6targetE1EEEvT1_
    .private_segment_fixed_size: 0
    .sgpr_count:     6
    .sgpr_spill_count: 0
    .symbol:         _ZN7rocprim17ROCPRIM_400000_NS6detail17trampoline_kernelINS0_14default_configENS1_25partition_config_selectorILNS1_17partition_subalgoE8EbNS0_10empty_typeEbEEZZNS1_14partition_implILS5_8ELb0ES3_jN6hipcub16HIPCUB_304000_NS22TransformInputIteratorIbN2at6native8internal12_GLOBAL__N_110LoadBoolOpEPKhlEEPS6_PKS6_NS0_5tupleIJPbS6_EEENSN_IJSK_SK_EEENS0_18inequality_wrapperINSA_8EqualityEEEPlJS6_EEE10hipError_tPvRmT3_T4_T5_T6_T7_T9_mT8_P12ihipStream_tbDpT10_ENKUlT_T0_E_clISt17integral_constantIbLb1EES1E_EEDaS19_S1A_EUlS19_E_NS1_11comp_targetILNS1_3genE9ELNS1_11target_archE1100ELNS1_3gpuE3ELNS1_3repE0EEENS1_30default_config_static_selectorELNS0_4arch9wavefront6targetE1EEEvT1_.kd
    .uniform_work_group_size: 1
    .uses_dynamic_stack: false
    .vgpr_count:     0
    .vgpr_spill_count: 0
    .wavefront_size: 64
  - .agpr_count:     0
    .args:
      - .offset:         0
        .size:           136
        .value_kind:     by_value
    .group_segment_fixed_size: 0
    .kernarg_segment_align: 8
    .kernarg_segment_size: 136
    .language:       OpenCL C
    .language_version:
      - 2
      - 0
    .max_flat_workgroup_size: 384
    .name:           _ZN7rocprim17ROCPRIM_400000_NS6detail17trampoline_kernelINS0_14default_configENS1_25partition_config_selectorILNS1_17partition_subalgoE8EbNS0_10empty_typeEbEEZZNS1_14partition_implILS5_8ELb0ES3_jN6hipcub16HIPCUB_304000_NS22TransformInputIteratorIbN2at6native8internal12_GLOBAL__N_110LoadBoolOpEPKhlEEPS6_PKS6_NS0_5tupleIJPbS6_EEENSN_IJSK_SK_EEENS0_18inequality_wrapperINSA_8EqualityEEEPlJS6_EEE10hipError_tPvRmT3_T4_T5_T6_T7_T9_mT8_P12ihipStream_tbDpT10_ENKUlT_T0_E_clISt17integral_constantIbLb1EES1E_EEDaS19_S1A_EUlS19_E_NS1_11comp_targetILNS1_3genE8ELNS1_11target_archE1030ELNS1_3gpuE2ELNS1_3repE0EEENS1_30default_config_static_selectorELNS0_4arch9wavefront6targetE1EEEvT1_
    .private_segment_fixed_size: 0
    .sgpr_count:     6
    .sgpr_spill_count: 0
    .symbol:         _ZN7rocprim17ROCPRIM_400000_NS6detail17trampoline_kernelINS0_14default_configENS1_25partition_config_selectorILNS1_17partition_subalgoE8EbNS0_10empty_typeEbEEZZNS1_14partition_implILS5_8ELb0ES3_jN6hipcub16HIPCUB_304000_NS22TransformInputIteratorIbN2at6native8internal12_GLOBAL__N_110LoadBoolOpEPKhlEEPS6_PKS6_NS0_5tupleIJPbS6_EEENSN_IJSK_SK_EEENS0_18inequality_wrapperINSA_8EqualityEEEPlJS6_EEE10hipError_tPvRmT3_T4_T5_T6_T7_T9_mT8_P12ihipStream_tbDpT10_ENKUlT_T0_E_clISt17integral_constantIbLb1EES1E_EEDaS19_S1A_EUlS19_E_NS1_11comp_targetILNS1_3genE8ELNS1_11target_archE1030ELNS1_3gpuE2ELNS1_3repE0EEENS1_30default_config_static_selectorELNS0_4arch9wavefront6targetE1EEEvT1_.kd
    .uniform_work_group_size: 1
    .uses_dynamic_stack: false
    .vgpr_count:     0
    .vgpr_spill_count: 0
    .wavefront_size: 64
  - .agpr_count:     0
    .args:
      - .address_space:  global
        .offset:         0
        .size:           8
        .value_kind:     global_buffer
      - .offset:         8
        .size:           4
        .value_kind:     by_value
      - .offset:         12
        .size:           1
        .value_kind:     by_value
      - .offset:         16
        .size:           4
        .value_kind:     by_value
      - .address_space:  global
        .offset:         24
        .size:           8
        .value_kind:     global_buffer
      - .offset:         32
        .size:           4
        .value_kind:     hidden_block_count_x
      - .offset:         36
        .size:           4
        .value_kind:     hidden_block_count_y
      - .offset:         40
        .size:           4
        .value_kind:     hidden_block_count_z
      - .offset:         44
        .size:           2
        .value_kind:     hidden_group_size_x
      - .offset:         46
        .size:           2
        .value_kind:     hidden_group_size_y
      - .offset:         48
        .size:           2
        .value_kind:     hidden_group_size_z
      - .offset:         50
        .size:           2
        .value_kind:     hidden_remainder_x
      - .offset:         52
        .size:           2
        .value_kind:     hidden_remainder_y
      - .offset:         54
        .size:           2
        .value_kind:     hidden_remainder_z
      - .offset:         72
        .size:           8
        .value_kind:     hidden_global_offset_x
      - .offset:         80
        .size:           8
        .value_kind:     hidden_global_offset_y
      - .offset:         88
        .size:           8
        .value_kind:     hidden_global_offset_z
      - .offset:         96
        .size:           2
        .value_kind:     hidden_grid_dims
    .group_segment_fixed_size: 0
    .kernarg_segment_align: 8
    .kernarg_segment_size: 288
    .language:       OpenCL C
    .language_version:
      - 2
      - 0
    .max_flat_workgroup_size: 256
    .name:           _ZN7rocprim17ROCPRIM_400000_NS6detail31init_lookback_scan_state_kernelINS1_19lookback_scan_stateIjLb1ELb1EEENS1_16block_id_wrapperIjLb0EEEEEvT_jT0_jPNS7_10value_typeE
    .private_segment_fixed_size: 0
    .sgpr_count:     18
    .sgpr_spill_count: 0
    .symbol:         _ZN7rocprim17ROCPRIM_400000_NS6detail31init_lookback_scan_state_kernelINS1_19lookback_scan_stateIjLb1ELb1EEENS1_16block_id_wrapperIjLb0EEEEEvT_jT0_jPNS7_10value_typeE.kd
    .uniform_work_group_size: 1
    .uses_dynamic_stack: false
    .vgpr_count:     6
    .vgpr_spill_count: 0
    .wavefront_size: 64
  - .agpr_count:     0
    .args:
      - .offset:         0
        .size:           120
        .value_kind:     by_value
    .group_segment_fixed_size: 0
    .kernarg_segment_align: 8
    .kernarg_segment_size: 120
    .language:       OpenCL C
    .language_version:
      - 2
      - 0
    .max_flat_workgroup_size: 256
    .name:           _ZN7rocprim17ROCPRIM_400000_NS6detail17trampoline_kernelINS0_14default_configENS1_25partition_config_selectorILNS1_17partition_subalgoE8EbNS0_10empty_typeEbEEZZNS1_14partition_implILS5_8ELb0ES3_jN6hipcub16HIPCUB_304000_NS22TransformInputIteratorIbN2at6native8internal12_GLOBAL__N_110LoadBoolOpEPKhlEEPS6_PKS6_NS0_5tupleIJPbS6_EEENSN_IJSK_SK_EEENS0_18inequality_wrapperINSA_8EqualityEEEPlJS6_EEE10hipError_tPvRmT3_T4_T5_T6_T7_T9_mT8_P12ihipStream_tbDpT10_ENKUlT_T0_E_clISt17integral_constantIbLb1EES1D_IbLb0EEEEDaS19_S1A_EUlS19_E_NS1_11comp_targetILNS1_3genE0ELNS1_11target_archE4294967295ELNS1_3gpuE0ELNS1_3repE0EEENS1_30default_config_static_selectorELNS0_4arch9wavefront6targetE1EEEvT1_
    .private_segment_fixed_size: 0
    .sgpr_count:     6
    .sgpr_spill_count: 0
    .symbol:         _ZN7rocprim17ROCPRIM_400000_NS6detail17trampoline_kernelINS0_14default_configENS1_25partition_config_selectorILNS1_17partition_subalgoE8EbNS0_10empty_typeEbEEZZNS1_14partition_implILS5_8ELb0ES3_jN6hipcub16HIPCUB_304000_NS22TransformInputIteratorIbN2at6native8internal12_GLOBAL__N_110LoadBoolOpEPKhlEEPS6_PKS6_NS0_5tupleIJPbS6_EEENSN_IJSK_SK_EEENS0_18inequality_wrapperINSA_8EqualityEEEPlJS6_EEE10hipError_tPvRmT3_T4_T5_T6_T7_T9_mT8_P12ihipStream_tbDpT10_ENKUlT_T0_E_clISt17integral_constantIbLb1EES1D_IbLb0EEEEDaS19_S1A_EUlS19_E_NS1_11comp_targetILNS1_3genE0ELNS1_11target_archE4294967295ELNS1_3gpuE0ELNS1_3repE0EEENS1_30default_config_static_selectorELNS0_4arch9wavefront6targetE1EEEvT1_.kd
    .uniform_work_group_size: 1
    .uses_dynamic_stack: false
    .vgpr_count:     0
    .vgpr_spill_count: 0
    .wavefront_size: 64
  - .agpr_count:     0
    .args:
      - .offset:         0
        .size:           120
        .value_kind:     by_value
    .group_segment_fixed_size: 16908
    .kernarg_segment_align: 8
    .kernarg_segment_size: 120
    .language:       OpenCL C
    .language_version:
      - 2
      - 0
    .max_flat_workgroup_size: 512
    .name:           _ZN7rocprim17ROCPRIM_400000_NS6detail17trampoline_kernelINS0_14default_configENS1_25partition_config_selectorILNS1_17partition_subalgoE8EbNS0_10empty_typeEbEEZZNS1_14partition_implILS5_8ELb0ES3_jN6hipcub16HIPCUB_304000_NS22TransformInputIteratorIbN2at6native8internal12_GLOBAL__N_110LoadBoolOpEPKhlEEPS6_PKS6_NS0_5tupleIJPbS6_EEENSN_IJSK_SK_EEENS0_18inequality_wrapperINSA_8EqualityEEEPlJS6_EEE10hipError_tPvRmT3_T4_T5_T6_T7_T9_mT8_P12ihipStream_tbDpT10_ENKUlT_T0_E_clISt17integral_constantIbLb1EES1D_IbLb0EEEEDaS19_S1A_EUlS19_E_NS1_11comp_targetILNS1_3genE5ELNS1_11target_archE942ELNS1_3gpuE9ELNS1_3repE0EEENS1_30default_config_static_selectorELNS0_4arch9wavefront6targetE1EEEvT1_
    .private_segment_fixed_size: 0
    .sgpr_count:     88
    .sgpr_spill_count: 0
    .symbol:         _ZN7rocprim17ROCPRIM_400000_NS6detail17trampoline_kernelINS0_14default_configENS1_25partition_config_selectorILNS1_17partition_subalgoE8EbNS0_10empty_typeEbEEZZNS1_14partition_implILS5_8ELb0ES3_jN6hipcub16HIPCUB_304000_NS22TransformInputIteratorIbN2at6native8internal12_GLOBAL__N_110LoadBoolOpEPKhlEEPS6_PKS6_NS0_5tupleIJPbS6_EEENSN_IJSK_SK_EEENS0_18inequality_wrapperINSA_8EqualityEEEPlJS6_EEE10hipError_tPvRmT3_T4_T5_T6_T7_T9_mT8_P12ihipStream_tbDpT10_ENKUlT_T0_E_clISt17integral_constantIbLb1EES1D_IbLb0EEEEDaS19_S1A_EUlS19_E_NS1_11comp_targetILNS1_3genE5ELNS1_11target_archE942ELNS1_3gpuE9ELNS1_3repE0EEENS1_30default_config_static_selectorELNS0_4arch9wavefront6targetE1EEEvT1_.kd
    .uniform_work_group_size: 1
    .uses_dynamic_stack: false
    .vgpr_count:     125
    .vgpr_spill_count: 0
    .wavefront_size: 64
  - .agpr_count:     0
    .args:
      - .offset:         0
        .size:           120
        .value_kind:     by_value
    .group_segment_fixed_size: 0
    .kernarg_segment_align: 8
    .kernarg_segment_size: 120
    .language:       OpenCL C
    .language_version:
      - 2
      - 0
    .max_flat_workgroup_size: 128
    .name:           _ZN7rocprim17ROCPRIM_400000_NS6detail17trampoline_kernelINS0_14default_configENS1_25partition_config_selectorILNS1_17partition_subalgoE8EbNS0_10empty_typeEbEEZZNS1_14partition_implILS5_8ELb0ES3_jN6hipcub16HIPCUB_304000_NS22TransformInputIteratorIbN2at6native8internal12_GLOBAL__N_110LoadBoolOpEPKhlEEPS6_PKS6_NS0_5tupleIJPbS6_EEENSN_IJSK_SK_EEENS0_18inequality_wrapperINSA_8EqualityEEEPlJS6_EEE10hipError_tPvRmT3_T4_T5_T6_T7_T9_mT8_P12ihipStream_tbDpT10_ENKUlT_T0_E_clISt17integral_constantIbLb1EES1D_IbLb0EEEEDaS19_S1A_EUlS19_E_NS1_11comp_targetILNS1_3genE4ELNS1_11target_archE910ELNS1_3gpuE8ELNS1_3repE0EEENS1_30default_config_static_selectorELNS0_4arch9wavefront6targetE1EEEvT1_
    .private_segment_fixed_size: 0
    .sgpr_count:     6
    .sgpr_spill_count: 0
    .symbol:         _ZN7rocprim17ROCPRIM_400000_NS6detail17trampoline_kernelINS0_14default_configENS1_25partition_config_selectorILNS1_17partition_subalgoE8EbNS0_10empty_typeEbEEZZNS1_14partition_implILS5_8ELb0ES3_jN6hipcub16HIPCUB_304000_NS22TransformInputIteratorIbN2at6native8internal12_GLOBAL__N_110LoadBoolOpEPKhlEEPS6_PKS6_NS0_5tupleIJPbS6_EEENSN_IJSK_SK_EEENS0_18inequality_wrapperINSA_8EqualityEEEPlJS6_EEE10hipError_tPvRmT3_T4_T5_T6_T7_T9_mT8_P12ihipStream_tbDpT10_ENKUlT_T0_E_clISt17integral_constantIbLb1EES1D_IbLb0EEEEDaS19_S1A_EUlS19_E_NS1_11comp_targetILNS1_3genE4ELNS1_11target_archE910ELNS1_3gpuE8ELNS1_3repE0EEENS1_30default_config_static_selectorELNS0_4arch9wavefront6targetE1EEEvT1_.kd
    .uniform_work_group_size: 1
    .uses_dynamic_stack: false
    .vgpr_count:     0
    .vgpr_spill_count: 0
    .wavefront_size: 64
  - .agpr_count:     0
    .args:
      - .offset:         0
        .size:           120
        .value_kind:     by_value
    .group_segment_fixed_size: 0
    .kernarg_segment_align: 8
    .kernarg_segment_size: 120
    .language:       OpenCL C
    .language_version:
      - 2
      - 0
    .max_flat_workgroup_size: 256
    .name:           _ZN7rocprim17ROCPRIM_400000_NS6detail17trampoline_kernelINS0_14default_configENS1_25partition_config_selectorILNS1_17partition_subalgoE8EbNS0_10empty_typeEbEEZZNS1_14partition_implILS5_8ELb0ES3_jN6hipcub16HIPCUB_304000_NS22TransformInputIteratorIbN2at6native8internal12_GLOBAL__N_110LoadBoolOpEPKhlEEPS6_PKS6_NS0_5tupleIJPbS6_EEENSN_IJSK_SK_EEENS0_18inequality_wrapperINSA_8EqualityEEEPlJS6_EEE10hipError_tPvRmT3_T4_T5_T6_T7_T9_mT8_P12ihipStream_tbDpT10_ENKUlT_T0_E_clISt17integral_constantIbLb1EES1D_IbLb0EEEEDaS19_S1A_EUlS19_E_NS1_11comp_targetILNS1_3genE3ELNS1_11target_archE908ELNS1_3gpuE7ELNS1_3repE0EEENS1_30default_config_static_selectorELNS0_4arch9wavefront6targetE1EEEvT1_
    .private_segment_fixed_size: 0
    .sgpr_count:     6
    .sgpr_spill_count: 0
    .symbol:         _ZN7rocprim17ROCPRIM_400000_NS6detail17trampoline_kernelINS0_14default_configENS1_25partition_config_selectorILNS1_17partition_subalgoE8EbNS0_10empty_typeEbEEZZNS1_14partition_implILS5_8ELb0ES3_jN6hipcub16HIPCUB_304000_NS22TransformInputIteratorIbN2at6native8internal12_GLOBAL__N_110LoadBoolOpEPKhlEEPS6_PKS6_NS0_5tupleIJPbS6_EEENSN_IJSK_SK_EEENS0_18inequality_wrapperINSA_8EqualityEEEPlJS6_EEE10hipError_tPvRmT3_T4_T5_T6_T7_T9_mT8_P12ihipStream_tbDpT10_ENKUlT_T0_E_clISt17integral_constantIbLb1EES1D_IbLb0EEEEDaS19_S1A_EUlS19_E_NS1_11comp_targetILNS1_3genE3ELNS1_11target_archE908ELNS1_3gpuE7ELNS1_3repE0EEENS1_30default_config_static_selectorELNS0_4arch9wavefront6targetE1EEEvT1_.kd
    .uniform_work_group_size: 1
    .uses_dynamic_stack: false
    .vgpr_count:     0
    .vgpr_spill_count: 0
    .wavefront_size: 64
  - .agpr_count:     0
    .args:
      - .offset:         0
        .size:           120
        .value_kind:     by_value
    .group_segment_fixed_size: 0
    .kernarg_segment_align: 8
    .kernarg_segment_size: 120
    .language:       OpenCL C
    .language_version:
      - 2
      - 0
    .max_flat_workgroup_size: 192
    .name:           _ZN7rocprim17ROCPRIM_400000_NS6detail17trampoline_kernelINS0_14default_configENS1_25partition_config_selectorILNS1_17partition_subalgoE8EbNS0_10empty_typeEbEEZZNS1_14partition_implILS5_8ELb0ES3_jN6hipcub16HIPCUB_304000_NS22TransformInputIteratorIbN2at6native8internal12_GLOBAL__N_110LoadBoolOpEPKhlEEPS6_PKS6_NS0_5tupleIJPbS6_EEENSN_IJSK_SK_EEENS0_18inequality_wrapperINSA_8EqualityEEEPlJS6_EEE10hipError_tPvRmT3_T4_T5_T6_T7_T9_mT8_P12ihipStream_tbDpT10_ENKUlT_T0_E_clISt17integral_constantIbLb1EES1D_IbLb0EEEEDaS19_S1A_EUlS19_E_NS1_11comp_targetILNS1_3genE2ELNS1_11target_archE906ELNS1_3gpuE6ELNS1_3repE0EEENS1_30default_config_static_selectorELNS0_4arch9wavefront6targetE1EEEvT1_
    .private_segment_fixed_size: 0
    .sgpr_count:     6
    .sgpr_spill_count: 0
    .symbol:         _ZN7rocprim17ROCPRIM_400000_NS6detail17trampoline_kernelINS0_14default_configENS1_25partition_config_selectorILNS1_17partition_subalgoE8EbNS0_10empty_typeEbEEZZNS1_14partition_implILS5_8ELb0ES3_jN6hipcub16HIPCUB_304000_NS22TransformInputIteratorIbN2at6native8internal12_GLOBAL__N_110LoadBoolOpEPKhlEEPS6_PKS6_NS0_5tupleIJPbS6_EEENSN_IJSK_SK_EEENS0_18inequality_wrapperINSA_8EqualityEEEPlJS6_EEE10hipError_tPvRmT3_T4_T5_T6_T7_T9_mT8_P12ihipStream_tbDpT10_ENKUlT_T0_E_clISt17integral_constantIbLb1EES1D_IbLb0EEEEDaS19_S1A_EUlS19_E_NS1_11comp_targetILNS1_3genE2ELNS1_11target_archE906ELNS1_3gpuE6ELNS1_3repE0EEENS1_30default_config_static_selectorELNS0_4arch9wavefront6targetE1EEEvT1_.kd
    .uniform_work_group_size: 1
    .uses_dynamic_stack: false
    .vgpr_count:     0
    .vgpr_spill_count: 0
    .wavefront_size: 64
  - .agpr_count:     0
    .args:
      - .offset:         0
        .size:           120
        .value_kind:     by_value
    .group_segment_fixed_size: 0
    .kernarg_segment_align: 8
    .kernarg_segment_size: 120
    .language:       OpenCL C
    .language_version:
      - 2
      - 0
    .max_flat_workgroup_size: 256
    .name:           _ZN7rocprim17ROCPRIM_400000_NS6detail17trampoline_kernelINS0_14default_configENS1_25partition_config_selectorILNS1_17partition_subalgoE8EbNS0_10empty_typeEbEEZZNS1_14partition_implILS5_8ELb0ES3_jN6hipcub16HIPCUB_304000_NS22TransformInputIteratorIbN2at6native8internal12_GLOBAL__N_110LoadBoolOpEPKhlEEPS6_PKS6_NS0_5tupleIJPbS6_EEENSN_IJSK_SK_EEENS0_18inequality_wrapperINSA_8EqualityEEEPlJS6_EEE10hipError_tPvRmT3_T4_T5_T6_T7_T9_mT8_P12ihipStream_tbDpT10_ENKUlT_T0_E_clISt17integral_constantIbLb1EES1D_IbLb0EEEEDaS19_S1A_EUlS19_E_NS1_11comp_targetILNS1_3genE10ELNS1_11target_archE1200ELNS1_3gpuE4ELNS1_3repE0EEENS1_30default_config_static_selectorELNS0_4arch9wavefront6targetE1EEEvT1_
    .private_segment_fixed_size: 0
    .sgpr_count:     6
    .sgpr_spill_count: 0
    .symbol:         _ZN7rocprim17ROCPRIM_400000_NS6detail17trampoline_kernelINS0_14default_configENS1_25partition_config_selectorILNS1_17partition_subalgoE8EbNS0_10empty_typeEbEEZZNS1_14partition_implILS5_8ELb0ES3_jN6hipcub16HIPCUB_304000_NS22TransformInputIteratorIbN2at6native8internal12_GLOBAL__N_110LoadBoolOpEPKhlEEPS6_PKS6_NS0_5tupleIJPbS6_EEENSN_IJSK_SK_EEENS0_18inequality_wrapperINSA_8EqualityEEEPlJS6_EEE10hipError_tPvRmT3_T4_T5_T6_T7_T9_mT8_P12ihipStream_tbDpT10_ENKUlT_T0_E_clISt17integral_constantIbLb1EES1D_IbLb0EEEEDaS19_S1A_EUlS19_E_NS1_11comp_targetILNS1_3genE10ELNS1_11target_archE1200ELNS1_3gpuE4ELNS1_3repE0EEENS1_30default_config_static_selectorELNS0_4arch9wavefront6targetE1EEEvT1_.kd
    .uniform_work_group_size: 1
    .uses_dynamic_stack: false
    .vgpr_count:     0
    .vgpr_spill_count: 0
    .wavefront_size: 64
  - .agpr_count:     0
    .args:
      - .offset:         0
        .size:           120
        .value_kind:     by_value
    .group_segment_fixed_size: 0
    .kernarg_segment_align: 8
    .kernarg_segment_size: 120
    .language:       OpenCL C
    .language_version:
      - 2
      - 0
    .max_flat_workgroup_size: 384
    .name:           _ZN7rocprim17ROCPRIM_400000_NS6detail17trampoline_kernelINS0_14default_configENS1_25partition_config_selectorILNS1_17partition_subalgoE8EbNS0_10empty_typeEbEEZZNS1_14partition_implILS5_8ELb0ES3_jN6hipcub16HIPCUB_304000_NS22TransformInputIteratorIbN2at6native8internal12_GLOBAL__N_110LoadBoolOpEPKhlEEPS6_PKS6_NS0_5tupleIJPbS6_EEENSN_IJSK_SK_EEENS0_18inequality_wrapperINSA_8EqualityEEEPlJS6_EEE10hipError_tPvRmT3_T4_T5_T6_T7_T9_mT8_P12ihipStream_tbDpT10_ENKUlT_T0_E_clISt17integral_constantIbLb1EES1D_IbLb0EEEEDaS19_S1A_EUlS19_E_NS1_11comp_targetILNS1_3genE9ELNS1_11target_archE1100ELNS1_3gpuE3ELNS1_3repE0EEENS1_30default_config_static_selectorELNS0_4arch9wavefront6targetE1EEEvT1_
    .private_segment_fixed_size: 0
    .sgpr_count:     6
    .sgpr_spill_count: 0
    .symbol:         _ZN7rocprim17ROCPRIM_400000_NS6detail17trampoline_kernelINS0_14default_configENS1_25partition_config_selectorILNS1_17partition_subalgoE8EbNS0_10empty_typeEbEEZZNS1_14partition_implILS5_8ELb0ES3_jN6hipcub16HIPCUB_304000_NS22TransformInputIteratorIbN2at6native8internal12_GLOBAL__N_110LoadBoolOpEPKhlEEPS6_PKS6_NS0_5tupleIJPbS6_EEENSN_IJSK_SK_EEENS0_18inequality_wrapperINSA_8EqualityEEEPlJS6_EEE10hipError_tPvRmT3_T4_T5_T6_T7_T9_mT8_P12ihipStream_tbDpT10_ENKUlT_T0_E_clISt17integral_constantIbLb1EES1D_IbLb0EEEEDaS19_S1A_EUlS19_E_NS1_11comp_targetILNS1_3genE9ELNS1_11target_archE1100ELNS1_3gpuE3ELNS1_3repE0EEENS1_30default_config_static_selectorELNS0_4arch9wavefront6targetE1EEEvT1_.kd
    .uniform_work_group_size: 1
    .uses_dynamic_stack: false
    .vgpr_count:     0
    .vgpr_spill_count: 0
    .wavefront_size: 64
  - .agpr_count:     0
    .args:
      - .offset:         0
        .size:           120
        .value_kind:     by_value
    .group_segment_fixed_size: 0
    .kernarg_segment_align: 8
    .kernarg_segment_size: 120
    .language:       OpenCL C
    .language_version:
      - 2
      - 0
    .max_flat_workgroup_size: 384
    .name:           _ZN7rocprim17ROCPRIM_400000_NS6detail17trampoline_kernelINS0_14default_configENS1_25partition_config_selectorILNS1_17partition_subalgoE8EbNS0_10empty_typeEbEEZZNS1_14partition_implILS5_8ELb0ES3_jN6hipcub16HIPCUB_304000_NS22TransformInputIteratorIbN2at6native8internal12_GLOBAL__N_110LoadBoolOpEPKhlEEPS6_PKS6_NS0_5tupleIJPbS6_EEENSN_IJSK_SK_EEENS0_18inequality_wrapperINSA_8EqualityEEEPlJS6_EEE10hipError_tPvRmT3_T4_T5_T6_T7_T9_mT8_P12ihipStream_tbDpT10_ENKUlT_T0_E_clISt17integral_constantIbLb1EES1D_IbLb0EEEEDaS19_S1A_EUlS19_E_NS1_11comp_targetILNS1_3genE8ELNS1_11target_archE1030ELNS1_3gpuE2ELNS1_3repE0EEENS1_30default_config_static_selectorELNS0_4arch9wavefront6targetE1EEEvT1_
    .private_segment_fixed_size: 0
    .sgpr_count:     6
    .sgpr_spill_count: 0
    .symbol:         _ZN7rocprim17ROCPRIM_400000_NS6detail17trampoline_kernelINS0_14default_configENS1_25partition_config_selectorILNS1_17partition_subalgoE8EbNS0_10empty_typeEbEEZZNS1_14partition_implILS5_8ELb0ES3_jN6hipcub16HIPCUB_304000_NS22TransformInputIteratorIbN2at6native8internal12_GLOBAL__N_110LoadBoolOpEPKhlEEPS6_PKS6_NS0_5tupleIJPbS6_EEENSN_IJSK_SK_EEENS0_18inequality_wrapperINSA_8EqualityEEEPlJS6_EEE10hipError_tPvRmT3_T4_T5_T6_T7_T9_mT8_P12ihipStream_tbDpT10_ENKUlT_T0_E_clISt17integral_constantIbLb1EES1D_IbLb0EEEEDaS19_S1A_EUlS19_E_NS1_11comp_targetILNS1_3genE8ELNS1_11target_archE1030ELNS1_3gpuE2ELNS1_3repE0EEENS1_30default_config_static_selectorELNS0_4arch9wavefront6targetE1EEEvT1_.kd
    .uniform_work_group_size: 1
    .uses_dynamic_stack: false
    .vgpr_count:     0
    .vgpr_spill_count: 0
    .wavefront_size: 64
  - .agpr_count:     0
    .args:
      - .address_space:  global
        .offset:         0
        .size:           8
        .value_kind:     global_buffer
      - .offset:         8
        .size:           4
        .value_kind:     by_value
      - .address_space:  global
        .offset:         16
        .size:           8
        .value_kind:     global_buffer
      - .offset:         24
        .size:           4
        .value_kind:     by_value
      - .address_space:  global
        .offset:         32
        .size:           8
        .value_kind:     global_buffer
      - .offset:         40
        .size:           4
        .value_kind:     hidden_block_count_x
      - .offset:         44
        .size:           4
        .value_kind:     hidden_block_count_y
      - .offset:         48
        .size:           4
        .value_kind:     hidden_block_count_z
      - .offset:         52
        .size:           2
        .value_kind:     hidden_group_size_x
      - .offset:         54
        .size:           2
        .value_kind:     hidden_group_size_y
      - .offset:         56
        .size:           2
        .value_kind:     hidden_group_size_z
      - .offset:         58
        .size:           2
        .value_kind:     hidden_remainder_x
      - .offset:         60
        .size:           2
        .value_kind:     hidden_remainder_y
      - .offset:         62
        .size:           2
        .value_kind:     hidden_remainder_z
      - .offset:         80
        .size:           8
        .value_kind:     hidden_global_offset_x
      - .offset:         88
        .size:           8
        .value_kind:     hidden_global_offset_y
      - .offset:         96
        .size:           8
        .value_kind:     hidden_global_offset_z
      - .offset:         104
        .size:           2
        .value_kind:     hidden_grid_dims
    .group_segment_fixed_size: 0
    .kernarg_segment_align: 8
    .kernarg_segment_size: 296
    .language:       OpenCL C
    .language_version:
      - 2
      - 0
    .max_flat_workgroup_size: 256
    .name:           _ZN7rocprim17ROCPRIM_400000_NS6detail31init_lookback_scan_state_kernelINS1_19lookback_scan_stateIjLb0ELb1EEENS1_16block_id_wrapperIjLb1EEEEEvT_jT0_jPNS7_10value_typeE
    .private_segment_fixed_size: 0
    .sgpr_count:     17
    .sgpr_spill_count: 0
    .symbol:         _ZN7rocprim17ROCPRIM_400000_NS6detail31init_lookback_scan_state_kernelINS1_19lookback_scan_stateIjLb0ELb1EEENS1_16block_id_wrapperIjLb1EEEEEvT_jT0_jPNS7_10value_typeE.kd
    .uniform_work_group_size: 1
    .uses_dynamic_stack: false
    .vgpr_count:     6
    .vgpr_spill_count: 0
    .wavefront_size: 64
  - .agpr_count:     0
    .args:
      - .offset:         0
        .size:           136
        .value_kind:     by_value
    .group_segment_fixed_size: 0
    .kernarg_segment_align: 8
    .kernarg_segment_size: 136
    .language:       OpenCL C
    .language_version:
      - 2
      - 0
    .max_flat_workgroup_size: 256
    .name:           _ZN7rocprim17ROCPRIM_400000_NS6detail17trampoline_kernelINS0_14default_configENS1_25partition_config_selectorILNS1_17partition_subalgoE8EbNS0_10empty_typeEbEEZZNS1_14partition_implILS5_8ELb0ES3_jN6hipcub16HIPCUB_304000_NS22TransformInputIteratorIbN2at6native8internal12_GLOBAL__N_110LoadBoolOpEPKhlEEPS6_PKS6_NS0_5tupleIJPbS6_EEENSN_IJSK_SK_EEENS0_18inequality_wrapperINSA_8EqualityEEEPlJS6_EEE10hipError_tPvRmT3_T4_T5_T6_T7_T9_mT8_P12ihipStream_tbDpT10_ENKUlT_T0_E_clISt17integral_constantIbLb0EES1D_IbLb1EEEEDaS19_S1A_EUlS19_E_NS1_11comp_targetILNS1_3genE0ELNS1_11target_archE4294967295ELNS1_3gpuE0ELNS1_3repE0EEENS1_30default_config_static_selectorELNS0_4arch9wavefront6targetE1EEEvT1_
    .private_segment_fixed_size: 0
    .sgpr_count:     6
    .sgpr_spill_count: 0
    .symbol:         _ZN7rocprim17ROCPRIM_400000_NS6detail17trampoline_kernelINS0_14default_configENS1_25partition_config_selectorILNS1_17partition_subalgoE8EbNS0_10empty_typeEbEEZZNS1_14partition_implILS5_8ELb0ES3_jN6hipcub16HIPCUB_304000_NS22TransformInputIteratorIbN2at6native8internal12_GLOBAL__N_110LoadBoolOpEPKhlEEPS6_PKS6_NS0_5tupleIJPbS6_EEENSN_IJSK_SK_EEENS0_18inequality_wrapperINSA_8EqualityEEEPlJS6_EEE10hipError_tPvRmT3_T4_T5_T6_T7_T9_mT8_P12ihipStream_tbDpT10_ENKUlT_T0_E_clISt17integral_constantIbLb0EES1D_IbLb1EEEEDaS19_S1A_EUlS19_E_NS1_11comp_targetILNS1_3genE0ELNS1_11target_archE4294967295ELNS1_3gpuE0ELNS1_3repE0EEENS1_30default_config_static_selectorELNS0_4arch9wavefront6targetE1EEEvT1_.kd
    .uniform_work_group_size: 1
    .uses_dynamic_stack: false
    .vgpr_count:     0
    .vgpr_spill_count: 0
    .wavefront_size: 64
  - .agpr_count:     0
    .args:
      - .offset:         0
        .size:           136
        .value_kind:     by_value
    .group_segment_fixed_size: 16908
    .kernarg_segment_align: 8
    .kernarg_segment_size: 136
    .language:       OpenCL C
    .language_version:
      - 2
      - 0
    .max_flat_workgroup_size: 512
    .name:           _ZN7rocprim17ROCPRIM_400000_NS6detail17trampoline_kernelINS0_14default_configENS1_25partition_config_selectorILNS1_17partition_subalgoE8EbNS0_10empty_typeEbEEZZNS1_14partition_implILS5_8ELb0ES3_jN6hipcub16HIPCUB_304000_NS22TransformInputIteratorIbN2at6native8internal12_GLOBAL__N_110LoadBoolOpEPKhlEEPS6_PKS6_NS0_5tupleIJPbS6_EEENSN_IJSK_SK_EEENS0_18inequality_wrapperINSA_8EqualityEEEPlJS6_EEE10hipError_tPvRmT3_T4_T5_T6_T7_T9_mT8_P12ihipStream_tbDpT10_ENKUlT_T0_E_clISt17integral_constantIbLb0EES1D_IbLb1EEEEDaS19_S1A_EUlS19_E_NS1_11comp_targetILNS1_3genE5ELNS1_11target_archE942ELNS1_3gpuE9ELNS1_3repE0EEENS1_30default_config_static_selectorELNS0_4arch9wavefront6targetE1EEEvT1_
    .private_segment_fixed_size: 0
    .sgpr_count:     91
    .sgpr_spill_count: 0
    .symbol:         _ZN7rocprim17ROCPRIM_400000_NS6detail17trampoline_kernelINS0_14default_configENS1_25partition_config_selectorILNS1_17partition_subalgoE8EbNS0_10empty_typeEbEEZZNS1_14partition_implILS5_8ELb0ES3_jN6hipcub16HIPCUB_304000_NS22TransformInputIteratorIbN2at6native8internal12_GLOBAL__N_110LoadBoolOpEPKhlEEPS6_PKS6_NS0_5tupleIJPbS6_EEENSN_IJSK_SK_EEENS0_18inequality_wrapperINSA_8EqualityEEEPlJS6_EEE10hipError_tPvRmT3_T4_T5_T6_T7_T9_mT8_P12ihipStream_tbDpT10_ENKUlT_T0_E_clISt17integral_constantIbLb0EES1D_IbLb1EEEEDaS19_S1A_EUlS19_E_NS1_11comp_targetILNS1_3genE5ELNS1_11target_archE942ELNS1_3gpuE9ELNS1_3repE0EEENS1_30default_config_static_selectorELNS0_4arch9wavefront6targetE1EEEvT1_.kd
    .uniform_work_group_size: 1
    .uses_dynamic_stack: false
    .vgpr_count:     126
    .vgpr_spill_count: 0
    .wavefront_size: 64
  - .agpr_count:     0
    .args:
      - .offset:         0
        .size:           136
        .value_kind:     by_value
    .group_segment_fixed_size: 0
    .kernarg_segment_align: 8
    .kernarg_segment_size: 136
    .language:       OpenCL C
    .language_version:
      - 2
      - 0
    .max_flat_workgroup_size: 128
    .name:           _ZN7rocprim17ROCPRIM_400000_NS6detail17trampoline_kernelINS0_14default_configENS1_25partition_config_selectorILNS1_17partition_subalgoE8EbNS0_10empty_typeEbEEZZNS1_14partition_implILS5_8ELb0ES3_jN6hipcub16HIPCUB_304000_NS22TransformInputIteratorIbN2at6native8internal12_GLOBAL__N_110LoadBoolOpEPKhlEEPS6_PKS6_NS0_5tupleIJPbS6_EEENSN_IJSK_SK_EEENS0_18inequality_wrapperINSA_8EqualityEEEPlJS6_EEE10hipError_tPvRmT3_T4_T5_T6_T7_T9_mT8_P12ihipStream_tbDpT10_ENKUlT_T0_E_clISt17integral_constantIbLb0EES1D_IbLb1EEEEDaS19_S1A_EUlS19_E_NS1_11comp_targetILNS1_3genE4ELNS1_11target_archE910ELNS1_3gpuE8ELNS1_3repE0EEENS1_30default_config_static_selectorELNS0_4arch9wavefront6targetE1EEEvT1_
    .private_segment_fixed_size: 0
    .sgpr_count:     6
    .sgpr_spill_count: 0
    .symbol:         _ZN7rocprim17ROCPRIM_400000_NS6detail17trampoline_kernelINS0_14default_configENS1_25partition_config_selectorILNS1_17partition_subalgoE8EbNS0_10empty_typeEbEEZZNS1_14partition_implILS5_8ELb0ES3_jN6hipcub16HIPCUB_304000_NS22TransformInputIteratorIbN2at6native8internal12_GLOBAL__N_110LoadBoolOpEPKhlEEPS6_PKS6_NS0_5tupleIJPbS6_EEENSN_IJSK_SK_EEENS0_18inequality_wrapperINSA_8EqualityEEEPlJS6_EEE10hipError_tPvRmT3_T4_T5_T6_T7_T9_mT8_P12ihipStream_tbDpT10_ENKUlT_T0_E_clISt17integral_constantIbLb0EES1D_IbLb1EEEEDaS19_S1A_EUlS19_E_NS1_11comp_targetILNS1_3genE4ELNS1_11target_archE910ELNS1_3gpuE8ELNS1_3repE0EEENS1_30default_config_static_selectorELNS0_4arch9wavefront6targetE1EEEvT1_.kd
    .uniform_work_group_size: 1
    .uses_dynamic_stack: false
    .vgpr_count:     0
    .vgpr_spill_count: 0
    .wavefront_size: 64
  - .agpr_count:     0
    .args:
      - .offset:         0
        .size:           136
        .value_kind:     by_value
    .group_segment_fixed_size: 0
    .kernarg_segment_align: 8
    .kernarg_segment_size: 136
    .language:       OpenCL C
    .language_version:
      - 2
      - 0
    .max_flat_workgroup_size: 256
    .name:           _ZN7rocprim17ROCPRIM_400000_NS6detail17trampoline_kernelINS0_14default_configENS1_25partition_config_selectorILNS1_17partition_subalgoE8EbNS0_10empty_typeEbEEZZNS1_14partition_implILS5_8ELb0ES3_jN6hipcub16HIPCUB_304000_NS22TransformInputIteratorIbN2at6native8internal12_GLOBAL__N_110LoadBoolOpEPKhlEEPS6_PKS6_NS0_5tupleIJPbS6_EEENSN_IJSK_SK_EEENS0_18inequality_wrapperINSA_8EqualityEEEPlJS6_EEE10hipError_tPvRmT3_T4_T5_T6_T7_T9_mT8_P12ihipStream_tbDpT10_ENKUlT_T0_E_clISt17integral_constantIbLb0EES1D_IbLb1EEEEDaS19_S1A_EUlS19_E_NS1_11comp_targetILNS1_3genE3ELNS1_11target_archE908ELNS1_3gpuE7ELNS1_3repE0EEENS1_30default_config_static_selectorELNS0_4arch9wavefront6targetE1EEEvT1_
    .private_segment_fixed_size: 0
    .sgpr_count:     6
    .sgpr_spill_count: 0
    .symbol:         _ZN7rocprim17ROCPRIM_400000_NS6detail17trampoline_kernelINS0_14default_configENS1_25partition_config_selectorILNS1_17partition_subalgoE8EbNS0_10empty_typeEbEEZZNS1_14partition_implILS5_8ELb0ES3_jN6hipcub16HIPCUB_304000_NS22TransformInputIteratorIbN2at6native8internal12_GLOBAL__N_110LoadBoolOpEPKhlEEPS6_PKS6_NS0_5tupleIJPbS6_EEENSN_IJSK_SK_EEENS0_18inequality_wrapperINSA_8EqualityEEEPlJS6_EEE10hipError_tPvRmT3_T4_T5_T6_T7_T9_mT8_P12ihipStream_tbDpT10_ENKUlT_T0_E_clISt17integral_constantIbLb0EES1D_IbLb1EEEEDaS19_S1A_EUlS19_E_NS1_11comp_targetILNS1_3genE3ELNS1_11target_archE908ELNS1_3gpuE7ELNS1_3repE0EEENS1_30default_config_static_selectorELNS0_4arch9wavefront6targetE1EEEvT1_.kd
    .uniform_work_group_size: 1
    .uses_dynamic_stack: false
    .vgpr_count:     0
    .vgpr_spill_count: 0
    .wavefront_size: 64
  - .agpr_count:     0
    .args:
      - .offset:         0
        .size:           136
        .value_kind:     by_value
    .group_segment_fixed_size: 0
    .kernarg_segment_align: 8
    .kernarg_segment_size: 136
    .language:       OpenCL C
    .language_version:
      - 2
      - 0
    .max_flat_workgroup_size: 192
    .name:           _ZN7rocprim17ROCPRIM_400000_NS6detail17trampoline_kernelINS0_14default_configENS1_25partition_config_selectorILNS1_17partition_subalgoE8EbNS0_10empty_typeEbEEZZNS1_14partition_implILS5_8ELb0ES3_jN6hipcub16HIPCUB_304000_NS22TransformInputIteratorIbN2at6native8internal12_GLOBAL__N_110LoadBoolOpEPKhlEEPS6_PKS6_NS0_5tupleIJPbS6_EEENSN_IJSK_SK_EEENS0_18inequality_wrapperINSA_8EqualityEEEPlJS6_EEE10hipError_tPvRmT3_T4_T5_T6_T7_T9_mT8_P12ihipStream_tbDpT10_ENKUlT_T0_E_clISt17integral_constantIbLb0EES1D_IbLb1EEEEDaS19_S1A_EUlS19_E_NS1_11comp_targetILNS1_3genE2ELNS1_11target_archE906ELNS1_3gpuE6ELNS1_3repE0EEENS1_30default_config_static_selectorELNS0_4arch9wavefront6targetE1EEEvT1_
    .private_segment_fixed_size: 0
    .sgpr_count:     6
    .sgpr_spill_count: 0
    .symbol:         _ZN7rocprim17ROCPRIM_400000_NS6detail17trampoline_kernelINS0_14default_configENS1_25partition_config_selectorILNS1_17partition_subalgoE8EbNS0_10empty_typeEbEEZZNS1_14partition_implILS5_8ELb0ES3_jN6hipcub16HIPCUB_304000_NS22TransformInputIteratorIbN2at6native8internal12_GLOBAL__N_110LoadBoolOpEPKhlEEPS6_PKS6_NS0_5tupleIJPbS6_EEENSN_IJSK_SK_EEENS0_18inequality_wrapperINSA_8EqualityEEEPlJS6_EEE10hipError_tPvRmT3_T4_T5_T6_T7_T9_mT8_P12ihipStream_tbDpT10_ENKUlT_T0_E_clISt17integral_constantIbLb0EES1D_IbLb1EEEEDaS19_S1A_EUlS19_E_NS1_11comp_targetILNS1_3genE2ELNS1_11target_archE906ELNS1_3gpuE6ELNS1_3repE0EEENS1_30default_config_static_selectorELNS0_4arch9wavefront6targetE1EEEvT1_.kd
    .uniform_work_group_size: 1
    .uses_dynamic_stack: false
    .vgpr_count:     0
    .vgpr_spill_count: 0
    .wavefront_size: 64
  - .agpr_count:     0
    .args:
      - .offset:         0
        .size:           136
        .value_kind:     by_value
    .group_segment_fixed_size: 0
    .kernarg_segment_align: 8
    .kernarg_segment_size: 136
    .language:       OpenCL C
    .language_version:
      - 2
      - 0
    .max_flat_workgroup_size: 256
    .name:           _ZN7rocprim17ROCPRIM_400000_NS6detail17trampoline_kernelINS0_14default_configENS1_25partition_config_selectorILNS1_17partition_subalgoE8EbNS0_10empty_typeEbEEZZNS1_14partition_implILS5_8ELb0ES3_jN6hipcub16HIPCUB_304000_NS22TransformInputIteratorIbN2at6native8internal12_GLOBAL__N_110LoadBoolOpEPKhlEEPS6_PKS6_NS0_5tupleIJPbS6_EEENSN_IJSK_SK_EEENS0_18inequality_wrapperINSA_8EqualityEEEPlJS6_EEE10hipError_tPvRmT3_T4_T5_T6_T7_T9_mT8_P12ihipStream_tbDpT10_ENKUlT_T0_E_clISt17integral_constantIbLb0EES1D_IbLb1EEEEDaS19_S1A_EUlS19_E_NS1_11comp_targetILNS1_3genE10ELNS1_11target_archE1200ELNS1_3gpuE4ELNS1_3repE0EEENS1_30default_config_static_selectorELNS0_4arch9wavefront6targetE1EEEvT1_
    .private_segment_fixed_size: 0
    .sgpr_count:     6
    .sgpr_spill_count: 0
    .symbol:         _ZN7rocprim17ROCPRIM_400000_NS6detail17trampoline_kernelINS0_14default_configENS1_25partition_config_selectorILNS1_17partition_subalgoE8EbNS0_10empty_typeEbEEZZNS1_14partition_implILS5_8ELb0ES3_jN6hipcub16HIPCUB_304000_NS22TransformInputIteratorIbN2at6native8internal12_GLOBAL__N_110LoadBoolOpEPKhlEEPS6_PKS6_NS0_5tupleIJPbS6_EEENSN_IJSK_SK_EEENS0_18inequality_wrapperINSA_8EqualityEEEPlJS6_EEE10hipError_tPvRmT3_T4_T5_T6_T7_T9_mT8_P12ihipStream_tbDpT10_ENKUlT_T0_E_clISt17integral_constantIbLb0EES1D_IbLb1EEEEDaS19_S1A_EUlS19_E_NS1_11comp_targetILNS1_3genE10ELNS1_11target_archE1200ELNS1_3gpuE4ELNS1_3repE0EEENS1_30default_config_static_selectorELNS0_4arch9wavefront6targetE1EEEvT1_.kd
    .uniform_work_group_size: 1
    .uses_dynamic_stack: false
    .vgpr_count:     0
    .vgpr_spill_count: 0
    .wavefront_size: 64
  - .agpr_count:     0
    .args:
      - .offset:         0
        .size:           136
        .value_kind:     by_value
    .group_segment_fixed_size: 0
    .kernarg_segment_align: 8
    .kernarg_segment_size: 136
    .language:       OpenCL C
    .language_version:
      - 2
      - 0
    .max_flat_workgroup_size: 384
    .name:           _ZN7rocprim17ROCPRIM_400000_NS6detail17trampoline_kernelINS0_14default_configENS1_25partition_config_selectorILNS1_17partition_subalgoE8EbNS0_10empty_typeEbEEZZNS1_14partition_implILS5_8ELb0ES3_jN6hipcub16HIPCUB_304000_NS22TransformInputIteratorIbN2at6native8internal12_GLOBAL__N_110LoadBoolOpEPKhlEEPS6_PKS6_NS0_5tupleIJPbS6_EEENSN_IJSK_SK_EEENS0_18inequality_wrapperINSA_8EqualityEEEPlJS6_EEE10hipError_tPvRmT3_T4_T5_T6_T7_T9_mT8_P12ihipStream_tbDpT10_ENKUlT_T0_E_clISt17integral_constantIbLb0EES1D_IbLb1EEEEDaS19_S1A_EUlS19_E_NS1_11comp_targetILNS1_3genE9ELNS1_11target_archE1100ELNS1_3gpuE3ELNS1_3repE0EEENS1_30default_config_static_selectorELNS0_4arch9wavefront6targetE1EEEvT1_
    .private_segment_fixed_size: 0
    .sgpr_count:     6
    .sgpr_spill_count: 0
    .symbol:         _ZN7rocprim17ROCPRIM_400000_NS6detail17trampoline_kernelINS0_14default_configENS1_25partition_config_selectorILNS1_17partition_subalgoE8EbNS0_10empty_typeEbEEZZNS1_14partition_implILS5_8ELb0ES3_jN6hipcub16HIPCUB_304000_NS22TransformInputIteratorIbN2at6native8internal12_GLOBAL__N_110LoadBoolOpEPKhlEEPS6_PKS6_NS0_5tupleIJPbS6_EEENSN_IJSK_SK_EEENS0_18inequality_wrapperINSA_8EqualityEEEPlJS6_EEE10hipError_tPvRmT3_T4_T5_T6_T7_T9_mT8_P12ihipStream_tbDpT10_ENKUlT_T0_E_clISt17integral_constantIbLb0EES1D_IbLb1EEEEDaS19_S1A_EUlS19_E_NS1_11comp_targetILNS1_3genE9ELNS1_11target_archE1100ELNS1_3gpuE3ELNS1_3repE0EEENS1_30default_config_static_selectorELNS0_4arch9wavefront6targetE1EEEvT1_.kd
    .uniform_work_group_size: 1
    .uses_dynamic_stack: false
    .vgpr_count:     0
    .vgpr_spill_count: 0
    .wavefront_size: 64
  - .agpr_count:     0
    .args:
      - .offset:         0
        .size:           136
        .value_kind:     by_value
    .group_segment_fixed_size: 0
    .kernarg_segment_align: 8
    .kernarg_segment_size: 136
    .language:       OpenCL C
    .language_version:
      - 2
      - 0
    .max_flat_workgroup_size: 384
    .name:           _ZN7rocprim17ROCPRIM_400000_NS6detail17trampoline_kernelINS0_14default_configENS1_25partition_config_selectorILNS1_17partition_subalgoE8EbNS0_10empty_typeEbEEZZNS1_14partition_implILS5_8ELb0ES3_jN6hipcub16HIPCUB_304000_NS22TransformInputIteratorIbN2at6native8internal12_GLOBAL__N_110LoadBoolOpEPKhlEEPS6_PKS6_NS0_5tupleIJPbS6_EEENSN_IJSK_SK_EEENS0_18inequality_wrapperINSA_8EqualityEEEPlJS6_EEE10hipError_tPvRmT3_T4_T5_T6_T7_T9_mT8_P12ihipStream_tbDpT10_ENKUlT_T0_E_clISt17integral_constantIbLb0EES1D_IbLb1EEEEDaS19_S1A_EUlS19_E_NS1_11comp_targetILNS1_3genE8ELNS1_11target_archE1030ELNS1_3gpuE2ELNS1_3repE0EEENS1_30default_config_static_selectorELNS0_4arch9wavefront6targetE1EEEvT1_
    .private_segment_fixed_size: 0
    .sgpr_count:     6
    .sgpr_spill_count: 0
    .symbol:         _ZN7rocprim17ROCPRIM_400000_NS6detail17trampoline_kernelINS0_14default_configENS1_25partition_config_selectorILNS1_17partition_subalgoE8EbNS0_10empty_typeEbEEZZNS1_14partition_implILS5_8ELb0ES3_jN6hipcub16HIPCUB_304000_NS22TransformInputIteratorIbN2at6native8internal12_GLOBAL__N_110LoadBoolOpEPKhlEEPS6_PKS6_NS0_5tupleIJPbS6_EEENSN_IJSK_SK_EEENS0_18inequality_wrapperINSA_8EqualityEEEPlJS6_EEE10hipError_tPvRmT3_T4_T5_T6_T7_T9_mT8_P12ihipStream_tbDpT10_ENKUlT_T0_E_clISt17integral_constantIbLb0EES1D_IbLb1EEEEDaS19_S1A_EUlS19_E_NS1_11comp_targetILNS1_3genE8ELNS1_11target_archE1030ELNS1_3gpuE2ELNS1_3repE0EEENS1_30default_config_static_selectorELNS0_4arch9wavefront6targetE1EEEvT1_.kd
    .uniform_work_group_size: 1
    .uses_dynamic_stack: false
    .vgpr_count:     0
    .vgpr_spill_count: 0
    .wavefront_size: 64
  - .agpr_count:     0
    .args:
      - .offset:         0
        .size:           48
        .value_kind:     by_value
    .group_segment_fixed_size: 0
    .kernarg_segment_align: 8
    .kernarg_segment_size: 48
    .language:       OpenCL C
    .language_version:
      - 2
      - 0
    .max_flat_workgroup_size: 128
    .name:           _ZN7rocprim17ROCPRIM_400000_NS6detail17trampoline_kernelINS0_14default_configENS1_25transform_config_selectorImLb0EEEZNS1_14transform_implILb0ES3_S5_NS0_17constant_iteratorImlEEPlNS0_8identityImEEEE10hipError_tT2_T3_mT4_P12ihipStream_tbEUlT_E_NS1_11comp_targetILNS1_3genE0ELNS1_11target_archE4294967295ELNS1_3gpuE0ELNS1_3repE0EEENS1_30default_config_static_selectorELNS0_4arch9wavefront6targetE1EEEvT1_
    .private_segment_fixed_size: 0
    .sgpr_count:     6
    .sgpr_spill_count: 0
    .symbol:         _ZN7rocprim17ROCPRIM_400000_NS6detail17trampoline_kernelINS0_14default_configENS1_25transform_config_selectorImLb0EEEZNS1_14transform_implILb0ES3_S5_NS0_17constant_iteratorImlEEPlNS0_8identityImEEEE10hipError_tT2_T3_mT4_P12ihipStream_tbEUlT_E_NS1_11comp_targetILNS1_3genE0ELNS1_11target_archE4294967295ELNS1_3gpuE0ELNS1_3repE0EEENS1_30default_config_static_selectorELNS0_4arch9wavefront6targetE1EEEvT1_.kd
    .uniform_work_group_size: 1
    .uses_dynamic_stack: false
    .vgpr_count:     0
    .vgpr_spill_count: 0
    .wavefront_size: 64
  - .agpr_count:     0
    .args:
      - .offset:         0
        .size:           48
        .value_kind:     by_value
      - .offset:         48
        .size:           4
        .value_kind:     hidden_block_count_x
      - .offset:         52
        .size:           4
        .value_kind:     hidden_block_count_y
      - .offset:         56
        .size:           4
        .value_kind:     hidden_block_count_z
      - .offset:         60
        .size:           2
        .value_kind:     hidden_group_size_x
      - .offset:         62
        .size:           2
        .value_kind:     hidden_group_size_y
      - .offset:         64
        .size:           2
        .value_kind:     hidden_group_size_z
      - .offset:         66
        .size:           2
        .value_kind:     hidden_remainder_x
      - .offset:         68
        .size:           2
        .value_kind:     hidden_remainder_y
      - .offset:         70
        .size:           2
        .value_kind:     hidden_remainder_z
      - .offset:         88
        .size:           8
        .value_kind:     hidden_global_offset_x
      - .offset:         96
        .size:           8
        .value_kind:     hidden_global_offset_y
      - .offset:         104
        .size:           8
        .value_kind:     hidden_global_offset_z
      - .offset:         112
        .size:           2
        .value_kind:     hidden_grid_dims
    .group_segment_fixed_size: 0
    .kernarg_segment_align: 8
    .kernarg_segment_size: 304
    .language:       OpenCL C
    .language_version:
      - 2
      - 0
    .max_flat_workgroup_size: 512
    .name:           _ZN7rocprim17ROCPRIM_400000_NS6detail17trampoline_kernelINS0_14default_configENS1_25transform_config_selectorImLb0EEEZNS1_14transform_implILb0ES3_S5_NS0_17constant_iteratorImlEEPlNS0_8identityImEEEE10hipError_tT2_T3_mT4_P12ihipStream_tbEUlT_E_NS1_11comp_targetILNS1_3genE5ELNS1_11target_archE942ELNS1_3gpuE9ELNS1_3repE0EEENS1_30default_config_static_selectorELNS0_4arch9wavefront6targetE1EEEvT1_
    .private_segment_fixed_size: 0
    .sgpr_count:     18
    .sgpr_spill_count: 0
    .symbol:         _ZN7rocprim17ROCPRIM_400000_NS6detail17trampoline_kernelINS0_14default_configENS1_25transform_config_selectorImLb0EEEZNS1_14transform_implILb0ES3_S5_NS0_17constant_iteratorImlEEPlNS0_8identityImEEEE10hipError_tT2_T3_mT4_P12ihipStream_tbEUlT_E_NS1_11comp_targetILNS1_3genE5ELNS1_11target_archE942ELNS1_3gpuE9ELNS1_3repE0EEENS1_30default_config_static_selectorELNS0_4arch9wavefront6targetE1EEEvT1_.kd
    .uniform_work_group_size: 1
    .uses_dynamic_stack: false
    .vgpr_count:     10
    .vgpr_spill_count: 0
    .wavefront_size: 64
  - .agpr_count:     0
    .args:
      - .offset:         0
        .size:           48
        .value_kind:     by_value
    .group_segment_fixed_size: 0
    .kernarg_segment_align: 8
    .kernarg_segment_size: 48
    .language:       OpenCL C
    .language_version:
      - 2
      - 0
    .max_flat_workgroup_size: 256
    .name:           _ZN7rocprim17ROCPRIM_400000_NS6detail17trampoline_kernelINS0_14default_configENS1_25transform_config_selectorImLb0EEEZNS1_14transform_implILb0ES3_S5_NS0_17constant_iteratorImlEEPlNS0_8identityImEEEE10hipError_tT2_T3_mT4_P12ihipStream_tbEUlT_E_NS1_11comp_targetILNS1_3genE4ELNS1_11target_archE910ELNS1_3gpuE8ELNS1_3repE0EEENS1_30default_config_static_selectorELNS0_4arch9wavefront6targetE1EEEvT1_
    .private_segment_fixed_size: 0
    .sgpr_count:     6
    .sgpr_spill_count: 0
    .symbol:         _ZN7rocprim17ROCPRIM_400000_NS6detail17trampoline_kernelINS0_14default_configENS1_25transform_config_selectorImLb0EEEZNS1_14transform_implILb0ES3_S5_NS0_17constant_iteratorImlEEPlNS0_8identityImEEEE10hipError_tT2_T3_mT4_P12ihipStream_tbEUlT_E_NS1_11comp_targetILNS1_3genE4ELNS1_11target_archE910ELNS1_3gpuE8ELNS1_3repE0EEENS1_30default_config_static_selectorELNS0_4arch9wavefront6targetE1EEEvT1_.kd
    .uniform_work_group_size: 1
    .uses_dynamic_stack: false
    .vgpr_count:     0
    .vgpr_spill_count: 0
    .wavefront_size: 64
  - .agpr_count:     0
    .args:
      - .offset:         0
        .size:           48
        .value_kind:     by_value
    .group_segment_fixed_size: 0
    .kernarg_segment_align: 8
    .kernarg_segment_size: 48
    .language:       OpenCL C
    .language_version:
      - 2
      - 0
    .max_flat_workgroup_size: 128
    .name:           _ZN7rocprim17ROCPRIM_400000_NS6detail17trampoline_kernelINS0_14default_configENS1_25transform_config_selectorImLb0EEEZNS1_14transform_implILb0ES3_S5_NS0_17constant_iteratorImlEEPlNS0_8identityImEEEE10hipError_tT2_T3_mT4_P12ihipStream_tbEUlT_E_NS1_11comp_targetILNS1_3genE3ELNS1_11target_archE908ELNS1_3gpuE7ELNS1_3repE0EEENS1_30default_config_static_selectorELNS0_4arch9wavefront6targetE1EEEvT1_
    .private_segment_fixed_size: 0
    .sgpr_count:     6
    .sgpr_spill_count: 0
    .symbol:         _ZN7rocprim17ROCPRIM_400000_NS6detail17trampoline_kernelINS0_14default_configENS1_25transform_config_selectorImLb0EEEZNS1_14transform_implILb0ES3_S5_NS0_17constant_iteratorImlEEPlNS0_8identityImEEEE10hipError_tT2_T3_mT4_P12ihipStream_tbEUlT_E_NS1_11comp_targetILNS1_3genE3ELNS1_11target_archE908ELNS1_3gpuE7ELNS1_3repE0EEENS1_30default_config_static_selectorELNS0_4arch9wavefront6targetE1EEEvT1_.kd
    .uniform_work_group_size: 1
    .uses_dynamic_stack: false
    .vgpr_count:     0
    .vgpr_spill_count: 0
    .wavefront_size: 64
  - .agpr_count:     0
    .args:
      - .offset:         0
        .size:           48
        .value_kind:     by_value
    .group_segment_fixed_size: 0
    .kernarg_segment_align: 8
    .kernarg_segment_size: 48
    .language:       OpenCL C
    .language_version:
      - 2
      - 0
    .max_flat_workgroup_size: 512
    .name:           _ZN7rocprim17ROCPRIM_400000_NS6detail17trampoline_kernelINS0_14default_configENS1_25transform_config_selectorImLb0EEEZNS1_14transform_implILb0ES3_S5_NS0_17constant_iteratorImlEEPlNS0_8identityImEEEE10hipError_tT2_T3_mT4_P12ihipStream_tbEUlT_E_NS1_11comp_targetILNS1_3genE2ELNS1_11target_archE906ELNS1_3gpuE6ELNS1_3repE0EEENS1_30default_config_static_selectorELNS0_4arch9wavefront6targetE1EEEvT1_
    .private_segment_fixed_size: 0
    .sgpr_count:     6
    .sgpr_spill_count: 0
    .symbol:         _ZN7rocprim17ROCPRIM_400000_NS6detail17trampoline_kernelINS0_14default_configENS1_25transform_config_selectorImLb0EEEZNS1_14transform_implILb0ES3_S5_NS0_17constant_iteratorImlEEPlNS0_8identityImEEEE10hipError_tT2_T3_mT4_P12ihipStream_tbEUlT_E_NS1_11comp_targetILNS1_3genE2ELNS1_11target_archE906ELNS1_3gpuE6ELNS1_3repE0EEENS1_30default_config_static_selectorELNS0_4arch9wavefront6targetE1EEEvT1_.kd
    .uniform_work_group_size: 1
    .uses_dynamic_stack: false
    .vgpr_count:     0
    .vgpr_spill_count: 0
    .wavefront_size: 64
  - .agpr_count:     0
    .args:
      - .offset:         0
        .size:           48
        .value_kind:     by_value
    .group_segment_fixed_size: 0
    .kernarg_segment_align: 8
    .kernarg_segment_size: 48
    .language:       OpenCL C
    .language_version:
      - 2
      - 0
    .max_flat_workgroup_size: 1024
    .name:           _ZN7rocprim17ROCPRIM_400000_NS6detail17trampoline_kernelINS0_14default_configENS1_25transform_config_selectorImLb0EEEZNS1_14transform_implILb0ES3_S5_NS0_17constant_iteratorImlEEPlNS0_8identityImEEEE10hipError_tT2_T3_mT4_P12ihipStream_tbEUlT_E_NS1_11comp_targetILNS1_3genE10ELNS1_11target_archE1201ELNS1_3gpuE5ELNS1_3repE0EEENS1_30default_config_static_selectorELNS0_4arch9wavefront6targetE1EEEvT1_
    .private_segment_fixed_size: 0
    .sgpr_count:     6
    .sgpr_spill_count: 0
    .symbol:         _ZN7rocprim17ROCPRIM_400000_NS6detail17trampoline_kernelINS0_14default_configENS1_25transform_config_selectorImLb0EEEZNS1_14transform_implILb0ES3_S5_NS0_17constant_iteratorImlEEPlNS0_8identityImEEEE10hipError_tT2_T3_mT4_P12ihipStream_tbEUlT_E_NS1_11comp_targetILNS1_3genE10ELNS1_11target_archE1201ELNS1_3gpuE5ELNS1_3repE0EEENS1_30default_config_static_selectorELNS0_4arch9wavefront6targetE1EEEvT1_.kd
    .uniform_work_group_size: 1
    .uses_dynamic_stack: false
    .vgpr_count:     0
    .vgpr_spill_count: 0
    .wavefront_size: 64
  - .agpr_count:     0
    .args:
      - .offset:         0
        .size:           48
        .value_kind:     by_value
    .group_segment_fixed_size: 0
    .kernarg_segment_align: 8
    .kernarg_segment_size: 48
    .language:       OpenCL C
    .language_version:
      - 2
      - 0
    .max_flat_workgroup_size: 512
    .name:           _ZN7rocprim17ROCPRIM_400000_NS6detail17trampoline_kernelINS0_14default_configENS1_25transform_config_selectorImLb0EEEZNS1_14transform_implILb0ES3_S5_NS0_17constant_iteratorImlEEPlNS0_8identityImEEEE10hipError_tT2_T3_mT4_P12ihipStream_tbEUlT_E_NS1_11comp_targetILNS1_3genE10ELNS1_11target_archE1200ELNS1_3gpuE4ELNS1_3repE0EEENS1_30default_config_static_selectorELNS0_4arch9wavefront6targetE1EEEvT1_
    .private_segment_fixed_size: 0
    .sgpr_count:     6
    .sgpr_spill_count: 0
    .symbol:         _ZN7rocprim17ROCPRIM_400000_NS6detail17trampoline_kernelINS0_14default_configENS1_25transform_config_selectorImLb0EEEZNS1_14transform_implILb0ES3_S5_NS0_17constant_iteratorImlEEPlNS0_8identityImEEEE10hipError_tT2_T3_mT4_P12ihipStream_tbEUlT_E_NS1_11comp_targetILNS1_3genE10ELNS1_11target_archE1200ELNS1_3gpuE4ELNS1_3repE0EEENS1_30default_config_static_selectorELNS0_4arch9wavefront6targetE1EEEvT1_.kd
    .uniform_work_group_size: 1
    .uses_dynamic_stack: false
    .vgpr_count:     0
    .vgpr_spill_count: 0
    .wavefront_size: 64
  - .agpr_count:     0
    .args:
      - .offset:         0
        .size:           48
        .value_kind:     by_value
    .group_segment_fixed_size: 0
    .kernarg_segment_align: 8
    .kernarg_segment_size: 48
    .language:       OpenCL C
    .language_version:
      - 2
      - 0
    .max_flat_workgroup_size: 512
    .name:           _ZN7rocprim17ROCPRIM_400000_NS6detail17trampoline_kernelINS0_14default_configENS1_25transform_config_selectorImLb0EEEZNS1_14transform_implILb0ES3_S5_NS0_17constant_iteratorImlEEPlNS0_8identityImEEEE10hipError_tT2_T3_mT4_P12ihipStream_tbEUlT_E_NS1_11comp_targetILNS1_3genE9ELNS1_11target_archE1100ELNS1_3gpuE3ELNS1_3repE0EEENS1_30default_config_static_selectorELNS0_4arch9wavefront6targetE1EEEvT1_
    .private_segment_fixed_size: 0
    .sgpr_count:     6
    .sgpr_spill_count: 0
    .symbol:         _ZN7rocprim17ROCPRIM_400000_NS6detail17trampoline_kernelINS0_14default_configENS1_25transform_config_selectorImLb0EEEZNS1_14transform_implILb0ES3_S5_NS0_17constant_iteratorImlEEPlNS0_8identityImEEEE10hipError_tT2_T3_mT4_P12ihipStream_tbEUlT_E_NS1_11comp_targetILNS1_3genE9ELNS1_11target_archE1100ELNS1_3gpuE3ELNS1_3repE0EEENS1_30default_config_static_selectorELNS0_4arch9wavefront6targetE1EEEvT1_.kd
    .uniform_work_group_size: 1
    .uses_dynamic_stack: false
    .vgpr_count:     0
    .vgpr_spill_count: 0
    .wavefront_size: 64
  - .agpr_count:     0
    .args:
      - .offset:         0
        .size:           48
        .value_kind:     by_value
    .group_segment_fixed_size: 0
    .kernarg_segment_align: 8
    .kernarg_segment_size: 48
    .language:       OpenCL C
    .language_version:
      - 2
      - 0
    .max_flat_workgroup_size: 512
    .name:           _ZN7rocprim17ROCPRIM_400000_NS6detail17trampoline_kernelINS0_14default_configENS1_25transform_config_selectorImLb0EEEZNS1_14transform_implILb0ES3_S5_NS0_17constant_iteratorImlEEPlNS0_8identityImEEEE10hipError_tT2_T3_mT4_P12ihipStream_tbEUlT_E_NS1_11comp_targetILNS1_3genE8ELNS1_11target_archE1030ELNS1_3gpuE2ELNS1_3repE0EEENS1_30default_config_static_selectorELNS0_4arch9wavefront6targetE1EEEvT1_
    .private_segment_fixed_size: 0
    .sgpr_count:     6
    .sgpr_spill_count: 0
    .symbol:         _ZN7rocprim17ROCPRIM_400000_NS6detail17trampoline_kernelINS0_14default_configENS1_25transform_config_selectorImLb0EEEZNS1_14transform_implILb0ES3_S5_NS0_17constant_iteratorImlEEPlNS0_8identityImEEEE10hipError_tT2_T3_mT4_P12ihipStream_tbEUlT_E_NS1_11comp_targetILNS1_3genE8ELNS1_11target_archE1030ELNS1_3gpuE2ELNS1_3repE0EEENS1_30default_config_static_selectorELNS0_4arch9wavefront6targetE1EEEvT1_.kd
    .uniform_work_group_size: 1
    .uses_dynamic_stack: false
    .vgpr_count:     0
    .vgpr_spill_count: 0
    .wavefront_size: 64
  - .agpr_count:     0
    .args:
      - .address_space:  global
        .offset:         0
        .size:           8
        .value_kind:     global_buffer
      - .offset:         8
        .size:           4
        .value_kind:     by_value
      - .offset:         12
        .size:           1
        .value_kind:     by_value
      - .offset:         16
        .size:           4
        .value_kind:     by_value
      - .address_space:  global
        .offset:         24
        .size:           8
        .value_kind:     global_buffer
      - .address_space:  global
        .offset:         32
        .size:           8
        .value_kind:     global_buffer
      - .offset:         40
        .size:           1
        .value_kind:     by_value
      - .offset:         48
        .size:           4
        .value_kind:     hidden_block_count_x
      - .offset:         52
        .size:           4
        .value_kind:     hidden_block_count_y
      - .offset:         56
        .size:           4
        .value_kind:     hidden_block_count_z
      - .offset:         60
        .size:           2
        .value_kind:     hidden_group_size_x
      - .offset:         62
        .size:           2
        .value_kind:     hidden_group_size_y
      - .offset:         64
        .size:           2
        .value_kind:     hidden_group_size_z
      - .offset:         66
        .size:           2
        .value_kind:     hidden_remainder_x
      - .offset:         68
        .size:           2
        .value_kind:     hidden_remainder_y
      - .offset:         70
        .size:           2
        .value_kind:     hidden_remainder_z
      - .offset:         88
        .size:           8
        .value_kind:     hidden_global_offset_x
      - .offset:         96
        .size:           8
        .value_kind:     hidden_global_offset_y
      - .offset:         104
        .size:           8
        .value_kind:     hidden_global_offset_z
      - .offset:         112
        .size:           2
        .value_kind:     hidden_grid_dims
    .group_segment_fixed_size: 0
    .kernarg_segment_align: 8
    .kernarg_segment_size: 304
    .language:       OpenCL C
    .language_version:
      - 2
      - 0
    .max_flat_workgroup_size: 256
    .name:           _ZN7rocprim17ROCPRIM_400000_NS6detail25reduce_by_key_init_kernelINS1_19lookback_scan_stateINS0_5tupleIJjjEEELb0ELb1EEEjNS1_16block_id_wrapperIjLb0EEEEEvT_jbjPmPT0_T1_
    .private_segment_fixed_size: 0
    .sgpr_count:     22
    .sgpr_spill_count: 0
    .symbol:         _ZN7rocprim17ROCPRIM_400000_NS6detail25reduce_by_key_init_kernelINS1_19lookback_scan_stateINS0_5tupleIJjjEEELb0ELb1EEEjNS1_16block_id_wrapperIjLb0EEEEEvT_jbjPmPT0_T1_.kd
    .uniform_work_group_size: 1
    .uses_dynamic_stack: false
    .vgpr_count:     10
    .vgpr_spill_count: 0
    .wavefront_size: 64
  - .agpr_count:     0
    .args:
      - .offset:         0
        .size:           136
        .value_kind:     by_value
    .group_segment_fixed_size: 0
    .kernarg_segment_align: 8
    .kernarg_segment_size: 136
    .language:       OpenCL C
    .language_version:
      - 2
      - 0
    .max_flat_workgroup_size: 256
    .name:           _ZN7rocprim17ROCPRIM_400000_NS6detail17trampoline_kernelINS0_14default_configENS1_33run_length_encode_config_selectorIbjNS0_4plusIjEEEEZZNS1_33reduce_by_key_impl_wrapped_configILNS1_25lookback_scan_determinismE0ES3_S7_N6hipcub16HIPCUB_304000_NS22TransformInputIteratorIbN2at6native8internal12_GLOBAL__N_110LoadBoolOpEPKhlEENS0_17constant_iteratorIjlEEPbPlSO_S6_NS0_8equal_toIbEEEE10hipError_tPvRmT2_T3_mT4_T5_T6_T7_T8_P12ihipStream_tbENKUlT_T0_E_clISt17integral_constantIbLb0EES18_EEDaS13_S14_EUlS13_E_NS1_11comp_targetILNS1_3genE0ELNS1_11target_archE4294967295ELNS1_3gpuE0ELNS1_3repE0EEENS1_30default_config_static_selectorELNS0_4arch9wavefront6targetE1EEEvT1_
    .private_segment_fixed_size: 0
    .sgpr_count:     6
    .sgpr_spill_count: 0
    .symbol:         _ZN7rocprim17ROCPRIM_400000_NS6detail17trampoline_kernelINS0_14default_configENS1_33run_length_encode_config_selectorIbjNS0_4plusIjEEEEZZNS1_33reduce_by_key_impl_wrapped_configILNS1_25lookback_scan_determinismE0ES3_S7_N6hipcub16HIPCUB_304000_NS22TransformInputIteratorIbN2at6native8internal12_GLOBAL__N_110LoadBoolOpEPKhlEENS0_17constant_iteratorIjlEEPbPlSO_S6_NS0_8equal_toIbEEEE10hipError_tPvRmT2_T3_mT4_T5_T6_T7_T8_P12ihipStream_tbENKUlT_T0_E_clISt17integral_constantIbLb0EES18_EEDaS13_S14_EUlS13_E_NS1_11comp_targetILNS1_3genE0ELNS1_11target_archE4294967295ELNS1_3gpuE0ELNS1_3repE0EEENS1_30default_config_static_selectorELNS0_4arch9wavefront6targetE1EEEvT1_.kd
    .uniform_work_group_size: 1
    .uses_dynamic_stack: false
    .vgpr_count:     0
    .vgpr_spill_count: 0
    .wavefront_size: 64
  - .agpr_count:     0
    .args:
      - .offset:         0
        .size:           136
        .value_kind:     by_value
    .group_segment_fixed_size: 30720
    .kernarg_segment_align: 8
    .kernarg_segment_size: 136
    .language:       OpenCL C
    .language_version:
      - 2
      - 0
    .max_flat_workgroup_size: 512
    .name:           _ZN7rocprim17ROCPRIM_400000_NS6detail17trampoline_kernelINS0_14default_configENS1_33run_length_encode_config_selectorIbjNS0_4plusIjEEEEZZNS1_33reduce_by_key_impl_wrapped_configILNS1_25lookback_scan_determinismE0ES3_S7_N6hipcub16HIPCUB_304000_NS22TransformInputIteratorIbN2at6native8internal12_GLOBAL__N_110LoadBoolOpEPKhlEENS0_17constant_iteratorIjlEEPbPlSO_S6_NS0_8equal_toIbEEEE10hipError_tPvRmT2_T3_mT4_T5_T6_T7_T8_P12ihipStream_tbENKUlT_T0_E_clISt17integral_constantIbLb0EES18_EEDaS13_S14_EUlS13_E_NS1_11comp_targetILNS1_3genE5ELNS1_11target_archE942ELNS1_3gpuE9ELNS1_3repE0EEENS1_30default_config_static_selectorELNS0_4arch9wavefront6targetE1EEEvT1_
    .private_segment_fixed_size: 0
    .sgpr_count:     80
    .sgpr_spill_count: 0
    .symbol:         _ZN7rocprim17ROCPRIM_400000_NS6detail17trampoline_kernelINS0_14default_configENS1_33run_length_encode_config_selectorIbjNS0_4plusIjEEEEZZNS1_33reduce_by_key_impl_wrapped_configILNS1_25lookback_scan_determinismE0ES3_S7_N6hipcub16HIPCUB_304000_NS22TransformInputIteratorIbN2at6native8internal12_GLOBAL__N_110LoadBoolOpEPKhlEENS0_17constant_iteratorIjlEEPbPlSO_S6_NS0_8equal_toIbEEEE10hipError_tPvRmT2_T3_mT4_T5_T6_T7_T8_P12ihipStream_tbENKUlT_T0_E_clISt17integral_constantIbLb0EES18_EEDaS13_S14_EUlS13_E_NS1_11comp_targetILNS1_3genE5ELNS1_11target_archE942ELNS1_3gpuE9ELNS1_3repE0EEENS1_30default_config_static_selectorELNS0_4arch9wavefront6targetE1EEEvT1_.kd
    .uniform_work_group_size: 1
    .uses_dynamic_stack: false
    .vgpr_count:     109
    .vgpr_spill_count: 0
    .wavefront_size: 64
  - .agpr_count:     0
    .args:
      - .offset:         0
        .size:           136
        .value_kind:     by_value
    .group_segment_fixed_size: 0
    .kernarg_segment_align: 8
    .kernarg_segment_size: 136
    .language:       OpenCL C
    .language_version:
      - 2
      - 0
    .max_flat_workgroup_size: 256
    .name:           _ZN7rocprim17ROCPRIM_400000_NS6detail17trampoline_kernelINS0_14default_configENS1_33run_length_encode_config_selectorIbjNS0_4plusIjEEEEZZNS1_33reduce_by_key_impl_wrapped_configILNS1_25lookback_scan_determinismE0ES3_S7_N6hipcub16HIPCUB_304000_NS22TransformInputIteratorIbN2at6native8internal12_GLOBAL__N_110LoadBoolOpEPKhlEENS0_17constant_iteratorIjlEEPbPlSO_S6_NS0_8equal_toIbEEEE10hipError_tPvRmT2_T3_mT4_T5_T6_T7_T8_P12ihipStream_tbENKUlT_T0_E_clISt17integral_constantIbLb0EES18_EEDaS13_S14_EUlS13_E_NS1_11comp_targetILNS1_3genE4ELNS1_11target_archE910ELNS1_3gpuE8ELNS1_3repE0EEENS1_30default_config_static_selectorELNS0_4arch9wavefront6targetE1EEEvT1_
    .private_segment_fixed_size: 0
    .sgpr_count:     6
    .sgpr_spill_count: 0
    .symbol:         _ZN7rocprim17ROCPRIM_400000_NS6detail17trampoline_kernelINS0_14default_configENS1_33run_length_encode_config_selectorIbjNS0_4plusIjEEEEZZNS1_33reduce_by_key_impl_wrapped_configILNS1_25lookback_scan_determinismE0ES3_S7_N6hipcub16HIPCUB_304000_NS22TransformInputIteratorIbN2at6native8internal12_GLOBAL__N_110LoadBoolOpEPKhlEENS0_17constant_iteratorIjlEEPbPlSO_S6_NS0_8equal_toIbEEEE10hipError_tPvRmT2_T3_mT4_T5_T6_T7_T8_P12ihipStream_tbENKUlT_T0_E_clISt17integral_constantIbLb0EES18_EEDaS13_S14_EUlS13_E_NS1_11comp_targetILNS1_3genE4ELNS1_11target_archE910ELNS1_3gpuE8ELNS1_3repE0EEENS1_30default_config_static_selectorELNS0_4arch9wavefront6targetE1EEEvT1_.kd
    .uniform_work_group_size: 1
    .uses_dynamic_stack: false
    .vgpr_count:     0
    .vgpr_spill_count: 0
    .wavefront_size: 64
  - .agpr_count:     0
    .args:
      - .offset:         0
        .size:           136
        .value_kind:     by_value
    .group_segment_fixed_size: 0
    .kernarg_segment_align: 8
    .kernarg_segment_size: 136
    .language:       OpenCL C
    .language_version:
      - 2
      - 0
    .max_flat_workgroup_size: 256
    .name:           _ZN7rocprim17ROCPRIM_400000_NS6detail17trampoline_kernelINS0_14default_configENS1_33run_length_encode_config_selectorIbjNS0_4plusIjEEEEZZNS1_33reduce_by_key_impl_wrapped_configILNS1_25lookback_scan_determinismE0ES3_S7_N6hipcub16HIPCUB_304000_NS22TransformInputIteratorIbN2at6native8internal12_GLOBAL__N_110LoadBoolOpEPKhlEENS0_17constant_iteratorIjlEEPbPlSO_S6_NS0_8equal_toIbEEEE10hipError_tPvRmT2_T3_mT4_T5_T6_T7_T8_P12ihipStream_tbENKUlT_T0_E_clISt17integral_constantIbLb0EES18_EEDaS13_S14_EUlS13_E_NS1_11comp_targetILNS1_3genE3ELNS1_11target_archE908ELNS1_3gpuE7ELNS1_3repE0EEENS1_30default_config_static_selectorELNS0_4arch9wavefront6targetE1EEEvT1_
    .private_segment_fixed_size: 0
    .sgpr_count:     6
    .sgpr_spill_count: 0
    .symbol:         _ZN7rocprim17ROCPRIM_400000_NS6detail17trampoline_kernelINS0_14default_configENS1_33run_length_encode_config_selectorIbjNS0_4plusIjEEEEZZNS1_33reduce_by_key_impl_wrapped_configILNS1_25lookback_scan_determinismE0ES3_S7_N6hipcub16HIPCUB_304000_NS22TransformInputIteratorIbN2at6native8internal12_GLOBAL__N_110LoadBoolOpEPKhlEENS0_17constant_iteratorIjlEEPbPlSO_S6_NS0_8equal_toIbEEEE10hipError_tPvRmT2_T3_mT4_T5_T6_T7_T8_P12ihipStream_tbENKUlT_T0_E_clISt17integral_constantIbLb0EES18_EEDaS13_S14_EUlS13_E_NS1_11comp_targetILNS1_3genE3ELNS1_11target_archE908ELNS1_3gpuE7ELNS1_3repE0EEENS1_30default_config_static_selectorELNS0_4arch9wavefront6targetE1EEEvT1_.kd
    .uniform_work_group_size: 1
    .uses_dynamic_stack: false
    .vgpr_count:     0
    .vgpr_spill_count: 0
    .wavefront_size: 64
  - .agpr_count:     0
    .args:
      - .offset:         0
        .size:           136
        .value_kind:     by_value
    .group_segment_fixed_size: 0
    .kernarg_segment_align: 8
    .kernarg_segment_size: 136
    .language:       OpenCL C
    .language_version:
      - 2
      - 0
    .max_flat_workgroup_size: 256
    .name:           _ZN7rocprim17ROCPRIM_400000_NS6detail17trampoline_kernelINS0_14default_configENS1_33run_length_encode_config_selectorIbjNS0_4plusIjEEEEZZNS1_33reduce_by_key_impl_wrapped_configILNS1_25lookback_scan_determinismE0ES3_S7_N6hipcub16HIPCUB_304000_NS22TransformInputIteratorIbN2at6native8internal12_GLOBAL__N_110LoadBoolOpEPKhlEENS0_17constant_iteratorIjlEEPbPlSO_S6_NS0_8equal_toIbEEEE10hipError_tPvRmT2_T3_mT4_T5_T6_T7_T8_P12ihipStream_tbENKUlT_T0_E_clISt17integral_constantIbLb0EES18_EEDaS13_S14_EUlS13_E_NS1_11comp_targetILNS1_3genE2ELNS1_11target_archE906ELNS1_3gpuE6ELNS1_3repE0EEENS1_30default_config_static_selectorELNS0_4arch9wavefront6targetE1EEEvT1_
    .private_segment_fixed_size: 0
    .sgpr_count:     6
    .sgpr_spill_count: 0
    .symbol:         _ZN7rocprim17ROCPRIM_400000_NS6detail17trampoline_kernelINS0_14default_configENS1_33run_length_encode_config_selectorIbjNS0_4plusIjEEEEZZNS1_33reduce_by_key_impl_wrapped_configILNS1_25lookback_scan_determinismE0ES3_S7_N6hipcub16HIPCUB_304000_NS22TransformInputIteratorIbN2at6native8internal12_GLOBAL__N_110LoadBoolOpEPKhlEENS0_17constant_iteratorIjlEEPbPlSO_S6_NS0_8equal_toIbEEEE10hipError_tPvRmT2_T3_mT4_T5_T6_T7_T8_P12ihipStream_tbENKUlT_T0_E_clISt17integral_constantIbLb0EES18_EEDaS13_S14_EUlS13_E_NS1_11comp_targetILNS1_3genE2ELNS1_11target_archE906ELNS1_3gpuE6ELNS1_3repE0EEENS1_30default_config_static_selectorELNS0_4arch9wavefront6targetE1EEEvT1_.kd
    .uniform_work_group_size: 1
    .uses_dynamic_stack: false
    .vgpr_count:     0
    .vgpr_spill_count: 0
    .wavefront_size: 64
  - .agpr_count:     0
    .args:
      - .offset:         0
        .size:           136
        .value_kind:     by_value
    .group_segment_fixed_size: 0
    .kernarg_segment_align: 8
    .kernarg_segment_size: 136
    .language:       OpenCL C
    .language_version:
      - 2
      - 0
    .max_flat_workgroup_size: 384
    .name:           _ZN7rocprim17ROCPRIM_400000_NS6detail17trampoline_kernelINS0_14default_configENS1_33run_length_encode_config_selectorIbjNS0_4plusIjEEEEZZNS1_33reduce_by_key_impl_wrapped_configILNS1_25lookback_scan_determinismE0ES3_S7_N6hipcub16HIPCUB_304000_NS22TransformInputIteratorIbN2at6native8internal12_GLOBAL__N_110LoadBoolOpEPKhlEENS0_17constant_iteratorIjlEEPbPlSO_S6_NS0_8equal_toIbEEEE10hipError_tPvRmT2_T3_mT4_T5_T6_T7_T8_P12ihipStream_tbENKUlT_T0_E_clISt17integral_constantIbLb0EES18_EEDaS13_S14_EUlS13_E_NS1_11comp_targetILNS1_3genE10ELNS1_11target_archE1201ELNS1_3gpuE5ELNS1_3repE0EEENS1_30default_config_static_selectorELNS0_4arch9wavefront6targetE1EEEvT1_
    .private_segment_fixed_size: 0
    .sgpr_count:     6
    .sgpr_spill_count: 0
    .symbol:         _ZN7rocprim17ROCPRIM_400000_NS6detail17trampoline_kernelINS0_14default_configENS1_33run_length_encode_config_selectorIbjNS0_4plusIjEEEEZZNS1_33reduce_by_key_impl_wrapped_configILNS1_25lookback_scan_determinismE0ES3_S7_N6hipcub16HIPCUB_304000_NS22TransformInputIteratorIbN2at6native8internal12_GLOBAL__N_110LoadBoolOpEPKhlEENS0_17constant_iteratorIjlEEPbPlSO_S6_NS0_8equal_toIbEEEE10hipError_tPvRmT2_T3_mT4_T5_T6_T7_T8_P12ihipStream_tbENKUlT_T0_E_clISt17integral_constantIbLb0EES18_EEDaS13_S14_EUlS13_E_NS1_11comp_targetILNS1_3genE10ELNS1_11target_archE1201ELNS1_3gpuE5ELNS1_3repE0EEENS1_30default_config_static_selectorELNS0_4arch9wavefront6targetE1EEEvT1_.kd
    .uniform_work_group_size: 1
    .uses_dynamic_stack: false
    .vgpr_count:     0
    .vgpr_spill_count: 0
    .wavefront_size: 64
  - .agpr_count:     0
    .args:
      - .offset:         0
        .size:           136
        .value_kind:     by_value
    .group_segment_fixed_size: 0
    .kernarg_segment_align: 8
    .kernarg_segment_size: 136
    .language:       OpenCL C
    .language_version:
      - 2
      - 0
    .max_flat_workgroup_size: 384
    .name:           _ZN7rocprim17ROCPRIM_400000_NS6detail17trampoline_kernelINS0_14default_configENS1_33run_length_encode_config_selectorIbjNS0_4plusIjEEEEZZNS1_33reduce_by_key_impl_wrapped_configILNS1_25lookback_scan_determinismE0ES3_S7_N6hipcub16HIPCUB_304000_NS22TransformInputIteratorIbN2at6native8internal12_GLOBAL__N_110LoadBoolOpEPKhlEENS0_17constant_iteratorIjlEEPbPlSO_S6_NS0_8equal_toIbEEEE10hipError_tPvRmT2_T3_mT4_T5_T6_T7_T8_P12ihipStream_tbENKUlT_T0_E_clISt17integral_constantIbLb0EES18_EEDaS13_S14_EUlS13_E_NS1_11comp_targetILNS1_3genE10ELNS1_11target_archE1200ELNS1_3gpuE4ELNS1_3repE0EEENS1_30default_config_static_selectorELNS0_4arch9wavefront6targetE1EEEvT1_
    .private_segment_fixed_size: 0
    .sgpr_count:     6
    .sgpr_spill_count: 0
    .symbol:         _ZN7rocprim17ROCPRIM_400000_NS6detail17trampoline_kernelINS0_14default_configENS1_33run_length_encode_config_selectorIbjNS0_4plusIjEEEEZZNS1_33reduce_by_key_impl_wrapped_configILNS1_25lookback_scan_determinismE0ES3_S7_N6hipcub16HIPCUB_304000_NS22TransformInputIteratorIbN2at6native8internal12_GLOBAL__N_110LoadBoolOpEPKhlEENS0_17constant_iteratorIjlEEPbPlSO_S6_NS0_8equal_toIbEEEE10hipError_tPvRmT2_T3_mT4_T5_T6_T7_T8_P12ihipStream_tbENKUlT_T0_E_clISt17integral_constantIbLb0EES18_EEDaS13_S14_EUlS13_E_NS1_11comp_targetILNS1_3genE10ELNS1_11target_archE1200ELNS1_3gpuE4ELNS1_3repE0EEENS1_30default_config_static_selectorELNS0_4arch9wavefront6targetE1EEEvT1_.kd
    .uniform_work_group_size: 1
    .uses_dynamic_stack: false
    .vgpr_count:     0
    .vgpr_spill_count: 0
    .wavefront_size: 64
  - .agpr_count:     0
    .args:
      - .offset:         0
        .size:           136
        .value_kind:     by_value
    .group_segment_fixed_size: 0
    .kernarg_segment_align: 8
    .kernarg_segment_size: 136
    .language:       OpenCL C
    .language_version:
      - 2
      - 0
    .max_flat_workgroup_size: 384
    .name:           _ZN7rocprim17ROCPRIM_400000_NS6detail17trampoline_kernelINS0_14default_configENS1_33run_length_encode_config_selectorIbjNS0_4plusIjEEEEZZNS1_33reduce_by_key_impl_wrapped_configILNS1_25lookback_scan_determinismE0ES3_S7_N6hipcub16HIPCUB_304000_NS22TransformInputIteratorIbN2at6native8internal12_GLOBAL__N_110LoadBoolOpEPKhlEENS0_17constant_iteratorIjlEEPbPlSO_S6_NS0_8equal_toIbEEEE10hipError_tPvRmT2_T3_mT4_T5_T6_T7_T8_P12ihipStream_tbENKUlT_T0_E_clISt17integral_constantIbLb0EES18_EEDaS13_S14_EUlS13_E_NS1_11comp_targetILNS1_3genE9ELNS1_11target_archE1100ELNS1_3gpuE3ELNS1_3repE0EEENS1_30default_config_static_selectorELNS0_4arch9wavefront6targetE1EEEvT1_
    .private_segment_fixed_size: 0
    .sgpr_count:     6
    .sgpr_spill_count: 0
    .symbol:         _ZN7rocprim17ROCPRIM_400000_NS6detail17trampoline_kernelINS0_14default_configENS1_33run_length_encode_config_selectorIbjNS0_4plusIjEEEEZZNS1_33reduce_by_key_impl_wrapped_configILNS1_25lookback_scan_determinismE0ES3_S7_N6hipcub16HIPCUB_304000_NS22TransformInputIteratorIbN2at6native8internal12_GLOBAL__N_110LoadBoolOpEPKhlEENS0_17constant_iteratorIjlEEPbPlSO_S6_NS0_8equal_toIbEEEE10hipError_tPvRmT2_T3_mT4_T5_T6_T7_T8_P12ihipStream_tbENKUlT_T0_E_clISt17integral_constantIbLb0EES18_EEDaS13_S14_EUlS13_E_NS1_11comp_targetILNS1_3genE9ELNS1_11target_archE1100ELNS1_3gpuE3ELNS1_3repE0EEENS1_30default_config_static_selectorELNS0_4arch9wavefront6targetE1EEEvT1_.kd
    .uniform_work_group_size: 1
    .uses_dynamic_stack: false
    .vgpr_count:     0
    .vgpr_spill_count: 0
    .wavefront_size: 64
  - .agpr_count:     0
    .args:
      - .offset:         0
        .size:           136
        .value_kind:     by_value
    .group_segment_fixed_size: 0
    .kernarg_segment_align: 8
    .kernarg_segment_size: 136
    .language:       OpenCL C
    .language_version:
      - 2
      - 0
    .max_flat_workgroup_size: 384
    .name:           _ZN7rocprim17ROCPRIM_400000_NS6detail17trampoline_kernelINS0_14default_configENS1_33run_length_encode_config_selectorIbjNS0_4plusIjEEEEZZNS1_33reduce_by_key_impl_wrapped_configILNS1_25lookback_scan_determinismE0ES3_S7_N6hipcub16HIPCUB_304000_NS22TransformInputIteratorIbN2at6native8internal12_GLOBAL__N_110LoadBoolOpEPKhlEENS0_17constant_iteratorIjlEEPbPlSO_S6_NS0_8equal_toIbEEEE10hipError_tPvRmT2_T3_mT4_T5_T6_T7_T8_P12ihipStream_tbENKUlT_T0_E_clISt17integral_constantIbLb0EES18_EEDaS13_S14_EUlS13_E_NS1_11comp_targetILNS1_3genE8ELNS1_11target_archE1030ELNS1_3gpuE2ELNS1_3repE0EEENS1_30default_config_static_selectorELNS0_4arch9wavefront6targetE1EEEvT1_
    .private_segment_fixed_size: 0
    .sgpr_count:     6
    .sgpr_spill_count: 0
    .symbol:         _ZN7rocprim17ROCPRIM_400000_NS6detail17trampoline_kernelINS0_14default_configENS1_33run_length_encode_config_selectorIbjNS0_4plusIjEEEEZZNS1_33reduce_by_key_impl_wrapped_configILNS1_25lookback_scan_determinismE0ES3_S7_N6hipcub16HIPCUB_304000_NS22TransformInputIteratorIbN2at6native8internal12_GLOBAL__N_110LoadBoolOpEPKhlEENS0_17constant_iteratorIjlEEPbPlSO_S6_NS0_8equal_toIbEEEE10hipError_tPvRmT2_T3_mT4_T5_T6_T7_T8_P12ihipStream_tbENKUlT_T0_E_clISt17integral_constantIbLb0EES18_EEDaS13_S14_EUlS13_E_NS1_11comp_targetILNS1_3genE8ELNS1_11target_archE1030ELNS1_3gpuE2ELNS1_3repE0EEENS1_30default_config_static_selectorELNS0_4arch9wavefront6targetE1EEEvT1_.kd
    .uniform_work_group_size: 1
    .uses_dynamic_stack: false
    .vgpr_count:     0
    .vgpr_spill_count: 0
    .wavefront_size: 64
  - .agpr_count:     0
    .args:
      - .address_space:  global
        .offset:         0
        .size:           8
        .value_kind:     global_buffer
      - .offset:         8
        .size:           4
        .value_kind:     by_value
      - .offset:         12
        .size:           1
        .value_kind:     by_value
      - .offset:         16
        .size:           4
        .value_kind:     by_value
      - .address_space:  global
        .offset:         24
        .size:           8
        .value_kind:     global_buffer
      - .address_space:  global
        .offset:         32
        .size:           8
        .value_kind:     global_buffer
      - .address_space:  global
        .offset:         40
        .size:           8
        .value_kind:     global_buffer
      - .offset:         48
        .size:           4
        .value_kind:     hidden_block_count_x
      - .offset:         52
        .size:           4
        .value_kind:     hidden_block_count_y
      - .offset:         56
        .size:           4
        .value_kind:     hidden_block_count_z
      - .offset:         60
        .size:           2
        .value_kind:     hidden_group_size_x
      - .offset:         62
        .size:           2
        .value_kind:     hidden_group_size_y
      - .offset:         64
        .size:           2
        .value_kind:     hidden_group_size_z
      - .offset:         66
        .size:           2
        .value_kind:     hidden_remainder_x
      - .offset:         68
        .size:           2
        .value_kind:     hidden_remainder_y
      - .offset:         70
        .size:           2
        .value_kind:     hidden_remainder_z
      - .offset:         88
        .size:           8
        .value_kind:     hidden_global_offset_x
      - .offset:         96
        .size:           8
        .value_kind:     hidden_global_offset_y
      - .offset:         104
        .size:           8
        .value_kind:     hidden_global_offset_z
      - .offset:         112
        .size:           2
        .value_kind:     hidden_grid_dims
    .group_segment_fixed_size: 0
    .kernarg_segment_align: 8
    .kernarg_segment_size: 304
    .language:       OpenCL C
    .language_version:
      - 2
      - 0
    .max_flat_workgroup_size: 256
    .name:           _ZN7rocprim17ROCPRIM_400000_NS6detail25reduce_by_key_init_kernelINS1_19lookback_scan_stateINS0_5tupleIJjjEEELb1ELb1EEEjNS1_16block_id_wrapperIjLb1EEEEEvT_jbjPmPT0_T1_
    .private_segment_fixed_size: 0
    .sgpr_count:     24
    .sgpr_spill_count: 0
    .symbol:         _ZN7rocprim17ROCPRIM_400000_NS6detail25reduce_by_key_init_kernelINS1_19lookback_scan_stateINS0_5tupleIJjjEEELb1ELb1EEEjNS1_16block_id_wrapperIjLb1EEEEEvT_jbjPmPT0_T1_.kd
    .uniform_work_group_size: 1
    .uses_dynamic_stack: false
    .vgpr_count:     10
    .vgpr_spill_count: 0
    .wavefront_size: 64
  - .agpr_count:     0
    .args:
      - .offset:         0
        .size:           136
        .value_kind:     by_value
    .group_segment_fixed_size: 0
    .kernarg_segment_align: 8
    .kernarg_segment_size: 136
    .language:       OpenCL C
    .language_version:
      - 2
      - 0
    .max_flat_workgroup_size: 256
    .name:           _ZN7rocprim17ROCPRIM_400000_NS6detail17trampoline_kernelINS0_14default_configENS1_33run_length_encode_config_selectorIbjNS0_4plusIjEEEEZZNS1_33reduce_by_key_impl_wrapped_configILNS1_25lookback_scan_determinismE0ES3_S7_N6hipcub16HIPCUB_304000_NS22TransformInputIteratorIbN2at6native8internal12_GLOBAL__N_110LoadBoolOpEPKhlEENS0_17constant_iteratorIjlEEPbPlSO_S6_NS0_8equal_toIbEEEE10hipError_tPvRmT2_T3_mT4_T5_T6_T7_T8_P12ihipStream_tbENKUlT_T0_E_clISt17integral_constantIbLb1EES18_EEDaS13_S14_EUlS13_E_NS1_11comp_targetILNS1_3genE0ELNS1_11target_archE4294967295ELNS1_3gpuE0ELNS1_3repE0EEENS1_30default_config_static_selectorELNS0_4arch9wavefront6targetE1EEEvT1_
    .private_segment_fixed_size: 0
    .sgpr_count:     6
    .sgpr_spill_count: 0
    .symbol:         _ZN7rocprim17ROCPRIM_400000_NS6detail17trampoline_kernelINS0_14default_configENS1_33run_length_encode_config_selectorIbjNS0_4plusIjEEEEZZNS1_33reduce_by_key_impl_wrapped_configILNS1_25lookback_scan_determinismE0ES3_S7_N6hipcub16HIPCUB_304000_NS22TransformInputIteratorIbN2at6native8internal12_GLOBAL__N_110LoadBoolOpEPKhlEENS0_17constant_iteratorIjlEEPbPlSO_S6_NS0_8equal_toIbEEEE10hipError_tPvRmT2_T3_mT4_T5_T6_T7_T8_P12ihipStream_tbENKUlT_T0_E_clISt17integral_constantIbLb1EES18_EEDaS13_S14_EUlS13_E_NS1_11comp_targetILNS1_3genE0ELNS1_11target_archE4294967295ELNS1_3gpuE0ELNS1_3repE0EEENS1_30default_config_static_selectorELNS0_4arch9wavefront6targetE1EEEvT1_.kd
    .uniform_work_group_size: 1
    .uses_dynamic_stack: false
    .vgpr_count:     0
    .vgpr_spill_count: 0
    .wavefront_size: 64
  - .agpr_count:     0
    .args:
      - .offset:         0
        .size:           136
        .value_kind:     by_value
    .group_segment_fixed_size: 30720
    .kernarg_segment_align: 8
    .kernarg_segment_size: 136
    .language:       OpenCL C
    .language_version:
      - 2
      - 0
    .max_flat_workgroup_size: 512
    .name:           _ZN7rocprim17ROCPRIM_400000_NS6detail17trampoline_kernelINS0_14default_configENS1_33run_length_encode_config_selectorIbjNS0_4plusIjEEEEZZNS1_33reduce_by_key_impl_wrapped_configILNS1_25lookback_scan_determinismE0ES3_S7_N6hipcub16HIPCUB_304000_NS22TransformInputIteratorIbN2at6native8internal12_GLOBAL__N_110LoadBoolOpEPKhlEENS0_17constant_iteratorIjlEEPbPlSO_S6_NS0_8equal_toIbEEEE10hipError_tPvRmT2_T3_mT4_T5_T6_T7_T8_P12ihipStream_tbENKUlT_T0_E_clISt17integral_constantIbLb1EES18_EEDaS13_S14_EUlS13_E_NS1_11comp_targetILNS1_3genE5ELNS1_11target_archE942ELNS1_3gpuE9ELNS1_3repE0EEENS1_30default_config_static_selectorELNS0_4arch9wavefront6targetE1EEEvT1_
    .private_segment_fixed_size: 0
    .sgpr_count:     72
    .sgpr_spill_count: 0
    .symbol:         _ZN7rocprim17ROCPRIM_400000_NS6detail17trampoline_kernelINS0_14default_configENS1_33run_length_encode_config_selectorIbjNS0_4plusIjEEEEZZNS1_33reduce_by_key_impl_wrapped_configILNS1_25lookback_scan_determinismE0ES3_S7_N6hipcub16HIPCUB_304000_NS22TransformInputIteratorIbN2at6native8internal12_GLOBAL__N_110LoadBoolOpEPKhlEENS0_17constant_iteratorIjlEEPbPlSO_S6_NS0_8equal_toIbEEEE10hipError_tPvRmT2_T3_mT4_T5_T6_T7_T8_P12ihipStream_tbENKUlT_T0_E_clISt17integral_constantIbLb1EES18_EEDaS13_S14_EUlS13_E_NS1_11comp_targetILNS1_3genE5ELNS1_11target_archE942ELNS1_3gpuE9ELNS1_3repE0EEENS1_30default_config_static_selectorELNS0_4arch9wavefront6targetE1EEEvT1_.kd
    .uniform_work_group_size: 1
    .uses_dynamic_stack: false
    .vgpr_count:     110
    .vgpr_spill_count: 0
    .wavefront_size: 64
  - .agpr_count:     0
    .args:
      - .offset:         0
        .size:           136
        .value_kind:     by_value
    .group_segment_fixed_size: 0
    .kernarg_segment_align: 8
    .kernarg_segment_size: 136
    .language:       OpenCL C
    .language_version:
      - 2
      - 0
    .max_flat_workgroup_size: 256
    .name:           _ZN7rocprim17ROCPRIM_400000_NS6detail17trampoline_kernelINS0_14default_configENS1_33run_length_encode_config_selectorIbjNS0_4plusIjEEEEZZNS1_33reduce_by_key_impl_wrapped_configILNS1_25lookback_scan_determinismE0ES3_S7_N6hipcub16HIPCUB_304000_NS22TransformInputIteratorIbN2at6native8internal12_GLOBAL__N_110LoadBoolOpEPKhlEENS0_17constant_iteratorIjlEEPbPlSO_S6_NS0_8equal_toIbEEEE10hipError_tPvRmT2_T3_mT4_T5_T6_T7_T8_P12ihipStream_tbENKUlT_T0_E_clISt17integral_constantIbLb1EES18_EEDaS13_S14_EUlS13_E_NS1_11comp_targetILNS1_3genE4ELNS1_11target_archE910ELNS1_3gpuE8ELNS1_3repE0EEENS1_30default_config_static_selectorELNS0_4arch9wavefront6targetE1EEEvT1_
    .private_segment_fixed_size: 0
    .sgpr_count:     6
    .sgpr_spill_count: 0
    .symbol:         _ZN7rocprim17ROCPRIM_400000_NS6detail17trampoline_kernelINS0_14default_configENS1_33run_length_encode_config_selectorIbjNS0_4plusIjEEEEZZNS1_33reduce_by_key_impl_wrapped_configILNS1_25lookback_scan_determinismE0ES3_S7_N6hipcub16HIPCUB_304000_NS22TransformInputIteratorIbN2at6native8internal12_GLOBAL__N_110LoadBoolOpEPKhlEENS0_17constant_iteratorIjlEEPbPlSO_S6_NS0_8equal_toIbEEEE10hipError_tPvRmT2_T3_mT4_T5_T6_T7_T8_P12ihipStream_tbENKUlT_T0_E_clISt17integral_constantIbLb1EES18_EEDaS13_S14_EUlS13_E_NS1_11comp_targetILNS1_3genE4ELNS1_11target_archE910ELNS1_3gpuE8ELNS1_3repE0EEENS1_30default_config_static_selectorELNS0_4arch9wavefront6targetE1EEEvT1_.kd
    .uniform_work_group_size: 1
    .uses_dynamic_stack: false
    .vgpr_count:     0
    .vgpr_spill_count: 0
    .wavefront_size: 64
  - .agpr_count:     0
    .args:
      - .offset:         0
        .size:           136
        .value_kind:     by_value
    .group_segment_fixed_size: 0
    .kernarg_segment_align: 8
    .kernarg_segment_size: 136
    .language:       OpenCL C
    .language_version:
      - 2
      - 0
    .max_flat_workgroup_size: 256
    .name:           _ZN7rocprim17ROCPRIM_400000_NS6detail17trampoline_kernelINS0_14default_configENS1_33run_length_encode_config_selectorIbjNS0_4plusIjEEEEZZNS1_33reduce_by_key_impl_wrapped_configILNS1_25lookback_scan_determinismE0ES3_S7_N6hipcub16HIPCUB_304000_NS22TransformInputIteratorIbN2at6native8internal12_GLOBAL__N_110LoadBoolOpEPKhlEENS0_17constant_iteratorIjlEEPbPlSO_S6_NS0_8equal_toIbEEEE10hipError_tPvRmT2_T3_mT4_T5_T6_T7_T8_P12ihipStream_tbENKUlT_T0_E_clISt17integral_constantIbLb1EES18_EEDaS13_S14_EUlS13_E_NS1_11comp_targetILNS1_3genE3ELNS1_11target_archE908ELNS1_3gpuE7ELNS1_3repE0EEENS1_30default_config_static_selectorELNS0_4arch9wavefront6targetE1EEEvT1_
    .private_segment_fixed_size: 0
    .sgpr_count:     6
    .sgpr_spill_count: 0
    .symbol:         _ZN7rocprim17ROCPRIM_400000_NS6detail17trampoline_kernelINS0_14default_configENS1_33run_length_encode_config_selectorIbjNS0_4plusIjEEEEZZNS1_33reduce_by_key_impl_wrapped_configILNS1_25lookback_scan_determinismE0ES3_S7_N6hipcub16HIPCUB_304000_NS22TransformInputIteratorIbN2at6native8internal12_GLOBAL__N_110LoadBoolOpEPKhlEENS0_17constant_iteratorIjlEEPbPlSO_S6_NS0_8equal_toIbEEEE10hipError_tPvRmT2_T3_mT4_T5_T6_T7_T8_P12ihipStream_tbENKUlT_T0_E_clISt17integral_constantIbLb1EES18_EEDaS13_S14_EUlS13_E_NS1_11comp_targetILNS1_3genE3ELNS1_11target_archE908ELNS1_3gpuE7ELNS1_3repE0EEENS1_30default_config_static_selectorELNS0_4arch9wavefront6targetE1EEEvT1_.kd
    .uniform_work_group_size: 1
    .uses_dynamic_stack: false
    .vgpr_count:     0
    .vgpr_spill_count: 0
    .wavefront_size: 64
  - .agpr_count:     0
    .args:
      - .offset:         0
        .size:           136
        .value_kind:     by_value
    .group_segment_fixed_size: 0
    .kernarg_segment_align: 8
    .kernarg_segment_size: 136
    .language:       OpenCL C
    .language_version:
      - 2
      - 0
    .max_flat_workgroup_size: 256
    .name:           _ZN7rocprim17ROCPRIM_400000_NS6detail17trampoline_kernelINS0_14default_configENS1_33run_length_encode_config_selectorIbjNS0_4plusIjEEEEZZNS1_33reduce_by_key_impl_wrapped_configILNS1_25lookback_scan_determinismE0ES3_S7_N6hipcub16HIPCUB_304000_NS22TransformInputIteratorIbN2at6native8internal12_GLOBAL__N_110LoadBoolOpEPKhlEENS0_17constant_iteratorIjlEEPbPlSO_S6_NS0_8equal_toIbEEEE10hipError_tPvRmT2_T3_mT4_T5_T6_T7_T8_P12ihipStream_tbENKUlT_T0_E_clISt17integral_constantIbLb1EES18_EEDaS13_S14_EUlS13_E_NS1_11comp_targetILNS1_3genE2ELNS1_11target_archE906ELNS1_3gpuE6ELNS1_3repE0EEENS1_30default_config_static_selectorELNS0_4arch9wavefront6targetE1EEEvT1_
    .private_segment_fixed_size: 0
    .sgpr_count:     6
    .sgpr_spill_count: 0
    .symbol:         _ZN7rocprim17ROCPRIM_400000_NS6detail17trampoline_kernelINS0_14default_configENS1_33run_length_encode_config_selectorIbjNS0_4plusIjEEEEZZNS1_33reduce_by_key_impl_wrapped_configILNS1_25lookback_scan_determinismE0ES3_S7_N6hipcub16HIPCUB_304000_NS22TransformInputIteratorIbN2at6native8internal12_GLOBAL__N_110LoadBoolOpEPKhlEENS0_17constant_iteratorIjlEEPbPlSO_S6_NS0_8equal_toIbEEEE10hipError_tPvRmT2_T3_mT4_T5_T6_T7_T8_P12ihipStream_tbENKUlT_T0_E_clISt17integral_constantIbLb1EES18_EEDaS13_S14_EUlS13_E_NS1_11comp_targetILNS1_3genE2ELNS1_11target_archE906ELNS1_3gpuE6ELNS1_3repE0EEENS1_30default_config_static_selectorELNS0_4arch9wavefront6targetE1EEEvT1_.kd
    .uniform_work_group_size: 1
    .uses_dynamic_stack: false
    .vgpr_count:     0
    .vgpr_spill_count: 0
    .wavefront_size: 64
  - .agpr_count:     0
    .args:
      - .offset:         0
        .size:           136
        .value_kind:     by_value
    .group_segment_fixed_size: 0
    .kernarg_segment_align: 8
    .kernarg_segment_size: 136
    .language:       OpenCL C
    .language_version:
      - 2
      - 0
    .max_flat_workgroup_size: 384
    .name:           _ZN7rocprim17ROCPRIM_400000_NS6detail17trampoline_kernelINS0_14default_configENS1_33run_length_encode_config_selectorIbjNS0_4plusIjEEEEZZNS1_33reduce_by_key_impl_wrapped_configILNS1_25lookback_scan_determinismE0ES3_S7_N6hipcub16HIPCUB_304000_NS22TransformInputIteratorIbN2at6native8internal12_GLOBAL__N_110LoadBoolOpEPKhlEENS0_17constant_iteratorIjlEEPbPlSO_S6_NS0_8equal_toIbEEEE10hipError_tPvRmT2_T3_mT4_T5_T6_T7_T8_P12ihipStream_tbENKUlT_T0_E_clISt17integral_constantIbLb1EES18_EEDaS13_S14_EUlS13_E_NS1_11comp_targetILNS1_3genE10ELNS1_11target_archE1201ELNS1_3gpuE5ELNS1_3repE0EEENS1_30default_config_static_selectorELNS0_4arch9wavefront6targetE1EEEvT1_
    .private_segment_fixed_size: 0
    .sgpr_count:     6
    .sgpr_spill_count: 0
    .symbol:         _ZN7rocprim17ROCPRIM_400000_NS6detail17trampoline_kernelINS0_14default_configENS1_33run_length_encode_config_selectorIbjNS0_4plusIjEEEEZZNS1_33reduce_by_key_impl_wrapped_configILNS1_25lookback_scan_determinismE0ES3_S7_N6hipcub16HIPCUB_304000_NS22TransformInputIteratorIbN2at6native8internal12_GLOBAL__N_110LoadBoolOpEPKhlEENS0_17constant_iteratorIjlEEPbPlSO_S6_NS0_8equal_toIbEEEE10hipError_tPvRmT2_T3_mT4_T5_T6_T7_T8_P12ihipStream_tbENKUlT_T0_E_clISt17integral_constantIbLb1EES18_EEDaS13_S14_EUlS13_E_NS1_11comp_targetILNS1_3genE10ELNS1_11target_archE1201ELNS1_3gpuE5ELNS1_3repE0EEENS1_30default_config_static_selectorELNS0_4arch9wavefront6targetE1EEEvT1_.kd
    .uniform_work_group_size: 1
    .uses_dynamic_stack: false
    .vgpr_count:     0
    .vgpr_spill_count: 0
    .wavefront_size: 64
  - .agpr_count:     0
    .args:
      - .offset:         0
        .size:           136
        .value_kind:     by_value
    .group_segment_fixed_size: 0
    .kernarg_segment_align: 8
    .kernarg_segment_size: 136
    .language:       OpenCL C
    .language_version:
      - 2
      - 0
    .max_flat_workgroup_size: 384
    .name:           _ZN7rocprim17ROCPRIM_400000_NS6detail17trampoline_kernelINS0_14default_configENS1_33run_length_encode_config_selectorIbjNS0_4plusIjEEEEZZNS1_33reduce_by_key_impl_wrapped_configILNS1_25lookback_scan_determinismE0ES3_S7_N6hipcub16HIPCUB_304000_NS22TransformInputIteratorIbN2at6native8internal12_GLOBAL__N_110LoadBoolOpEPKhlEENS0_17constant_iteratorIjlEEPbPlSO_S6_NS0_8equal_toIbEEEE10hipError_tPvRmT2_T3_mT4_T5_T6_T7_T8_P12ihipStream_tbENKUlT_T0_E_clISt17integral_constantIbLb1EES18_EEDaS13_S14_EUlS13_E_NS1_11comp_targetILNS1_3genE10ELNS1_11target_archE1200ELNS1_3gpuE4ELNS1_3repE0EEENS1_30default_config_static_selectorELNS0_4arch9wavefront6targetE1EEEvT1_
    .private_segment_fixed_size: 0
    .sgpr_count:     6
    .sgpr_spill_count: 0
    .symbol:         _ZN7rocprim17ROCPRIM_400000_NS6detail17trampoline_kernelINS0_14default_configENS1_33run_length_encode_config_selectorIbjNS0_4plusIjEEEEZZNS1_33reduce_by_key_impl_wrapped_configILNS1_25lookback_scan_determinismE0ES3_S7_N6hipcub16HIPCUB_304000_NS22TransformInputIteratorIbN2at6native8internal12_GLOBAL__N_110LoadBoolOpEPKhlEENS0_17constant_iteratorIjlEEPbPlSO_S6_NS0_8equal_toIbEEEE10hipError_tPvRmT2_T3_mT4_T5_T6_T7_T8_P12ihipStream_tbENKUlT_T0_E_clISt17integral_constantIbLb1EES18_EEDaS13_S14_EUlS13_E_NS1_11comp_targetILNS1_3genE10ELNS1_11target_archE1200ELNS1_3gpuE4ELNS1_3repE0EEENS1_30default_config_static_selectorELNS0_4arch9wavefront6targetE1EEEvT1_.kd
    .uniform_work_group_size: 1
    .uses_dynamic_stack: false
    .vgpr_count:     0
    .vgpr_spill_count: 0
    .wavefront_size: 64
  - .agpr_count:     0
    .args:
      - .offset:         0
        .size:           136
        .value_kind:     by_value
    .group_segment_fixed_size: 0
    .kernarg_segment_align: 8
    .kernarg_segment_size: 136
    .language:       OpenCL C
    .language_version:
      - 2
      - 0
    .max_flat_workgroup_size: 384
    .name:           _ZN7rocprim17ROCPRIM_400000_NS6detail17trampoline_kernelINS0_14default_configENS1_33run_length_encode_config_selectorIbjNS0_4plusIjEEEEZZNS1_33reduce_by_key_impl_wrapped_configILNS1_25lookback_scan_determinismE0ES3_S7_N6hipcub16HIPCUB_304000_NS22TransformInputIteratorIbN2at6native8internal12_GLOBAL__N_110LoadBoolOpEPKhlEENS0_17constant_iteratorIjlEEPbPlSO_S6_NS0_8equal_toIbEEEE10hipError_tPvRmT2_T3_mT4_T5_T6_T7_T8_P12ihipStream_tbENKUlT_T0_E_clISt17integral_constantIbLb1EES18_EEDaS13_S14_EUlS13_E_NS1_11comp_targetILNS1_3genE9ELNS1_11target_archE1100ELNS1_3gpuE3ELNS1_3repE0EEENS1_30default_config_static_selectorELNS0_4arch9wavefront6targetE1EEEvT1_
    .private_segment_fixed_size: 0
    .sgpr_count:     6
    .sgpr_spill_count: 0
    .symbol:         _ZN7rocprim17ROCPRIM_400000_NS6detail17trampoline_kernelINS0_14default_configENS1_33run_length_encode_config_selectorIbjNS0_4plusIjEEEEZZNS1_33reduce_by_key_impl_wrapped_configILNS1_25lookback_scan_determinismE0ES3_S7_N6hipcub16HIPCUB_304000_NS22TransformInputIteratorIbN2at6native8internal12_GLOBAL__N_110LoadBoolOpEPKhlEENS0_17constant_iteratorIjlEEPbPlSO_S6_NS0_8equal_toIbEEEE10hipError_tPvRmT2_T3_mT4_T5_T6_T7_T8_P12ihipStream_tbENKUlT_T0_E_clISt17integral_constantIbLb1EES18_EEDaS13_S14_EUlS13_E_NS1_11comp_targetILNS1_3genE9ELNS1_11target_archE1100ELNS1_3gpuE3ELNS1_3repE0EEENS1_30default_config_static_selectorELNS0_4arch9wavefront6targetE1EEEvT1_.kd
    .uniform_work_group_size: 1
    .uses_dynamic_stack: false
    .vgpr_count:     0
    .vgpr_spill_count: 0
    .wavefront_size: 64
  - .agpr_count:     0
    .args:
      - .offset:         0
        .size:           136
        .value_kind:     by_value
    .group_segment_fixed_size: 0
    .kernarg_segment_align: 8
    .kernarg_segment_size: 136
    .language:       OpenCL C
    .language_version:
      - 2
      - 0
    .max_flat_workgroup_size: 384
    .name:           _ZN7rocprim17ROCPRIM_400000_NS6detail17trampoline_kernelINS0_14default_configENS1_33run_length_encode_config_selectorIbjNS0_4plusIjEEEEZZNS1_33reduce_by_key_impl_wrapped_configILNS1_25lookback_scan_determinismE0ES3_S7_N6hipcub16HIPCUB_304000_NS22TransformInputIteratorIbN2at6native8internal12_GLOBAL__N_110LoadBoolOpEPKhlEENS0_17constant_iteratorIjlEEPbPlSO_S6_NS0_8equal_toIbEEEE10hipError_tPvRmT2_T3_mT4_T5_T6_T7_T8_P12ihipStream_tbENKUlT_T0_E_clISt17integral_constantIbLb1EES18_EEDaS13_S14_EUlS13_E_NS1_11comp_targetILNS1_3genE8ELNS1_11target_archE1030ELNS1_3gpuE2ELNS1_3repE0EEENS1_30default_config_static_selectorELNS0_4arch9wavefront6targetE1EEEvT1_
    .private_segment_fixed_size: 0
    .sgpr_count:     6
    .sgpr_spill_count: 0
    .symbol:         _ZN7rocprim17ROCPRIM_400000_NS6detail17trampoline_kernelINS0_14default_configENS1_33run_length_encode_config_selectorIbjNS0_4plusIjEEEEZZNS1_33reduce_by_key_impl_wrapped_configILNS1_25lookback_scan_determinismE0ES3_S7_N6hipcub16HIPCUB_304000_NS22TransformInputIteratorIbN2at6native8internal12_GLOBAL__N_110LoadBoolOpEPKhlEENS0_17constant_iteratorIjlEEPbPlSO_S6_NS0_8equal_toIbEEEE10hipError_tPvRmT2_T3_mT4_T5_T6_T7_T8_P12ihipStream_tbENKUlT_T0_E_clISt17integral_constantIbLb1EES18_EEDaS13_S14_EUlS13_E_NS1_11comp_targetILNS1_3genE8ELNS1_11target_archE1030ELNS1_3gpuE2ELNS1_3repE0EEENS1_30default_config_static_selectorELNS0_4arch9wavefront6targetE1EEEvT1_.kd
    .uniform_work_group_size: 1
    .uses_dynamic_stack: false
    .vgpr_count:     0
    .vgpr_spill_count: 0
    .wavefront_size: 64
  - .agpr_count:     0
    .args:
      - .address_space:  global
        .offset:         0
        .size:           8
        .value_kind:     global_buffer
      - .offset:         8
        .size:           4
        .value_kind:     by_value
      - .offset:         12
        .size:           1
        .value_kind:     by_value
      - .offset:         16
        .size:           4
        .value_kind:     by_value
      - .address_space:  global
        .offset:         24
        .size:           8
        .value_kind:     global_buffer
      - .address_space:  global
        .offset:         32
        .size:           8
        .value_kind:     global_buffer
      - .offset:         40
        .size:           1
        .value_kind:     by_value
      - .offset:         48
        .size:           4
        .value_kind:     hidden_block_count_x
      - .offset:         52
        .size:           4
        .value_kind:     hidden_block_count_y
      - .offset:         56
        .size:           4
        .value_kind:     hidden_block_count_z
      - .offset:         60
        .size:           2
        .value_kind:     hidden_group_size_x
      - .offset:         62
        .size:           2
        .value_kind:     hidden_group_size_y
      - .offset:         64
        .size:           2
        .value_kind:     hidden_group_size_z
      - .offset:         66
        .size:           2
        .value_kind:     hidden_remainder_x
      - .offset:         68
        .size:           2
        .value_kind:     hidden_remainder_y
      - .offset:         70
        .size:           2
        .value_kind:     hidden_remainder_z
      - .offset:         88
        .size:           8
        .value_kind:     hidden_global_offset_x
      - .offset:         96
        .size:           8
        .value_kind:     hidden_global_offset_y
      - .offset:         104
        .size:           8
        .value_kind:     hidden_global_offset_z
      - .offset:         112
        .size:           2
        .value_kind:     hidden_grid_dims
    .group_segment_fixed_size: 0
    .kernarg_segment_align: 8
    .kernarg_segment_size: 304
    .language:       OpenCL C
    .language_version:
      - 2
      - 0
    .max_flat_workgroup_size: 256
    .name:           _ZN7rocprim17ROCPRIM_400000_NS6detail25reduce_by_key_init_kernelINS1_19lookback_scan_stateINS0_5tupleIJjjEEELb1ELb1EEEjNS1_16block_id_wrapperIjLb0EEEEEvT_jbjPmPT0_T1_
    .private_segment_fixed_size: 0
    .sgpr_count:     22
    .sgpr_spill_count: 0
    .symbol:         _ZN7rocprim17ROCPRIM_400000_NS6detail25reduce_by_key_init_kernelINS1_19lookback_scan_stateINS0_5tupleIJjjEEELb1ELb1EEEjNS1_16block_id_wrapperIjLb0EEEEEvT_jbjPmPT0_T1_.kd
    .uniform_work_group_size: 1
    .uses_dynamic_stack: false
    .vgpr_count:     10
    .vgpr_spill_count: 0
    .wavefront_size: 64
  - .agpr_count:     0
    .args:
      - .offset:         0
        .size:           136
        .value_kind:     by_value
    .group_segment_fixed_size: 0
    .kernarg_segment_align: 8
    .kernarg_segment_size: 136
    .language:       OpenCL C
    .language_version:
      - 2
      - 0
    .max_flat_workgroup_size: 256
    .name:           _ZN7rocprim17ROCPRIM_400000_NS6detail17trampoline_kernelINS0_14default_configENS1_33run_length_encode_config_selectorIbjNS0_4plusIjEEEEZZNS1_33reduce_by_key_impl_wrapped_configILNS1_25lookback_scan_determinismE0ES3_S7_N6hipcub16HIPCUB_304000_NS22TransformInputIteratorIbN2at6native8internal12_GLOBAL__N_110LoadBoolOpEPKhlEENS0_17constant_iteratorIjlEEPbPlSO_S6_NS0_8equal_toIbEEEE10hipError_tPvRmT2_T3_mT4_T5_T6_T7_T8_P12ihipStream_tbENKUlT_T0_E_clISt17integral_constantIbLb1EES17_IbLb0EEEEDaS13_S14_EUlS13_E_NS1_11comp_targetILNS1_3genE0ELNS1_11target_archE4294967295ELNS1_3gpuE0ELNS1_3repE0EEENS1_30default_config_static_selectorELNS0_4arch9wavefront6targetE1EEEvT1_
    .private_segment_fixed_size: 0
    .sgpr_count:     6
    .sgpr_spill_count: 0
    .symbol:         _ZN7rocprim17ROCPRIM_400000_NS6detail17trampoline_kernelINS0_14default_configENS1_33run_length_encode_config_selectorIbjNS0_4plusIjEEEEZZNS1_33reduce_by_key_impl_wrapped_configILNS1_25lookback_scan_determinismE0ES3_S7_N6hipcub16HIPCUB_304000_NS22TransformInputIteratorIbN2at6native8internal12_GLOBAL__N_110LoadBoolOpEPKhlEENS0_17constant_iteratorIjlEEPbPlSO_S6_NS0_8equal_toIbEEEE10hipError_tPvRmT2_T3_mT4_T5_T6_T7_T8_P12ihipStream_tbENKUlT_T0_E_clISt17integral_constantIbLb1EES17_IbLb0EEEEDaS13_S14_EUlS13_E_NS1_11comp_targetILNS1_3genE0ELNS1_11target_archE4294967295ELNS1_3gpuE0ELNS1_3repE0EEENS1_30default_config_static_selectorELNS0_4arch9wavefront6targetE1EEEvT1_.kd
    .uniform_work_group_size: 1
    .uses_dynamic_stack: false
    .vgpr_count:     0
    .vgpr_spill_count: 0
    .wavefront_size: 64
  - .agpr_count:     0
    .args:
      - .offset:         0
        .size:           136
        .value_kind:     by_value
    .group_segment_fixed_size: 30720
    .kernarg_segment_align: 8
    .kernarg_segment_size: 136
    .language:       OpenCL C
    .language_version:
      - 2
      - 0
    .max_flat_workgroup_size: 512
    .name:           _ZN7rocprim17ROCPRIM_400000_NS6detail17trampoline_kernelINS0_14default_configENS1_33run_length_encode_config_selectorIbjNS0_4plusIjEEEEZZNS1_33reduce_by_key_impl_wrapped_configILNS1_25lookback_scan_determinismE0ES3_S7_N6hipcub16HIPCUB_304000_NS22TransformInputIteratorIbN2at6native8internal12_GLOBAL__N_110LoadBoolOpEPKhlEENS0_17constant_iteratorIjlEEPbPlSO_S6_NS0_8equal_toIbEEEE10hipError_tPvRmT2_T3_mT4_T5_T6_T7_T8_P12ihipStream_tbENKUlT_T0_E_clISt17integral_constantIbLb1EES17_IbLb0EEEEDaS13_S14_EUlS13_E_NS1_11comp_targetILNS1_3genE5ELNS1_11target_archE942ELNS1_3gpuE9ELNS1_3repE0EEENS1_30default_config_static_selectorELNS0_4arch9wavefront6targetE1EEEvT1_
    .private_segment_fixed_size: 0
    .sgpr_count:     70
    .sgpr_spill_count: 0
    .symbol:         _ZN7rocprim17ROCPRIM_400000_NS6detail17trampoline_kernelINS0_14default_configENS1_33run_length_encode_config_selectorIbjNS0_4plusIjEEEEZZNS1_33reduce_by_key_impl_wrapped_configILNS1_25lookback_scan_determinismE0ES3_S7_N6hipcub16HIPCUB_304000_NS22TransformInputIteratorIbN2at6native8internal12_GLOBAL__N_110LoadBoolOpEPKhlEENS0_17constant_iteratorIjlEEPbPlSO_S6_NS0_8equal_toIbEEEE10hipError_tPvRmT2_T3_mT4_T5_T6_T7_T8_P12ihipStream_tbENKUlT_T0_E_clISt17integral_constantIbLb1EES17_IbLb0EEEEDaS13_S14_EUlS13_E_NS1_11comp_targetILNS1_3genE5ELNS1_11target_archE942ELNS1_3gpuE9ELNS1_3repE0EEENS1_30default_config_static_selectorELNS0_4arch9wavefront6targetE1EEEvT1_.kd
    .uniform_work_group_size: 1
    .uses_dynamic_stack: false
    .vgpr_count:     110
    .vgpr_spill_count: 0
    .wavefront_size: 64
  - .agpr_count:     0
    .args:
      - .offset:         0
        .size:           136
        .value_kind:     by_value
    .group_segment_fixed_size: 0
    .kernarg_segment_align: 8
    .kernarg_segment_size: 136
    .language:       OpenCL C
    .language_version:
      - 2
      - 0
    .max_flat_workgroup_size: 256
    .name:           _ZN7rocprim17ROCPRIM_400000_NS6detail17trampoline_kernelINS0_14default_configENS1_33run_length_encode_config_selectorIbjNS0_4plusIjEEEEZZNS1_33reduce_by_key_impl_wrapped_configILNS1_25lookback_scan_determinismE0ES3_S7_N6hipcub16HIPCUB_304000_NS22TransformInputIteratorIbN2at6native8internal12_GLOBAL__N_110LoadBoolOpEPKhlEENS0_17constant_iteratorIjlEEPbPlSO_S6_NS0_8equal_toIbEEEE10hipError_tPvRmT2_T3_mT4_T5_T6_T7_T8_P12ihipStream_tbENKUlT_T0_E_clISt17integral_constantIbLb1EES17_IbLb0EEEEDaS13_S14_EUlS13_E_NS1_11comp_targetILNS1_3genE4ELNS1_11target_archE910ELNS1_3gpuE8ELNS1_3repE0EEENS1_30default_config_static_selectorELNS0_4arch9wavefront6targetE1EEEvT1_
    .private_segment_fixed_size: 0
    .sgpr_count:     6
    .sgpr_spill_count: 0
    .symbol:         _ZN7rocprim17ROCPRIM_400000_NS6detail17trampoline_kernelINS0_14default_configENS1_33run_length_encode_config_selectorIbjNS0_4plusIjEEEEZZNS1_33reduce_by_key_impl_wrapped_configILNS1_25lookback_scan_determinismE0ES3_S7_N6hipcub16HIPCUB_304000_NS22TransformInputIteratorIbN2at6native8internal12_GLOBAL__N_110LoadBoolOpEPKhlEENS0_17constant_iteratorIjlEEPbPlSO_S6_NS0_8equal_toIbEEEE10hipError_tPvRmT2_T3_mT4_T5_T6_T7_T8_P12ihipStream_tbENKUlT_T0_E_clISt17integral_constantIbLb1EES17_IbLb0EEEEDaS13_S14_EUlS13_E_NS1_11comp_targetILNS1_3genE4ELNS1_11target_archE910ELNS1_3gpuE8ELNS1_3repE0EEENS1_30default_config_static_selectorELNS0_4arch9wavefront6targetE1EEEvT1_.kd
    .uniform_work_group_size: 1
    .uses_dynamic_stack: false
    .vgpr_count:     0
    .vgpr_spill_count: 0
    .wavefront_size: 64
  - .agpr_count:     0
    .args:
      - .offset:         0
        .size:           136
        .value_kind:     by_value
    .group_segment_fixed_size: 0
    .kernarg_segment_align: 8
    .kernarg_segment_size: 136
    .language:       OpenCL C
    .language_version:
      - 2
      - 0
    .max_flat_workgroup_size: 256
    .name:           _ZN7rocprim17ROCPRIM_400000_NS6detail17trampoline_kernelINS0_14default_configENS1_33run_length_encode_config_selectorIbjNS0_4plusIjEEEEZZNS1_33reduce_by_key_impl_wrapped_configILNS1_25lookback_scan_determinismE0ES3_S7_N6hipcub16HIPCUB_304000_NS22TransformInputIteratorIbN2at6native8internal12_GLOBAL__N_110LoadBoolOpEPKhlEENS0_17constant_iteratorIjlEEPbPlSO_S6_NS0_8equal_toIbEEEE10hipError_tPvRmT2_T3_mT4_T5_T6_T7_T8_P12ihipStream_tbENKUlT_T0_E_clISt17integral_constantIbLb1EES17_IbLb0EEEEDaS13_S14_EUlS13_E_NS1_11comp_targetILNS1_3genE3ELNS1_11target_archE908ELNS1_3gpuE7ELNS1_3repE0EEENS1_30default_config_static_selectorELNS0_4arch9wavefront6targetE1EEEvT1_
    .private_segment_fixed_size: 0
    .sgpr_count:     6
    .sgpr_spill_count: 0
    .symbol:         _ZN7rocprim17ROCPRIM_400000_NS6detail17trampoline_kernelINS0_14default_configENS1_33run_length_encode_config_selectorIbjNS0_4plusIjEEEEZZNS1_33reduce_by_key_impl_wrapped_configILNS1_25lookback_scan_determinismE0ES3_S7_N6hipcub16HIPCUB_304000_NS22TransformInputIteratorIbN2at6native8internal12_GLOBAL__N_110LoadBoolOpEPKhlEENS0_17constant_iteratorIjlEEPbPlSO_S6_NS0_8equal_toIbEEEE10hipError_tPvRmT2_T3_mT4_T5_T6_T7_T8_P12ihipStream_tbENKUlT_T0_E_clISt17integral_constantIbLb1EES17_IbLb0EEEEDaS13_S14_EUlS13_E_NS1_11comp_targetILNS1_3genE3ELNS1_11target_archE908ELNS1_3gpuE7ELNS1_3repE0EEENS1_30default_config_static_selectorELNS0_4arch9wavefront6targetE1EEEvT1_.kd
    .uniform_work_group_size: 1
    .uses_dynamic_stack: false
    .vgpr_count:     0
    .vgpr_spill_count: 0
    .wavefront_size: 64
  - .agpr_count:     0
    .args:
      - .offset:         0
        .size:           136
        .value_kind:     by_value
    .group_segment_fixed_size: 0
    .kernarg_segment_align: 8
    .kernarg_segment_size: 136
    .language:       OpenCL C
    .language_version:
      - 2
      - 0
    .max_flat_workgroup_size: 256
    .name:           _ZN7rocprim17ROCPRIM_400000_NS6detail17trampoline_kernelINS0_14default_configENS1_33run_length_encode_config_selectorIbjNS0_4plusIjEEEEZZNS1_33reduce_by_key_impl_wrapped_configILNS1_25lookback_scan_determinismE0ES3_S7_N6hipcub16HIPCUB_304000_NS22TransformInputIteratorIbN2at6native8internal12_GLOBAL__N_110LoadBoolOpEPKhlEENS0_17constant_iteratorIjlEEPbPlSO_S6_NS0_8equal_toIbEEEE10hipError_tPvRmT2_T3_mT4_T5_T6_T7_T8_P12ihipStream_tbENKUlT_T0_E_clISt17integral_constantIbLb1EES17_IbLb0EEEEDaS13_S14_EUlS13_E_NS1_11comp_targetILNS1_3genE2ELNS1_11target_archE906ELNS1_3gpuE6ELNS1_3repE0EEENS1_30default_config_static_selectorELNS0_4arch9wavefront6targetE1EEEvT1_
    .private_segment_fixed_size: 0
    .sgpr_count:     6
    .sgpr_spill_count: 0
    .symbol:         _ZN7rocprim17ROCPRIM_400000_NS6detail17trampoline_kernelINS0_14default_configENS1_33run_length_encode_config_selectorIbjNS0_4plusIjEEEEZZNS1_33reduce_by_key_impl_wrapped_configILNS1_25lookback_scan_determinismE0ES3_S7_N6hipcub16HIPCUB_304000_NS22TransformInputIteratorIbN2at6native8internal12_GLOBAL__N_110LoadBoolOpEPKhlEENS0_17constant_iteratorIjlEEPbPlSO_S6_NS0_8equal_toIbEEEE10hipError_tPvRmT2_T3_mT4_T5_T6_T7_T8_P12ihipStream_tbENKUlT_T0_E_clISt17integral_constantIbLb1EES17_IbLb0EEEEDaS13_S14_EUlS13_E_NS1_11comp_targetILNS1_3genE2ELNS1_11target_archE906ELNS1_3gpuE6ELNS1_3repE0EEENS1_30default_config_static_selectorELNS0_4arch9wavefront6targetE1EEEvT1_.kd
    .uniform_work_group_size: 1
    .uses_dynamic_stack: false
    .vgpr_count:     0
    .vgpr_spill_count: 0
    .wavefront_size: 64
  - .agpr_count:     0
    .args:
      - .offset:         0
        .size:           136
        .value_kind:     by_value
    .group_segment_fixed_size: 0
    .kernarg_segment_align: 8
    .kernarg_segment_size: 136
    .language:       OpenCL C
    .language_version:
      - 2
      - 0
    .max_flat_workgroup_size: 384
    .name:           _ZN7rocprim17ROCPRIM_400000_NS6detail17trampoline_kernelINS0_14default_configENS1_33run_length_encode_config_selectorIbjNS0_4plusIjEEEEZZNS1_33reduce_by_key_impl_wrapped_configILNS1_25lookback_scan_determinismE0ES3_S7_N6hipcub16HIPCUB_304000_NS22TransformInputIteratorIbN2at6native8internal12_GLOBAL__N_110LoadBoolOpEPKhlEENS0_17constant_iteratorIjlEEPbPlSO_S6_NS0_8equal_toIbEEEE10hipError_tPvRmT2_T3_mT4_T5_T6_T7_T8_P12ihipStream_tbENKUlT_T0_E_clISt17integral_constantIbLb1EES17_IbLb0EEEEDaS13_S14_EUlS13_E_NS1_11comp_targetILNS1_3genE10ELNS1_11target_archE1201ELNS1_3gpuE5ELNS1_3repE0EEENS1_30default_config_static_selectorELNS0_4arch9wavefront6targetE1EEEvT1_
    .private_segment_fixed_size: 0
    .sgpr_count:     6
    .sgpr_spill_count: 0
    .symbol:         _ZN7rocprim17ROCPRIM_400000_NS6detail17trampoline_kernelINS0_14default_configENS1_33run_length_encode_config_selectorIbjNS0_4plusIjEEEEZZNS1_33reduce_by_key_impl_wrapped_configILNS1_25lookback_scan_determinismE0ES3_S7_N6hipcub16HIPCUB_304000_NS22TransformInputIteratorIbN2at6native8internal12_GLOBAL__N_110LoadBoolOpEPKhlEENS0_17constant_iteratorIjlEEPbPlSO_S6_NS0_8equal_toIbEEEE10hipError_tPvRmT2_T3_mT4_T5_T6_T7_T8_P12ihipStream_tbENKUlT_T0_E_clISt17integral_constantIbLb1EES17_IbLb0EEEEDaS13_S14_EUlS13_E_NS1_11comp_targetILNS1_3genE10ELNS1_11target_archE1201ELNS1_3gpuE5ELNS1_3repE0EEENS1_30default_config_static_selectorELNS0_4arch9wavefront6targetE1EEEvT1_.kd
    .uniform_work_group_size: 1
    .uses_dynamic_stack: false
    .vgpr_count:     0
    .vgpr_spill_count: 0
    .wavefront_size: 64
  - .agpr_count:     0
    .args:
      - .offset:         0
        .size:           136
        .value_kind:     by_value
    .group_segment_fixed_size: 0
    .kernarg_segment_align: 8
    .kernarg_segment_size: 136
    .language:       OpenCL C
    .language_version:
      - 2
      - 0
    .max_flat_workgroup_size: 384
    .name:           _ZN7rocprim17ROCPRIM_400000_NS6detail17trampoline_kernelINS0_14default_configENS1_33run_length_encode_config_selectorIbjNS0_4plusIjEEEEZZNS1_33reduce_by_key_impl_wrapped_configILNS1_25lookback_scan_determinismE0ES3_S7_N6hipcub16HIPCUB_304000_NS22TransformInputIteratorIbN2at6native8internal12_GLOBAL__N_110LoadBoolOpEPKhlEENS0_17constant_iteratorIjlEEPbPlSO_S6_NS0_8equal_toIbEEEE10hipError_tPvRmT2_T3_mT4_T5_T6_T7_T8_P12ihipStream_tbENKUlT_T0_E_clISt17integral_constantIbLb1EES17_IbLb0EEEEDaS13_S14_EUlS13_E_NS1_11comp_targetILNS1_3genE10ELNS1_11target_archE1200ELNS1_3gpuE4ELNS1_3repE0EEENS1_30default_config_static_selectorELNS0_4arch9wavefront6targetE1EEEvT1_
    .private_segment_fixed_size: 0
    .sgpr_count:     6
    .sgpr_spill_count: 0
    .symbol:         _ZN7rocprim17ROCPRIM_400000_NS6detail17trampoline_kernelINS0_14default_configENS1_33run_length_encode_config_selectorIbjNS0_4plusIjEEEEZZNS1_33reduce_by_key_impl_wrapped_configILNS1_25lookback_scan_determinismE0ES3_S7_N6hipcub16HIPCUB_304000_NS22TransformInputIteratorIbN2at6native8internal12_GLOBAL__N_110LoadBoolOpEPKhlEENS0_17constant_iteratorIjlEEPbPlSO_S6_NS0_8equal_toIbEEEE10hipError_tPvRmT2_T3_mT4_T5_T6_T7_T8_P12ihipStream_tbENKUlT_T0_E_clISt17integral_constantIbLb1EES17_IbLb0EEEEDaS13_S14_EUlS13_E_NS1_11comp_targetILNS1_3genE10ELNS1_11target_archE1200ELNS1_3gpuE4ELNS1_3repE0EEENS1_30default_config_static_selectorELNS0_4arch9wavefront6targetE1EEEvT1_.kd
    .uniform_work_group_size: 1
    .uses_dynamic_stack: false
    .vgpr_count:     0
    .vgpr_spill_count: 0
    .wavefront_size: 64
  - .agpr_count:     0
    .args:
      - .offset:         0
        .size:           136
        .value_kind:     by_value
    .group_segment_fixed_size: 0
    .kernarg_segment_align: 8
    .kernarg_segment_size: 136
    .language:       OpenCL C
    .language_version:
      - 2
      - 0
    .max_flat_workgroup_size: 384
    .name:           _ZN7rocprim17ROCPRIM_400000_NS6detail17trampoline_kernelINS0_14default_configENS1_33run_length_encode_config_selectorIbjNS0_4plusIjEEEEZZNS1_33reduce_by_key_impl_wrapped_configILNS1_25lookback_scan_determinismE0ES3_S7_N6hipcub16HIPCUB_304000_NS22TransformInputIteratorIbN2at6native8internal12_GLOBAL__N_110LoadBoolOpEPKhlEENS0_17constant_iteratorIjlEEPbPlSO_S6_NS0_8equal_toIbEEEE10hipError_tPvRmT2_T3_mT4_T5_T6_T7_T8_P12ihipStream_tbENKUlT_T0_E_clISt17integral_constantIbLb1EES17_IbLb0EEEEDaS13_S14_EUlS13_E_NS1_11comp_targetILNS1_3genE9ELNS1_11target_archE1100ELNS1_3gpuE3ELNS1_3repE0EEENS1_30default_config_static_selectorELNS0_4arch9wavefront6targetE1EEEvT1_
    .private_segment_fixed_size: 0
    .sgpr_count:     6
    .sgpr_spill_count: 0
    .symbol:         _ZN7rocprim17ROCPRIM_400000_NS6detail17trampoline_kernelINS0_14default_configENS1_33run_length_encode_config_selectorIbjNS0_4plusIjEEEEZZNS1_33reduce_by_key_impl_wrapped_configILNS1_25lookback_scan_determinismE0ES3_S7_N6hipcub16HIPCUB_304000_NS22TransformInputIteratorIbN2at6native8internal12_GLOBAL__N_110LoadBoolOpEPKhlEENS0_17constant_iteratorIjlEEPbPlSO_S6_NS0_8equal_toIbEEEE10hipError_tPvRmT2_T3_mT4_T5_T6_T7_T8_P12ihipStream_tbENKUlT_T0_E_clISt17integral_constantIbLb1EES17_IbLb0EEEEDaS13_S14_EUlS13_E_NS1_11comp_targetILNS1_3genE9ELNS1_11target_archE1100ELNS1_3gpuE3ELNS1_3repE0EEENS1_30default_config_static_selectorELNS0_4arch9wavefront6targetE1EEEvT1_.kd
    .uniform_work_group_size: 1
    .uses_dynamic_stack: false
    .vgpr_count:     0
    .vgpr_spill_count: 0
    .wavefront_size: 64
  - .agpr_count:     0
    .args:
      - .offset:         0
        .size:           136
        .value_kind:     by_value
    .group_segment_fixed_size: 0
    .kernarg_segment_align: 8
    .kernarg_segment_size: 136
    .language:       OpenCL C
    .language_version:
      - 2
      - 0
    .max_flat_workgroup_size: 384
    .name:           _ZN7rocprim17ROCPRIM_400000_NS6detail17trampoline_kernelINS0_14default_configENS1_33run_length_encode_config_selectorIbjNS0_4plusIjEEEEZZNS1_33reduce_by_key_impl_wrapped_configILNS1_25lookback_scan_determinismE0ES3_S7_N6hipcub16HIPCUB_304000_NS22TransformInputIteratorIbN2at6native8internal12_GLOBAL__N_110LoadBoolOpEPKhlEENS0_17constant_iteratorIjlEEPbPlSO_S6_NS0_8equal_toIbEEEE10hipError_tPvRmT2_T3_mT4_T5_T6_T7_T8_P12ihipStream_tbENKUlT_T0_E_clISt17integral_constantIbLb1EES17_IbLb0EEEEDaS13_S14_EUlS13_E_NS1_11comp_targetILNS1_3genE8ELNS1_11target_archE1030ELNS1_3gpuE2ELNS1_3repE0EEENS1_30default_config_static_selectorELNS0_4arch9wavefront6targetE1EEEvT1_
    .private_segment_fixed_size: 0
    .sgpr_count:     6
    .sgpr_spill_count: 0
    .symbol:         _ZN7rocprim17ROCPRIM_400000_NS6detail17trampoline_kernelINS0_14default_configENS1_33run_length_encode_config_selectorIbjNS0_4plusIjEEEEZZNS1_33reduce_by_key_impl_wrapped_configILNS1_25lookback_scan_determinismE0ES3_S7_N6hipcub16HIPCUB_304000_NS22TransformInputIteratorIbN2at6native8internal12_GLOBAL__N_110LoadBoolOpEPKhlEENS0_17constant_iteratorIjlEEPbPlSO_S6_NS0_8equal_toIbEEEE10hipError_tPvRmT2_T3_mT4_T5_T6_T7_T8_P12ihipStream_tbENKUlT_T0_E_clISt17integral_constantIbLb1EES17_IbLb0EEEEDaS13_S14_EUlS13_E_NS1_11comp_targetILNS1_3genE8ELNS1_11target_archE1030ELNS1_3gpuE2ELNS1_3repE0EEENS1_30default_config_static_selectorELNS0_4arch9wavefront6targetE1EEEvT1_.kd
    .uniform_work_group_size: 1
    .uses_dynamic_stack: false
    .vgpr_count:     0
    .vgpr_spill_count: 0
    .wavefront_size: 64
  - .agpr_count:     0
    .args:
      - .address_space:  global
        .offset:         0
        .size:           8
        .value_kind:     global_buffer
      - .offset:         8
        .size:           4
        .value_kind:     by_value
      - .offset:         12
        .size:           1
        .value_kind:     by_value
      - .offset:         16
        .size:           4
        .value_kind:     by_value
      - .address_space:  global
        .offset:         24
        .size:           8
        .value_kind:     global_buffer
      - .address_space:  global
        .offset:         32
        .size:           8
        .value_kind:     global_buffer
      - .address_space:  global
        .offset:         40
        .size:           8
        .value_kind:     global_buffer
      - .offset:         48
        .size:           4
        .value_kind:     hidden_block_count_x
      - .offset:         52
        .size:           4
        .value_kind:     hidden_block_count_y
      - .offset:         56
        .size:           4
        .value_kind:     hidden_block_count_z
      - .offset:         60
        .size:           2
        .value_kind:     hidden_group_size_x
      - .offset:         62
        .size:           2
        .value_kind:     hidden_group_size_y
      - .offset:         64
        .size:           2
        .value_kind:     hidden_group_size_z
      - .offset:         66
        .size:           2
        .value_kind:     hidden_remainder_x
      - .offset:         68
        .size:           2
        .value_kind:     hidden_remainder_y
      - .offset:         70
        .size:           2
        .value_kind:     hidden_remainder_z
      - .offset:         88
        .size:           8
        .value_kind:     hidden_global_offset_x
      - .offset:         96
        .size:           8
        .value_kind:     hidden_global_offset_y
      - .offset:         104
        .size:           8
        .value_kind:     hidden_global_offset_z
      - .offset:         112
        .size:           2
        .value_kind:     hidden_grid_dims
    .group_segment_fixed_size: 0
    .kernarg_segment_align: 8
    .kernarg_segment_size: 304
    .language:       OpenCL C
    .language_version:
      - 2
      - 0
    .max_flat_workgroup_size: 256
    .name:           _ZN7rocprim17ROCPRIM_400000_NS6detail25reduce_by_key_init_kernelINS1_19lookback_scan_stateINS0_5tupleIJjjEEELb0ELb1EEEjNS1_16block_id_wrapperIjLb1EEEEEvT_jbjPmPT0_T1_
    .private_segment_fixed_size: 0
    .sgpr_count:     24
    .sgpr_spill_count: 0
    .symbol:         _ZN7rocprim17ROCPRIM_400000_NS6detail25reduce_by_key_init_kernelINS1_19lookback_scan_stateINS0_5tupleIJjjEEELb0ELb1EEEjNS1_16block_id_wrapperIjLb1EEEEEvT_jbjPmPT0_T1_.kd
    .uniform_work_group_size: 1
    .uses_dynamic_stack: false
    .vgpr_count:     10
    .vgpr_spill_count: 0
    .wavefront_size: 64
  - .agpr_count:     0
    .args:
      - .offset:         0
        .size:           136
        .value_kind:     by_value
    .group_segment_fixed_size: 0
    .kernarg_segment_align: 8
    .kernarg_segment_size: 136
    .language:       OpenCL C
    .language_version:
      - 2
      - 0
    .max_flat_workgroup_size: 256
    .name:           _ZN7rocprim17ROCPRIM_400000_NS6detail17trampoline_kernelINS0_14default_configENS1_33run_length_encode_config_selectorIbjNS0_4plusIjEEEEZZNS1_33reduce_by_key_impl_wrapped_configILNS1_25lookback_scan_determinismE0ES3_S7_N6hipcub16HIPCUB_304000_NS22TransformInputIteratorIbN2at6native8internal12_GLOBAL__N_110LoadBoolOpEPKhlEENS0_17constant_iteratorIjlEEPbPlSO_S6_NS0_8equal_toIbEEEE10hipError_tPvRmT2_T3_mT4_T5_T6_T7_T8_P12ihipStream_tbENKUlT_T0_E_clISt17integral_constantIbLb0EES17_IbLb1EEEEDaS13_S14_EUlS13_E_NS1_11comp_targetILNS1_3genE0ELNS1_11target_archE4294967295ELNS1_3gpuE0ELNS1_3repE0EEENS1_30default_config_static_selectorELNS0_4arch9wavefront6targetE1EEEvT1_
    .private_segment_fixed_size: 0
    .sgpr_count:     6
    .sgpr_spill_count: 0
    .symbol:         _ZN7rocprim17ROCPRIM_400000_NS6detail17trampoline_kernelINS0_14default_configENS1_33run_length_encode_config_selectorIbjNS0_4plusIjEEEEZZNS1_33reduce_by_key_impl_wrapped_configILNS1_25lookback_scan_determinismE0ES3_S7_N6hipcub16HIPCUB_304000_NS22TransformInputIteratorIbN2at6native8internal12_GLOBAL__N_110LoadBoolOpEPKhlEENS0_17constant_iteratorIjlEEPbPlSO_S6_NS0_8equal_toIbEEEE10hipError_tPvRmT2_T3_mT4_T5_T6_T7_T8_P12ihipStream_tbENKUlT_T0_E_clISt17integral_constantIbLb0EES17_IbLb1EEEEDaS13_S14_EUlS13_E_NS1_11comp_targetILNS1_3genE0ELNS1_11target_archE4294967295ELNS1_3gpuE0ELNS1_3repE0EEENS1_30default_config_static_selectorELNS0_4arch9wavefront6targetE1EEEvT1_.kd
    .uniform_work_group_size: 1
    .uses_dynamic_stack: false
    .vgpr_count:     0
    .vgpr_spill_count: 0
    .wavefront_size: 64
  - .agpr_count:     0
    .args:
      - .offset:         0
        .size:           136
        .value_kind:     by_value
    .group_segment_fixed_size: 30720
    .kernarg_segment_align: 8
    .kernarg_segment_size: 136
    .language:       OpenCL C
    .language_version:
      - 2
      - 0
    .max_flat_workgroup_size: 512
    .name:           _ZN7rocprim17ROCPRIM_400000_NS6detail17trampoline_kernelINS0_14default_configENS1_33run_length_encode_config_selectorIbjNS0_4plusIjEEEEZZNS1_33reduce_by_key_impl_wrapped_configILNS1_25lookback_scan_determinismE0ES3_S7_N6hipcub16HIPCUB_304000_NS22TransformInputIteratorIbN2at6native8internal12_GLOBAL__N_110LoadBoolOpEPKhlEENS0_17constant_iteratorIjlEEPbPlSO_S6_NS0_8equal_toIbEEEE10hipError_tPvRmT2_T3_mT4_T5_T6_T7_T8_P12ihipStream_tbENKUlT_T0_E_clISt17integral_constantIbLb0EES17_IbLb1EEEEDaS13_S14_EUlS13_E_NS1_11comp_targetILNS1_3genE5ELNS1_11target_archE942ELNS1_3gpuE9ELNS1_3repE0EEENS1_30default_config_static_selectorELNS0_4arch9wavefront6targetE1EEEvT1_
    .private_segment_fixed_size: 0
    .sgpr_count:     85
    .sgpr_spill_count: 0
    .symbol:         _ZN7rocprim17ROCPRIM_400000_NS6detail17trampoline_kernelINS0_14default_configENS1_33run_length_encode_config_selectorIbjNS0_4plusIjEEEEZZNS1_33reduce_by_key_impl_wrapped_configILNS1_25lookback_scan_determinismE0ES3_S7_N6hipcub16HIPCUB_304000_NS22TransformInputIteratorIbN2at6native8internal12_GLOBAL__N_110LoadBoolOpEPKhlEENS0_17constant_iteratorIjlEEPbPlSO_S6_NS0_8equal_toIbEEEE10hipError_tPvRmT2_T3_mT4_T5_T6_T7_T8_P12ihipStream_tbENKUlT_T0_E_clISt17integral_constantIbLb0EES17_IbLb1EEEEDaS13_S14_EUlS13_E_NS1_11comp_targetILNS1_3genE5ELNS1_11target_archE942ELNS1_3gpuE9ELNS1_3repE0EEENS1_30default_config_static_selectorELNS0_4arch9wavefront6targetE1EEEvT1_.kd
    .uniform_work_group_size: 1
    .uses_dynamic_stack: false
    .vgpr_count:     109
    .vgpr_spill_count: 0
    .wavefront_size: 64
  - .agpr_count:     0
    .args:
      - .offset:         0
        .size:           136
        .value_kind:     by_value
    .group_segment_fixed_size: 0
    .kernarg_segment_align: 8
    .kernarg_segment_size: 136
    .language:       OpenCL C
    .language_version:
      - 2
      - 0
    .max_flat_workgroup_size: 256
    .name:           _ZN7rocprim17ROCPRIM_400000_NS6detail17trampoline_kernelINS0_14default_configENS1_33run_length_encode_config_selectorIbjNS0_4plusIjEEEEZZNS1_33reduce_by_key_impl_wrapped_configILNS1_25lookback_scan_determinismE0ES3_S7_N6hipcub16HIPCUB_304000_NS22TransformInputIteratorIbN2at6native8internal12_GLOBAL__N_110LoadBoolOpEPKhlEENS0_17constant_iteratorIjlEEPbPlSO_S6_NS0_8equal_toIbEEEE10hipError_tPvRmT2_T3_mT4_T5_T6_T7_T8_P12ihipStream_tbENKUlT_T0_E_clISt17integral_constantIbLb0EES17_IbLb1EEEEDaS13_S14_EUlS13_E_NS1_11comp_targetILNS1_3genE4ELNS1_11target_archE910ELNS1_3gpuE8ELNS1_3repE0EEENS1_30default_config_static_selectorELNS0_4arch9wavefront6targetE1EEEvT1_
    .private_segment_fixed_size: 0
    .sgpr_count:     6
    .sgpr_spill_count: 0
    .symbol:         _ZN7rocprim17ROCPRIM_400000_NS6detail17trampoline_kernelINS0_14default_configENS1_33run_length_encode_config_selectorIbjNS0_4plusIjEEEEZZNS1_33reduce_by_key_impl_wrapped_configILNS1_25lookback_scan_determinismE0ES3_S7_N6hipcub16HIPCUB_304000_NS22TransformInputIteratorIbN2at6native8internal12_GLOBAL__N_110LoadBoolOpEPKhlEENS0_17constant_iteratorIjlEEPbPlSO_S6_NS0_8equal_toIbEEEE10hipError_tPvRmT2_T3_mT4_T5_T6_T7_T8_P12ihipStream_tbENKUlT_T0_E_clISt17integral_constantIbLb0EES17_IbLb1EEEEDaS13_S14_EUlS13_E_NS1_11comp_targetILNS1_3genE4ELNS1_11target_archE910ELNS1_3gpuE8ELNS1_3repE0EEENS1_30default_config_static_selectorELNS0_4arch9wavefront6targetE1EEEvT1_.kd
    .uniform_work_group_size: 1
    .uses_dynamic_stack: false
    .vgpr_count:     0
    .vgpr_spill_count: 0
    .wavefront_size: 64
  - .agpr_count:     0
    .args:
      - .offset:         0
        .size:           136
        .value_kind:     by_value
    .group_segment_fixed_size: 0
    .kernarg_segment_align: 8
    .kernarg_segment_size: 136
    .language:       OpenCL C
    .language_version:
      - 2
      - 0
    .max_flat_workgroup_size: 256
    .name:           _ZN7rocprim17ROCPRIM_400000_NS6detail17trampoline_kernelINS0_14default_configENS1_33run_length_encode_config_selectorIbjNS0_4plusIjEEEEZZNS1_33reduce_by_key_impl_wrapped_configILNS1_25lookback_scan_determinismE0ES3_S7_N6hipcub16HIPCUB_304000_NS22TransformInputIteratorIbN2at6native8internal12_GLOBAL__N_110LoadBoolOpEPKhlEENS0_17constant_iteratorIjlEEPbPlSO_S6_NS0_8equal_toIbEEEE10hipError_tPvRmT2_T3_mT4_T5_T6_T7_T8_P12ihipStream_tbENKUlT_T0_E_clISt17integral_constantIbLb0EES17_IbLb1EEEEDaS13_S14_EUlS13_E_NS1_11comp_targetILNS1_3genE3ELNS1_11target_archE908ELNS1_3gpuE7ELNS1_3repE0EEENS1_30default_config_static_selectorELNS0_4arch9wavefront6targetE1EEEvT1_
    .private_segment_fixed_size: 0
    .sgpr_count:     6
    .sgpr_spill_count: 0
    .symbol:         _ZN7rocprim17ROCPRIM_400000_NS6detail17trampoline_kernelINS0_14default_configENS1_33run_length_encode_config_selectorIbjNS0_4plusIjEEEEZZNS1_33reduce_by_key_impl_wrapped_configILNS1_25lookback_scan_determinismE0ES3_S7_N6hipcub16HIPCUB_304000_NS22TransformInputIteratorIbN2at6native8internal12_GLOBAL__N_110LoadBoolOpEPKhlEENS0_17constant_iteratorIjlEEPbPlSO_S6_NS0_8equal_toIbEEEE10hipError_tPvRmT2_T3_mT4_T5_T6_T7_T8_P12ihipStream_tbENKUlT_T0_E_clISt17integral_constantIbLb0EES17_IbLb1EEEEDaS13_S14_EUlS13_E_NS1_11comp_targetILNS1_3genE3ELNS1_11target_archE908ELNS1_3gpuE7ELNS1_3repE0EEENS1_30default_config_static_selectorELNS0_4arch9wavefront6targetE1EEEvT1_.kd
    .uniform_work_group_size: 1
    .uses_dynamic_stack: false
    .vgpr_count:     0
    .vgpr_spill_count: 0
    .wavefront_size: 64
  - .agpr_count:     0
    .args:
      - .offset:         0
        .size:           136
        .value_kind:     by_value
    .group_segment_fixed_size: 0
    .kernarg_segment_align: 8
    .kernarg_segment_size: 136
    .language:       OpenCL C
    .language_version:
      - 2
      - 0
    .max_flat_workgroup_size: 256
    .name:           _ZN7rocprim17ROCPRIM_400000_NS6detail17trampoline_kernelINS0_14default_configENS1_33run_length_encode_config_selectorIbjNS0_4plusIjEEEEZZNS1_33reduce_by_key_impl_wrapped_configILNS1_25lookback_scan_determinismE0ES3_S7_N6hipcub16HIPCUB_304000_NS22TransformInputIteratorIbN2at6native8internal12_GLOBAL__N_110LoadBoolOpEPKhlEENS0_17constant_iteratorIjlEEPbPlSO_S6_NS0_8equal_toIbEEEE10hipError_tPvRmT2_T3_mT4_T5_T6_T7_T8_P12ihipStream_tbENKUlT_T0_E_clISt17integral_constantIbLb0EES17_IbLb1EEEEDaS13_S14_EUlS13_E_NS1_11comp_targetILNS1_3genE2ELNS1_11target_archE906ELNS1_3gpuE6ELNS1_3repE0EEENS1_30default_config_static_selectorELNS0_4arch9wavefront6targetE1EEEvT1_
    .private_segment_fixed_size: 0
    .sgpr_count:     6
    .sgpr_spill_count: 0
    .symbol:         _ZN7rocprim17ROCPRIM_400000_NS6detail17trampoline_kernelINS0_14default_configENS1_33run_length_encode_config_selectorIbjNS0_4plusIjEEEEZZNS1_33reduce_by_key_impl_wrapped_configILNS1_25lookback_scan_determinismE0ES3_S7_N6hipcub16HIPCUB_304000_NS22TransformInputIteratorIbN2at6native8internal12_GLOBAL__N_110LoadBoolOpEPKhlEENS0_17constant_iteratorIjlEEPbPlSO_S6_NS0_8equal_toIbEEEE10hipError_tPvRmT2_T3_mT4_T5_T6_T7_T8_P12ihipStream_tbENKUlT_T0_E_clISt17integral_constantIbLb0EES17_IbLb1EEEEDaS13_S14_EUlS13_E_NS1_11comp_targetILNS1_3genE2ELNS1_11target_archE906ELNS1_3gpuE6ELNS1_3repE0EEENS1_30default_config_static_selectorELNS0_4arch9wavefront6targetE1EEEvT1_.kd
    .uniform_work_group_size: 1
    .uses_dynamic_stack: false
    .vgpr_count:     0
    .vgpr_spill_count: 0
    .wavefront_size: 64
  - .agpr_count:     0
    .args:
      - .offset:         0
        .size:           136
        .value_kind:     by_value
    .group_segment_fixed_size: 0
    .kernarg_segment_align: 8
    .kernarg_segment_size: 136
    .language:       OpenCL C
    .language_version:
      - 2
      - 0
    .max_flat_workgroup_size: 384
    .name:           _ZN7rocprim17ROCPRIM_400000_NS6detail17trampoline_kernelINS0_14default_configENS1_33run_length_encode_config_selectorIbjNS0_4plusIjEEEEZZNS1_33reduce_by_key_impl_wrapped_configILNS1_25lookback_scan_determinismE0ES3_S7_N6hipcub16HIPCUB_304000_NS22TransformInputIteratorIbN2at6native8internal12_GLOBAL__N_110LoadBoolOpEPKhlEENS0_17constant_iteratorIjlEEPbPlSO_S6_NS0_8equal_toIbEEEE10hipError_tPvRmT2_T3_mT4_T5_T6_T7_T8_P12ihipStream_tbENKUlT_T0_E_clISt17integral_constantIbLb0EES17_IbLb1EEEEDaS13_S14_EUlS13_E_NS1_11comp_targetILNS1_3genE10ELNS1_11target_archE1201ELNS1_3gpuE5ELNS1_3repE0EEENS1_30default_config_static_selectorELNS0_4arch9wavefront6targetE1EEEvT1_
    .private_segment_fixed_size: 0
    .sgpr_count:     6
    .sgpr_spill_count: 0
    .symbol:         _ZN7rocprim17ROCPRIM_400000_NS6detail17trampoline_kernelINS0_14default_configENS1_33run_length_encode_config_selectorIbjNS0_4plusIjEEEEZZNS1_33reduce_by_key_impl_wrapped_configILNS1_25lookback_scan_determinismE0ES3_S7_N6hipcub16HIPCUB_304000_NS22TransformInputIteratorIbN2at6native8internal12_GLOBAL__N_110LoadBoolOpEPKhlEENS0_17constant_iteratorIjlEEPbPlSO_S6_NS0_8equal_toIbEEEE10hipError_tPvRmT2_T3_mT4_T5_T6_T7_T8_P12ihipStream_tbENKUlT_T0_E_clISt17integral_constantIbLb0EES17_IbLb1EEEEDaS13_S14_EUlS13_E_NS1_11comp_targetILNS1_3genE10ELNS1_11target_archE1201ELNS1_3gpuE5ELNS1_3repE0EEENS1_30default_config_static_selectorELNS0_4arch9wavefront6targetE1EEEvT1_.kd
    .uniform_work_group_size: 1
    .uses_dynamic_stack: false
    .vgpr_count:     0
    .vgpr_spill_count: 0
    .wavefront_size: 64
  - .agpr_count:     0
    .args:
      - .offset:         0
        .size:           136
        .value_kind:     by_value
    .group_segment_fixed_size: 0
    .kernarg_segment_align: 8
    .kernarg_segment_size: 136
    .language:       OpenCL C
    .language_version:
      - 2
      - 0
    .max_flat_workgroup_size: 384
    .name:           _ZN7rocprim17ROCPRIM_400000_NS6detail17trampoline_kernelINS0_14default_configENS1_33run_length_encode_config_selectorIbjNS0_4plusIjEEEEZZNS1_33reduce_by_key_impl_wrapped_configILNS1_25lookback_scan_determinismE0ES3_S7_N6hipcub16HIPCUB_304000_NS22TransformInputIteratorIbN2at6native8internal12_GLOBAL__N_110LoadBoolOpEPKhlEENS0_17constant_iteratorIjlEEPbPlSO_S6_NS0_8equal_toIbEEEE10hipError_tPvRmT2_T3_mT4_T5_T6_T7_T8_P12ihipStream_tbENKUlT_T0_E_clISt17integral_constantIbLb0EES17_IbLb1EEEEDaS13_S14_EUlS13_E_NS1_11comp_targetILNS1_3genE10ELNS1_11target_archE1200ELNS1_3gpuE4ELNS1_3repE0EEENS1_30default_config_static_selectorELNS0_4arch9wavefront6targetE1EEEvT1_
    .private_segment_fixed_size: 0
    .sgpr_count:     6
    .sgpr_spill_count: 0
    .symbol:         _ZN7rocprim17ROCPRIM_400000_NS6detail17trampoline_kernelINS0_14default_configENS1_33run_length_encode_config_selectorIbjNS0_4plusIjEEEEZZNS1_33reduce_by_key_impl_wrapped_configILNS1_25lookback_scan_determinismE0ES3_S7_N6hipcub16HIPCUB_304000_NS22TransformInputIteratorIbN2at6native8internal12_GLOBAL__N_110LoadBoolOpEPKhlEENS0_17constant_iteratorIjlEEPbPlSO_S6_NS0_8equal_toIbEEEE10hipError_tPvRmT2_T3_mT4_T5_T6_T7_T8_P12ihipStream_tbENKUlT_T0_E_clISt17integral_constantIbLb0EES17_IbLb1EEEEDaS13_S14_EUlS13_E_NS1_11comp_targetILNS1_3genE10ELNS1_11target_archE1200ELNS1_3gpuE4ELNS1_3repE0EEENS1_30default_config_static_selectorELNS0_4arch9wavefront6targetE1EEEvT1_.kd
    .uniform_work_group_size: 1
    .uses_dynamic_stack: false
    .vgpr_count:     0
    .vgpr_spill_count: 0
    .wavefront_size: 64
  - .agpr_count:     0
    .args:
      - .offset:         0
        .size:           136
        .value_kind:     by_value
    .group_segment_fixed_size: 0
    .kernarg_segment_align: 8
    .kernarg_segment_size: 136
    .language:       OpenCL C
    .language_version:
      - 2
      - 0
    .max_flat_workgroup_size: 384
    .name:           _ZN7rocprim17ROCPRIM_400000_NS6detail17trampoline_kernelINS0_14default_configENS1_33run_length_encode_config_selectorIbjNS0_4plusIjEEEEZZNS1_33reduce_by_key_impl_wrapped_configILNS1_25lookback_scan_determinismE0ES3_S7_N6hipcub16HIPCUB_304000_NS22TransformInputIteratorIbN2at6native8internal12_GLOBAL__N_110LoadBoolOpEPKhlEENS0_17constant_iteratorIjlEEPbPlSO_S6_NS0_8equal_toIbEEEE10hipError_tPvRmT2_T3_mT4_T5_T6_T7_T8_P12ihipStream_tbENKUlT_T0_E_clISt17integral_constantIbLb0EES17_IbLb1EEEEDaS13_S14_EUlS13_E_NS1_11comp_targetILNS1_3genE9ELNS1_11target_archE1100ELNS1_3gpuE3ELNS1_3repE0EEENS1_30default_config_static_selectorELNS0_4arch9wavefront6targetE1EEEvT1_
    .private_segment_fixed_size: 0
    .sgpr_count:     6
    .sgpr_spill_count: 0
    .symbol:         _ZN7rocprim17ROCPRIM_400000_NS6detail17trampoline_kernelINS0_14default_configENS1_33run_length_encode_config_selectorIbjNS0_4plusIjEEEEZZNS1_33reduce_by_key_impl_wrapped_configILNS1_25lookback_scan_determinismE0ES3_S7_N6hipcub16HIPCUB_304000_NS22TransformInputIteratorIbN2at6native8internal12_GLOBAL__N_110LoadBoolOpEPKhlEENS0_17constant_iteratorIjlEEPbPlSO_S6_NS0_8equal_toIbEEEE10hipError_tPvRmT2_T3_mT4_T5_T6_T7_T8_P12ihipStream_tbENKUlT_T0_E_clISt17integral_constantIbLb0EES17_IbLb1EEEEDaS13_S14_EUlS13_E_NS1_11comp_targetILNS1_3genE9ELNS1_11target_archE1100ELNS1_3gpuE3ELNS1_3repE0EEENS1_30default_config_static_selectorELNS0_4arch9wavefront6targetE1EEEvT1_.kd
    .uniform_work_group_size: 1
    .uses_dynamic_stack: false
    .vgpr_count:     0
    .vgpr_spill_count: 0
    .wavefront_size: 64
  - .agpr_count:     0
    .args:
      - .offset:         0
        .size:           136
        .value_kind:     by_value
    .group_segment_fixed_size: 0
    .kernarg_segment_align: 8
    .kernarg_segment_size: 136
    .language:       OpenCL C
    .language_version:
      - 2
      - 0
    .max_flat_workgroup_size: 384
    .name:           _ZN7rocprim17ROCPRIM_400000_NS6detail17trampoline_kernelINS0_14default_configENS1_33run_length_encode_config_selectorIbjNS0_4plusIjEEEEZZNS1_33reduce_by_key_impl_wrapped_configILNS1_25lookback_scan_determinismE0ES3_S7_N6hipcub16HIPCUB_304000_NS22TransformInputIteratorIbN2at6native8internal12_GLOBAL__N_110LoadBoolOpEPKhlEENS0_17constant_iteratorIjlEEPbPlSO_S6_NS0_8equal_toIbEEEE10hipError_tPvRmT2_T3_mT4_T5_T6_T7_T8_P12ihipStream_tbENKUlT_T0_E_clISt17integral_constantIbLb0EES17_IbLb1EEEEDaS13_S14_EUlS13_E_NS1_11comp_targetILNS1_3genE8ELNS1_11target_archE1030ELNS1_3gpuE2ELNS1_3repE0EEENS1_30default_config_static_selectorELNS0_4arch9wavefront6targetE1EEEvT1_
    .private_segment_fixed_size: 0
    .sgpr_count:     6
    .sgpr_spill_count: 0
    .symbol:         _ZN7rocprim17ROCPRIM_400000_NS6detail17trampoline_kernelINS0_14default_configENS1_33run_length_encode_config_selectorIbjNS0_4plusIjEEEEZZNS1_33reduce_by_key_impl_wrapped_configILNS1_25lookback_scan_determinismE0ES3_S7_N6hipcub16HIPCUB_304000_NS22TransformInputIteratorIbN2at6native8internal12_GLOBAL__N_110LoadBoolOpEPKhlEENS0_17constant_iteratorIjlEEPbPlSO_S6_NS0_8equal_toIbEEEE10hipError_tPvRmT2_T3_mT4_T5_T6_T7_T8_P12ihipStream_tbENKUlT_T0_E_clISt17integral_constantIbLb0EES17_IbLb1EEEEDaS13_S14_EUlS13_E_NS1_11comp_targetILNS1_3genE8ELNS1_11target_archE1030ELNS1_3gpuE2ELNS1_3repE0EEENS1_30default_config_static_selectorELNS0_4arch9wavefront6targetE1EEEvT1_.kd
    .uniform_work_group_size: 1
    .uses_dynamic_stack: false
    .vgpr_count:     0
    .vgpr_spill_count: 0
    .wavefront_size: 64
  - .agpr_count:     0
    .args:
      - .offset:         0
        .size:           56
        .value_kind:     by_value
    .group_segment_fixed_size: 0
    .kernarg_segment_align: 8
    .kernarg_segment_size: 56
    .language:       OpenCL C
    .language_version:
      - 2
      - 0
    .max_flat_workgroup_size: 256
    .name:           _ZN7rocprim17ROCPRIM_400000_NS6detail17trampoline_kernelINS0_14default_configENS1_22reduce_config_selectorIiEEZNS1_11reduce_implILb1ES3_PiS7_iN6hipcub16HIPCUB_304000_NS6detail34convert_binary_result_type_wrapperISt4plusIvENS9_22TransformInputIteratorIiN2at6native8internal21MapNumberOfTrueValuesEPKhlEEiEEEE10hipError_tPvRmT1_T2_T3_mT4_P12ihipStream_tbEUlT_E0_NS1_11comp_targetILNS1_3genE0ELNS1_11target_archE4294967295ELNS1_3gpuE0ELNS1_3repE0EEENS1_30default_config_static_selectorELNS0_4arch9wavefront6targetE1EEEvSQ_
    .private_segment_fixed_size: 0
    .sgpr_count:     6
    .sgpr_spill_count: 0
    .symbol:         _ZN7rocprim17ROCPRIM_400000_NS6detail17trampoline_kernelINS0_14default_configENS1_22reduce_config_selectorIiEEZNS1_11reduce_implILb1ES3_PiS7_iN6hipcub16HIPCUB_304000_NS6detail34convert_binary_result_type_wrapperISt4plusIvENS9_22TransformInputIteratorIiN2at6native8internal21MapNumberOfTrueValuesEPKhlEEiEEEE10hipError_tPvRmT1_T2_T3_mT4_P12ihipStream_tbEUlT_E0_NS1_11comp_targetILNS1_3genE0ELNS1_11target_archE4294967295ELNS1_3gpuE0ELNS1_3repE0EEENS1_30default_config_static_selectorELNS0_4arch9wavefront6targetE1EEEvSQ_.kd
    .uniform_work_group_size: 1
    .uses_dynamic_stack: false
    .vgpr_count:     0
    .vgpr_spill_count: 0
    .wavefront_size: 64
  - .agpr_count:     0
    .args:
      - .offset:         0
        .size:           56
        .value_kind:     by_value
    .group_segment_fixed_size: 32
    .kernarg_segment_align: 8
    .kernarg_segment_size: 56
    .language:       OpenCL C
    .language_version:
      - 2
      - 0
    .max_flat_workgroup_size: 256
    .name:           _ZN7rocprim17ROCPRIM_400000_NS6detail17trampoline_kernelINS0_14default_configENS1_22reduce_config_selectorIiEEZNS1_11reduce_implILb1ES3_PiS7_iN6hipcub16HIPCUB_304000_NS6detail34convert_binary_result_type_wrapperISt4plusIvENS9_22TransformInputIteratorIiN2at6native8internal21MapNumberOfTrueValuesEPKhlEEiEEEE10hipError_tPvRmT1_T2_T3_mT4_P12ihipStream_tbEUlT_E0_NS1_11comp_targetILNS1_3genE5ELNS1_11target_archE942ELNS1_3gpuE9ELNS1_3repE0EEENS1_30default_config_static_selectorELNS0_4arch9wavefront6targetE1EEEvSQ_
    .private_segment_fixed_size: 0
    .sgpr_count:     34
    .sgpr_spill_count: 0
    .symbol:         _ZN7rocprim17ROCPRIM_400000_NS6detail17trampoline_kernelINS0_14default_configENS1_22reduce_config_selectorIiEEZNS1_11reduce_implILb1ES3_PiS7_iN6hipcub16HIPCUB_304000_NS6detail34convert_binary_result_type_wrapperISt4plusIvENS9_22TransformInputIteratorIiN2at6native8internal21MapNumberOfTrueValuesEPKhlEEiEEEE10hipError_tPvRmT1_T2_T3_mT4_P12ihipStream_tbEUlT_E0_NS1_11comp_targetILNS1_3genE5ELNS1_11target_archE942ELNS1_3gpuE9ELNS1_3repE0EEENS1_30default_config_static_selectorELNS0_4arch9wavefront6targetE1EEEvSQ_.kd
    .uniform_work_group_size: 1
    .uses_dynamic_stack: false
    .vgpr_count:     13
    .vgpr_spill_count: 0
    .wavefront_size: 64
  - .agpr_count:     0
    .args:
      - .offset:         0
        .size:           56
        .value_kind:     by_value
    .group_segment_fixed_size: 0
    .kernarg_segment_align: 8
    .kernarg_segment_size: 56
    .language:       OpenCL C
    .language_version:
      - 2
      - 0
    .max_flat_workgroup_size: 128
    .name:           _ZN7rocprim17ROCPRIM_400000_NS6detail17trampoline_kernelINS0_14default_configENS1_22reduce_config_selectorIiEEZNS1_11reduce_implILb1ES3_PiS7_iN6hipcub16HIPCUB_304000_NS6detail34convert_binary_result_type_wrapperISt4plusIvENS9_22TransformInputIteratorIiN2at6native8internal21MapNumberOfTrueValuesEPKhlEEiEEEE10hipError_tPvRmT1_T2_T3_mT4_P12ihipStream_tbEUlT_E0_NS1_11comp_targetILNS1_3genE4ELNS1_11target_archE910ELNS1_3gpuE8ELNS1_3repE0EEENS1_30default_config_static_selectorELNS0_4arch9wavefront6targetE1EEEvSQ_
    .private_segment_fixed_size: 0
    .sgpr_count:     6
    .sgpr_spill_count: 0
    .symbol:         _ZN7rocprim17ROCPRIM_400000_NS6detail17trampoline_kernelINS0_14default_configENS1_22reduce_config_selectorIiEEZNS1_11reduce_implILb1ES3_PiS7_iN6hipcub16HIPCUB_304000_NS6detail34convert_binary_result_type_wrapperISt4plusIvENS9_22TransformInputIteratorIiN2at6native8internal21MapNumberOfTrueValuesEPKhlEEiEEEE10hipError_tPvRmT1_T2_T3_mT4_P12ihipStream_tbEUlT_E0_NS1_11comp_targetILNS1_3genE4ELNS1_11target_archE910ELNS1_3gpuE8ELNS1_3repE0EEENS1_30default_config_static_selectorELNS0_4arch9wavefront6targetE1EEEvSQ_.kd
    .uniform_work_group_size: 1
    .uses_dynamic_stack: false
    .vgpr_count:     0
    .vgpr_spill_count: 0
    .wavefront_size: 64
  - .agpr_count:     0
    .args:
      - .offset:         0
        .size:           56
        .value_kind:     by_value
    .group_segment_fixed_size: 0
    .kernarg_segment_align: 8
    .kernarg_segment_size: 56
    .language:       OpenCL C
    .language_version:
      - 2
      - 0
    .max_flat_workgroup_size: 256
    .name:           _ZN7rocprim17ROCPRIM_400000_NS6detail17trampoline_kernelINS0_14default_configENS1_22reduce_config_selectorIiEEZNS1_11reduce_implILb1ES3_PiS7_iN6hipcub16HIPCUB_304000_NS6detail34convert_binary_result_type_wrapperISt4plusIvENS9_22TransformInputIteratorIiN2at6native8internal21MapNumberOfTrueValuesEPKhlEEiEEEE10hipError_tPvRmT1_T2_T3_mT4_P12ihipStream_tbEUlT_E0_NS1_11comp_targetILNS1_3genE3ELNS1_11target_archE908ELNS1_3gpuE7ELNS1_3repE0EEENS1_30default_config_static_selectorELNS0_4arch9wavefront6targetE1EEEvSQ_
    .private_segment_fixed_size: 0
    .sgpr_count:     6
    .sgpr_spill_count: 0
    .symbol:         _ZN7rocprim17ROCPRIM_400000_NS6detail17trampoline_kernelINS0_14default_configENS1_22reduce_config_selectorIiEEZNS1_11reduce_implILb1ES3_PiS7_iN6hipcub16HIPCUB_304000_NS6detail34convert_binary_result_type_wrapperISt4plusIvENS9_22TransformInputIteratorIiN2at6native8internal21MapNumberOfTrueValuesEPKhlEEiEEEE10hipError_tPvRmT1_T2_T3_mT4_P12ihipStream_tbEUlT_E0_NS1_11comp_targetILNS1_3genE3ELNS1_11target_archE908ELNS1_3gpuE7ELNS1_3repE0EEENS1_30default_config_static_selectorELNS0_4arch9wavefront6targetE1EEEvSQ_.kd
    .uniform_work_group_size: 1
    .uses_dynamic_stack: false
    .vgpr_count:     0
    .vgpr_spill_count: 0
    .wavefront_size: 64
  - .agpr_count:     0
    .args:
      - .offset:         0
        .size:           56
        .value_kind:     by_value
    .group_segment_fixed_size: 0
    .kernarg_segment_align: 8
    .kernarg_segment_size: 56
    .language:       OpenCL C
    .language_version:
      - 2
      - 0
    .max_flat_workgroup_size: 256
    .name:           _ZN7rocprim17ROCPRIM_400000_NS6detail17trampoline_kernelINS0_14default_configENS1_22reduce_config_selectorIiEEZNS1_11reduce_implILb1ES3_PiS7_iN6hipcub16HIPCUB_304000_NS6detail34convert_binary_result_type_wrapperISt4plusIvENS9_22TransformInputIteratorIiN2at6native8internal21MapNumberOfTrueValuesEPKhlEEiEEEE10hipError_tPvRmT1_T2_T3_mT4_P12ihipStream_tbEUlT_E0_NS1_11comp_targetILNS1_3genE2ELNS1_11target_archE906ELNS1_3gpuE6ELNS1_3repE0EEENS1_30default_config_static_selectorELNS0_4arch9wavefront6targetE1EEEvSQ_
    .private_segment_fixed_size: 0
    .sgpr_count:     6
    .sgpr_spill_count: 0
    .symbol:         _ZN7rocprim17ROCPRIM_400000_NS6detail17trampoline_kernelINS0_14default_configENS1_22reduce_config_selectorIiEEZNS1_11reduce_implILb1ES3_PiS7_iN6hipcub16HIPCUB_304000_NS6detail34convert_binary_result_type_wrapperISt4plusIvENS9_22TransformInputIteratorIiN2at6native8internal21MapNumberOfTrueValuesEPKhlEEiEEEE10hipError_tPvRmT1_T2_T3_mT4_P12ihipStream_tbEUlT_E0_NS1_11comp_targetILNS1_3genE2ELNS1_11target_archE906ELNS1_3gpuE6ELNS1_3repE0EEENS1_30default_config_static_selectorELNS0_4arch9wavefront6targetE1EEEvSQ_.kd
    .uniform_work_group_size: 1
    .uses_dynamic_stack: false
    .vgpr_count:     0
    .vgpr_spill_count: 0
    .wavefront_size: 64
  - .agpr_count:     0
    .args:
      - .offset:         0
        .size:           56
        .value_kind:     by_value
    .group_segment_fixed_size: 0
    .kernarg_segment_align: 8
    .kernarg_segment_size: 56
    .language:       OpenCL C
    .language_version:
      - 2
      - 0
    .max_flat_workgroup_size: 256
    .name:           _ZN7rocprim17ROCPRIM_400000_NS6detail17trampoline_kernelINS0_14default_configENS1_22reduce_config_selectorIiEEZNS1_11reduce_implILb1ES3_PiS7_iN6hipcub16HIPCUB_304000_NS6detail34convert_binary_result_type_wrapperISt4plusIvENS9_22TransformInputIteratorIiN2at6native8internal21MapNumberOfTrueValuesEPKhlEEiEEEE10hipError_tPvRmT1_T2_T3_mT4_P12ihipStream_tbEUlT_E0_NS1_11comp_targetILNS1_3genE10ELNS1_11target_archE1201ELNS1_3gpuE5ELNS1_3repE0EEENS1_30default_config_static_selectorELNS0_4arch9wavefront6targetE1EEEvSQ_
    .private_segment_fixed_size: 0
    .sgpr_count:     6
    .sgpr_spill_count: 0
    .symbol:         _ZN7rocprim17ROCPRIM_400000_NS6detail17trampoline_kernelINS0_14default_configENS1_22reduce_config_selectorIiEEZNS1_11reduce_implILb1ES3_PiS7_iN6hipcub16HIPCUB_304000_NS6detail34convert_binary_result_type_wrapperISt4plusIvENS9_22TransformInputIteratorIiN2at6native8internal21MapNumberOfTrueValuesEPKhlEEiEEEE10hipError_tPvRmT1_T2_T3_mT4_P12ihipStream_tbEUlT_E0_NS1_11comp_targetILNS1_3genE10ELNS1_11target_archE1201ELNS1_3gpuE5ELNS1_3repE0EEENS1_30default_config_static_selectorELNS0_4arch9wavefront6targetE1EEEvSQ_.kd
    .uniform_work_group_size: 1
    .uses_dynamic_stack: false
    .vgpr_count:     0
    .vgpr_spill_count: 0
    .wavefront_size: 64
  - .agpr_count:     0
    .args:
      - .offset:         0
        .size:           56
        .value_kind:     by_value
    .group_segment_fixed_size: 0
    .kernarg_segment_align: 8
    .kernarg_segment_size: 56
    .language:       OpenCL C
    .language_version:
      - 2
      - 0
    .max_flat_workgroup_size: 256
    .name:           _ZN7rocprim17ROCPRIM_400000_NS6detail17trampoline_kernelINS0_14default_configENS1_22reduce_config_selectorIiEEZNS1_11reduce_implILb1ES3_PiS7_iN6hipcub16HIPCUB_304000_NS6detail34convert_binary_result_type_wrapperISt4plusIvENS9_22TransformInputIteratorIiN2at6native8internal21MapNumberOfTrueValuesEPKhlEEiEEEE10hipError_tPvRmT1_T2_T3_mT4_P12ihipStream_tbEUlT_E0_NS1_11comp_targetILNS1_3genE10ELNS1_11target_archE1200ELNS1_3gpuE4ELNS1_3repE0EEENS1_30default_config_static_selectorELNS0_4arch9wavefront6targetE1EEEvSQ_
    .private_segment_fixed_size: 0
    .sgpr_count:     6
    .sgpr_spill_count: 0
    .symbol:         _ZN7rocprim17ROCPRIM_400000_NS6detail17trampoline_kernelINS0_14default_configENS1_22reduce_config_selectorIiEEZNS1_11reduce_implILb1ES3_PiS7_iN6hipcub16HIPCUB_304000_NS6detail34convert_binary_result_type_wrapperISt4plusIvENS9_22TransformInputIteratorIiN2at6native8internal21MapNumberOfTrueValuesEPKhlEEiEEEE10hipError_tPvRmT1_T2_T3_mT4_P12ihipStream_tbEUlT_E0_NS1_11comp_targetILNS1_3genE10ELNS1_11target_archE1200ELNS1_3gpuE4ELNS1_3repE0EEENS1_30default_config_static_selectorELNS0_4arch9wavefront6targetE1EEEvSQ_.kd
    .uniform_work_group_size: 1
    .uses_dynamic_stack: false
    .vgpr_count:     0
    .vgpr_spill_count: 0
    .wavefront_size: 64
  - .agpr_count:     0
    .args:
      - .offset:         0
        .size:           56
        .value_kind:     by_value
    .group_segment_fixed_size: 0
    .kernarg_segment_align: 8
    .kernarg_segment_size: 56
    .language:       OpenCL C
    .language_version:
      - 2
      - 0
    .max_flat_workgroup_size: 256
    .name:           _ZN7rocprim17ROCPRIM_400000_NS6detail17trampoline_kernelINS0_14default_configENS1_22reduce_config_selectorIiEEZNS1_11reduce_implILb1ES3_PiS7_iN6hipcub16HIPCUB_304000_NS6detail34convert_binary_result_type_wrapperISt4plusIvENS9_22TransformInputIteratorIiN2at6native8internal21MapNumberOfTrueValuesEPKhlEEiEEEE10hipError_tPvRmT1_T2_T3_mT4_P12ihipStream_tbEUlT_E0_NS1_11comp_targetILNS1_3genE9ELNS1_11target_archE1100ELNS1_3gpuE3ELNS1_3repE0EEENS1_30default_config_static_selectorELNS0_4arch9wavefront6targetE1EEEvSQ_
    .private_segment_fixed_size: 0
    .sgpr_count:     6
    .sgpr_spill_count: 0
    .symbol:         _ZN7rocprim17ROCPRIM_400000_NS6detail17trampoline_kernelINS0_14default_configENS1_22reduce_config_selectorIiEEZNS1_11reduce_implILb1ES3_PiS7_iN6hipcub16HIPCUB_304000_NS6detail34convert_binary_result_type_wrapperISt4plusIvENS9_22TransformInputIteratorIiN2at6native8internal21MapNumberOfTrueValuesEPKhlEEiEEEE10hipError_tPvRmT1_T2_T3_mT4_P12ihipStream_tbEUlT_E0_NS1_11comp_targetILNS1_3genE9ELNS1_11target_archE1100ELNS1_3gpuE3ELNS1_3repE0EEENS1_30default_config_static_selectorELNS0_4arch9wavefront6targetE1EEEvSQ_.kd
    .uniform_work_group_size: 1
    .uses_dynamic_stack: false
    .vgpr_count:     0
    .vgpr_spill_count: 0
    .wavefront_size: 64
  - .agpr_count:     0
    .args:
      - .offset:         0
        .size:           56
        .value_kind:     by_value
    .group_segment_fixed_size: 0
    .kernarg_segment_align: 8
    .kernarg_segment_size: 56
    .language:       OpenCL C
    .language_version:
      - 2
      - 0
    .max_flat_workgroup_size: 256
    .name:           _ZN7rocprim17ROCPRIM_400000_NS6detail17trampoline_kernelINS0_14default_configENS1_22reduce_config_selectorIiEEZNS1_11reduce_implILb1ES3_PiS7_iN6hipcub16HIPCUB_304000_NS6detail34convert_binary_result_type_wrapperISt4plusIvENS9_22TransformInputIteratorIiN2at6native8internal21MapNumberOfTrueValuesEPKhlEEiEEEE10hipError_tPvRmT1_T2_T3_mT4_P12ihipStream_tbEUlT_E0_NS1_11comp_targetILNS1_3genE8ELNS1_11target_archE1030ELNS1_3gpuE2ELNS1_3repE0EEENS1_30default_config_static_selectorELNS0_4arch9wavefront6targetE1EEEvSQ_
    .private_segment_fixed_size: 0
    .sgpr_count:     6
    .sgpr_spill_count: 0
    .symbol:         _ZN7rocprim17ROCPRIM_400000_NS6detail17trampoline_kernelINS0_14default_configENS1_22reduce_config_selectorIiEEZNS1_11reduce_implILb1ES3_PiS7_iN6hipcub16HIPCUB_304000_NS6detail34convert_binary_result_type_wrapperISt4plusIvENS9_22TransformInputIteratorIiN2at6native8internal21MapNumberOfTrueValuesEPKhlEEiEEEE10hipError_tPvRmT1_T2_T3_mT4_P12ihipStream_tbEUlT_E0_NS1_11comp_targetILNS1_3genE8ELNS1_11target_archE1030ELNS1_3gpuE2ELNS1_3repE0EEENS1_30default_config_static_selectorELNS0_4arch9wavefront6targetE1EEEvSQ_.kd
    .uniform_work_group_size: 1
    .uses_dynamic_stack: false
    .vgpr_count:     0
    .vgpr_spill_count: 0
    .wavefront_size: 64
  - .agpr_count:     0
    .args:
      - .offset:         0
        .size:           40
        .value_kind:     by_value
    .group_segment_fixed_size: 0
    .kernarg_segment_align: 8
    .kernarg_segment_size: 40
    .language:       OpenCL C
    .language_version:
      - 2
      - 0
    .max_flat_workgroup_size: 256
    .name:           _ZN7rocprim17ROCPRIM_400000_NS6detail17trampoline_kernelINS0_14default_configENS1_22reduce_config_selectorIiEEZNS1_11reduce_implILb1ES3_PiS7_iN6hipcub16HIPCUB_304000_NS6detail34convert_binary_result_type_wrapperISt4plusIvENS9_22TransformInputIteratorIiN2at6native8internal21MapNumberOfTrueValuesEPKhlEEiEEEE10hipError_tPvRmT1_T2_T3_mT4_P12ihipStream_tbEUlT_E1_NS1_11comp_targetILNS1_3genE0ELNS1_11target_archE4294967295ELNS1_3gpuE0ELNS1_3repE0EEENS1_30default_config_static_selectorELNS0_4arch9wavefront6targetE1EEEvSQ_
    .private_segment_fixed_size: 0
    .sgpr_count:     6
    .sgpr_spill_count: 0
    .symbol:         _ZN7rocprim17ROCPRIM_400000_NS6detail17trampoline_kernelINS0_14default_configENS1_22reduce_config_selectorIiEEZNS1_11reduce_implILb1ES3_PiS7_iN6hipcub16HIPCUB_304000_NS6detail34convert_binary_result_type_wrapperISt4plusIvENS9_22TransformInputIteratorIiN2at6native8internal21MapNumberOfTrueValuesEPKhlEEiEEEE10hipError_tPvRmT1_T2_T3_mT4_P12ihipStream_tbEUlT_E1_NS1_11comp_targetILNS1_3genE0ELNS1_11target_archE4294967295ELNS1_3gpuE0ELNS1_3repE0EEENS1_30default_config_static_selectorELNS0_4arch9wavefront6targetE1EEEvSQ_.kd
    .uniform_work_group_size: 1
    .uses_dynamic_stack: false
    .vgpr_count:     0
    .vgpr_spill_count: 0
    .wavefront_size: 64
  - .agpr_count:     0
    .args:
      - .offset:         0
        .size:           40
        .value_kind:     by_value
    .group_segment_fixed_size: 112
    .kernarg_segment_align: 8
    .kernarg_segment_size: 40
    .language:       OpenCL C
    .language_version:
      - 2
      - 0
    .max_flat_workgroup_size: 256
    .name:           _ZN7rocprim17ROCPRIM_400000_NS6detail17trampoline_kernelINS0_14default_configENS1_22reduce_config_selectorIiEEZNS1_11reduce_implILb1ES3_PiS7_iN6hipcub16HIPCUB_304000_NS6detail34convert_binary_result_type_wrapperISt4plusIvENS9_22TransformInputIteratorIiN2at6native8internal21MapNumberOfTrueValuesEPKhlEEiEEEE10hipError_tPvRmT1_T2_T3_mT4_P12ihipStream_tbEUlT_E1_NS1_11comp_targetILNS1_3genE5ELNS1_11target_archE942ELNS1_3gpuE9ELNS1_3repE0EEENS1_30default_config_static_selectorELNS0_4arch9wavefront6targetE1EEEvSQ_
    .private_segment_fixed_size: 0
    .sgpr_count:     49
    .sgpr_spill_count: 0
    .symbol:         _ZN7rocprim17ROCPRIM_400000_NS6detail17trampoline_kernelINS0_14default_configENS1_22reduce_config_selectorIiEEZNS1_11reduce_implILb1ES3_PiS7_iN6hipcub16HIPCUB_304000_NS6detail34convert_binary_result_type_wrapperISt4plusIvENS9_22TransformInputIteratorIiN2at6native8internal21MapNumberOfTrueValuesEPKhlEEiEEEE10hipError_tPvRmT1_T2_T3_mT4_P12ihipStream_tbEUlT_E1_NS1_11comp_targetILNS1_3genE5ELNS1_11target_archE942ELNS1_3gpuE9ELNS1_3repE0EEENS1_30default_config_static_selectorELNS0_4arch9wavefront6targetE1EEEvSQ_.kd
    .uniform_work_group_size: 1
    .uses_dynamic_stack: false
    .vgpr_count:     35
    .vgpr_spill_count: 0
    .wavefront_size: 64
  - .agpr_count:     0
    .args:
      - .offset:         0
        .size:           40
        .value_kind:     by_value
    .group_segment_fixed_size: 0
    .kernarg_segment_align: 8
    .kernarg_segment_size: 40
    .language:       OpenCL C
    .language_version:
      - 2
      - 0
    .max_flat_workgroup_size: 128
    .name:           _ZN7rocprim17ROCPRIM_400000_NS6detail17trampoline_kernelINS0_14default_configENS1_22reduce_config_selectorIiEEZNS1_11reduce_implILb1ES3_PiS7_iN6hipcub16HIPCUB_304000_NS6detail34convert_binary_result_type_wrapperISt4plusIvENS9_22TransformInputIteratorIiN2at6native8internal21MapNumberOfTrueValuesEPKhlEEiEEEE10hipError_tPvRmT1_T2_T3_mT4_P12ihipStream_tbEUlT_E1_NS1_11comp_targetILNS1_3genE4ELNS1_11target_archE910ELNS1_3gpuE8ELNS1_3repE0EEENS1_30default_config_static_selectorELNS0_4arch9wavefront6targetE1EEEvSQ_
    .private_segment_fixed_size: 0
    .sgpr_count:     6
    .sgpr_spill_count: 0
    .symbol:         _ZN7rocprim17ROCPRIM_400000_NS6detail17trampoline_kernelINS0_14default_configENS1_22reduce_config_selectorIiEEZNS1_11reduce_implILb1ES3_PiS7_iN6hipcub16HIPCUB_304000_NS6detail34convert_binary_result_type_wrapperISt4plusIvENS9_22TransformInputIteratorIiN2at6native8internal21MapNumberOfTrueValuesEPKhlEEiEEEE10hipError_tPvRmT1_T2_T3_mT4_P12ihipStream_tbEUlT_E1_NS1_11comp_targetILNS1_3genE4ELNS1_11target_archE910ELNS1_3gpuE8ELNS1_3repE0EEENS1_30default_config_static_selectorELNS0_4arch9wavefront6targetE1EEEvSQ_.kd
    .uniform_work_group_size: 1
    .uses_dynamic_stack: false
    .vgpr_count:     0
    .vgpr_spill_count: 0
    .wavefront_size: 64
  - .agpr_count:     0
    .args:
      - .offset:         0
        .size:           40
        .value_kind:     by_value
    .group_segment_fixed_size: 0
    .kernarg_segment_align: 8
    .kernarg_segment_size: 40
    .language:       OpenCL C
    .language_version:
      - 2
      - 0
    .max_flat_workgroup_size: 256
    .name:           _ZN7rocprim17ROCPRIM_400000_NS6detail17trampoline_kernelINS0_14default_configENS1_22reduce_config_selectorIiEEZNS1_11reduce_implILb1ES3_PiS7_iN6hipcub16HIPCUB_304000_NS6detail34convert_binary_result_type_wrapperISt4plusIvENS9_22TransformInputIteratorIiN2at6native8internal21MapNumberOfTrueValuesEPKhlEEiEEEE10hipError_tPvRmT1_T2_T3_mT4_P12ihipStream_tbEUlT_E1_NS1_11comp_targetILNS1_3genE3ELNS1_11target_archE908ELNS1_3gpuE7ELNS1_3repE0EEENS1_30default_config_static_selectorELNS0_4arch9wavefront6targetE1EEEvSQ_
    .private_segment_fixed_size: 0
    .sgpr_count:     6
    .sgpr_spill_count: 0
    .symbol:         _ZN7rocprim17ROCPRIM_400000_NS6detail17trampoline_kernelINS0_14default_configENS1_22reduce_config_selectorIiEEZNS1_11reduce_implILb1ES3_PiS7_iN6hipcub16HIPCUB_304000_NS6detail34convert_binary_result_type_wrapperISt4plusIvENS9_22TransformInputIteratorIiN2at6native8internal21MapNumberOfTrueValuesEPKhlEEiEEEE10hipError_tPvRmT1_T2_T3_mT4_P12ihipStream_tbEUlT_E1_NS1_11comp_targetILNS1_3genE3ELNS1_11target_archE908ELNS1_3gpuE7ELNS1_3repE0EEENS1_30default_config_static_selectorELNS0_4arch9wavefront6targetE1EEEvSQ_.kd
    .uniform_work_group_size: 1
    .uses_dynamic_stack: false
    .vgpr_count:     0
    .vgpr_spill_count: 0
    .wavefront_size: 64
  - .agpr_count:     0
    .args:
      - .offset:         0
        .size:           40
        .value_kind:     by_value
    .group_segment_fixed_size: 0
    .kernarg_segment_align: 8
    .kernarg_segment_size: 40
    .language:       OpenCL C
    .language_version:
      - 2
      - 0
    .max_flat_workgroup_size: 256
    .name:           _ZN7rocprim17ROCPRIM_400000_NS6detail17trampoline_kernelINS0_14default_configENS1_22reduce_config_selectorIiEEZNS1_11reduce_implILb1ES3_PiS7_iN6hipcub16HIPCUB_304000_NS6detail34convert_binary_result_type_wrapperISt4plusIvENS9_22TransformInputIteratorIiN2at6native8internal21MapNumberOfTrueValuesEPKhlEEiEEEE10hipError_tPvRmT1_T2_T3_mT4_P12ihipStream_tbEUlT_E1_NS1_11comp_targetILNS1_3genE2ELNS1_11target_archE906ELNS1_3gpuE6ELNS1_3repE0EEENS1_30default_config_static_selectorELNS0_4arch9wavefront6targetE1EEEvSQ_
    .private_segment_fixed_size: 0
    .sgpr_count:     6
    .sgpr_spill_count: 0
    .symbol:         _ZN7rocprim17ROCPRIM_400000_NS6detail17trampoline_kernelINS0_14default_configENS1_22reduce_config_selectorIiEEZNS1_11reduce_implILb1ES3_PiS7_iN6hipcub16HIPCUB_304000_NS6detail34convert_binary_result_type_wrapperISt4plusIvENS9_22TransformInputIteratorIiN2at6native8internal21MapNumberOfTrueValuesEPKhlEEiEEEE10hipError_tPvRmT1_T2_T3_mT4_P12ihipStream_tbEUlT_E1_NS1_11comp_targetILNS1_3genE2ELNS1_11target_archE906ELNS1_3gpuE6ELNS1_3repE0EEENS1_30default_config_static_selectorELNS0_4arch9wavefront6targetE1EEEvSQ_.kd
    .uniform_work_group_size: 1
    .uses_dynamic_stack: false
    .vgpr_count:     0
    .vgpr_spill_count: 0
    .wavefront_size: 64
  - .agpr_count:     0
    .args:
      - .offset:         0
        .size:           40
        .value_kind:     by_value
    .group_segment_fixed_size: 0
    .kernarg_segment_align: 8
    .kernarg_segment_size: 40
    .language:       OpenCL C
    .language_version:
      - 2
      - 0
    .max_flat_workgroup_size: 256
    .name:           _ZN7rocprim17ROCPRIM_400000_NS6detail17trampoline_kernelINS0_14default_configENS1_22reduce_config_selectorIiEEZNS1_11reduce_implILb1ES3_PiS7_iN6hipcub16HIPCUB_304000_NS6detail34convert_binary_result_type_wrapperISt4plusIvENS9_22TransformInputIteratorIiN2at6native8internal21MapNumberOfTrueValuesEPKhlEEiEEEE10hipError_tPvRmT1_T2_T3_mT4_P12ihipStream_tbEUlT_E1_NS1_11comp_targetILNS1_3genE10ELNS1_11target_archE1201ELNS1_3gpuE5ELNS1_3repE0EEENS1_30default_config_static_selectorELNS0_4arch9wavefront6targetE1EEEvSQ_
    .private_segment_fixed_size: 0
    .sgpr_count:     6
    .sgpr_spill_count: 0
    .symbol:         _ZN7rocprim17ROCPRIM_400000_NS6detail17trampoline_kernelINS0_14default_configENS1_22reduce_config_selectorIiEEZNS1_11reduce_implILb1ES3_PiS7_iN6hipcub16HIPCUB_304000_NS6detail34convert_binary_result_type_wrapperISt4plusIvENS9_22TransformInputIteratorIiN2at6native8internal21MapNumberOfTrueValuesEPKhlEEiEEEE10hipError_tPvRmT1_T2_T3_mT4_P12ihipStream_tbEUlT_E1_NS1_11comp_targetILNS1_3genE10ELNS1_11target_archE1201ELNS1_3gpuE5ELNS1_3repE0EEENS1_30default_config_static_selectorELNS0_4arch9wavefront6targetE1EEEvSQ_.kd
    .uniform_work_group_size: 1
    .uses_dynamic_stack: false
    .vgpr_count:     0
    .vgpr_spill_count: 0
    .wavefront_size: 64
  - .agpr_count:     0
    .args:
      - .offset:         0
        .size:           40
        .value_kind:     by_value
    .group_segment_fixed_size: 0
    .kernarg_segment_align: 8
    .kernarg_segment_size: 40
    .language:       OpenCL C
    .language_version:
      - 2
      - 0
    .max_flat_workgroup_size: 256
    .name:           _ZN7rocprim17ROCPRIM_400000_NS6detail17trampoline_kernelINS0_14default_configENS1_22reduce_config_selectorIiEEZNS1_11reduce_implILb1ES3_PiS7_iN6hipcub16HIPCUB_304000_NS6detail34convert_binary_result_type_wrapperISt4plusIvENS9_22TransformInputIteratorIiN2at6native8internal21MapNumberOfTrueValuesEPKhlEEiEEEE10hipError_tPvRmT1_T2_T3_mT4_P12ihipStream_tbEUlT_E1_NS1_11comp_targetILNS1_3genE10ELNS1_11target_archE1200ELNS1_3gpuE4ELNS1_3repE0EEENS1_30default_config_static_selectorELNS0_4arch9wavefront6targetE1EEEvSQ_
    .private_segment_fixed_size: 0
    .sgpr_count:     6
    .sgpr_spill_count: 0
    .symbol:         _ZN7rocprim17ROCPRIM_400000_NS6detail17trampoline_kernelINS0_14default_configENS1_22reduce_config_selectorIiEEZNS1_11reduce_implILb1ES3_PiS7_iN6hipcub16HIPCUB_304000_NS6detail34convert_binary_result_type_wrapperISt4plusIvENS9_22TransformInputIteratorIiN2at6native8internal21MapNumberOfTrueValuesEPKhlEEiEEEE10hipError_tPvRmT1_T2_T3_mT4_P12ihipStream_tbEUlT_E1_NS1_11comp_targetILNS1_3genE10ELNS1_11target_archE1200ELNS1_3gpuE4ELNS1_3repE0EEENS1_30default_config_static_selectorELNS0_4arch9wavefront6targetE1EEEvSQ_.kd
    .uniform_work_group_size: 1
    .uses_dynamic_stack: false
    .vgpr_count:     0
    .vgpr_spill_count: 0
    .wavefront_size: 64
  - .agpr_count:     0
    .args:
      - .offset:         0
        .size:           40
        .value_kind:     by_value
    .group_segment_fixed_size: 0
    .kernarg_segment_align: 8
    .kernarg_segment_size: 40
    .language:       OpenCL C
    .language_version:
      - 2
      - 0
    .max_flat_workgroup_size: 256
    .name:           _ZN7rocprim17ROCPRIM_400000_NS6detail17trampoline_kernelINS0_14default_configENS1_22reduce_config_selectorIiEEZNS1_11reduce_implILb1ES3_PiS7_iN6hipcub16HIPCUB_304000_NS6detail34convert_binary_result_type_wrapperISt4plusIvENS9_22TransformInputIteratorIiN2at6native8internal21MapNumberOfTrueValuesEPKhlEEiEEEE10hipError_tPvRmT1_T2_T3_mT4_P12ihipStream_tbEUlT_E1_NS1_11comp_targetILNS1_3genE9ELNS1_11target_archE1100ELNS1_3gpuE3ELNS1_3repE0EEENS1_30default_config_static_selectorELNS0_4arch9wavefront6targetE1EEEvSQ_
    .private_segment_fixed_size: 0
    .sgpr_count:     6
    .sgpr_spill_count: 0
    .symbol:         _ZN7rocprim17ROCPRIM_400000_NS6detail17trampoline_kernelINS0_14default_configENS1_22reduce_config_selectorIiEEZNS1_11reduce_implILb1ES3_PiS7_iN6hipcub16HIPCUB_304000_NS6detail34convert_binary_result_type_wrapperISt4plusIvENS9_22TransformInputIteratorIiN2at6native8internal21MapNumberOfTrueValuesEPKhlEEiEEEE10hipError_tPvRmT1_T2_T3_mT4_P12ihipStream_tbEUlT_E1_NS1_11comp_targetILNS1_3genE9ELNS1_11target_archE1100ELNS1_3gpuE3ELNS1_3repE0EEENS1_30default_config_static_selectorELNS0_4arch9wavefront6targetE1EEEvSQ_.kd
    .uniform_work_group_size: 1
    .uses_dynamic_stack: false
    .vgpr_count:     0
    .vgpr_spill_count: 0
    .wavefront_size: 64
  - .agpr_count:     0
    .args:
      - .offset:         0
        .size:           40
        .value_kind:     by_value
    .group_segment_fixed_size: 0
    .kernarg_segment_align: 8
    .kernarg_segment_size: 40
    .language:       OpenCL C
    .language_version:
      - 2
      - 0
    .max_flat_workgroup_size: 256
    .name:           _ZN7rocprim17ROCPRIM_400000_NS6detail17trampoline_kernelINS0_14default_configENS1_22reduce_config_selectorIiEEZNS1_11reduce_implILb1ES3_PiS7_iN6hipcub16HIPCUB_304000_NS6detail34convert_binary_result_type_wrapperISt4plusIvENS9_22TransformInputIteratorIiN2at6native8internal21MapNumberOfTrueValuesEPKhlEEiEEEE10hipError_tPvRmT1_T2_T3_mT4_P12ihipStream_tbEUlT_E1_NS1_11comp_targetILNS1_3genE8ELNS1_11target_archE1030ELNS1_3gpuE2ELNS1_3repE0EEENS1_30default_config_static_selectorELNS0_4arch9wavefront6targetE1EEEvSQ_
    .private_segment_fixed_size: 0
    .sgpr_count:     6
    .sgpr_spill_count: 0
    .symbol:         _ZN7rocprim17ROCPRIM_400000_NS6detail17trampoline_kernelINS0_14default_configENS1_22reduce_config_selectorIiEEZNS1_11reduce_implILb1ES3_PiS7_iN6hipcub16HIPCUB_304000_NS6detail34convert_binary_result_type_wrapperISt4plusIvENS9_22TransformInputIteratorIiN2at6native8internal21MapNumberOfTrueValuesEPKhlEEiEEEE10hipError_tPvRmT1_T2_T3_mT4_P12ihipStream_tbEUlT_E1_NS1_11comp_targetILNS1_3genE8ELNS1_11target_archE1030ELNS1_3gpuE2ELNS1_3repE0EEENS1_30default_config_static_selectorELNS0_4arch9wavefront6targetE1EEEvSQ_.kd
    .uniform_work_group_size: 1
    .uses_dynamic_stack: false
    .vgpr_count:     0
    .vgpr_spill_count: 0
    .wavefront_size: 64
  - .agpr_count:     0
    .args:
      - .offset:         0
        .size:           64
        .value_kind:     by_value
    .group_segment_fixed_size: 0
    .kernarg_segment_align: 8
    .kernarg_segment_size: 64
    .language:       OpenCL C
    .language_version:
      - 2
      - 0
    .max_flat_workgroup_size: 256
    .name:           _ZN7rocprim17ROCPRIM_400000_NS6detail17trampoline_kernelINS0_14default_configENS1_22reduce_config_selectorIiEEZNS1_11reduce_implILb1ES3_N6hipcub16HIPCUB_304000_NS22TransformInputIteratorIiN2at6native8internal21MapNumberOfTrueValuesEPKhlEEPiiNS8_6detail34convert_binary_result_type_wrapperISt4plusIvESG_iEEEE10hipError_tPvRmT1_T2_T3_mT4_P12ihipStream_tbEUlT_E0_NS1_11comp_targetILNS1_3genE0ELNS1_11target_archE4294967295ELNS1_3gpuE0ELNS1_3repE0EEENS1_30default_config_static_selectorELNS0_4arch9wavefront6targetE1EEEvSQ_
    .private_segment_fixed_size: 0
    .sgpr_count:     6
    .sgpr_spill_count: 0
    .symbol:         _ZN7rocprim17ROCPRIM_400000_NS6detail17trampoline_kernelINS0_14default_configENS1_22reduce_config_selectorIiEEZNS1_11reduce_implILb1ES3_N6hipcub16HIPCUB_304000_NS22TransformInputIteratorIiN2at6native8internal21MapNumberOfTrueValuesEPKhlEEPiiNS8_6detail34convert_binary_result_type_wrapperISt4plusIvESG_iEEEE10hipError_tPvRmT1_T2_T3_mT4_P12ihipStream_tbEUlT_E0_NS1_11comp_targetILNS1_3genE0ELNS1_11target_archE4294967295ELNS1_3gpuE0ELNS1_3repE0EEENS1_30default_config_static_selectorELNS0_4arch9wavefront6targetE1EEEvSQ_.kd
    .uniform_work_group_size: 1
    .uses_dynamic_stack: false
    .vgpr_count:     0
    .vgpr_spill_count: 0
    .wavefront_size: 64
  - .agpr_count:     0
    .args:
      - .offset:         0
        .size:           64
        .value_kind:     by_value
    .group_segment_fixed_size: 32
    .kernarg_segment_align: 8
    .kernarg_segment_size: 64
    .language:       OpenCL C
    .language_version:
      - 2
      - 0
    .max_flat_workgroup_size: 256
    .name:           _ZN7rocprim17ROCPRIM_400000_NS6detail17trampoline_kernelINS0_14default_configENS1_22reduce_config_selectorIiEEZNS1_11reduce_implILb1ES3_N6hipcub16HIPCUB_304000_NS22TransformInputIteratorIiN2at6native8internal21MapNumberOfTrueValuesEPKhlEEPiiNS8_6detail34convert_binary_result_type_wrapperISt4plusIvESG_iEEEE10hipError_tPvRmT1_T2_T3_mT4_P12ihipStream_tbEUlT_E0_NS1_11comp_targetILNS1_3genE5ELNS1_11target_archE942ELNS1_3gpuE9ELNS1_3repE0EEENS1_30default_config_static_selectorELNS0_4arch9wavefront6targetE1EEEvSQ_
    .private_segment_fixed_size: 0
    .sgpr_count:     34
    .sgpr_spill_count: 0
    .symbol:         _ZN7rocprim17ROCPRIM_400000_NS6detail17trampoline_kernelINS0_14default_configENS1_22reduce_config_selectorIiEEZNS1_11reduce_implILb1ES3_N6hipcub16HIPCUB_304000_NS22TransformInputIteratorIiN2at6native8internal21MapNumberOfTrueValuesEPKhlEEPiiNS8_6detail34convert_binary_result_type_wrapperISt4plusIvESG_iEEEE10hipError_tPvRmT1_T2_T3_mT4_P12ihipStream_tbEUlT_E0_NS1_11comp_targetILNS1_3genE5ELNS1_11target_archE942ELNS1_3gpuE9ELNS1_3repE0EEENS1_30default_config_static_selectorELNS0_4arch9wavefront6targetE1EEEvSQ_.kd
    .uniform_work_group_size: 1
    .uses_dynamic_stack: false
    .vgpr_count:     12
    .vgpr_spill_count: 0
    .wavefront_size: 64
  - .agpr_count:     0
    .args:
      - .offset:         0
        .size:           64
        .value_kind:     by_value
    .group_segment_fixed_size: 0
    .kernarg_segment_align: 8
    .kernarg_segment_size: 64
    .language:       OpenCL C
    .language_version:
      - 2
      - 0
    .max_flat_workgroup_size: 128
    .name:           _ZN7rocprim17ROCPRIM_400000_NS6detail17trampoline_kernelINS0_14default_configENS1_22reduce_config_selectorIiEEZNS1_11reduce_implILb1ES3_N6hipcub16HIPCUB_304000_NS22TransformInputIteratorIiN2at6native8internal21MapNumberOfTrueValuesEPKhlEEPiiNS8_6detail34convert_binary_result_type_wrapperISt4plusIvESG_iEEEE10hipError_tPvRmT1_T2_T3_mT4_P12ihipStream_tbEUlT_E0_NS1_11comp_targetILNS1_3genE4ELNS1_11target_archE910ELNS1_3gpuE8ELNS1_3repE0EEENS1_30default_config_static_selectorELNS0_4arch9wavefront6targetE1EEEvSQ_
    .private_segment_fixed_size: 0
    .sgpr_count:     6
    .sgpr_spill_count: 0
    .symbol:         _ZN7rocprim17ROCPRIM_400000_NS6detail17trampoline_kernelINS0_14default_configENS1_22reduce_config_selectorIiEEZNS1_11reduce_implILb1ES3_N6hipcub16HIPCUB_304000_NS22TransformInputIteratorIiN2at6native8internal21MapNumberOfTrueValuesEPKhlEEPiiNS8_6detail34convert_binary_result_type_wrapperISt4plusIvESG_iEEEE10hipError_tPvRmT1_T2_T3_mT4_P12ihipStream_tbEUlT_E0_NS1_11comp_targetILNS1_3genE4ELNS1_11target_archE910ELNS1_3gpuE8ELNS1_3repE0EEENS1_30default_config_static_selectorELNS0_4arch9wavefront6targetE1EEEvSQ_.kd
    .uniform_work_group_size: 1
    .uses_dynamic_stack: false
    .vgpr_count:     0
    .vgpr_spill_count: 0
    .wavefront_size: 64
  - .agpr_count:     0
    .args:
      - .offset:         0
        .size:           64
        .value_kind:     by_value
    .group_segment_fixed_size: 0
    .kernarg_segment_align: 8
    .kernarg_segment_size: 64
    .language:       OpenCL C
    .language_version:
      - 2
      - 0
    .max_flat_workgroup_size: 256
    .name:           _ZN7rocprim17ROCPRIM_400000_NS6detail17trampoline_kernelINS0_14default_configENS1_22reduce_config_selectorIiEEZNS1_11reduce_implILb1ES3_N6hipcub16HIPCUB_304000_NS22TransformInputIteratorIiN2at6native8internal21MapNumberOfTrueValuesEPKhlEEPiiNS8_6detail34convert_binary_result_type_wrapperISt4plusIvESG_iEEEE10hipError_tPvRmT1_T2_T3_mT4_P12ihipStream_tbEUlT_E0_NS1_11comp_targetILNS1_3genE3ELNS1_11target_archE908ELNS1_3gpuE7ELNS1_3repE0EEENS1_30default_config_static_selectorELNS0_4arch9wavefront6targetE1EEEvSQ_
    .private_segment_fixed_size: 0
    .sgpr_count:     6
    .sgpr_spill_count: 0
    .symbol:         _ZN7rocprim17ROCPRIM_400000_NS6detail17trampoline_kernelINS0_14default_configENS1_22reduce_config_selectorIiEEZNS1_11reduce_implILb1ES3_N6hipcub16HIPCUB_304000_NS22TransformInputIteratorIiN2at6native8internal21MapNumberOfTrueValuesEPKhlEEPiiNS8_6detail34convert_binary_result_type_wrapperISt4plusIvESG_iEEEE10hipError_tPvRmT1_T2_T3_mT4_P12ihipStream_tbEUlT_E0_NS1_11comp_targetILNS1_3genE3ELNS1_11target_archE908ELNS1_3gpuE7ELNS1_3repE0EEENS1_30default_config_static_selectorELNS0_4arch9wavefront6targetE1EEEvSQ_.kd
    .uniform_work_group_size: 1
    .uses_dynamic_stack: false
    .vgpr_count:     0
    .vgpr_spill_count: 0
    .wavefront_size: 64
  - .agpr_count:     0
    .args:
      - .offset:         0
        .size:           64
        .value_kind:     by_value
    .group_segment_fixed_size: 0
    .kernarg_segment_align: 8
    .kernarg_segment_size: 64
    .language:       OpenCL C
    .language_version:
      - 2
      - 0
    .max_flat_workgroup_size: 256
    .name:           _ZN7rocprim17ROCPRIM_400000_NS6detail17trampoline_kernelINS0_14default_configENS1_22reduce_config_selectorIiEEZNS1_11reduce_implILb1ES3_N6hipcub16HIPCUB_304000_NS22TransformInputIteratorIiN2at6native8internal21MapNumberOfTrueValuesEPKhlEEPiiNS8_6detail34convert_binary_result_type_wrapperISt4plusIvESG_iEEEE10hipError_tPvRmT1_T2_T3_mT4_P12ihipStream_tbEUlT_E0_NS1_11comp_targetILNS1_3genE2ELNS1_11target_archE906ELNS1_3gpuE6ELNS1_3repE0EEENS1_30default_config_static_selectorELNS0_4arch9wavefront6targetE1EEEvSQ_
    .private_segment_fixed_size: 0
    .sgpr_count:     6
    .sgpr_spill_count: 0
    .symbol:         _ZN7rocprim17ROCPRIM_400000_NS6detail17trampoline_kernelINS0_14default_configENS1_22reduce_config_selectorIiEEZNS1_11reduce_implILb1ES3_N6hipcub16HIPCUB_304000_NS22TransformInputIteratorIiN2at6native8internal21MapNumberOfTrueValuesEPKhlEEPiiNS8_6detail34convert_binary_result_type_wrapperISt4plusIvESG_iEEEE10hipError_tPvRmT1_T2_T3_mT4_P12ihipStream_tbEUlT_E0_NS1_11comp_targetILNS1_3genE2ELNS1_11target_archE906ELNS1_3gpuE6ELNS1_3repE0EEENS1_30default_config_static_selectorELNS0_4arch9wavefront6targetE1EEEvSQ_.kd
    .uniform_work_group_size: 1
    .uses_dynamic_stack: false
    .vgpr_count:     0
    .vgpr_spill_count: 0
    .wavefront_size: 64
  - .agpr_count:     0
    .args:
      - .offset:         0
        .size:           64
        .value_kind:     by_value
    .group_segment_fixed_size: 0
    .kernarg_segment_align: 8
    .kernarg_segment_size: 64
    .language:       OpenCL C
    .language_version:
      - 2
      - 0
    .max_flat_workgroup_size: 256
    .name:           _ZN7rocprim17ROCPRIM_400000_NS6detail17trampoline_kernelINS0_14default_configENS1_22reduce_config_selectorIiEEZNS1_11reduce_implILb1ES3_N6hipcub16HIPCUB_304000_NS22TransformInputIteratorIiN2at6native8internal21MapNumberOfTrueValuesEPKhlEEPiiNS8_6detail34convert_binary_result_type_wrapperISt4plusIvESG_iEEEE10hipError_tPvRmT1_T2_T3_mT4_P12ihipStream_tbEUlT_E0_NS1_11comp_targetILNS1_3genE10ELNS1_11target_archE1201ELNS1_3gpuE5ELNS1_3repE0EEENS1_30default_config_static_selectorELNS0_4arch9wavefront6targetE1EEEvSQ_
    .private_segment_fixed_size: 0
    .sgpr_count:     6
    .sgpr_spill_count: 0
    .symbol:         _ZN7rocprim17ROCPRIM_400000_NS6detail17trampoline_kernelINS0_14default_configENS1_22reduce_config_selectorIiEEZNS1_11reduce_implILb1ES3_N6hipcub16HIPCUB_304000_NS22TransformInputIteratorIiN2at6native8internal21MapNumberOfTrueValuesEPKhlEEPiiNS8_6detail34convert_binary_result_type_wrapperISt4plusIvESG_iEEEE10hipError_tPvRmT1_T2_T3_mT4_P12ihipStream_tbEUlT_E0_NS1_11comp_targetILNS1_3genE10ELNS1_11target_archE1201ELNS1_3gpuE5ELNS1_3repE0EEENS1_30default_config_static_selectorELNS0_4arch9wavefront6targetE1EEEvSQ_.kd
    .uniform_work_group_size: 1
    .uses_dynamic_stack: false
    .vgpr_count:     0
    .vgpr_spill_count: 0
    .wavefront_size: 64
  - .agpr_count:     0
    .args:
      - .offset:         0
        .size:           64
        .value_kind:     by_value
    .group_segment_fixed_size: 0
    .kernarg_segment_align: 8
    .kernarg_segment_size: 64
    .language:       OpenCL C
    .language_version:
      - 2
      - 0
    .max_flat_workgroup_size: 256
    .name:           _ZN7rocprim17ROCPRIM_400000_NS6detail17trampoline_kernelINS0_14default_configENS1_22reduce_config_selectorIiEEZNS1_11reduce_implILb1ES3_N6hipcub16HIPCUB_304000_NS22TransformInputIteratorIiN2at6native8internal21MapNumberOfTrueValuesEPKhlEEPiiNS8_6detail34convert_binary_result_type_wrapperISt4plusIvESG_iEEEE10hipError_tPvRmT1_T2_T3_mT4_P12ihipStream_tbEUlT_E0_NS1_11comp_targetILNS1_3genE10ELNS1_11target_archE1200ELNS1_3gpuE4ELNS1_3repE0EEENS1_30default_config_static_selectorELNS0_4arch9wavefront6targetE1EEEvSQ_
    .private_segment_fixed_size: 0
    .sgpr_count:     6
    .sgpr_spill_count: 0
    .symbol:         _ZN7rocprim17ROCPRIM_400000_NS6detail17trampoline_kernelINS0_14default_configENS1_22reduce_config_selectorIiEEZNS1_11reduce_implILb1ES3_N6hipcub16HIPCUB_304000_NS22TransformInputIteratorIiN2at6native8internal21MapNumberOfTrueValuesEPKhlEEPiiNS8_6detail34convert_binary_result_type_wrapperISt4plusIvESG_iEEEE10hipError_tPvRmT1_T2_T3_mT4_P12ihipStream_tbEUlT_E0_NS1_11comp_targetILNS1_3genE10ELNS1_11target_archE1200ELNS1_3gpuE4ELNS1_3repE0EEENS1_30default_config_static_selectorELNS0_4arch9wavefront6targetE1EEEvSQ_.kd
    .uniform_work_group_size: 1
    .uses_dynamic_stack: false
    .vgpr_count:     0
    .vgpr_spill_count: 0
    .wavefront_size: 64
  - .agpr_count:     0
    .args:
      - .offset:         0
        .size:           64
        .value_kind:     by_value
    .group_segment_fixed_size: 0
    .kernarg_segment_align: 8
    .kernarg_segment_size: 64
    .language:       OpenCL C
    .language_version:
      - 2
      - 0
    .max_flat_workgroup_size: 256
    .name:           _ZN7rocprim17ROCPRIM_400000_NS6detail17trampoline_kernelINS0_14default_configENS1_22reduce_config_selectorIiEEZNS1_11reduce_implILb1ES3_N6hipcub16HIPCUB_304000_NS22TransformInputIteratorIiN2at6native8internal21MapNumberOfTrueValuesEPKhlEEPiiNS8_6detail34convert_binary_result_type_wrapperISt4plusIvESG_iEEEE10hipError_tPvRmT1_T2_T3_mT4_P12ihipStream_tbEUlT_E0_NS1_11comp_targetILNS1_3genE9ELNS1_11target_archE1100ELNS1_3gpuE3ELNS1_3repE0EEENS1_30default_config_static_selectorELNS0_4arch9wavefront6targetE1EEEvSQ_
    .private_segment_fixed_size: 0
    .sgpr_count:     6
    .sgpr_spill_count: 0
    .symbol:         _ZN7rocprim17ROCPRIM_400000_NS6detail17trampoline_kernelINS0_14default_configENS1_22reduce_config_selectorIiEEZNS1_11reduce_implILb1ES3_N6hipcub16HIPCUB_304000_NS22TransformInputIteratorIiN2at6native8internal21MapNumberOfTrueValuesEPKhlEEPiiNS8_6detail34convert_binary_result_type_wrapperISt4plusIvESG_iEEEE10hipError_tPvRmT1_T2_T3_mT4_P12ihipStream_tbEUlT_E0_NS1_11comp_targetILNS1_3genE9ELNS1_11target_archE1100ELNS1_3gpuE3ELNS1_3repE0EEENS1_30default_config_static_selectorELNS0_4arch9wavefront6targetE1EEEvSQ_.kd
    .uniform_work_group_size: 1
    .uses_dynamic_stack: false
    .vgpr_count:     0
    .vgpr_spill_count: 0
    .wavefront_size: 64
  - .agpr_count:     0
    .args:
      - .offset:         0
        .size:           64
        .value_kind:     by_value
    .group_segment_fixed_size: 0
    .kernarg_segment_align: 8
    .kernarg_segment_size: 64
    .language:       OpenCL C
    .language_version:
      - 2
      - 0
    .max_flat_workgroup_size: 256
    .name:           _ZN7rocprim17ROCPRIM_400000_NS6detail17trampoline_kernelINS0_14default_configENS1_22reduce_config_selectorIiEEZNS1_11reduce_implILb1ES3_N6hipcub16HIPCUB_304000_NS22TransformInputIteratorIiN2at6native8internal21MapNumberOfTrueValuesEPKhlEEPiiNS8_6detail34convert_binary_result_type_wrapperISt4plusIvESG_iEEEE10hipError_tPvRmT1_T2_T3_mT4_P12ihipStream_tbEUlT_E0_NS1_11comp_targetILNS1_3genE8ELNS1_11target_archE1030ELNS1_3gpuE2ELNS1_3repE0EEENS1_30default_config_static_selectorELNS0_4arch9wavefront6targetE1EEEvSQ_
    .private_segment_fixed_size: 0
    .sgpr_count:     6
    .sgpr_spill_count: 0
    .symbol:         _ZN7rocprim17ROCPRIM_400000_NS6detail17trampoline_kernelINS0_14default_configENS1_22reduce_config_selectorIiEEZNS1_11reduce_implILb1ES3_N6hipcub16HIPCUB_304000_NS22TransformInputIteratorIiN2at6native8internal21MapNumberOfTrueValuesEPKhlEEPiiNS8_6detail34convert_binary_result_type_wrapperISt4plusIvESG_iEEEE10hipError_tPvRmT1_T2_T3_mT4_P12ihipStream_tbEUlT_E0_NS1_11comp_targetILNS1_3genE8ELNS1_11target_archE1030ELNS1_3gpuE2ELNS1_3repE0EEENS1_30default_config_static_selectorELNS0_4arch9wavefront6targetE1EEEvSQ_.kd
    .uniform_work_group_size: 1
    .uses_dynamic_stack: false
    .vgpr_count:     0
    .vgpr_spill_count: 0
    .wavefront_size: 64
  - .agpr_count:     0
    .args:
      - .offset:         0
        .size:           48
        .value_kind:     by_value
    .group_segment_fixed_size: 0
    .kernarg_segment_align: 8
    .kernarg_segment_size: 48
    .language:       OpenCL C
    .language_version:
      - 2
      - 0
    .max_flat_workgroup_size: 256
    .name:           _ZN7rocprim17ROCPRIM_400000_NS6detail17trampoline_kernelINS0_14default_configENS1_22reduce_config_selectorIiEEZNS1_11reduce_implILb1ES3_N6hipcub16HIPCUB_304000_NS22TransformInputIteratorIiN2at6native8internal21MapNumberOfTrueValuesEPKhlEEPiiNS8_6detail34convert_binary_result_type_wrapperISt4plusIvESG_iEEEE10hipError_tPvRmT1_T2_T3_mT4_P12ihipStream_tbEUlT_E1_NS1_11comp_targetILNS1_3genE0ELNS1_11target_archE4294967295ELNS1_3gpuE0ELNS1_3repE0EEENS1_30default_config_static_selectorELNS0_4arch9wavefront6targetE1EEEvSQ_
    .private_segment_fixed_size: 0
    .sgpr_count:     6
    .sgpr_spill_count: 0
    .symbol:         _ZN7rocprim17ROCPRIM_400000_NS6detail17trampoline_kernelINS0_14default_configENS1_22reduce_config_selectorIiEEZNS1_11reduce_implILb1ES3_N6hipcub16HIPCUB_304000_NS22TransformInputIteratorIiN2at6native8internal21MapNumberOfTrueValuesEPKhlEEPiiNS8_6detail34convert_binary_result_type_wrapperISt4plusIvESG_iEEEE10hipError_tPvRmT1_T2_T3_mT4_P12ihipStream_tbEUlT_E1_NS1_11comp_targetILNS1_3genE0ELNS1_11target_archE4294967295ELNS1_3gpuE0ELNS1_3repE0EEENS1_30default_config_static_selectorELNS0_4arch9wavefront6targetE1EEEvSQ_.kd
    .uniform_work_group_size: 1
    .uses_dynamic_stack: false
    .vgpr_count:     0
    .vgpr_spill_count: 0
    .wavefront_size: 64
  - .agpr_count:     0
    .args:
      - .offset:         0
        .size:           48
        .value_kind:     by_value
    .group_segment_fixed_size: 112
    .kernarg_segment_align: 8
    .kernarg_segment_size: 48
    .language:       OpenCL C
    .language_version:
      - 2
      - 0
    .max_flat_workgroup_size: 256
    .name:           _ZN7rocprim17ROCPRIM_400000_NS6detail17trampoline_kernelINS0_14default_configENS1_22reduce_config_selectorIiEEZNS1_11reduce_implILb1ES3_N6hipcub16HIPCUB_304000_NS22TransformInputIteratorIiN2at6native8internal21MapNumberOfTrueValuesEPKhlEEPiiNS8_6detail34convert_binary_result_type_wrapperISt4plusIvESG_iEEEE10hipError_tPvRmT1_T2_T3_mT4_P12ihipStream_tbEUlT_E1_NS1_11comp_targetILNS1_3genE5ELNS1_11target_archE942ELNS1_3gpuE9ELNS1_3repE0EEENS1_30default_config_static_selectorELNS0_4arch9wavefront6targetE1EEEvSQ_
    .private_segment_fixed_size: 0
    .sgpr_count:     51
    .sgpr_spill_count: 0
    .symbol:         _ZN7rocprim17ROCPRIM_400000_NS6detail17trampoline_kernelINS0_14default_configENS1_22reduce_config_selectorIiEEZNS1_11reduce_implILb1ES3_N6hipcub16HIPCUB_304000_NS22TransformInputIteratorIiN2at6native8internal21MapNumberOfTrueValuesEPKhlEEPiiNS8_6detail34convert_binary_result_type_wrapperISt4plusIvESG_iEEEE10hipError_tPvRmT1_T2_T3_mT4_P12ihipStream_tbEUlT_E1_NS1_11comp_targetILNS1_3genE5ELNS1_11target_archE942ELNS1_3gpuE9ELNS1_3repE0EEENS1_30default_config_static_selectorELNS0_4arch9wavefront6targetE1EEEvSQ_.kd
    .uniform_work_group_size: 1
    .uses_dynamic_stack: false
    .vgpr_count:     35
    .vgpr_spill_count: 0
    .wavefront_size: 64
  - .agpr_count:     0
    .args:
      - .offset:         0
        .size:           48
        .value_kind:     by_value
    .group_segment_fixed_size: 0
    .kernarg_segment_align: 8
    .kernarg_segment_size: 48
    .language:       OpenCL C
    .language_version:
      - 2
      - 0
    .max_flat_workgroup_size: 128
    .name:           _ZN7rocprim17ROCPRIM_400000_NS6detail17trampoline_kernelINS0_14default_configENS1_22reduce_config_selectorIiEEZNS1_11reduce_implILb1ES3_N6hipcub16HIPCUB_304000_NS22TransformInputIteratorIiN2at6native8internal21MapNumberOfTrueValuesEPKhlEEPiiNS8_6detail34convert_binary_result_type_wrapperISt4plusIvESG_iEEEE10hipError_tPvRmT1_T2_T3_mT4_P12ihipStream_tbEUlT_E1_NS1_11comp_targetILNS1_3genE4ELNS1_11target_archE910ELNS1_3gpuE8ELNS1_3repE0EEENS1_30default_config_static_selectorELNS0_4arch9wavefront6targetE1EEEvSQ_
    .private_segment_fixed_size: 0
    .sgpr_count:     6
    .sgpr_spill_count: 0
    .symbol:         _ZN7rocprim17ROCPRIM_400000_NS6detail17trampoline_kernelINS0_14default_configENS1_22reduce_config_selectorIiEEZNS1_11reduce_implILb1ES3_N6hipcub16HIPCUB_304000_NS22TransformInputIteratorIiN2at6native8internal21MapNumberOfTrueValuesEPKhlEEPiiNS8_6detail34convert_binary_result_type_wrapperISt4plusIvESG_iEEEE10hipError_tPvRmT1_T2_T3_mT4_P12ihipStream_tbEUlT_E1_NS1_11comp_targetILNS1_3genE4ELNS1_11target_archE910ELNS1_3gpuE8ELNS1_3repE0EEENS1_30default_config_static_selectorELNS0_4arch9wavefront6targetE1EEEvSQ_.kd
    .uniform_work_group_size: 1
    .uses_dynamic_stack: false
    .vgpr_count:     0
    .vgpr_spill_count: 0
    .wavefront_size: 64
  - .agpr_count:     0
    .args:
      - .offset:         0
        .size:           48
        .value_kind:     by_value
    .group_segment_fixed_size: 0
    .kernarg_segment_align: 8
    .kernarg_segment_size: 48
    .language:       OpenCL C
    .language_version:
      - 2
      - 0
    .max_flat_workgroup_size: 256
    .name:           _ZN7rocprim17ROCPRIM_400000_NS6detail17trampoline_kernelINS0_14default_configENS1_22reduce_config_selectorIiEEZNS1_11reduce_implILb1ES3_N6hipcub16HIPCUB_304000_NS22TransformInputIteratorIiN2at6native8internal21MapNumberOfTrueValuesEPKhlEEPiiNS8_6detail34convert_binary_result_type_wrapperISt4plusIvESG_iEEEE10hipError_tPvRmT1_T2_T3_mT4_P12ihipStream_tbEUlT_E1_NS1_11comp_targetILNS1_3genE3ELNS1_11target_archE908ELNS1_3gpuE7ELNS1_3repE0EEENS1_30default_config_static_selectorELNS0_4arch9wavefront6targetE1EEEvSQ_
    .private_segment_fixed_size: 0
    .sgpr_count:     6
    .sgpr_spill_count: 0
    .symbol:         _ZN7rocprim17ROCPRIM_400000_NS6detail17trampoline_kernelINS0_14default_configENS1_22reduce_config_selectorIiEEZNS1_11reduce_implILb1ES3_N6hipcub16HIPCUB_304000_NS22TransformInputIteratorIiN2at6native8internal21MapNumberOfTrueValuesEPKhlEEPiiNS8_6detail34convert_binary_result_type_wrapperISt4plusIvESG_iEEEE10hipError_tPvRmT1_T2_T3_mT4_P12ihipStream_tbEUlT_E1_NS1_11comp_targetILNS1_3genE3ELNS1_11target_archE908ELNS1_3gpuE7ELNS1_3repE0EEENS1_30default_config_static_selectorELNS0_4arch9wavefront6targetE1EEEvSQ_.kd
    .uniform_work_group_size: 1
    .uses_dynamic_stack: false
    .vgpr_count:     0
    .vgpr_spill_count: 0
    .wavefront_size: 64
  - .agpr_count:     0
    .args:
      - .offset:         0
        .size:           48
        .value_kind:     by_value
    .group_segment_fixed_size: 0
    .kernarg_segment_align: 8
    .kernarg_segment_size: 48
    .language:       OpenCL C
    .language_version:
      - 2
      - 0
    .max_flat_workgroup_size: 256
    .name:           _ZN7rocprim17ROCPRIM_400000_NS6detail17trampoline_kernelINS0_14default_configENS1_22reduce_config_selectorIiEEZNS1_11reduce_implILb1ES3_N6hipcub16HIPCUB_304000_NS22TransformInputIteratorIiN2at6native8internal21MapNumberOfTrueValuesEPKhlEEPiiNS8_6detail34convert_binary_result_type_wrapperISt4plusIvESG_iEEEE10hipError_tPvRmT1_T2_T3_mT4_P12ihipStream_tbEUlT_E1_NS1_11comp_targetILNS1_3genE2ELNS1_11target_archE906ELNS1_3gpuE6ELNS1_3repE0EEENS1_30default_config_static_selectorELNS0_4arch9wavefront6targetE1EEEvSQ_
    .private_segment_fixed_size: 0
    .sgpr_count:     6
    .sgpr_spill_count: 0
    .symbol:         _ZN7rocprim17ROCPRIM_400000_NS6detail17trampoline_kernelINS0_14default_configENS1_22reduce_config_selectorIiEEZNS1_11reduce_implILb1ES3_N6hipcub16HIPCUB_304000_NS22TransformInputIteratorIiN2at6native8internal21MapNumberOfTrueValuesEPKhlEEPiiNS8_6detail34convert_binary_result_type_wrapperISt4plusIvESG_iEEEE10hipError_tPvRmT1_T2_T3_mT4_P12ihipStream_tbEUlT_E1_NS1_11comp_targetILNS1_3genE2ELNS1_11target_archE906ELNS1_3gpuE6ELNS1_3repE0EEENS1_30default_config_static_selectorELNS0_4arch9wavefront6targetE1EEEvSQ_.kd
    .uniform_work_group_size: 1
    .uses_dynamic_stack: false
    .vgpr_count:     0
    .vgpr_spill_count: 0
    .wavefront_size: 64
  - .agpr_count:     0
    .args:
      - .offset:         0
        .size:           48
        .value_kind:     by_value
    .group_segment_fixed_size: 0
    .kernarg_segment_align: 8
    .kernarg_segment_size: 48
    .language:       OpenCL C
    .language_version:
      - 2
      - 0
    .max_flat_workgroup_size: 256
    .name:           _ZN7rocprim17ROCPRIM_400000_NS6detail17trampoline_kernelINS0_14default_configENS1_22reduce_config_selectorIiEEZNS1_11reduce_implILb1ES3_N6hipcub16HIPCUB_304000_NS22TransformInputIteratorIiN2at6native8internal21MapNumberOfTrueValuesEPKhlEEPiiNS8_6detail34convert_binary_result_type_wrapperISt4plusIvESG_iEEEE10hipError_tPvRmT1_T2_T3_mT4_P12ihipStream_tbEUlT_E1_NS1_11comp_targetILNS1_3genE10ELNS1_11target_archE1201ELNS1_3gpuE5ELNS1_3repE0EEENS1_30default_config_static_selectorELNS0_4arch9wavefront6targetE1EEEvSQ_
    .private_segment_fixed_size: 0
    .sgpr_count:     6
    .sgpr_spill_count: 0
    .symbol:         _ZN7rocprim17ROCPRIM_400000_NS6detail17trampoline_kernelINS0_14default_configENS1_22reduce_config_selectorIiEEZNS1_11reduce_implILb1ES3_N6hipcub16HIPCUB_304000_NS22TransformInputIteratorIiN2at6native8internal21MapNumberOfTrueValuesEPKhlEEPiiNS8_6detail34convert_binary_result_type_wrapperISt4plusIvESG_iEEEE10hipError_tPvRmT1_T2_T3_mT4_P12ihipStream_tbEUlT_E1_NS1_11comp_targetILNS1_3genE10ELNS1_11target_archE1201ELNS1_3gpuE5ELNS1_3repE0EEENS1_30default_config_static_selectorELNS0_4arch9wavefront6targetE1EEEvSQ_.kd
    .uniform_work_group_size: 1
    .uses_dynamic_stack: false
    .vgpr_count:     0
    .vgpr_spill_count: 0
    .wavefront_size: 64
  - .agpr_count:     0
    .args:
      - .offset:         0
        .size:           48
        .value_kind:     by_value
    .group_segment_fixed_size: 0
    .kernarg_segment_align: 8
    .kernarg_segment_size: 48
    .language:       OpenCL C
    .language_version:
      - 2
      - 0
    .max_flat_workgroup_size: 256
    .name:           _ZN7rocprim17ROCPRIM_400000_NS6detail17trampoline_kernelINS0_14default_configENS1_22reduce_config_selectorIiEEZNS1_11reduce_implILb1ES3_N6hipcub16HIPCUB_304000_NS22TransformInputIteratorIiN2at6native8internal21MapNumberOfTrueValuesEPKhlEEPiiNS8_6detail34convert_binary_result_type_wrapperISt4plusIvESG_iEEEE10hipError_tPvRmT1_T2_T3_mT4_P12ihipStream_tbEUlT_E1_NS1_11comp_targetILNS1_3genE10ELNS1_11target_archE1200ELNS1_3gpuE4ELNS1_3repE0EEENS1_30default_config_static_selectorELNS0_4arch9wavefront6targetE1EEEvSQ_
    .private_segment_fixed_size: 0
    .sgpr_count:     6
    .sgpr_spill_count: 0
    .symbol:         _ZN7rocprim17ROCPRIM_400000_NS6detail17trampoline_kernelINS0_14default_configENS1_22reduce_config_selectorIiEEZNS1_11reduce_implILb1ES3_N6hipcub16HIPCUB_304000_NS22TransformInputIteratorIiN2at6native8internal21MapNumberOfTrueValuesEPKhlEEPiiNS8_6detail34convert_binary_result_type_wrapperISt4plusIvESG_iEEEE10hipError_tPvRmT1_T2_T3_mT4_P12ihipStream_tbEUlT_E1_NS1_11comp_targetILNS1_3genE10ELNS1_11target_archE1200ELNS1_3gpuE4ELNS1_3repE0EEENS1_30default_config_static_selectorELNS0_4arch9wavefront6targetE1EEEvSQ_.kd
    .uniform_work_group_size: 1
    .uses_dynamic_stack: false
    .vgpr_count:     0
    .vgpr_spill_count: 0
    .wavefront_size: 64
  - .agpr_count:     0
    .args:
      - .offset:         0
        .size:           48
        .value_kind:     by_value
    .group_segment_fixed_size: 0
    .kernarg_segment_align: 8
    .kernarg_segment_size: 48
    .language:       OpenCL C
    .language_version:
      - 2
      - 0
    .max_flat_workgroup_size: 256
    .name:           _ZN7rocprim17ROCPRIM_400000_NS6detail17trampoline_kernelINS0_14default_configENS1_22reduce_config_selectorIiEEZNS1_11reduce_implILb1ES3_N6hipcub16HIPCUB_304000_NS22TransformInputIteratorIiN2at6native8internal21MapNumberOfTrueValuesEPKhlEEPiiNS8_6detail34convert_binary_result_type_wrapperISt4plusIvESG_iEEEE10hipError_tPvRmT1_T2_T3_mT4_P12ihipStream_tbEUlT_E1_NS1_11comp_targetILNS1_3genE9ELNS1_11target_archE1100ELNS1_3gpuE3ELNS1_3repE0EEENS1_30default_config_static_selectorELNS0_4arch9wavefront6targetE1EEEvSQ_
    .private_segment_fixed_size: 0
    .sgpr_count:     6
    .sgpr_spill_count: 0
    .symbol:         _ZN7rocprim17ROCPRIM_400000_NS6detail17trampoline_kernelINS0_14default_configENS1_22reduce_config_selectorIiEEZNS1_11reduce_implILb1ES3_N6hipcub16HIPCUB_304000_NS22TransformInputIteratorIiN2at6native8internal21MapNumberOfTrueValuesEPKhlEEPiiNS8_6detail34convert_binary_result_type_wrapperISt4plusIvESG_iEEEE10hipError_tPvRmT1_T2_T3_mT4_P12ihipStream_tbEUlT_E1_NS1_11comp_targetILNS1_3genE9ELNS1_11target_archE1100ELNS1_3gpuE3ELNS1_3repE0EEENS1_30default_config_static_selectorELNS0_4arch9wavefront6targetE1EEEvSQ_.kd
    .uniform_work_group_size: 1
    .uses_dynamic_stack: false
    .vgpr_count:     0
    .vgpr_spill_count: 0
    .wavefront_size: 64
  - .agpr_count:     0
    .args:
      - .offset:         0
        .size:           48
        .value_kind:     by_value
    .group_segment_fixed_size: 0
    .kernarg_segment_align: 8
    .kernarg_segment_size: 48
    .language:       OpenCL C
    .language_version:
      - 2
      - 0
    .max_flat_workgroup_size: 256
    .name:           _ZN7rocprim17ROCPRIM_400000_NS6detail17trampoline_kernelINS0_14default_configENS1_22reduce_config_selectorIiEEZNS1_11reduce_implILb1ES3_N6hipcub16HIPCUB_304000_NS22TransformInputIteratorIiN2at6native8internal21MapNumberOfTrueValuesEPKhlEEPiiNS8_6detail34convert_binary_result_type_wrapperISt4plusIvESG_iEEEE10hipError_tPvRmT1_T2_T3_mT4_P12ihipStream_tbEUlT_E1_NS1_11comp_targetILNS1_3genE8ELNS1_11target_archE1030ELNS1_3gpuE2ELNS1_3repE0EEENS1_30default_config_static_selectorELNS0_4arch9wavefront6targetE1EEEvSQ_
    .private_segment_fixed_size: 0
    .sgpr_count:     6
    .sgpr_spill_count: 0
    .symbol:         _ZN7rocprim17ROCPRIM_400000_NS6detail17trampoline_kernelINS0_14default_configENS1_22reduce_config_selectorIiEEZNS1_11reduce_implILb1ES3_N6hipcub16HIPCUB_304000_NS22TransformInputIteratorIiN2at6native8internal21MapNumberOfTrueValuesEPKhlEEPiiNS8_6detail34convert_binary_result_type_wrapperISt4plusIvESG_iEEEE10hipError_tPvRmT1_T2_T3_mT4_P12ihipStream_tbEUlT_E1_NS1_11comp_targetILNS1_3genE8ELNS1_11target_archE1030ELNS1_3gpuE2ELNS1_3repE0EEENS1_30default_config_static_selectorELNS0_4arch9wavefront6targetE1EEEvSQ_.kd
    .uniform_work_group_size: 1
    .uses_dynamic_stack: false
    .vgpr_count:     0
    .vgpr_spill_count: 0
    .wavefront_size: 64
  - .agpr_count:     0
    .args:
      - .offset:         0
        .size:           8
        .value_kind:     by_value
      - .address_space:  global
        .offset:         8
        .size:           8
        .value_kind:     global_buffer
      - .address_space:  global
        .offset:         16
        .size:           8
        .value_kind:     global_buffer
      - .offset:         24
        .size:           4
        .value_kind:     hidden_block_count_x
      - .offset:         28
        .size:           4
        .value_kind:     hidden_block_count_y
      - .offset:         32
        .size:           4
        .value_kind:     hidden_block_count_z
      - .offset:         36
        .size:           2
        .value_kind:     hidden_group_size_x
      - .offset:         38
        .size:           2
        .value_kind:     hidden_group_size_y
      - .offset:         40
        .size:           2
        .value_kind:     hidden_group_size_z
      - .offset:         42
        .size:           2
        .value_kind:     hidden_remainder_x
      - .offset:         44
        .size:           2
        .value_kind:     hidden_remainder_y
      - .offset:         46
        .size:           2
        .value_kind:     hidden_remainder_z
      - .offset:         64
        .size:           8
        .value_kind:     hidden_global_offset_x
      - .offset:         72
        .size:           8
        .value_kind:     hidden_global_offset_y
      - .offset:         80
        .size:           8
        .value_kind:     hidden_global_offset_z
      - .offset:         88
        .size:           2
        .value_kind:     hidden_grid_dims
    .group_segment_fixed_size: 0
    .kernarg_segment_align: 8
    .kernarg_segment_size: 280
    .language:       OpenCL C
    .language_version:
      - 2
      - 0
    .max_flat_workgroup_size: 1024
    .name:           _ZN2at6native8internal12_GLOBAL__N_126adjacent_difference_kernelIPKhEEvlT_Pi
    .private_segment_fixed_size: 0
    .sgpr_count:     22
    .sgpr_spill_count: 0
    .symbol:         _ZN2at6native8internal12_GLOBAL__N_126adjacent_difference_kernelIPKhEEvlT_Pi.kd
    .uniform_work_group_size: 1
    .uses_dynamic_stack: false
    .vgpr_count:     10
    .vgpr_spill_count: 0
    .wavefront_size: 64
  - .agpr_count:     0
    .args:
      - .offset:         0
        .size:           112
        .value_kind:     by_value
    .group_segment_fixed_size: 0
    .kernarg_segment_align: 8
    .kernarg_segment_size: 112
    .language:       OpenCL C
    .language_version:
      - 2
      - 0
    .max_flat_workgroup_size: 256
    .name:           _ZN7rocprim17ROCPRIM_400000_NS6detail17trampoline_kernelINS0_14default_configENS1_25partition_config_selectorILNS1_17partition_subalgoE8EhNS0_10empty_typeEbEEZZNS1_14partition_implILS5_8ELb0ES3_jPKhPS6_PKS6_NS0_5tupleIJPhS6_EEENSE_IJSB_SB_EEENS0_18inequality_wrapperIN6hipcub16HIPCUB_304000_NS8EqualityEEEPlJS6_EEE10hipError_tPvRmT3_T4_T5_T6_T7_T9_mT8_P12ihipStream_tbDpT10_ENKUlT_T0_E_clISt17integral_constantIbLb0EES17_EEDaS12_S13_EUlS12_E_NS1_11comp_targetILNS1_3genE0ELNS1_11target_archE4294967295ELNS1_3gpuE0ELNS1_3repE0EEENS1_30default_config_static_selectorELNS0_4arch9wavefront6targetE1EEEvT1_
    .private_segment_fixed_size: 0
    .sgpr_count:     6
    .sgpr_spill_count: 0
    .symbol:         _ZN7rocprim17ROCPRIM_400000_NS6detail17trampoline_kernelINS0_14default_configENS1_25partition_config_selectorILNS1_17partition_subalgoE8EhNS0_10empty_typeEbEEZZNS1_14partition_implILS5_8ELb0ES3_jPKhPS6_PKS6_NS0_5tupleIJPhS6_EEENSE_IJSB_SB_EEENS0_18inequality_wrapperIN6hipcub16HIPCUB_304000_NS8EqualityEEEPlJS6_EEE10hipError_tPvRmT3_T4_T5_T6_T7_T9_mT8_P12ihipStream_tbDpT10_ENKUlT_T0_E_clISt17integral_constantIbLb0EES17_EEDaS12_S13_EUlS12_E_NS1_11comp_targetILNS1_3genE0ELNS1_11target_archE4294967295ELNS1_3gpuE0ELNS1_3repE0EEENS1_30default_config_static_selectorELNS0_4arch9wavefront6targetE1EEEvT1_.kd
    .uniform_work_group_size: 1
    .uses_dynamic_stack: false
    .vgpr_count:     0
    .vgpr_spill_count: 0
    .wavefront_size: 64
  - .agpr_count:     0
    .args:
      - .offset:         0
        .size:           112
        .value_kind:     by_value
    .group_segment_fixed_size: 16904
    .kernarg_segment_align: 8
    .kernarg_segment_size: 112
    .language:       OpenCL C
    .language_version:
      - 2
      - 0
    .max_flat_workgroup_size: 512
    .name:           _ZN7rocprim17ROCPRIM_400000_NS6detail17trampoline_kernelINS0_14default_configENS1_25partition_config_selectorILNS1_17partition_subalgoE8EhNS0_10empty_typeEbEEZZNS1_14partition_implILS5_8ELb0ES3_jPKhPS6_PKS6_NS0_5tupleIJPhS6_EEENSE_IJSB_SB_EEENS0_18inequality_wrapperIN6hipcub16HIPCUB_304000_NS8EqualityEEEPlJS6_EEE10hipError_tPvRmT3_T4_T5_T6_T7_T9_mT8_P12ihipStream_tbDpT10_ENKUlT_T0_E_clISt17integral_constantIbLb0EES17_EEDaS12_S13_EUlS12_E_NS1_11comp_targetILNS1_3genE5ELNS1_11target_archE942ELNS1_3gpuE9ELNS1_3repE0EEENS1_30default_config_static_selectorELNS0_4arch9wavefront6targetE1EEEvT1_
    .private_segment_fixed_size: 0
    .sgpr_count:     60
    .sgpr_spill_count: 0
    .symbol:         _ZN7rocprim17ROCPRIM_400000_NS6detail17trampoline_kernelINS0_14default_configENS1_25partition_config_selectorILNS1_17partition_subalgoE8EhNS0_10empty_typeEbEEZZNS1_14partition_implILS5_8ELb0ES3_jPKhPS6_PKS6_NS0_5tupleIJPhS6_EEENSE_IJSB_SB_EEENS0_18inequality_wrapperIN6hipcub16HIPCUB_304000_NS8EqualityEEEPlJS6_EEE10hipError_tPvRmT3_T4_T5_T6_T7_T9_mT8_P12ihipStream_tbDpT10_ENKUlT_T0_E_clISt17integral_constantIbLb0EES17_EEDaS12_S13_EUlS12_E_NS1_11comp_targetILNS1_3genE5ELNS1_11target_archE942ELNS1_3gpuE9ELNS1_3repE0EEENS1_30default_config_static_selectorELNS0_4arch9wavefront6targetE1EEEvT1_.kd
    .uniform_work_group_size: 1
    .uses_dynamic_stack: false
    .vgpr_count:     125
    .vgpr_spill_count: 0
    .wavefront_size: 64
  - .agpr_count:     0
    .args:
      - .offset:         0
        .size:           112
        .value_kind:     by_value
    .group_segment_fixed_size: 0
    .kernarg_segment_align: 8
    .kernarg_segment_size: 112
    .language:       OpenCL C
    .language_version:
      - 2
      - 0
    .max_flat_workgroup_size: 128
    .name:           _ZN7rocprim17ROCPRIM_400000_NS6detail17trampoline_kernelINS0_14default_configENS1_25partition_config_selectorILNS1_17partition_subalgoE8EhNS0_10empty_typeEbEEZZNS1_14partition_implILS5_8ELb0ES3_jPKhPS6_PKS6_NS0_5tupleIJPhS6_EEENSE_IJSB_SB_EEENS0_18inequality_wrapperIN6hipcub16HIPCUB_304000_NS8EqualityEEEPlJS6_EEE10hipError_tPvRmT3_T4_T5_T6_T7_T9_mT8_P12ihipStream_tbDpT10_ENKUlT_T0_E_clISt17integral_constantIbLb0EES17_EEDaS12_S13_EUlS12_E_NS1_11comp_targetILNS1_3genE4ELNS1_11target_archE910ELNS1_3gpuE8ELNS1_3repE0EEENS1_30default_config_static_selectorELNS0_4arch9wavefront6targetE1EEEvT1_
    .private_segment_fixed_size: 0
    .sgpr_count:     6
    .sgpr_spill_count: 0
    .symbol:         _ZN7rocprim17ROCPRIM_400000_NS6detail17trampoline_kernelINS0_14default_configENS1_25partition_config_selectorILNS1_17partition_subalgoE8EhNS0_10empty_typeEbEEZZNS1_14partition_implILS5_8ELb0ES3_jPKhPS6_PKS6_NS0_5tupleIJPhS6_EEENSE_IJSB_SB_EEENS0_18inequality_wrapperIN6hipcub16HIPCUB_304000_NS8EqualityEEEPlJS6_EEE10hipError_tPvRmT3_T4_T5_T6_T7_T9_mT8_P12ihipStream_tbDpT10_ENKUlT_T0_E_clISt17integral_constantIbLb0EES17_EEDaS12_S13_EUlS12_E_NS1_11comp_targetILNS1_3genE4ELNS1_11target_archE910ELNS1_3gpuE8ELNS1_3repE0EEENS1_30default_config_static_selectorELNS0_4arch9wavefront6targetE1EEEvT1_.kd
    .uniform_work_group_size: 1
    .uses_dynamic_stack: false
    .vgpr_count:     0
    .vgpr_spill_count: 0
    .wavefront_size: 64
  - .agpr_count:     0
    .args:
      - .offset:         0
        .size:           112
        .value_kind:     by_value
    .group_segment_fixed_size: 0
    .kernarg_segment_align: 8
    .kernarg_segment_size: 112
    .language:       OpenCL C
    .language_version:
      - 2
      - 0
    .max_flat_workgroup_size: 256
    .name:           _ZN7rocprim17ROCPRIM_400000_NS6detail17trampoline_kernelINS0_14default_configENS1_25partition_config_selectorILNS1_17partition_subalgoE8EhNS0_10empty_typeEbEEZZNS1_14partition_implILS5_8ELb0ES3_jPKhPS6_PKS6_NS0_5tupleIJPhS6_EEENSE_IJSB_SB_EEENS0_18inequality_wrapperIN6hipcub16HIPCUB_304000_NS8EqualityEEEPlJS6_EEE10hipError_tPvRmT3_T4_T5_T6_T7_T9_mT8_P12ihipStream_tbDpT10_ENKUlT_T0_E_clISt17integral_constantIbLb0EES17_EEDaS12_S13_EUlS12_E_NS1_11comp_targetILNS1_3genE3ELNS1_11target_archE908ELNS1_3gpuE7ELNS1_3repE0EEENS1_30default_config_static_selectorELNS0_4arch9wavefront6targetE1EEEvT1_
    .private_segment_fixed_size: 0
    .sgpr_count:     6
    .sgpr_spill_count: 0
    .symbol:         _ZN7rocprim17ROCPRIM_400000_NS6detail17trampoline_kernelINS0_14default_configENS1_25partition_config_selectorILNS1_17partition_subalgoE8EhNS0_10empty_typeEbEEZZNS1_14partition_implILS5_8ELb0ES3_jPKhPS6_PKS6_NS0_5tupleIJPhS6_EEENSE_IJSB_SB_EEENS0_18inequality_wrapperIN6hipcub16HIPCUB_304000_NS8EqualityEEEPlJS6_EEE10hipError_tPvRmT3_T4_T5_T6_T7_T9_mT8_P12ihipStream_tbDpT10_ENKUlT_T0_E_clISt17integral_constantIbLb0EES17_EEDaS12_S13_EUlS12_E_NS1_11comp_targetILNS1_3genE3ELNS1_11target_archE908ELNS1_3gpuE7ELNS1_3repE0EEENS1_30default_config_static_selectorELNS0_4arch9wavefront6targetE1EEEvT1_.kd
    .uniform_work_group_size: 1
    .uses_dynamic_stack: false
    .vgpr_count:     0
    .vgpr_spill_count: 0
    .wavefront_size: 64
  - .agpr_count:     0
    .args:
      - .offset:         0
        .size:           112
        .value_kind:     by_value
    .group_segment_fixed_size: 0
    .kernarg_segment_align: 8
    .kernarg_segment_size: 112
    .language:       OpenCL C
    .language_version:
      - 2
      - 0
    .max_flat_workgroup_size: 192
    .name:           _ZN7rocprim17ROCPRIM_400000_NS6detail17trampoline_kernelINS0_14default_configENS1_25partition_config_selectorILNS1_17partition_subalgoE8EhNS0_10empty_typeEbEEZZNS1_14partition_implILS5_8ELb0ES3_jPKhPS6_PKS6_NS0_5tupleIJPhS6_EEENSE_IJSB_SB_EEENS0_18inequality_wrapperIN6hipcub16HIPCUB_304000_NS8EqualityEEEPlJS6_EEE10hipError_tPvRmT3_T4_T5_T6_T7_T9_mT8_P12ihipStream_tbDpT10_ENKUlT_T0_E_clISt17integral_constantIbLb0EES17_EEDaS12_S13_EUlS12_E_NS1_11comp_targetILNS1_3genE2ELNS1_11target_archE906ELNS1_3gpuE6ELNS1_3repE0EEENS1_30default_config_static_selectorELNS0_4arch9wavefront6targetE1EEEvT1_
    .private_segment_fixed_size: 0
    .sgpr_count:     6
    .sgpr_spill_count: 0
    .symbol:         _ZN7rocprim17ROCPRIM_400000_NS6detail17trampoline_kernelINS0_14default_configENS1_25partition_config_selectorILNS1_17partition_subalgoE8EhNS0_10empty_typeEbEEZZNS1_14partition_implILS5_8ELb0ES3_jPKhPS6_PKS6_NS0_5tupleIJPhS6_EEENSE_IJSB_SB_EEENS0_18inequality_wrapperIN6hipcub16HIPCUB_304000_NS8EqualityEEEPlJS6_EEE10hipError_tPvRmT3_T4_T5_T6_T7_T9_mT8_P12ihipStream_tbDpT10_ENKUlT_T0_E_clISt17integral_constantIbLb0EES17_EEDaS12_S13_EUlS12_E_NS1_11comp_targetILNS1_3genE2ELNS1_11target_archE906ELNS1_3gpuE6ELNS1_3repE0EEENS1_30default_config_static_selectorELNS0_4arch9wavefront6targetE1EEEvT1_.kd
    .uniform_work_group_size: 1
    .uses_dynamic_stack: false
    .vgpr_count:     0
    .vgpr_spill_count: 0
    .wavefront_size: 64
  - .agpr_count:     0
    .args:
      - .offset:         0
        .size:           112
        .value_kind:     by_value
    .group_segment_fixed_size: 0
    .kernarg_segment_align: 8
    .kernarg_segment_size: 112
    .language:       OpenCL C
    .language_version:
      - 2
      - 0
    .max_flat_workgroup_size: 256
    .name:           _ZN7rocprim17ROCPRIM_400000_NS6detail17trampoline_kernelINS0_14default_configENS1_25partition_config_selectorILNS1_17partition_subalgoE8EhNS0_10empty_typeEbEEZZNS1_14partition_implILS5_8ELb0ES3_jPKhPS6_PKS6_NS0_5tupleIJPhS6_EEENSE_IJSB_SB_EEENS0_18inequality_wrapperIN6hipcub16HIPCUB_304000_NS8EqualityEEEPlJS6_EEE10hipError_tPvRmT3_T4_T5_T6_T7_T9_mT8_P12ihipStream_tbDpT10_ENKUlT_T0_E_clISt17integral_constantIbLb0EES17_EEDaS12_S13_EUlS12_E_NS1_11comp_targetILNS1_3genE10ELNS1_11target_archE1200ELNS1_3gpuE4ELNS1_3repE0EEENS1_30default_config_static_selectorELNS0_4arch9wavefront6targetE1EEEvT1_
    .private_segment_fixed_size: 0
    .sgpr_count:     6
    .sgpr_spill_count: 0
    .symbol:         _ZN7rocprim17ROCPRIM_400000_NS6detail17trampoline_kernelINS0_14default_configENS1_25partition_config_selectorILNS1_17partition_subalgoE8EhNS0_10empty_typeEbEEZZNS1_14partition_implILS5_8ELb0ES3_jPKhPS6_PKS6_NS0_5tupleIJPhS6_EEENSE_IJSB_SB_EEENS0_18inequality_wrapperIN6hipcub16HIPCUB_304000_NS8EqualityEEEPlJS6_EEE10hipError_tPvRmT3_T4_T5_T6_T7_T9_mT8_P12ihipStream_tbDpT10_ENKUlT_T0_E_clISt17integral_constantIbLb0EES17_EEDaS12_S13_EUlS12_E_NS1_11comp_targetILNS1_3genE10ELNS1_11target_archE1200ELNS1_3gpuE4ELNS1_3repE0EEENS1_30default_config_static_selectorELNS0_4arch9wavefront6targetE1EEEvT1_.kd
    .uniform_work_group_size: 1
    .uses_dynamic_stack: false
    .vgpr_count:     0
    .vgpr_spill_count: 0
    .wavefront_size: 64
  - .agpr_count:     0
    .args:
      - .offset:         0
        .size:           112
        .value_kind:     by_value
    .group_segment_fixed_size: 0
    .kernarg_segment_align: 8
    .kernarg_segment_size: 112
    .language:       OpenCL C
    .language_version:
      - 2
      - 0
    .max_flat_workgroup_size: 384
    .name:           _ZN7rocprim17ROCPRIM_400000_NS6detail17trampoline_kernelINS0_14default_configENS1_25partition_config_selectorILNS1_17partition_subalgoE8EhNS0_10empty_typeEbEEZZNS1_14partition_implILS5_8ELb0ES3_jPKhPS6_PKS6_NS0_5tupleIJPhS6_EEENSE_IJSB_SB_EEENS0_18inequality_wrapperIN6hipcub16HIPCUB_304000_NS8EqualityEEEPlJS6_EEE10hipError_tPvRmT3_T4_T5_T6_T7_T9_mT8_P12ihipStream_tbDpT10_ENKUlT_T0_E_clISt17integral_constantIbLb0EES17_EEDaS12_S13_EUlS12_E_NS1_11comp_targetILNS1_3genE9ELNS1_11target_archE1100ELNS1_3gpuE3ELNS1_3repE0EEENS1_30default_config_static_selectorELNS0_4arch9wavefront6targetE1EEEvT1_
    .private_segment_fixed_size: 0
    .sgpr_count:     6
    .sgpr_spill_count: 0
    .symbol:         _ZN7rocprim17ROCPRIM_400000_NS6detail17trampoline_kernelINS0_14default_configENS1_25partition_config_selectorILNS1_17partition_subalgoE8EhNS0_10empty_typeEbEEZZNS1_14partition_implILS5_8ELb0ES3_jPKhPS6_PKS6_NS0_5tupleIJPhS6_EEENSE_IJSB_SB_EEENS0_18inequality_wrapperIN6hipcub16HIPCUB_304000_NS8EqualityEEEPlJS6_EEE10hipError_tPvRmT3_T4_T5_T6_T7_T9_mT8_P12ihipStream_tbDpT10_ENKUlT_T0_E_clISt17integral_constantIbLb0EES17_EEDaS12_S13_EUlS12_E_NS1_11comp_targetILNS1_3genE9ELNS1_11target_archE1100ELNS1_3gpuE3ELNS1_3repE0EEENS1_30default_config_static_selectorELNS0_4arch9wavefront6targetE1EEEvT1_.kd
    .uniform_work_group_size: 1
    .uses_dynamic_stack: false
    .vgpr_count:     0
    .vgpr_spill_count: 0
    .wavefront_size: 64
  - .agpr_count:     0
    .args:
      - .offset:         0
        .size:           112
        .value_kind:     by_value
    .group_segment_fixed_size: 0
    .kernarg_segment_align: 8
    .kernarg_segment_size: 112
    .language:       OpenCL C
    .language_version:
      - 2
      - 0
    .max_flat_workgroup_size: 384
    .name:           _ZN7rocprim17ROCPRIM_400000_NS6detail17trampoline_kernelINS0_14default_configENS1_25partition_config_selectorILNS1_17partition_subalgoE8EhNS0_10empty_typeEbEEZZNS1_14partition_implILS5_8ELb0ES3_jPKhPS6_PKS6_NS0_5tupleIJPhS6_EEENSE_IJSB_SB_EEENS0_18inequality_wrapperIN6hipcub16HIPCUB_304000_NS8EqualityEEEPlJS6_EEE10hipError_tPvRmT3_T4_T5_T6_T7_T9_mT8_P12ihipStream_tbDpT10_ENKUlT_T0_E_clISt17integral_constantIbLb0EES17_EEDaS12_S13_EUlS12_E_NS1_11comp_targetILNS1_3genE8ELNS1_11target_archE1030ELNS1_3gpuE2ELNS1_3repE0EEENS1_30default_config_static_selectorELNS0_4arch9wavefront6targetE1EEEvT1_
    .private_segment_fixed_size: 0
    .sgpr_count:     6
    .sgpr_spill_count: 0
    .symbol:         _ZN7rocprim17ROCPRIM_400000_NS6detail17trampoline_kernelINS0_14default_configENS1_25partition_config_selectorILNS1_17partition_subalgoE8EhNS0_10empty_typeEbEEZZNS1_14partition_implILS5_8ELb0ES3_jPKhPS6_PKS6_NS0_5tupleIJPhS6_EEENSE_IJSB_SB_EEENS0_18inequality_wrapperIN6hipcub16HIPCUB_304000_NS8EqualityEEEPlJS6_EEE10hipError_tPvRmT3_T4_T5_T6_T7_T9_mT8_P12ihipStream_tbDpT10_ENKUlT_T0_E_clISt17integral_constantIbLb0EES17_EEDaS12_S13_EUlS12_E_NS1_11comp_targetILNS1_3genE8ELNS1_11target_archE1030ELNS1_3gpuE2ELNS1_3repE0EEENS1_30default_config_static_selectorELNS0_4arch9wavefront6targetE1EEEvT1_.kd
    .uniform_work_group_size: 1
    .uses_dynamic_stack: false
    .vgpr_count:     0
    .vgpr_spill_count: 0
    .wavefront_size: 64
  - .agpr_count:     0
    .args:
      - .offset:         0
        .size:           128
        .value_kind:     by_value
    .group_segment_fixed_size: 0
    .kernarg_segment_align: 8
    .kernarg_segment_size: 128
    .language:       OpenCL C
    .language_version:
      - 2
      - 0
    .max_flat_workgroup_size: 256
    .name:           _ZN7rocprim17ROCPRIM_400000_NS6detail17trampoline_kernelINS0_14default_configENS1_25partition_config_selectorILNS1_17partition_subalgoE8EhNS0_10empty_typeEbEEZZNS1_14partition_implILS5_8ELb0ES3_jPKhPS6_PKS6_NS0_5tupleIJPhS6_EEENSE_IJSB_SB_EEENS0_18inequality_wrapperIN6hipcub16HIPCUB_304000_NS8EqualityEEEPlJS6_EEE10hipError_tPvRmT3_T4_T5_T6_T7_T9_mT8_P12ihipStream_tbDpT10_ENKUlT_T0_E_clISt17integral_constantIbLb1EES17_EEDaS12_S13_EUlS12_E_NS1_11comp_targetILNS1_3genE0ELNS1_11target_archE4294967295ELNS1_3gpuE0ELNS1_3repE0EEENS1_30default_config_static_selectorELNS0_4arch9wavefront6targetE1EEEvT1_
    .private_segment_fixed_size: 0
    .sgpr_count:     6
    .sgpr_spill_count: 0
    .symbol:         _ZN7rocprim17ROCPRIM_400000_NS6detail17trampoline_kernelINS0_14default_configENS1_25partition_config_selectorILNS1_17partition_subalgoE8EhNS0_10empty_typeEbEEZZNS1_14partition_implILS5_8ELb0ES3_jPKhPS6_PKS6_NS0_5tupleIJPhS6_EEENSE_IJSB_SB_EEENS0_18inequality_wrapperIN6hipcub16HIPCUB_304000_NS8EqualityEEEPlJS6_EEE10hipError_tPvRmT3_T4_T5_T6_T7_T9_mT8_P12ihipStream_tbDpT10_ENKUlT_T0_E_clISt17integral_constantIbLb1EES17_EEDaS12_S13_EUlS12_E_NS1_11comp_targetILNS1_3genE0ELNS1_11target_archE4294967295ELNS1_3gpuE0ELNS1_3repE0EEENS1_30default_config_static_selectorELNS0_4arch9wavefront6targetE1EEEvT1_.kd
    .uniform_work_group_size: 1
    .uses_dynamic_stack: false
    .vgpr_count:     0
    .vgpr_spill_count: 0
    .wavefront_size: 64
  - .agpr_count:     0
    .args:
      - .offset:         0
        .size:           128
        .value_kind:     by_value
    .group_segment_fixed_size: 16904
    .kernarg_segment_align: 8
    .kernarg_segment_size: 128
    .language:       OpenCL C
    .language_version:
      - 2
      - 0
    .max_flat_workgroup_size: 512
    .name:           _ZN7rocprim17ROCPRIM_400000_NS6detail17trampoline_kernelINS0_14default_configENS1_25partition_config_selectorILNS1_17partition_subalgoE8EhNS0_10empty_typeEbEEZZNS1_14partition_implILS5_8ELb0ES3_jPKhPS6_PKS6_NS0_5tupleIJPhS6_EEENSE_IJSB_SB_EEENS0_18inequality_wrapperIN6hipcub16HIPCUB_304000_NS8EqualityEEEPlJS6_EEE10hipError_tPvRmT3_T4_T5_T6_T7_T9_mT8_P12ihipStream_tbDpT10_ENKUlT_T0_E_clISt17integral_constantIbLb1EES17_EEDaS12_S13_EUlS12_E_NS1_11comp_targetILNS1_3genE5ELNS1_11target_archE942ELNS1_3gpuE9ELNS1_3repE0EEENS1_30default_config_static_selectorELNS0_4arch9wavefront6targetE1EEEvT1_
    .private_segment_fixed_size: 0
    .sgpr_count:     66
    .sgpr_spill_count: 0
    .symbol:         _ZN7rocprim17ROCPRIM_400000_NS6detail17trampoline_kernelINS0_14default_configENS1_25partition_config_selectorILNS1_17partition_subalgoE8EhNS0_10empty_typeEbEEZZNS1_14partition_implILS5_8ELb0ES3_jPKhPS6_PKS6_NS0_5tupleIJPhS6_EEENSE_IJSB_SB_EEENS0_18inequality_wrapperIN6hipcub16HIPCUB_304000_NS8EqualityEEEPlJS6_EEE10hipError_tPvRmT3_T4_T5_T6_T7_T9_mT8_P12ihipStream_tbDpT10_ENKUlT_T0_E_clISt17integral_constantIbLb1EES17_EEDaS12_S13_EUlS12_E_NS1_11comp_targetILNS1_3genE5ELNS1_11target_archE942ELNS1_3gpuE9ELNS1_3repE0EEENS1_30default_config_static_selectorELNS0_4arch9wavefront6targetE1EEEvT1_.kd
    .uniform_work_group_size: 1
    .uses_dynamic_stack: false
    .vgpr_count:     124
    .vgpr_spill_count: 0
    .wavefront_size: 64
  - .agpr_count:     0
    .args:
      - .offset:         0
        .size:           128
        .value_kind:     by_value
    .group_segment_fixed_size: 0
    .kernarg_segment_align: 8
    .kernarg_segment_size: 128
    .language:       OpenCL C
    .language_version:
      - 2
      - 0
    .max_flat_workgroup_size: 128
    .name:           _ZN7rocprim17ROCPRIM_400000_NS6detail17trampoline_kernelINS0_14default_configENS1_25partition_config_selectorILNS1_17partition_subalgoE8EhNS0_10empty_typeEbEEZZNS1_14partition_implILS5_8ELb0ES3_jPKhPS6_PKS6_NS0_5tupleIJPhS6_EEENSE_IJSB_SB_EEENS0_18inequality_wrapperIN6hipcub16HIPCUB_304000_NS8EqualityEEEPlJS6_EEE10hipError_tPvRmT3_T4_T5_T6_T7_T9_mT8_P12ihipStream_tbDpT10_ENKUlT_T0_E_clISt17integral_constantIbLb1EES17_EEDaS12_S13_EUlS12_E_NS1_11comp_targetILNS1_3genE4ELNS1_11target_archE910ELNS1_3gpuE8ELNS1_3repE0EEENS1_30default_config_static_selectorELNS0_4arch9wavefront6targetE1EEEvT1_
    .private_segment_fixed_size: 0
    .sgpr_count:     6
    .sgpr_spill_count: 0
    .symbol:         _ZN7rocprim17ROCPRIM_400000_NS6detail17trampoline_kernelINS0_14default_configENS1_25partition_config_selectorILNS1_17partition_subalgoE8EhNS0_10empty_typeEbEEZZNS1_14partition_implILS5_8ELb0ES3_jPKhPS6_PKS6_NS0_5tupleIJPhS6_EEENSE_IJSB_SB_EEENS0_18inequality_wrapperIN6hipcub16HIPCUB_304000_NS8EqualityEEEPlJS6_EEE10hipError_tPvRmT3_T4_T5_T6_T7_T9_mT8_P12ihipStream_tbDpT10_ENKUlT_T0_E_clISt17integral_constantIbLb1EES17_EEDaS12_S13_EUlS12_E_NS1_11comp_targetILNS1_3genE4ELNS1_11target_archE910ELNS1_3gpuE8ELNS1_3repE0EEENS1_30default_config_static_selectorELNS0_4arch9wavefront6targetE1EEEvT1_.kd
    .uniform_work_group_size: 1
    .uses_dynamic_stack: false
    .vgpr_count:     0
    .vgpr_spill_count: 0
    .wavefront_size: 64
  - .agpr_count:     0
    .args:
      - .offset:         0
        .size:           128
        .value_kind:     by_value
    .group_segment_fixed_size: 0
    .kernarg_segment_align: 8
    .kernarg_segment_size: 128
    .language:       OpenCL C
    .language_version:
      - 2
      - 0
    .max_flat_workgroup_size: 256
    .name:           _ZN7rocprim17ROCPRIM_400000_NS6detail17trampoline_kernelINS0_14default_configENS1_25partition_config_selectorILNS1_17partition_subalgoE8EhNS0_10empty_typeEbEEZZNS1_14partition_implILS5_8ELb0ES3_jPKhPS6_PKS6_NS0_5tupleIJPhS6_EEENSE_IJSB_SB_EEENS0_18inequality_wrapperIN6hipcub16HIPCUB_304000_NS8EqualityEEEPlJS6_EEE10hipError_tPvRmT3_T4_T5_T6_T7_T9_mT8_P12ihipStream_tbDpT10_ENKUlT_T0_E_clISt17integral_constantIbLb1EES17_EEDaS12_S13_EUlS12_E_NS1_11comp_targetILNS1_3genE3ELNS1_11target_archE908ELNS1_3gpuE7ELNS1_3repE0EEENS1_30default_config_static_selectorELNS0_4arch9wavefront6targetE1EEEvT1_
    .private_segment_fixed_size: 0
    .sgpr_count:     6
    .sgpr_spill_count: 0
    .symbol:         _ZN7rocprim17ROCPRIM_400000_NS6detail17trampoline_kernelINS0_14default_configENS1_25partition_config_selectorILNS1_17partition_subalgoE8EhNS0_10empty_typeEbEEZZNS1_14partition_implILS5_8ELb0ES3_jPKhPS6_PKS6_NS0_5tupleIJPhS6_EEENSE_IJSB_SB_EEENS0_18inequality_wrapperIN6hipcub16HIPCUB_304000_NS8EqualityEEEPlJS6_EEE10hipError_tPvRmT3_T4_T5_T6_T7_T9_mT8_P12ihipStream_tbDpT10_ENKUlT_T0_E_clISt17integral_constantIbLb1EES17_EEDaS12_S13_EUlS12_E_NS1_11comp_targetILNS1_3genE3ELNS1_11target_archE908ELNS1_3gpuE7ELNS1_3repE0EEENS1_30default_config_static_selectorELNS0_4arch9wavefront6targetE1EEEvT1_.kd
    .uniform_work_group_size: 1
    .uses_dynamic_stack: false
    .vgpr_count:     0
    .vgpr_spill_count: 0
    .wavefront_size: 64
  - .agpr_count:     0
    .args:
      - .offset:         0
        .size:           128
        .value_kind:     by_value
    .group_segment_fixed_size: 0
    .kernarg_segment_align: 8
    .kernarg_segment_size: 128
    .language:       OpenCL C
    .language_version:
      - 2
      - 0
    .max_flat_workgroup_size: 192
    .name:           _ZN7rocprim17ROCPRIM_400000_NS6detail17trampoline_kernelINS0_14default_configENS1_25partition_config_selectorILNS1_17partition_subalgoE8EhNS0_10empty_typeEbEEZZNS1_14partition_implILS5_8ELb0ES3_jPKhPS6_PKS6_NS0_5tupleIJPhS6_EEENSE_IJSB_SB_EEENS0_18inequality_wrapperIN6hipcub16HIPCUB_304000_NS8EqualityEEEPlJS6_EEE10hipError_tPvRmT3_T4_T5_T6_T7_T9_mT8_P12ihipStream_tbDpT10_ENKUlT_T0_E_clISt17integral_constantIbLb1EES17_EEDaS12_S13_EUlS12_E_NS1_11comp_targetILNS1_3genE2ELNS1_11target_archE906ELNS1_3gpuE6ELNS1_3repE0EEENS1_30default_config_static_selectorELNS0_4arch9wavefront6targetE1EEEvT1_
    .private_segment_fixed_size: 0
    .sgpr_count:     6
    .sgpr_spill_count: 0
    .symbol:         _ZN7rocprim17ROCPRIM_400000_NS6detail17trampoline_kernelINS0_14default_configENS1_25partition_config_selectorILNS1_17partition_subalgoE8EhNS0_10empty_typeEbEEZZNS1_14partition_implILS5_8ELb0ES3_jPKhPS6_PKS6_NS0_5tupleIJPhS6_EEENSE_IJSB_SB_EEENS0_18inequality_wrapperIN6hipcub16HIPCUB_304000_NS8EqualityEEEPlJS6_EEE10hipError_tPvRmT3_T4_T5_T6_T7_T9_mT8_P12ihipStream_tbDpT10_ENKUlT_T0_E_clISt17integral_constantIbLb1EES17_EEDaS12_S13_EUlS12_E_NS1_11comp_targetILNS1_3genE2ELNS1_11target_archE906ELNS1_3gpuE6ELNS1_3repE0EEENS1_30default_config_static_selectorELNS0_4arch9wavefront6targetE1EEEvT1_.kd
    .uniform_work_group_size: 1
    .uses_dynamic_stack: false
    .vgpr_count:     0
    .vgpr_spill_count: 0
    .wavefront_size: 64
  - .agpr_count:     0
    .args:
      - .offset:         0
        .size:           128
        .value_kind:     by_value
    .group_segment_fixed_size: 0
    .kernarg_segment_align: 8
    .kernarg_segment_size: 128
    .language:       OpenCL C
    .language_version:
      - 2
      - 0
    .max_flat_workgroup_size: 256
    .name:           _ZN7rocprim17ROCPRIM_400000_NS6detail17trampoline_kernelINS0_14default_configENS1_25partition_config_selectorILNS1_17partition_subalgoE8EhNS0_10empty_typeEbEEZZNS1_14partition_implILS5_8ELb0ES3_jPKhPS6_PKS6_NS0_5tupleIJPhS6_EEENSE_IJSB_SB_EEENS0_18inequality_wrapperIN6hipcub16HIPCUB_304000_NS8EqualityEEEPlJS6_EEE10hipError_tPvRmT3_T4_T5_T6_T7_T9_mT8_P12ihipStream_tbDpT10_ENKUlT_T0_E_clISt17integral_constantIbLb1EES17_EEDaS12_S13_EUlS12_E_NS1_11comp_targetILNS1_3genE10ELNS1_11target_archE1200ELNS1_3gpuE4ELNS1_3repE0EEENS1_30default_config_static_selectorELNS0_4arch9wavefront6targetE1EEEvT1_
    .private_segment_fixed_size: 0
    .sgpr_count:     6
    .sgpr_spill_count: 0
    .symbol:         _ZN7rocprim17ROCPRIM_400000_NS6detail17trampoline_kernelINS0_14default_configENS1_25partition_config_selectorILNS1_17partition_subalgoE8EhNS0_10empty_typeEbEEZZNS1_14partition_implILS5_8ELb0ES3_jPKhPS6_PKS6_NS0_5tupleIJPhS6_EEENSE_IJSB_SB_EEENS0_18inequality_wrapperIN6hipcub16HIPCUB_304000_NS8EqualityEEEPlJS6_EEE10hipError_tPvRmT3_T4_T5_T6_T7_T9_mT8_P12ihipStream_tbDpT10_ENKUlT_T0_E_clISt17integral_constantIbLb1EES17_EEDaS12_S13_EUlS12_E_NS1_11comp_targetILNS1_3genE10ELNS1_11target_archE1200ELNS1_3gpuE4ELNS1_3repE0EEENS1_30default_config_static_selectorELNS0_4arch9wavefront6targetE1EEEvT1_.kd
    .uniform_work_group_size: 1
    .uses_dynamic_stack: false
    .vgpr_count:     0
    .vgpr_spill_count: 0
    .wavefront_size: 64
  - .agpr_count:     0
    .args:
      - .offset:         0
        .size:           128
        .value_kind:     by_value
    .group_segment_fixed_size: 0
    .kernarg_segment_align: 8
    .kernarg_segment_size: 128
    .language:       OpenCL C
    .language_version:
      - 2
      - 0
    .max_flat_workgroup_size: 384
    .name:           _ZN7rocprim17ROCPRIM_400000_NS6detail17trampoline_kernelINS0_14default_configENS1_25partition_config_selectorILNS1_17partition_subalgoE8EhNS0_10empty_typeEbEEZZNS1_14partition_implILS5_8ELb0ES3_jPKhPS6_PKS6_NS0_5tupleIJPhS6_EEENSE_IJSB_SB_EEENS0_18inequality_wrapperIN6hipcub16HIPCUB_304000_NS8EqualityEEEPlJS6_EEE10hipError_tPvRmT3_T4_T5_T6_T7_T9_mT8_P12ihipStream_tbDpT10_ENKUlT_T0_E_clISt17integral_constantIbLb1EES17_EEDaS12_S13_EUlS12_E_NS1_11comp_targetILNS1_3genE9ELNS1_11target_archE1100ELNS1_3gpuE3ELNS1_3repE0EEENS1_30default_config_static_selectorELNS0_4arch9wavefront6targetE1EEEvT1_
    .private_segment_fixed_size: 0
    .sgpr_count:     6
    .sgpr_spill_count: 0
    .symbol:         _ZN7rocprim17ROCPRIM_400000_NS6detail17trampoline_kernelINS0_14default_configENS1_25partition_config_selectorILNS1_17partition_subalgoE8EhNS0_10empty_typeEbEEZZNS1_14partition_implILS5_8ELb0ES3_jPKhPS6_PKS6_NS0_5tupleIJPhS6_EEENSE_IJSB_SB_EEENS0_18inequality_wrapperIN6hipcub16HIPCUB_304000_NS8EqualityEEEPlJS6_EEE10hipError_tPvRmT3_T4_T5_T6_T7_T9_mT8_P12ihipStream_tbDpT10_ENKUlT_T0_E_clISt17integral_constantIbLb1EES17_EEDaS12_S13_EUlS12_E_NS1_11comp_targetILNS1_3genE9ELNS1_11target_archE1100ELNS1_3gpuE3ELNS1_3repE0EEENS1_30default_config_static_selectorELNS0_4arch9wavefront6targetE1EEEvT1_.kd
    .uniform_work_group_size: 1
    .uses_dynamic_stack: false
    .vgpr_count:     0
    .vgpr_spill_count: 0
    .wavefront_size: 64
  - .agpr_count:     0
    .args:
      - .offset:         0
        .size:           128
        .value_kind:     by_value
    .group_segment_fixed_size: 0
    .kernarg_segment_align: 8
    .kernarg_segment_size: 128
    .language:       OpenCL C
    .language_version:
      - 2
      - 0
    .max_flat_workgroup_size: 384
    .name:           _ZN7rocprim17ROCPRIM_400000_NS6detail17trampoline_kernelINS0_14default_configENS1_25partition_config_selectorILNS1_17partition_subalgoE8EhNS0_10empty_typeEbEEZZNS1_14partition_implILS5_8ELb0ES3_jPKhPS6_PKS6_NS0_5tupleIJPhS6_EEENSE_IJSB_SB_EEENS0_18inequality_wrapperIN6hipcub16HIPCUB_304000_NS8EqualityEEEPlJS6_EEE10hipError_tPvRmT3_T4_T5_T6_T7_T9_mT8_P12ihipStream_tbDpT10_ENKUlT_T0_E_clISt17integral_constantIbLb1EES17_EEDaS12_S13_EUlS12_E_NS1_11comp_targetILNS1_3genE8ELNS1_11target_archE1030ELNS1_3gpuE2ELNS1_3repE0EEENS1_30default_config_static_selectorELNS0_4arch9wavefront6targetE1EEEvT1_
    .private_segment_fixed_size: 0
    .sgpr_count:     6
    .sgpr_spill_count: 0
    .symbol:         _ZN7rocprim17ROCPRIM_400000_NS6detail17trampoline_kernelINS0_14default_configENS1_25partition_config_selectorILNS1_17partition_subalgoE8EhNS0_10empty_typeEbEEZZNS1_14partition_implILS5_8ELb0ES3_jPKhPS6_PKS6_NS0_5tupleIJPhS6_EEENSE_IJSB_SB_EEENS0_18inequality_wrapperIN6hipcub16HIPCUB_304000_NS8EqualityEEEPlJS6_EEE10hipError_tPvRmT3_T4_T5_T6_T7_T9_mT8_P12ihipStream_tbDpT10_ENKUlT_T0_E_clISt17integral_constantIbLb1EES17_EEDaS12_S13_EUlS12_E_NS1_11comp_targetILNS1_3genE8ELNS1_11target_archE1030ELNS1_3gpuE2ELNS1_3repE0EEENS1_30default_config_static_selectorELNS0_4arch9wavefront6targetE1EEEvT1_.kd
    .uniform_work_group_size: 1
    .uses_dynamic_stack: false
    .vgpr_count:     0
    .vgpr_spill_count: 0
    .wavefront_size: 64
  - .agpr_count:     0
    .args:
      - .offset:         0
        .size:           112
        .value_kind:     by_value
    .group_segment_fixed_size: 0
    .kernarg_segment_align: 8
    .kernarg_segment_size: 112
    .language:       OpenCL C
    .language_version:
      - 2
      - 0
    .max_flat_workgroup_size: 256
    .name:           _ZN7rocprim17ROCPRIM_400000_NS6detail17trampoline_kernelINS0_14default_configENS1_25partition_config_selectorILNS1_17partition_subalgoE8EhNS0_10empty_typeEbEEZZNS1_14partition_implILS5_8ELb0ES3_jPKhPS6_PKS6_NS0_5tupleIJPhS6_EEENSE_IJSB_SB_EEENS0_18inequality_wrapperIN6hipcub16HIPCUB_304000_NS8EqualityEEEPlJS6_EEE10hipError_tPvRmT3_T4_T5_T6_T7_T9_mT8_P12ihipStream_tbDpT10_ENKUlT_T0_E_clISt17integral_constantIbLb1EES16_IbLb0EEEEDaS12_S13_EUlS12_E_NS1_11comp_targetILNS1_3genE0ELNS1_11target_archE4294967295ELNS1_3gpuE0ELNS1_3repE0EEENS1_30default_config_static_selectorELNS0_4arch9wavefront6targetE1EEEvT1_
    .private_segment_fixed_size: 0
    .sgpr_count:     6
    .sgpr_spill_count: 0
    .symbol:         _ZN7rocprim17ROCPRIM_400000_NS6detail17trampoline_kernelINS0_14default_configENS1_25partition_config_selectorILNS1_17partition_subalgoE8EhNS0_10empty_typeEbEEZZNS1_14partition_implILS5_8ELb0ES3_jPKhPS6_PKS6_NS0_5tupleIJPhS6_EEENSE_IJSB_SB_EEENS0_18inequality_wrapperIN6hipcub16HIPCUB_304000_NS8EqualityEEEPlJS6_EEE10hipError_tPvRmT3_T4_T5_T6_T7_T9_mT8_P12ihipStream_tbDpT10_ENKUlT_T0_E_clISt17integral_constantIbLb1EES16_IbLb0EEEEDaS12_S13_EUlS12_E_NS1_11comp_targetILNS1_3genE0ELNS1_11target_archE4294967295ELNS1_3gpuE0ELNS1_3repE0EEENS1_30default_config_static_selectorELNS0_4arch9wavefront6targetE1EEEvT1_.kd
    .uniform_work_group_size: 1
    .uses_dynamic_stack: false
    .vgpr_count:     0
    .vgpr_spill_count: 0
    .wavefront_size: 64
  - .agpr_count:     0
    .args:
      - .offset:         0
        .size:           112
        .value_kind:     by_value
    .group_segment_fixed_size: 16904
    .kernarg_segment_align: 8
    .kernarg_segment_size: 112
    .language:       OpenCL C
    .language_version:
      - 2
      - 0
    .max_flat_workgroup_size: 512
    .name:           _ZN7rocprim17ROCPRIM_400000_NS6detail17trampoline_kernelINS0_14default_configENS1_25partition_config_selectorILNS1_17partition_subalgoE8EhNS0_10empty_typeEbEEZZNS1_14partition_implILS5_8ELb0ES3_jPKhPS6_PKS6_NS0_5tupleIJPhS6_EEENSE_IJSB_SB_EEENS0_18inequality_wrapperIN6hipcub16HIPCUB_304000_NS8EqualityEEEPlJS6_EEE10hipError_tPvRmT3_T4_T5_T6_T7_T9_mT8_P12ihipStream_tbDpT10_ENKUlT_T0_E_clISt17integral_constantIbLb1EES16_IbLb0EEEEDaS12_S13_EUlS12_E_NS1_11comp_targetILNS1_3genE5ELNS1_11target_archE942ELNS1_3gpuE9ELNS1_3repE0EEENS1_30default_config_static_selectorELNS0_4arch9wavefront6targetE1EEEvT1_
    .private_segment_fixed_size: 0
    .sgpr_count:     60
    .sgpr_spill_count: 0
    .symbol:         _ZN7rocprim17ROCPRIM_400000_NS6detail17trampoline_kernelINS0_14default_configENS1_25partition_config_selectorILNS1_17partition_subalgoE8EhNS0_10empty_typeEbEEZZNS1_14partition_implILS5_8ELb0ES3_jPKhPS6_PKS6_NS0_5tupleIJPhS6_EEENSE_IJSB_SB_EEENS0_18inequality_wrapperIN6hipcub16HIPCUB_304000_NS8EqualityEEEPlJS6_EEE10hipError_tPvRmT3_T4_T5_T6_T7_T9_mT8_P12ihipStream_tbDpT10_ENKUlT_T0_E_clISt17integral_constantIbLb1EES16_IbLb0EEEEDaS12_S13_EUlS12_E_NS1_11comp_targetILNS1_3genE5ELNS1_11target_archE942ELNS1_3gpuE9ELNS1_3repE0EEENS1_30default_config_static_selectorELNS0_4arch9wavefront6targetE1EEEvT1_.kd
    .uniform_work_group_size: 1
    .uses_dynamic_stack: false
    .vgpr_count:     125
    .vgpr_spill_count: 0
    .wavefront_size: 64
  - .agpr_count:     0
    .args:
      - .offset:         0
        .size:           112
        .value_kind:     by_value
    .group_segment_fixed_size: 0
    .kernarg_segment_align: 8
    .kernarg_segment_size: 112
    .language:       OpenCL C
    .language_version:
      - 2
      - 0
    .max_flat_workgroup_size: 128
    .name:           _ZN7rocprim17ROCPRIM_400000_NS6detail17trampoline_kernelINS0_14default_configENS1_25partition_config_selectorILNS1_17partition_subalgoE8EhNS0_10empty_typeEbEEZZNS1_14partition_implILS5_8ELb0ES3_jPKhPS6_PKS6_NS0_5tupleIJPhS6_EEENSE_IJSB_SB_EEENS0_18inequality_wrapperIN6hipcub16HIPCUB_304000_NS8EqualityEEEPlJS6_EEE10hipError_tPvRmT3_T4_T5_T6_T7_T9_mT8_P12ihipStream_tbDpT10_ENKUlT_T0_E_clISt17integral_constantIbLb1EES16_IbLb0EEEEDaS12_S13_EUlS12_E_NS1_11comp_targetILNS1_3genE4ELNS1_11target_archE910ELNS1_3gpuE8ELNS1_3repE0EEENS1_30default_config_static_selectorELNS0_4arch9wavefront6targetE1EEEvT1_
    .private_segment_fixed_size: 0
    .sgpr_count:     6
    .sgpr_spill_count: 0
    .symbol:         _ZN7rocprim17ROCPRIM_400000_NS6detail17trampoline_kernelINS0_14default_configENS1_25partition_config_selectorILNS1_17partition_subalgoE8EhNS0_10empty_typeEbEEZZNS1_14partition_implILS5_8ELb0ES3_jPKhPS6_PKS6_NS0_5tupleIJPhS6_EEENSE_IJSB_SB_EEENS0_18inequality_wrapperIN6hipcub16HIPCUB_304000_NS8EqualityEEEPlJS6_EEE10hipError_tPvRmT3_T4_T5_T6_T7_T9_mT8_P12ihipStream_tbDpT10_ENKUlT_T0_E_clISt17integral_constantIbLb1EES16_IbLb0EEEEDaS12_S13_EUlS12_E_NS1_11comp_targetILNS1_3genE4ELNS1_11target_archE910ELNS1_3gpuE8ELNS1_3repE0EEENS1_30default_config_static_selectorELNS0_4arch9wavefront6targetE1EEEvT1_.kd
    .uniform_work_group_size: 1
    .uses_dynamic_stack: false
    .vgpr_count:     0
    .vgpr_spill_count: 0
    .wavefront_size: 64
  - .agpr_count:     0
    .args:
      - .offset:         0
        .size:           112
        .value_kind:     by_value
    .group_segment_fixed_size: 0
    .kernarg_segment_align: 8
    .kernarg_segment_size: 112
    .language:       OpenCL C
    .language_version:
      - 2
      - 0
    .max_flat_workgroup_size: 256
    .name:           _ZN7rocprim17ROCPRIM_400000_NS6detail17trampoline_kernelINS0_14default_configENS1_25partition_config_selectorILNS1_17partition_subalgoE8EhNS0_10empty_typeEbEEZZNS1_14partition_implILS5_8ELb0ES3_jPKhPS6_PKS6_NS0_5tupleIJPhS6_EEENSE_IJSB_SB_EEENS0_18inequality_wrapperIN6hipcub16HIPCUB_304000_NS8EqualityEEEPlJS6_EEE10hipError_tPvRmT3_T4_T5_T6_T7_T9_mT8_P12ihipStream_tbDpT10_ENKUlT_T0_E_clISt17integral_constantIbLb1EES16_IbLb0EEEEDaS12_S13_EUlS12_E_NS1_11comp_targetILNS1_3genE3ELNS1_11target_archE908ELNS1_3gpuE7ELNS1_3repE0EEENS1_30default_config_static_selectorELNS0_4arch9wavefront6targetE1EEEvT1_
    .private_segment_fixed_size: 0
    .sgpr_count:     6
    .sgpr_spill_count: 0
    .symbol:         _ZN7rocprim17ROCPRIM_400000_NS6detail17trampoline_kernelINS0_14default_configENS1_25partition_config_selectorILNS1_17partition_subalgoE8EhNS0_10empty_typeEbEEZZNS1_14partition_implILS5_8ELb0ES3_jPKhPS6_PKS6_NS0_5tupleIJPhS6_EEENSE_IJSB_SB_EEENS0_18inequality_wrapperIN6hipcub16HIPCUB_304000_NS8EqualityEEEPlJS6_EEE10hipError_tPvRmT3_T4_T5_T6_T7_T9_mT8_P12ihipStream_tbDpT10_ENKUlT_T0_E_clISt17integral_constantIbLb1EES16_IbLb0EEEEDaS12_S13_EUlS12_E_NS1_11comp_targetILNS1_3genE3ELNS1_11target_archE908ELNS1_3gpuE7ELNS1_3repE0EEENS1_30default_config_static_selectorELNS0_4arch9wavefront6targetE1EEEvT1_.kd
    .uniform_work_group_size: 1
    .uses_dynamic_stack: false
    .vgpr_count:     0
    .vgpr_spill_count: 0
    .wavefront_size: 64
  - .agpr_count:     0
    .args:
      - .offset:         0
        .size:           112
        .value_kind:     by_value
    .group_segment_fixed_size: 0
    .kernarg_segment_align: 8
    .kernarg_segment_size: 112
    .language:       OpenCL C
    .language_version:
      - 2
      - 0
    .max_flat_workgroup_size: 192
    .name:           _ZN7rocprim17ROCPRIM_400000_NS6detail17trampoline_kernelINS0_14default_configENS1_25partition_config_selectorILNS1_17partition_subalgoE8EhNS0_10empty_typeEbEEZZNS1_14partition_implILS5_8ELb0ES3_jPKhPS6_PKS6_NS0_5tupleIJPhS6_EEENSE_IJSB_SB_EEENS0_18inequality_wrapperIN6hipcub16HIPCUB_304000_NS8EqualityEEEPlJS6_EEE10hipError_tPvRmT3_T4_T5_T6_T7_T9_mT8_P12ihipStream_tbDpT10_ENKUlT_T0_E_clISt17integral_constantIbLb1EES16_IbLb0EEEEDaS12_S13_EUlS12_E_NS1_11comp_targetILNS1_3genE2ELNS1_11target_archE906ELNS1_3gpuE6ELNS1_3repE0EEENS1_30default_config_static_selectorELNS0_4arch9wavefront6targetE1EEEvT1_
    .private_segment_fixed_size: 0
    .sgpr_count:     6
    .sgpr_spill_count: 0
    .symbol:         _ZN7rocprim17ROCPRIM_400000_NS6detail17trampoline_kernelINS0_14default_configENS1_25partition_config_selectorILNS1_17partition_subalgoE8EhNS0_10empty_typeEbEEZZNS1_14partition_implILS5_8ELb0ES3_jPKhPS6_PKS6_NS0_5tupleIJPhS6_EEENSE_IJSB_SB_EEENS0_18inequality_wrapperIN6hipcub16HIPCUB_304000_NS8EqualityEEEPlJS6_EEE10hipError_tPvRmT3_T4_T5_T6_T7_T9_mT8_P12ihipStream_tbDpT10_ENKUlT_T0_E_clISt17integral_constantIbLb1EES16_IbLb0EEEEDaS12_S13_EUlS12_E_NS1_11comp_targetILNS1_3genE2ELNS1_11target_archE906ELNS1_3gpuE6ELNS1_3repE0EEENS1_30default_config_static_selectorELNS0_4arch9wavefront6targetE1EEEvT1_.kd
    .uniform_work_group_size: 1
    .uses_dynamic_stack: false
    .vgpr_count:     0
    .vgpr_spill_count: 0
    .wavefront_size: 64
  - .agpr_count:     0
    .args:
      - .offset:         0
        .size:           112
        .value_kind:     by_value
    .group_segment_fixed_size: 0
    .kernarg_segment_align: 8
    .kernarg_segment_size: 112
    .language:       OpenCL C
    .language_version:
      - 2
      - 0
    .max_flat_workgroup_size: 256
    .name:           _ZN7rocprim17ROCPRIM_400000_NS6detail17trampoline_kernelINS0_14default_configENS1_25partition_config_selectorILNS1_17partition_subalgoE8EhNS0_10empty_typeEbEEZZNS1_14partition_implILS5_8ELb0ES3_jPKhPS6_PKS6_NS0_5tupleIJPhS6_EEENSE_IJSB_SB_EEENS0_18inequality_wrapperIN6hipcub16HIPCUB_304000_NS8EqualityEEEPlJS6_EEE10hipError_tPvRmT3_T4_T5_T6_T7_T9_mT8_P12ihipStream_tbDpT10_ENKUlT_T0_E_clISt17integral_constantIbLb1EES16_IbLb0EEEEDaS12_S13_EUlS12_E_NS1_11comp_targetILNS1_3genE10ELNS1_11target_archE1200ELNS1_3gpuE4ELNS1_3repE0EEENS1_30default_config_static_selectorELNS0_4arch9wavefront6targetE1EEEvT1_
    .private_segment_fixed_size: 0
    .sgpr_count:     6
    .sgpr_spill_count: 0
    .symbol:         _ZN7rocprim17ROCPRIM_400000_NS6detail17trampoline_kernelINS0_14default_configENS1_25partition_config_selectorILNS1_17partition_subalgoE8EhNS0_10empty_typeEbEEZZNS1_14partition_implILS5_8ELb0ES3_jPKhPS6_PKS6_NS0_5tupleIJPhS6_EEENSE_IJSB_SB_EEENS0_18inequality_wrapperIN6hipcub16HIPCUB_304000_NS8EqualityEEEPlJS6_EEE10hipError_tPvRmT3_T4_T5_T6_T7_T9_mT8_P12ihipStream_tbDpT10_ENKUlT_T0_E_clISt17integral_constantIbLb1EES16_IbLb0EEEEDaS12_S13_EUlS12_E_NS1_11comp_targetILNS1_3genE10ELNS1_11target_archE1200ELNS1_3gpuE4ELNS1_3repE0EEENS1_30default_config_static_selectorELNS0_4arch9wavefront6targetE1EEEvT1_.kd
    .uniform_work_group_size: 1
    .uses_dynamic_stack: false
    .vgpr_count:     0
    .vgpr_spill_count: 0
    .wavefront_size: 64
  - .agpr_count:     0
    .args:
      - .offset:         0
        .size:           112
        .value_kind:     by_value
    .group_segment_fixed_size: 0
    .kernarg_segment_align: 8
    .kernarg_segment_size: 112
    .language:       OpenCL C
    .language_version:
      - 2
      - 0
    .max_flat_workgroup_size: 384
    .name:           _ZN7rocprim17ROCPRIM_400000_NS6detail17trampoline_kernelINS0_14default_configENS1_25partition_config_selectorILNS1_17partition_subalgoE8EhNS0_10empty_typeEbEEZZNS1_14partition_implILS5_8ELb0ES3_jPKhPS6_PKS6_NS0_5tupleIJPhS6_EEENSE_IJSB_SB_EEENS0_18inequality_wrapperIN6hipcub16HIPCUB_304000_NS8EqualityEEEPlJS6_EEE10hipError_tPvRmT3_T4_T5_T6_T7_T9_mT8_P12ihipStream_tbDpT10_ENKUlT_T0_E_clISt17integral_constantIbLb1EES16_IbLb0EEEEDaS12_S13_EUlS12_E_NS1_11comp_targetILNS1_3genE9ELNS1_11target_archE1100ELNS1_3gpuE3ELNS1_3repE0EEENS1_30default_config_static_selectorELNS0_4arch9wavefront6targetE1EEEvT1_
    .private_segment_fixed_size: 0
    .sgpr_count:     6
    .sgpr_spill_count: 0
    .symbol:         _ZN7rocprim17ROCPRIM_400000_NS6detail17trampoline_kernelINS0_14default_configENS1_25partition_config_selectorILNS1_17partition_subalgoE8EhNS0_10empty_typeEbEEZZNS1_14partition_implILS5_8ELb0ES3_jPKhPS6_PKS6_NS0_5tupleIJPhS6_EEENSE_IJSB_SB_EEENS0_18inequality_wrapperIN6hipcub16HIPCUB_304000_NS8EqualityEEEPlJS6_EEE10hipError_tPvRmT3_T4_T5_T6_T7_T9_mT8_P12ihipStream_tbDpT10_ENKUlT_T0_E_clISt17integral_constantIbLb1EES16_IbLb0EEEEDaS12_S13_EUlS12_E_NS1_11comp_targetILNS1_3genE9ELNS1_11target_archE1100ELNS1_3gpuE3ELNS1_3repE0EEENS1_30default_config_static_selectorELNS0_4arch9wavefront6targetE1EEEvT1_.kd
    .uniform_work_group_size: 1
    .uses_dynamic_stack: false
    .vgpr_count:     0
    .vgpr_spill_count: 0
    .wavefront_size: 64
  - .agpr_count:     0
    .args:
      - .offset:         0
        .size:           112
        .value_kind:     by_value
    .group_segment_fixed_size: 0
    .kernarg_segment_align: 8
    .kernarg_segment_size: 112
    .language:       OpenCL C
    .language_version:
      - 2
      - 0
    .max_flat_workgroup_size: 384
    .name:           _ZN7rocprim17ROCPRIM_400000_NS6detail17trampoline_kernelINS0_14default_configENS1_25partition_config_selectorILNS1_17partition_subalgoE8EhNS0_10empty_typeEbEEZZNS1_14partition_implILS5_8ELb0ES3_jPKhPS6_PKS6_NS0_5tupleIJPhS6_EEENSE_IJSB_SB_EEENS0_18inequality_wrapperIN6hipcub16HIPCUB_304000_NS8EqualityEEEPlJS6_EEE10hipError_tPvRmT3_T4_T5_T6_T7_T9_mT8_P12ihipStream_tbDpT10_ENKUlT_T0_E_clISt17integral_constantIbLb1EES16_IbLb0EEEEDaS12_S13_EUlS12_E_NS1_11comp_targetILNS1_3genE8ELNS1_11target_archE1030ELNS1_3gpuE2ELNS1_3repE0EEENS1_30default_config_static_selectorELNS0_4arch9wavefront6targetE1EEEvT1_
    .private_segment_fixed_size: 0
    .sgpr_count:     6
    .sgpr_spill_count: 0
    .symbol:         _ZN7rocprim17ROCPRIM_400000_NS6detail17trampoline_kernelINS0_14default_configENS1_25partition_config_selectorILNS1_17partition_subalgoE8EhNS0_10empty_typeEbEEZZNS1_14partition_implILS5_8ELb0ES3_jPKhPS6_PKS6_NS0_5tupleIJPhS6_EEENSE_IJSB_SB_EEENS0_18inequality_wrapperIN6hipcub16HIPCUB_304000_NS8EqualityEEEPlJS6_EEE10hipError_tPvRmT3_T4_T5_T6_T7_T9_mT8_P12ihipStream_tbDpT10_ENKUlT_T0_E_clISt17integral_constantIbLb1EES16_IbLb0EEEEDaS12_S13_EUlS12_E_NS1_11comp_targetILNS1_3genE8ELNS1_11target_archE1030ELNS1_3gpuE2ELNS1_3repE0EEENS1_30default_config_static_selectorELNS0_4arch9wavefront6targetE1EEEvT1_.kd
    .uniform_work_group_size: 1
    .uses_dynamic_stack: false
    .vgpr_count:     0
    .vgpr_spill_count: 0
    .wavefront_size: 64
  - .agpr_count:     0
    .args:
      - .offset:         0
        .size:           128
        .value_kind:     by_value
    .group_segment_fixed_size: 0
    .kernarg_segment_align: 8
    .kernarg_segment_size: 128
    .language:       OpenCL C
    .language_version:
      - 2
      - 0
    .max_flat_workgroup_size: 256
    .name:           _ZN7rocprim17ROCPRIM_400000_NS6detail17trampoline_kernelINS0_14default_configENS1_25partition_config_selectorILNS1_17partition_subalgoE8EhNS0_10empty_typeEbEEZZNS1_14partition_implILS5_8ELb0ES3_jPKhPS6_PKS6_NS0_5tupleIJPhS6_EEENSE_IJSB_SB_EEENS0_18inequality_wrapperIN6hipcub16HIPCUB_304000_NS8EqualityEEEPlJS6_EEE10hipError_tPvRmT3_T4_T5_T6_T7_T9_mT8_P12ihipStream_tbDpT10_ENKUlT_T0_E_clISt17integral_constantIbLb0EES16_IbLb1EEEEDaS12_S13_EUlS12_E_NS1_11comp_targetILNS1_3genE0ELNS1_11target_archE4294967295ELNS1_3gpuE0ELNS1_3repE0EEENS1_30default_config_static_selectorELNS0_4arch9wavefront6targetE1EEEvT1_
    .private_segment_fixed_size: 0
    .sgpr_count:     6
    .sgpr_spill_count: 0
    .symbol:         _ZN7rocprim17ROCPRIM_400000_NS6detail17trampoline_kernelINS0_14default_configENS1_25partition_config_selectorILNS1_17partition_subalgoE8EhNS0_10empty_typeEbEEZZNS1_14partition_implILS5_8ELb0ES3_jPKhPS6_PKS6_NS0_5tupleIJPhS6_EEENSE_IJSB_SB_EEENS0_18inequality_wrapperIN6hipcub16HIPCUB_304000_NS8EqualityEEEPlJS6_EEE10hipError_tPvRmT3_T4_T5_T6_T7_T9_mT8_P12ihipStream_tbDpT10_ENKUlT_T0_E_clISt17integral_constantIbLb0EES16_IbLb1EEEEDaS12_S13_EUlS12_E_NS1_11comp_targetILNS1_3genE0ELNS1_11target_archE4294967295ELNS1_3gpuE0ELNS1_3repE0EEENS1_30default_config_static_selectorELNS0_4arch9wavefront6targetE1EEEvT1_.kd
    .uniform_work_group_size: 1
    .uses_dynamic_stack: false
    .vgpr_count:     0
    .vgpr_spill_count: 0
    .wavefront_size: 64
  - .agpr_count:     0
    .args:
      - .offset:         0
        .size:           128
        .value_kind:     by_value
    .group_segment_fixed_size: 16904
    .kernarg_segment_align: 8
    .kernarg_segment_size: 128
    .language:       OpenCL C
    .language_version:
      - 2
      - 0
    .max_flat_workgroup_size: 512
    .name:           _ZN7rocprim17ROCPRIM_400000_NS6detail17trampoline_kernelINS0_14default_configENS1_25partition_config_selectorILNS1_17partition_subalgoE8EhNS0_10empty_typeEbEEZZNS1_14partition_implILS5_8ELb0ES3_jPKhPS6_PKS6_NS0_5tupleIJPhS6_EEENSE_IJSB_SB_EEENS0_18inequality_wrapperIN6hipcub16HIPCUB_304000_NS8EqualityEEEPlJS6_EEE10hipError_tPvRmT3_T4_T5_T6_T7_T9_mT8_P12ihipStream_tbDpT10_ENKUlT_T0_E_clISt17integral_constantIbLb0EES16_IbLb1EEEEDaS12_S13_EUlS12_E_NS1_11comp_targetILNS1_3genE5ELNS1_11target_archE942ELNS1_3gpuE9ELNS1_3repE0EEENS1_30default_config_static_selectorELNS0_4arch9wavefront6targetE1EEEvT1_
    .private_segment_fixed_size: 0
    .sgpr_count:     66
    .sgpr_spill_count: 0
    .symbol:         _ZN7rocprim17ROCPRIM_400000_NS6detail17trampoline_kernelINS0_14default_configENS1_25partition_config_selectorILNS1_17partition_subalgoE8EhNS0_10empty_typeEbEEZZNS1_14partition_implILS5_8ELb0ES3_jPKhPS6_PKS6_NS0_5tupleIJPhS6_EEENSE_IJSB_SB_EEENS0_18inequality_wrapperIN6hipcub16HIPCUB_304000_NS8EqualityEEEPlJS6_EEE10hipError_tPvRmT3_T4_T5_T6_T7_T9_mT8_P12ihipStream_tbDpT10_ENKUlT_T0_E_clISt17integral_constantIbLb0EES16_IbLb1EEEEDaS12_S13_EUlS12_E_NS1_11comp_targetILNS1_3genE5ELNS1_11target_archE942ELNS1_3gpuE9ELNS1_3repE0EEENS1_30default_config_static_selectorELNS0_4arch9wavefront6targetE1EEEvT1_.kd
    .uniform_work_group_size: 1
    .uses_dynamic_stack: false
    .vgpr_count:     124
    .vgpr_spill_count: 0
    .wavefront_size: 64
  - .agpr_count:     0
    .args:
      - .offset:         0
        .size:           128
        .value_kind:     by_value
    .group_segment_fixed_size: 0
    .kernarg_segment_align: 8
    .kernarg_segment_size: 128
    .language:       OpenCL C
    .language_version:
      - 2
      - 0
    .max_flat_workgroup_size: 128
    .name:           _ZN7rocprim17ROCPRIM_400000_NS6detail17trampoline_kernelINS0_14default_configENS1_25partition_config_selectorILNS1_17partition_subalgoE8EhNS0_10empty_typeEbEEZZNS1_14partition_implILS5_8ELb0ES3_jPKhPS6_PKS6_NS0_5tupleIJPhS6_EEENSE_IJSB_SB_EEENS0_18inequality_wrapperIN6hipcub16HIPCUB_304000_NS8EqualityEEEPlJS6_EEE10hipError_tPvRmT3_T4_T5_T6_T7_T9_mT8_P12ihipStream_tbDpT10_ENKUlT_T0_E_clISt17integral_constantIbLb0EES16_IbLb1EEEEDaS12_S13_EUlS12_E_NS1_11comp_targetILNS1_3genE4ELNS1_11target_archE910ELNS1_3gpuE8ELNS1_3repE0EEENS1_30default_config_static_selectorELNS0_4arch9wavefront6targetE1EEEvT1_
    .private_segment_fixed_size: 0
    .sgpr_count:     6
    .sgpr_spill_count: 0
    .symbol:         _ZN7rocprim17ROCPRIM_400000_NS6detail17trampoline_kernelINS0_14default_configENS1_25partition_config_selectorILNS1_17partition_subalgoE8EhNS0_10empty_typeEbEEZZNS1_14partition_implILS5_8ELb0ES3_jPKhPS6_PKS6_NS0_5tupleIJPhS6_EEENSE_IJSB_SB_EEENS0_18inequality_wrapperIN6hipcub16HIPCUB_304000_NS8EqualityEEEPlJS6_EEE10hipError_tPvRmT3_T4_T5_T6_T7_T9_mT8_P12ihipStream_tbDpT10_ENKUlT_T0_E_clISt17integral_constantIbLb0EES16_IbLb1EEEEDaS12_S13_EUlS12_E_NS1_11comp_targetILNS1_3genE4ELNS1_11target_archE910ELNS1_3gpuE8ELNS1_3repE0EEENS1_30default_config_static_selectorELNS0_4arch9wavefront6targetE1EEEvT1_.kd
    .uniform_work_group_size: 1
    .uses_dynamic_stack: false
    .vgpr_count:     0
    .vgpr_spill_count: 0
    .wavefront_size: 64
  - .agpr_count:     0
    .args:
      - .offset:         0
        .size:           128
        .value_kind:     by_value
    .group_segment_fixed_size: 0
    .kernarg_segment_align: 8
    .kernarg_segment_size: 128
    .language:       OpenCL C
    .language_version:
      - 2
      - 0
    .max_flat_workgroup_size: 256
    .name:           _ZN7rocprim17ROCPRIM_400000_NS6detail17trampoline_kernelINS0_14default_configENS1_25partition_config_selectorILNS1_17partition_subalgoE8EhNS0_10empty_typeEbEEZZNS1_14partition_implILS5_8ELb0ES3_jPKhPS6_PKS6_NS0_5tupleIJPhS6_EEENSE_IJSB_SB_EEENS0_18inequality_wrapperIN6hipcub16HIPCUB_304000_NS8EqualityEEEPlJS6_EEE10hipError_tPvRmT3_T4_T5_T6_T7_T9_mT8_P12ihipStream_tbDpT10_ENKUlT_T0_E_clISt17integral_constantIbLb0EES16_IbLb1EEEEDaS12_S13_EUlS12_E_NS1_11comp_targetILNS1_3genE3ELNS1_11target_archE908ELNS1_3gpuE7ELNS1_3repE0EEENS1_30default_config_static_selectorELNS0_4arch9wavefront6targetE1EEEvT1_
    .private_segment_fixed_size: 0
    .sgpr_count:     6
    .sgpr_spill_count: 0
    .symbol:         _ZN7rocprim17ROCPRIM_400000_NS6detail17trampoline_kernelINS0_14default_configENS1_25partition_config_selectorILNS1_17partition_subalgoE8EhNS0_10empty_typeEbEEZZNS1_14partition_implILS5_8ELb0ES3_jPKhPS6_PKS6_NS0_5tupleIJPhS6_EEENSE_IJSB_SB_EEENS0_18inequality_wrapperIN6hipcub16HIPCUB_304000_NS8EqualityEEEPlJS6_EEE10hipError_tPvRmT3_T4_T5_T6_T7_T9_mT8_P12ihipStream_tbDpT10_ENKUlT_T0_E_clISt17integral_constantIbLb0EES16_IbLb1EEEEDaS12_S13_EUlS12_E_NS1_11comp_targetILNS1_3genE3ELNS1_11target_archE908ELNS1_3gpuE7ELNS1_3repE0EEENS1_30default_config_static_selectorELNS0_4arch9wavefront6targetE1EEEvT1_.kd
    .uniform_work_group_size: 1
    .uses_dynamic_stack: false
    .vgpr_count:     0
    .vgpr_spill_count: 0
    .wavefront_size: 64
  - .agpr_count:     0
    .args:
      - .offset:         0
        .size:           128
        .value_kind:     by_value
    .group_segment_fixed_size: 0
    .kernarg_segment_align: 8
    .kernarg_segment_size: 128
    .language:       OpenCL C
    .language_version:
      - 2
      - 0
    .max_flat_workgroup_size: 192
    .name:           _ZN7rocprim17ROCPRIM_400000_NS6detail17trampoline_kernelINS0_14default_configENS1_25partition_config_selectorILNS1_17partition_subalgoE8EhNS0_10empty_typeEbEEZZNS1_14partition_implILS5_8ELb0ES3_jPKhPS6_PKS6_NS0_5tupleIJPhS6_EEENSE_IJSB_SB_EEENS0_18inequality_wrapperIN6hipcub16HIPCUB_304000_NS8EqualityEEEPlJS6_EEE10hipError_tPvRmT3_T4_T5_T6_T7_T9_mT8_P12ihipStream_tbDpT10_ENKUlT_T0_E_clISt17integral_constantIbLb0EES16_IbLb1EEEEDaS12_S13_EUlS12_E_NS1_11comp_targetILNS1_3genE2ELNS1_11target_archE906ELNS1_3gpuE6ELNS1_3repE0EEENS1_30default_config_static_selectorELNS0_4arch9wavefront6targetE1EEEvT1_
    .private_segment_fixed_size: 0
    .sgpr_count:     6
    .sgpr_spill_count: 0
    .symbol:         _ZN7rocprim17ROCPRIM_400000_NS6detail17trampoline_kernelINS0_14default_configENS1_25partition_config_selectorILNS1_17partition_subalgoE8EhNS0_10empty_typeEbEEZZNS1_14partition_implILS5_8ELb0ES3_jPKhPS6_PKS6_NS0_5tupleIJPhS6_EEENSE_IJSB_SB_EEENS0_18inequality_wrapperIN6hipcub16HIPCUB_304000_NS8EqualityEEEPlJS6_EEE10hipError_tPvRmT3_T4_T5_T6_T7_T9_mT8_P12ihipStream_tbDpT10_ENKUlT_T0_E_clISt17integral_constantIbLb0EES16_IbLb1EEEEDaS12_S13_EUlS12_E_NS1_11comp_targetILNS1_3genE2ELNS1_11target_archE906ELNS1_3gpuE6ELNS1_3repE0EEENS1_30default_config_static_selectorELNS0_4arch9wavefront6targetE1EEEvT1_.kd
    .uniform_work_group_size: 1
    .uses_dynamic_stack: false
    .vgpr_count:     0
    .vgpr_spill_count: 0
    .wavefront_size: 64
  - .agpr_count:     0
    .args:
      - .offset:         0
        .size:           128
        .value_kind:     by_value
    .group_segment_fixed_size: 0
    .kernarg_segment_align: 8
    .kernarg_segment_size: 128
    .language:       OpenCL C
    .language_version:
      - 2
      - 0
    .max_flat_workgroup_size: 256
    .name:           _ZN7rocprim17ROCPRIM_400000_NS6detail17trampoline_kernelINS0_14default_configENS1_25partition_config_selectorILNS1_17partition_subalgoE8EhNS0_10empty_typeEbEEZZNS1_14partition_implILS5_8ELb0ES3_jPKhPS6_PKS6_NS0_5tupleIJPhS6_EEENSE_IJSB_SB_EEENS0_18inequality_wrapperIN6hipcub16HIPCUB_304000_NS8EqualityEEEPlJS6_EEE10hipError_tPvRmT3_T4_T5_T6_T7_T9_mT8_P12ihipStream_tbDpT10_ENKUlT_T0_E_clISt17integral_constantIbLb0EES16_IbLb1EEEEDaS12_S13_EUlS12_E_NS1_11comp_targetILNS1_3genE10ELNS1_11target_archE1200ELNS1_3gpuE4ELNS1_3repE0EEENS1_30default_config_static_selectorELNS0_4arch9wavefront6targetE1EEEvT1_
    .private_segment_fixed_size: 0
    .sgpr_count:     6
    .sgpr_spill_count: 0
    .symbol:         _ZN7rocprim17ROCPRIM_400000_NS6detail17trampoline_kernelINS0_14default_configENS1_25partition_config_selectorILNS1_17partition_subalgoE8EhNS0_10empty_typeEbEEZZNS1_14partition_implILS5_8ELb0ES3_jPKhPS6_PKS6_NS0_5tupleIJPhS6_EEENSE_IJSB_SB_EEENS0_18inequality_wrapperIN6hipcub16HIPCUB_304000_NS8EqualityEEEPlJS6_EEE10hipError_tPvRmT3_T4_T5_T6_T7_T9_mT8_P12ihipStream_tbDpT10_ENKUlT_T0_E_clISt17integral_constantIbLb0EES16_IbLb1EEEEDaS12_S13_EUlS12_E_NS1_11comp_targetILNS1_3genE10ELNS1_11target_archE1200ELNS1_3gpuE4ELNS1_3repE0EEENS1_30default_config_static_selectorELNS0_4arch9wavefront6targetE1EEEvT1_.kd
    .uniform_work_group_size: 1
    .uses_dynamic_stack: false
    .vgpr_count:     0
    .vgpr_spill_count: 0
    .wavefront_size: 64
  - .agpr_count:     0
    .args:
      - .offset:         0
        .size:           128
        .value_kind:     by_value
    .group_segment_fixed_size: 0
    .kernarg_segment_align: 8
    .kernarg_segment_size: 128
    .language:       OpenCL C
    .language_version:
      - 2
      - 0
    .max_flat_workgroup_size: 384
    .name:           _ZN7rocprim17ROCPRIM_400000_NS6detail17trampoline_kernelINS0_14default_configENS1_25partition_config_selectorILNS1_17partition_subalgoE8EhNS0_10empty_typeEbEEZZNS1_14partition_implILS5_8ELb0ES3_jPKhPS6_PKS6_NS0_5tupleIJPhS6_EEENSE_IJSB_SB_EEENS0_18inequality_wrapperIN6hipcub16HIPCUB_304000_NS8EqualityEEEPlJS6_EEE10hipError_tPvRmT3_T4_T5_T6_T7_T9_mT8_P12ihipStream_tbDpT10_ENKUlT_T0_E_clISt17integral_constantIbLb0EES16_IbLb1EEEEDaS12_S13_EUlS12_E_NS1_11comp_targetILNS1_3genE9ELNS1_11target_archE1100ELNS1_3gpuE3ELNS1_3repE0EEENS1_30default_config_static_selectorELNS0_4arch9wavefront6targetE1EEEvT1_
    .private_segment_fixed_size: 0
    .sgpr_count:     6
    .sgpr_spill_count: 0
    .symbol:         _ZN7rocprim17ROCPRIM_400000_NS6detail17trampoline_kernelINS0_14default_configENS1_25partition_config_selectorILNS1_17partition_subalgoE8EhNS0_10empty_typeEbEEZZNS1_14partition_implILS5_8ELb0ES3_jPKhPS6_PKS6_NS0_5tupleIJPhS6_EEENSE_IJSB_SB_EEENS0_18inequality_wrapperIN6hipcub16HIPCUB_304000_NS8EqualityEEEPlJS6_EEE10hipError_tPvRmT3_T4_T5_T6_T7_T9_mT8_P12ihipStream_tbDpT10_ENKUlT_T0_E_clISt17integral_constantIbLb0EES16_IbLb1EEEEDaS12_S13_EUlS12_E_NS1_11comp_targetILNS1_3genE9ELNS1_11target_archE1100ELNS1_3gpuE3ELNS1_3repE0EEENS1_30default_config_static_selectorELNS0_4arch9wavefront6targetE1EEEvT1_.kd
    .uniform_work_group_size: 1
    .uses_dynamic_stack: false
    .vgpr_count:     0
    .vgpr_spill_count: 0
    .wavefront_size: 64
  - .agpr_count:     0
    .args:
      - .offset:         0
        .size:           128
        .value_kind:     by_value
    .group_segment_fixed_size: 0
    .kernarg_segment_align: 8
    .kernarg_segment_size: 128
    .language:       OpenCL C
    .language_version:
      - 2
      - 0
    .max_flat_workgroup_size: 384
    .name:           _ZN7rocprim17ROCPRIM_400000_NS6detail17trampoline_kernelINS0_14default_configENS1_25partition_config_selectorILNS1_17partition_subalgoE8EhNS0_10empty_typeEbEEZZNS1_14partition_implILS5_8ELb0ES3_jPKhPS6_PKS6_NS0_5tupleIJPhS6_EEENSE_IJSB_SB_EEENS0_18inequality_wrapperIN6hipcub16HIPCUB_304000_NS8EqualityEEEPlJS6_EEE10hipError_tPvRmT3_T4_T5_T6_T7_T9_mT8_P12ihipStream_tbDpT10_ENKUlT_T0_E_clISt17integral_constantIbLb0EES16_IbLb1EEEEDaS12_S13_EUlS12_E_NS1_11comp_targetILNS1_3genE8ELNS1_11target_archE1030ELNS1_3gpuE2ELNS1_3repE0EEENS1_30default_config_static_selectorELNS0_4arch9wavefront6targetE1EEEvT1_
    .private_segment_fixed_size: 0
    .sgpr_count:     6
    .sgpr_spill_count: 0
    .symbol:         _ZN7rocprim17ROCPRIM_400000_NS6detail17trampoline_kernelINS0_14default_configENS1_25partition_config_selectorILNS1_17partition_subalgoE8EhNS0_10empty_typeEbEEZZNS1_14partition_implILS5_8ELb0ES3_jPKhPS6_PKS6_NS0_5tupleIJPhS6_EEENSE_IJSB_SB_EEENS0_18inequality_wrapperIN6hipcub16HIPCUB_304000_NS8EqualityEEEPlJS6_EEE10hipError_tPvRmT3_T4_T5_T6_T7_T9_mT8_P12ihipStream_tbDpT10_ENKUlT_T0_E_clISt17integral_constantIbLb0EES16_IbLb1EEEEDaS12_S13_EUlS12_E_NS1_11comp_targetILNS1_3genE8ELNS1_11target_archE1030ELNS1_3gpuE2ELNS1_3repE0EEENS1_30default_config_static_selectorELNS0_4arch9wavefront6targetE1EEEvT1_.kd
    .uniform_work_group_size: 1
    .uses_dynamic_stack: false
    .vgpr_count:     0
    .vgpr_spill_count: 0
    .wavefront_size: 64
  - .agpr_count:     0
    .args:
      - .offset:         0
        .size:           128
        .value_kind:     by_value
    .group_segment_fixed_size: 0
    .kernarg_segment_align: 8
    .kernarg_segment_size: 128
    .language:       OpenCL C
    .language_version:
      - 2
      - 0
    .max_flat_workgroup_size: 256
    .name:           _ZN7rocprim17ROCPRIM_400000_NS6detail17trampoline_kernelINS0_14default_configENS1_33run_length_encode_config_selectorIhjNS0_4plusIjEEEEZZNS1_33reduce_by_key_impl_wrapped_configILNS1_25lookback_scan_determinismE0ES3_S7_PKhNS0_17constant_iteratorIjlEEPhPlSF_S6_NS0_8equal_toIhEEEE10hipError_tPvRmT2_T3_mT4_T5_T6_T7_T8_P12ihipStream_tbENKUlT_T0_E_clISt17integral_constantIbLb0EESZ_EEDaSU_SV_EUlSU_E_NS1_11comp_targetILNS1_3genE0ELNS1_11target_archE4294967295ELNS1_3gpuE0ELNS1_3repE0EEENS1_30default_config_static_selectorELNS0_4arch9wavefront6targetE1EEEvT1_
    .private_segment_fixed_size: 0
    .sgpr_count:     6
    .sgpr_spill_count: 0
    .symbol:         _ZN7rocprim17ROCPRIM_400000_NS6detail17trampoline_kernelINS0_14default_configENS1_33run_length_encode_config_selectorIhjNS0_4plusIjEEEEZZNS1_33reduce_by_key_impl_wrapped_configILNS1_25lookback_scan_determinismE0ES3_S7_PKhNS0_17constant_iteratorIjlEEPhPlSF_S6_NS0_8equal_toIhEEEE10hipError_tPvRmT2_T3_mT4_T5_T6_T7_T8_P12ihipStream_tbENKUlT_T0_E_clISt17integral_constantIbLb0EESZ_EEDaSU_SV_EUlSU_E_NS1_11comp_targetILNS1_3genE0ELNS1_11target_archE4294967295ELNS1_3gpuE0ELNS1_3repE0EEENS1_30default_config_static_selectorELNS0_4arch9wavefront6targetE1EEEvT1_.kd
    .uniform_work_group_size: 1
    .uses_dynamic_stack: false
    .vgpr_count:     0
    .vgpr_spill_count: 0
    .wavefront_size: 64
  - .agpr_count:     0
    .args:
      - .offset:         0
        .size:           128
        .value_kind:     by_value
    .group_segment_fixed_size: 30720
    .kernarg_segment_align: 8
    .kernarg_segment_size: 128
    .language:       OpenCL C
    .language_version:
      - 2
      - 0
    .max_flat_workgroup_size: 512
    .name:           _ZN7rocprim17ROCPRIM_400000_NS6detail17trampoline_kernelINS0_14default_configENS1_33run_length_encode_config_selectorIhjNS0_4plusIjEEEEZZNS1_33reduce_by_key_impl_wrapped_configILNS1_25lookback_scan_determinismE0ES3_S7_PKhNS0_17constant_iteratorIjlEEPhPlSF_S6_NS0_8equal_toIhEEEE10hipError_tPvRmT2_T3_mT4_T5_T6_T7_T8_P12ihipStream_tbENKUlT_T0_E_clISt17integral_constantIbLb0EESZ_EEDaSU_SV_EUlSU_E_NS1_11comp_targetILNS1_3genE5ELNS1_11target_archE942ELNS1_3gpuE9ELNS1_3repE0EEENS1_30default_config_static_selectorELNS0_4arch9wavefront6targetE1EEEvT1_
    .private_segment_fixed_size: 0
    .sgpr_count:     70
    .sgpr_spill_count: 0
    .symbol:         _ZN7rocprim17ROCPRIM_400000_NS6detail17trampoline_kernelINS0_14default_configENS1_33run_length_encode_config_selectorIhjNS0_4plusIjEEEEZZNS1_33reduce_by_key_impl_wrapped_configILNS1_25lookback_scan_determinismE0ES3_S7_PKhNS0_17constant_iteratorIjlEEPhPlSF_S6_NS0_8equal_toIhEEEE10hipError_tPvRmT2_T3_mT4_T5_T6_T7_T8_P12ihipStream_tbENKUlT_T0_E_clISt17integral_constantIbLb0EESZ_EEDaSU_SV_EUlSU_E_NS1_11comp_targetILNS1_3genE5ELNS1_11target_archE942ELNS1_3gpuE9ELNS1_3repE0EEENS1_30default_config_static_selectorELNS0_4arch9wavefront6targetE1EEEvT1_.kd
    .uniform_work_group_size: 1
    .uses_dynamic_stack: false
    .vgpr_count:     109
    .vgpr_spill_count: 0
    .wavefront_size: 64
  - .agpr_count:     0
    .args:
      - .offset:         0
        .size:           128
        .value_kind:     by_value
    .group_segment_fixed_size: 0
    .kernarg_segment_align: 8
    .kernarg_segment_size: 128
    .language:       OpenCL C
    .language_version:
      - 2
      - 0
    .max_flat_workgroup_size: 256
    .name:           _ZN7rocprim17ROCPRIM_400000_NS6detail17trampoline_kernelINS0_14default_configENS1_33run_length_encode_config_selectorIhjNS0_4plusIjEEEEZZNS1_33reduce_by_key_impl_wrapped_configILNS1_25lookback_scan_determinismE0ES3_S7_PKhNS0_17constant_iteratorIjlEEPhPlSF_S6_NS0_8equal_toIhEEEE10hipError_tPvRmT2_T3_mT4_T5_T6_T7_T8_P12ihipStream_tbENKUlT_T0_E_clISt17integral_constantIbLb0EESZ_EEDaSU_SV_EUlSU_E_NS1_11comp_targetILNS1_3genE4ELNS1_11target_archE910ELNS1_3gpuE8ELNS1_3repE0EEENS1_30default_config_static_selectorELNS0_4arch9wavefront6targetE1EEEvT1_
    .private_segment_fixed_size: 0
    .sgpr_count:     6
    .sgpr_spill_count: 0
    .symbol:         _ZN7rocprim17ROCPRIM_400000_NS6detail17trampoline_kernelINS0_14default_configENS1_33run_length_encode_config_selectorIhjNS0_4plusIjEEEEZZNS1_33reduce_by_key_impl_wrapped_configILNS1_25lookback_scan_determinismE0ES3_S7_PKhNS0_17constant_iteratorIjlEEPhPlSF_S6_NS0_8equal_toIhEEEE10hipError_tPvRmT2_T3_mT4_T5_T6_T7_T8_P12ihipStream_tbENKUlT_T0_E_clISt17integral_constantIbLb0EESZ_EEDaSU_SV_EUlSU_E_NS1_11comp_targetILNS1_3genE4ELNS1_11target_archE910ELNS1_3gpuE8ELNS1_3repE0EEENS1_30default_config_static_selectorELNS0_4arch9wavefront6targetE1EEEvT1_.kd
    .uniform_work_group_size: 1
    .uses_dynamic_stack: false
    .vgpr_count:     0
    .vgpr_spill_count: 0
    .wavefront_size: 64
  - .agpr_count:     0
    .args:
      - .offset:         0
        .size:           128
        .value_kind:     by_value
    .group_segment_fixed_size: 0
    .kernarg_segment_align: 8
    .kernarg_segment_size: 128
    .language:       OpenCL C
    .language_version:
      - 2
      - 0
    .max_flat_workgroup_size: 256
    .name:           _ZN7rocprim17ROCPRIM_400000_NS6detail17trampoline_kernelINS0_14default_configENS1_33run_length_encode_config_selectorIhjNS0_4plusIjEEEEZZNS1_33reduce_by_key_impl_wrapped_configILNS1_25lookback_scan_determinismE0ES3_S7_PKhNS0_17constant_iteratorIjlEEPhPlSF_S6_NS0_8equal_toIhEEEE10hipError_tPvRmT2_T3_mT4_T5_T6_T7_T8_P12ihipStream_tbENKUlT_T0_E_clISt17integral_constantIbLb0EESZ_EEDaSU_SV_EUlSU_E_NS1_11comp_targetILNS1_3genE3ELNS1_11target_archE908ELNS1_3gpuE7ELNS1_3repE0EEENS1_30default_config_static_selectorELNS0_4arch9wavefront6targetE1EEEvT1_
    .private_segment_fixed_size: 0
    .sgpr_count:     6
    .sgpr_spill_count: 0
    .symbol:         _ZN7rocprim17ROCPRIM_400000_NS6detail17trampoline_kernelINS0_14default_configENS1_33run_length_encode_config_selectorIhjNS0_4plusIjEEEEZZNS1_33reduce_by_key_impl_wrapped_configILNS1_25lookback_scan_determinismE0ES3_S7_PKhNS0_17constant_iteratorIjlEEPhPlSF_S6_NS0_8equal_toIhEEEE10hipError_tPvRmT2_T3_mT4_T5_T6_T7_T8_P12ihipStream_tbENKUlT_T0_E_clISt17integral_constantIbLb0EESZ_EEDaSU_SV_EUlSU_E_NS1_11comp_targetILNS1_3genE3ELNS1_11target_archE908ELNS1_3gpuE7ELNS1_3repE0EEENS1_30default_config_static_selectorELNS0_4arch9wavefront6targetE1EEEvT1_.kd
    .uniform_work_group_size: 1
    .uses_dynamic_stack: false
    .vgpr_count:     0
    .vgpr_spill_count: 0
    .wavefront_size: 64
  - .agpr_count:     0
    .args:
      - .offset:         0
        .size:           128
        .value_kind:     by_value
    .group_segment_fixed_size: 0
    .kernarg_segment_align: 8
    .kernarg_segment_size: 128
    .language:       OpenCL C
    .language_version:
      - 2
      - 0
    .max_flat_workgroup_size: 256
    .name:           _ZN7rocprim17ROCPRIM_400000_NS6detail17trampoline_kernelINS0_14default_configENS1_33run_length_encode_config_selectorIhjNS0_4plusIjEEEEZZNS1_33reduce_by_key_impl_wrapped_configILNS1_25lookback_scan_determinismE0ES3_S7_PKhNS0_17constant_iteratorIjlEEPhPlSF_S6_NS0_8equal_toIhEEEE10hipError_tPvRmT2_T3_mT4_T5_T6_T7_T8_P12ihipStream_tbENKUlT_T0_E_clISt17integral_constantIbLb0EESZ_EEDaSU_SV_EUlSU_E_NS1_11comp_targetILNS1_3genE2ELNS1_11target_archE906ELNS1_3gpuE6ELNS1_3repE0EEENS1_30default_config_static_selectorELNS0_4arch9wavefront6targetE1EEEvT1_
    .private_segment_fixed_size: 0
    .sgpr_count:     6
    .sgpr_spill_count: 0
    .symbol:         _ZN7rocprim17ROCPRIM_400000_NS6detail17trampoline_kernelINS0_14default_configENS1_33run_length_encode_config_selectorIhjNS0_4plusIjEEEEZZNS1_33reduce_by_key_impl_wrapped_configILNS1_25lookback_scan_determinismE0ES3_S7_PKhNS0_17constant_iteratorIjlEEPhPlSF_S6_NS0_8equal_toIhEEEE10hipError_tPvRmT2_T3_mT4_T5_T6_T7_T8_P12ihipStream_tbENKUlT_T0_E_clISt17integral_constantIbLb0EESZ_EEDaSU_SV_EUlSU_E_NS1_11comp_targetILNS1_3genE2ELNS1_11target_archE906ELNS1_3gpuE6ELNS1_3repE0EEENS1_30default_config_static_selectorELNS0_4arch9wavefront6targetE1EEEvT1_.kd
    .uniform_work_group_size: 1
    .uses_dynamic_stack: false
    .vgpr_count:     0
    .vgpr_spill_count: 0
    .wavefront_size: 64
  - .agpr_count:     0
    .args:
      - .offset:         0
        .size:           128
        .value_kind:     by_value
    .group_segment_fixed_size: 0
    .kernarg_segment_align: 8
    .kernarg_segment_size: 128
    .language:       OpenCL C
    .language_version:
      - 2
      - 0
    .max_flat_workgroup_size: 384
    .name:           _ZN7rocprim17ROCPRIM_400000_NS6detail17trampoline_kernelINS0_14default_configENS1_33run_length_encode_config_selectorIhjNS0_4plusIjEEEEZZNS1_33reduce_by_key_impl_wrapped_configILNS1_25lookback_scan_determinismE0ES3_S7_PKhNS0_17constant_iteratorIjlEEPhPlSF_S6_NS0_8equal_toIhEEEE10hipError_tPvRmT2_T3_mT4_T5_T6_T7_T8_P12ihipStream_tbENKUlT_T0_E_clISt17integral_constantIbLb0EESZ_EEDaSU_SV_EUlSU_E_NS1_11comp_targetILNS1_3genE10ELNS1_11target_archE1201ELNS1_3gpuE5ELNS1_3repE0EEENS1_30default_config_static_selectorELNS0_4arch9wavefront6targetE1EEEvT1_
    .private_segment_fixed_size: 0
    .sgpr_count:     6
    .sgpr_spill_count: 0
    .symbol:         _ZN7rocprim17ROCPRIM_400000_NS6detail17trampoline_kernelINS0_14default_configENS1_33run_length_encode_config_selectorIhjNS0_4plusIjEEEEZZNS1_33reduce_by_key_impl_wrapped_configILNS1_25lookback_scan_determinismE0ES3_S7_PKhNS0_17constant_iteratorIjlEEPhPlSF_S6_NS0_8equal_toIhEEEE10hipError_tPvRmT2_T3_mT4_T5_T6_T7_T8_P12ihipStream_tbENKUlT_T0_E_clISt17integral_constantIbLb0EESZ_EEDaSU_SV_EUlSU_E_NS1_11comp_targetILNS1_3genE10ELNS1_11target_archE1201ELNS1_3gpuE5ELNS1_3repE0EEENS1_30default_config_static_selectorELNS0_4arch9wavefront6targetE1EEEvT1_.kd
    .uniform_work_group_size: 1
    .uses_dynamic_stack: false
    .vgpr_count:     0
    .vgpr_spill_count: 0
    .wavefront_size: 64
  - .agpr_count:     0
    .args:
      - .offset:         0
        .size:           128
        .value_kind:     by_value
    .group_segment_fixed_size: 0
    .kernarg_segment_align: 8
    .kernarg_segment_size: 128
    .language:       OpenCL C
    .language_version:
      - 2
      - 0
    .max_flat_workgroup_size: 384
    .name:           _ZN7rocprim17ROCPRIM_400000_NS6detail17trampoline_kernelINS0_14default_configENS1_33run_length_encode_config_selectorIhjNS0_4plusIjEEEEZZNS1_33reduce_by_key_impl_wrapped_configILNS1_25lookback_scan_determinismE0ES3_S7_PKhNS0_17constant_iteratorIjlEEPhPlSF_S6_NS0_8equal_toIhEEEE10hipError_tPvRmT2_T3_mT4_T5_T6_T7_T8_P12ihipStream_tbENKUlT_T0_E_clISt17integral_constantIbLb0EESZ_EEDaSU_SV_EUlSU_E_NS1_11comp_targetILNS1_3genE10ELNS1_11target_archE1200ELNS1_3gpuE4ELNS1_3repE0EEENS1_30default_config_static_selectorELNS0_4arch9wavefront6targetE1EEEvT1_
    .private_segment_fixed_size: 0
    .sgpr_count:     6
    .sgpr_spill_count: 0
    .symbol:         _ZN7rocprim17ROCPRIM_400000_NS6detail17trampoline_kernelINS0_14default_configENS1_33run_length_encode_config_selectorIhjNS0_4plusIjEEEEZZNS1_33reduce_by_key_impl_wrapped_configILNS1_25lookback_scan_determinismE0ES3_S7_PKhNS0_17constant_iteratorIjlEEPhPlSF_S6_NS0_8equal_toIhEEEE10hipError_tPvRmT2_T3_mT4_T5_T6_T7_T8_P12ihipStream_tbENKUlT_T0_E_clISt17integral_constantIbLb0EESZ_EEDaSU_SV_EUlSU_E_NS1_11comp_targetILNS1_3genE10ELNS1_11target_archE1200ELNS1_3gpuE4ELNS1_3repE0EEENS1_30default_config_static_selectorELNS0_4arch9wavefront6targetE1EEEvT1_.kd
    .uniform_work_group_size: 1
    .uses_dynamic_stack: false
    .vgpr_count:     0
    .vgpr_spill_count: 0
    .wavefront_size: 64
  - .agpr_count:     0
    .args:
      - .offset:         0
        .size:           128
        .value_kind:     by_value
    .group_segment_fixed_size: 0
    .kernarg_segment_align: 8
    .kernarg_segment_size: 128
    .language:       OpenCL C
    .language_version:
      - 2
      - 0
    .max_flat_workgroup_size: 384
    .name:           _ZN7rocprim17ROCPRIM_400000_NS6detail17trampoline_kernelINS0_14default_configENS1_33run_length_encode_config_selectorIhjNS0_4plusIjEEEEZZNS1_33reduce_by_key_impl_wrapped_configILNS1_25lookback_scan_determinismE0ES3_S7_PKhNS0_17constant_iteratorIjlEEPhPlSF_S6_NS0_8equal_toIhEEEE10hipError_tPvRmT2_T3_mT4_T5_T6_T7_T8_P12ihipStream_tbENKUlT_T0_E_clISt17integral_constantIbLb0EESZ_EEDaSU_SV_EUlSU_E_NS1_11comp_targetILNS1_3genE9ELNS1_11target_archE1100ELNS1_3gpuE3ELNS1_3repE0EEENS1_30default_config_static_selectorELNS0_4arch9wavefront6targetE1EEEvT1_
    .private_segment_fixed_size: 0
    .sgpr_count:     6
    .sgpr_spill_count: 0
    .symbol:         _ZN7rocprim17ROCPRIM_400000_NS6detail17trampoline_kernelINS0_14default_configENS1_33run_length_encode_config_selectorIhjNS0_4plusIjEEEEZZNS1_33reduce_by_key_impl_wrapped_configILNS1_25lookback_scan_determinismE0ES3_S7_PKhNS0_17constant_iteratorIjlEEPhPlSF_S6_NS0_8equal_toIhEEEE10hipError_tPvRmT2_T3_mT4_T5_T6_T7_T8_P12ihipStream_tbENKUlT_T0_E_clISt17integral_constantIbLb0EESZ_EEDaSU_SV_EUlSU_E_NS1_11comp_targetILNS1_3genE9ELNS1_11target_archE1100ELNS1_3gpuE3ELNS1_3repE0EEENS1_30default_config_static_selectorELNS0_4arch9wavefront6targetE1EEEvT1_.kd
    .uniform_work_group_size: 1
    .uses_dynamic_stack: false
    .vgpr_count:     0
    .vgpr_spill_count: 0
    .wavefront_size: 64
  - .agpr_count:     0
    .args:
      - .offset:         0
        .size:           128
        .value_kind:     by_value
    .group_segment_fixed_size: 0
    .kernarg_segment_align: 8
    .kernarg_segment_size: 128
    .language:       OpenCL C
    .language_version:
      - 2
      - 0
    .max_flat_workgroup_size: 384
    .name:           _ZN7rocprim17ROCPRIM_400000_NS6detail17trampoline_kernelINS0_14default_configENS1_33run_length_encode_config_selectorIhjNS0_4plusIjEEEEZZNS1_33reduce_by_key_impl_wrapped_configILNS1_25lookback_scan_determinismE0ES3_S7_PKhNS0_17constant_iteratorIjlEEPhPlSF_S6_NS0_8equal_toIhEEEE10hipError_tPvRmT2_T3_mT4_T5_T6_T7_T8_P12ihipStream_tbENKUlT_T0_E_clISt17integral_constantIbLb0EESZ_EEDaSU_SV_EUlSU_E_NS1_11comp_targetILNS1_3genE8ELNS1_11target_archE1030ELNS1_3gpuE2ELNS1_3repE0EEENS1_30default_config_static_selectorELNS0_4arch9wavefront6targetE1EEEvT1_
    .private_segment_fixed_size: 0
    .sgpr_count:     6
    .sgpr_spill_count: 0
    .symbol:         _ZN7rocprim17ROCPRIM_400000_NS6detail17trampoline_kernelINS0_14default_configENS1_33run_length_encode_config_selectorIhjNS0_4plusIjEEEEZZNS1_33reduce_by_key_impl_wrapped_configILNS1_25lookback_scan_determinismE0ES3_S7_PKhNS0_17constant_iteratorIjlEEPhPlSF_S6_NS0_8equal_toIhEEEE10hipError_tPvRmT2_T3_mT4_T5_T6_T7_T8_P12ihipStream_tbENKUlT_T0_E_clISt17integral_constantIbLb0EESZ_EEDaSU_SV_EUlSU_E_NS1_11comp_targetILNS1_3genE8ELNS1_11target_archE1030ELNS1_3gpuE2ELNS1_3repE0EEENS1_30default_config_static_selectorELNS0_4arch9wavefront6targetE1EEEvT1_.kd
    .uniform_work_group_size: 1
    .uses_dynamic_stack: false
    .vgpr_count:     0
    .vgpr_spill_count: 0
    .wavefront_size: 64
  - .agpr_count:     0
    .args:
      - .offset:         0
        .size:           128
        .value_kind:     by_value
    .group_segment_fixed_size: 0
    .kernarg_segment_align: 8
    .kernarg_segment_size: 128
    .language:       OpenCL C
    .language_version:
      - 2
      - 0
    .max_flat_workgroup_size: 256
    .name:           _ZN7rocprim17ROCPRIM_400000_NS6detail17trampoline_kernelINS0_14default_configENS1_33run_length_encode_config_selectorIhjNS0_4plusIjEEEEZZNS1_33reduce_by_key_impl_wrapped_configILNS1_25lookback_scan_determinismE0ES3_S7_PKhNS0_17constant_iteratorIjlEEPhPlSF_S6_NS0_8equal_toIhEEEE10hipError_tPvRmT2_T3_mT4_T5_T6_T7_T8_P12ihipStream_tbENKUlT_T0_E_clISt17integral_constantIbLb1EESZ_EEDaSU_SV_EUlSU_E_NS1_11comp_targetILNS1_3genE0ELNS1_11target_archE4294967295ELNS1_3gpuE0ELNS1_3repE0EEENS1_30default_config_static_selectorELNS0_4arch9wavefront6targetE1EEEvT1_
    .private_segment_fixed_size: 0
    .sgpr_count:     6
    .sgpr_spill_count: 0
    .symbol:         _ZN7rocprim17ROCPRIM_400000_NS6detail17trampoline_kernelINS0_14default_configENS1_33run_length_encode_config_selectorIhjNS0_4plusIjEEEEZZNS1_33reduce_by_key_impl_wrapped_configILNS1_25lookback_scan_determinismE0ES3_S7_PKhNS0_17constant_iteratorIjlEEPhPlSF_S6_NS0_8equal_toIhEEEE10hipError_tPvRmT2_T3_mT4_T5_T6_T7_T8_P12ihipStream_tbENKUlT_T0_E_clISt17integral_constantIbLb1EESZ_EEDaSU_SV_EUlSU_E_NS1_11comp_targetILNS1_3genE0ELNS1_11target_archE4294967295ELNS1_3gpuE0ELNS1_3repE0EEENS1_30default_config_static_selectorELNS0_4arch9wavefront6targetE1EEEvT1_.kd
    .uniform_work_group_size: 1
    .uses_dynamic_stack: false
    .vgpr_count:     0
    .vgpr_spill_count: 0
    .wavefront_size: 64
  - .agpr_count:     0
    .args:
      - .offset:         0
        .size:           128
        .value_kind:     by_value
    .group_segment_fixed_size: 30720
    .kernarg_segment_align: 8
    .kernarg_segment_size: 128
    .language:       OpenCL C
    .language_version:
      - 2
      - 0
    .max_flat_workgroup_size: 512
    .name:           _ZN7rocprim17ROCPRIM_400000_NS6detail17trampoline_kernelINS0_14default_configENS1_33run_length_encode_config_selectorIhjNS0_4plusIjEEEEZZNS1_33reduce_by_key_impl_wrapped_configILNS1_25lookback_scan_determinismE0ES3_S7_PKhNS0_17constant_iteratorIjlEEPhPlSF_S6_NS0_8equal_toIhEEEE10hipError_tPvRmT2_T3_mT4_T5_T6_T7_T8_P12ihipStream_tbENKUlT_T0_E_clISt17integral_constantIbLb1EESZ_EEDaSU_SV_EUlSU_E_NS1_11comp_targetILNS1_3genE5ELNS1_11target_archE942ELNS1_3gpuE9ELNS1_3repE0EEENS1_30default_config_static_selectorELNS0_4arch9wavefront6targetE1EEEvT1_
    .private_segment_fixed_size: 0
    .sgpr_count:     72
    .sgpr_spill_count: 0
    .symbol:         _ZN7rocprim17ROCPRIM_400000_NS6detail17trampoline_kernelINS0_14default_configENS1_33run_length_encode_config_selectorIhjNS0_4plusIjEEEEZZNS1_33reduce_by_key_impl_wrapped_configILNS1_25lookback_scan_determinismE0ES3_S7_PKhNS0_17constant_iteratorIjlEEPhPlSF_S6_NS0_8equal_toIhEEEE10hipError_tPvRmT2_T3_mT4_T5_T6_T7_T8_P12ihipStream_tbENKUlT_T0_E_clISt17integral_constantIbLb1EESZ_EEDaSU_SV_EUlSU_E_NS1_11comp_targetILNS1_3genE5ELNS1_11target_archE942ELNS1_3gpuE9ELNS1_3repE0EEENS1_30default_config_static_selectorELNS0_4arch9wavefront6targetE1EEEvT1_.kd
    .uniform_work_group_size: 1
    .uses_dynamic_stack: false
    .vgpr_count:     110
    .vgpr_spill_count: 0
    .wavefront_size: 64
  - .agpr_count:     0
    .args:
      - .offset:         0
        .size:           128
        .value_kind:     by_value
    .group_segment_fixed_size: 0
    .kernarg_segment_align: 8
    .kernarg_segment_size: 128
    .language:       OpenCL C
    .language_version:
      - 2
      - 0
    .max_flat_workgroup_size: 256
    .name:           _ZN7rocprim17ROCPRIM_400000_NS6detail17trampoline_kernelINS0_14default_configENS1_33run_length_encode_config_selectorIhjNS0_4plusIjEEEEZZNS1_33reduce_by_key_impl_wrapped_configILNS1_25lookback_scan_determinismE0ES3_S7_PKhNS0_17constant_iteratorIjlEEPhPlSF_S6_NS0_8equal_toIhEEEE10hipError_tPvRmT2_T3_mT4_T5_T6_T7_T8_P12ihipStream_tbENKUlT_T0_E_clISt17integral_constantIbLb1EESZ_EEDaSU_SV_EUlSU_E_NS1_11comp_targetILNS1_3genE4ELNS1_11target_archE910ELNS1_3gpuE8ELNS1_3repE0EEENS1_30default_config_static_selectorELNS0_4arch9wavefront6targetE1EEEvT1_
    .private_segment_fixed_size: 0
    .sgpr_count:     6
    .sgpr_spill_count: 0
    .symbol:         _ZN7rocprim17ROCPRIM_400000_NS6detail17trampoline_kernelINS0_14default_configENS1_33run_length_encode_config_selectorIhjNS0_4plusIjEEEEZZNS1_33reduce_by_key_impl_wrapped_configILNS1_25lookback_scan_determinismE0ES3_S7_PKhNS0_17constant_iteratorIjlEEPhPlSF_S6_NS0_8equal_toIhEEEE10hipError_tPvRmT2_T3_mT4_T5_T6_T7_T8_P12ihipStream_tbENKUlT_T0_E_clISt17integral_constantIbLb1EESZ_EEDaSU_SV_EUlSU_E_NS1_11comp_targetILNS1_3genE4ELNS1_11target_archE910ELNS1_3gpuE8ELNS1_3repE0EEENS1_30default_config_static_selectorELNS0_4arch9wavefront6targetE1EEEvT1_.kd
    .uniform_work_group_size: 1
    .uses_dynamic_stack: false
    .vgpr_count:     0
    .vgpr_spill_count: 0
    .wavefront_size: 64
  - .agpr_count:     0
    .args:
      - .offset:         0
        .size:           128
        .value_kind:     by_value
    .group_segment_fixed_size: 0
    .kernarg_segment_align: 8
    .kernarg_segment_size: 128
    .language:       OpenCL C
    .language_version:
      - 2
      - 0
    .max_flat_workgroup_size: 256
    .name:           _ZN7rocprim17ROCPRIM_400000_NS6detail17trampoline_kernelINS0_14default_configENS1_33run_length_encode_config_selectorIhjNS0_4plusIjEEEEZZNS1_33reduce_by_key_impl_wrapped_configILNS1_25lookback_scan_determinismE0ES3_S7_PKhNS0_17constant_iteratorIjlEEPhPlSF_S6_NS0_8equal_toIhEEEE10hipError_tPvRmT2_T3_mT4_T5_T6_T7_T8_P12ihipStream_tbENKUlT_T0_E_clISt17integral_constantIbLb1EESZ_EEDaSU_SV_EUlSU_E_NS1_11comp_targetILNS1_3genE3ELNS1_11target_archE908ELNS1_3gpuE7ELNS1_3repE0EEENS1_30default_config_static_selectorELNS0_4arch9wavefront6targetE1EEEvT1_
    .private_segment_fixed_size: 0
    .sgpr_count:     6
    .sgpr_spill_count: 0
    .symbol:         _ZN7rocprim17ROCPRIM_400000_NS6detail17trampoline_kernelINS0_14default_configENS1_33run_length_encode_config_selectorIhjNS0_4plusIjEEEEZZNS1_33reduce_by_key_impl_wrapped_configILNS1_25lookback_scan_determinismE0ES3_S7_PKhNS0_17constant_iteratorIjlEEPhPlSF_S6_NS0_8equal_toIhEEEE10hipError_tPvRmT2_T3_mT4_T5_T6_T7_T8_P12ihipStream_tbENKUlT_T0_E_clISt17integral_constantIbLb1EESZ_EEDaSU_SV_EUlSU_E_NS1_11comp_targetILNS1_3genE3ELNS1_11target_archE908ELNS1_3gpuE7ELNS1_3repE0EEENS1_30default_config_static_selectorELNS0_4arch9wavefront6targetE1EEEvT1_.kd
    .uniform_work_group_size: 1
    .uses_dynamic_stack: false
    .vgpr_count:     0
    .vgpr_spill_count: 0
    .wavefront_size: 64
  - .agpr_count:     0
    .args:
      - .offset:         0
        .size:           128
        .value_kind:     by_value
    .group_segment_fixed_size: 0
    .kernarg_segment_align: 8
    .kernarg_segment_size: 128
    .language:       OpenCL C
    .language_version:
      - 2
      - 0
    .max_flat_workgroup_size: 256
    .name:           _ZN7rocprim17ROCPRIM_400000_NS6detail17trampoline_kernelINS0_14default_configENS1_33run_length_encode_config_selectorIhjNS0_4plusIjEEEEZZNS1_33reduce_by_key_impl_wrapped_configILNS1_25lookback_scan_determinismE0ES3_S7_PKhNS0_17constant_iteratorIjlEEPhPlSF_S6_NS0_8equal_toIhEEEE10hipError_tPvRmT2_T3_mT4_T5_T6_T7_T8_P12ihipStream_tbENKUlT_T0_E_clISt17integral_constantIbLb1EESZ_EEDaSU_SV_EUlSU_E_NS1_11comp_targetILNS1_3genE2ELNS1_11target_archE906ELNS1_3gpuE6ELNS1_3repE0EEENS1_30default_config_static_selectorELNS0_4arch9wavefront6targetE1EEEvT1_
    .private_segment_fixed_size: 0
    .sgpr_count:     6
    .sgpr_spill_count: 0
    .symbol:         _ZN7rocprim17ROCPRIM_400000_NS6detail17trampoline_kernelINS0_14default_configENS1_33run_length_encode_config_selectorIhjNS0_4plusIjEEEEZZNS1_33reduce_by_key_impl_wrapped_configILNS1_25lookback_scan_determinismE0ES3_S7_PKhNS0_17constant_iteratorIjlEEPhPlSF_S6_NS0_8equal_toIhEEEE10hipError_tPvRmT2_T3_mT4_T5_T6_T7_T8_P12ihipStream_tbENKUlT_T0_E_clISt17integral_constantIbLb1EESZ_EEDaSU_SV_EUlSU_E_NS1_11comp_targetILNS1_3genE2ELNS1_11target_archE906ELNS1_3gpuE6ELNS1_3repE0EEENS1_30default_config_static_selectorELNS0_4arch9wavefront6targetE1EEEvT1_.kd
    .uniform_work_group_size: 1
    .uses_dynamic_stack: false
    .vgpr_count:     0
    .vgpr_spill_count: 0
    .wavefront_size: 64
  - .agpr_count:     0
    .args:
      - .offset:         0
        .size:           128
        .value_kind:     by_value
    .group_segment_fixed_size: 0
    .kernarg_segment_align: 8
    .kernarg_segment_size: 128
    .language:       OpenCL C
    .language_version:
      - 2
      - 0
    .max_flat_workgroup_size: 384
    .name:           _ZN7rocprim17ROCPRIM_400000_NS6detail17trampoline_kernelINS0_14default_configENS1_33run_length_encode_config_selectorIhjNS0_4plusIjEEEEZZNS1_33reduce_by_key_impl_wrapped_configILNS1_25lookback_scan_determinismE0ES3_S7_PKhNS0_17constant_iteratorIjlEEPhPlSF_S6_NS0_8equal_toIhEEEE10hipError_tPvRmT2_T3_mT4_T5_T6_T7_T8_P12ihipStream_tbENKUlT_T0_E_clISt17integral_constantIbLb1EESZ_EEDaSU_SV_EUlSU_E_NS1_11comp_targetILNS1_3genE10ELNS1_11target_archE1201ELNS1_3gpuE5ELNS1_3repE0EEENS1_30default_config_static_selectorELNS0_4arch9wavefront6targetE1EEEvT1_
    .private_segment_fixed_size: 0
    .sgpr_count:     6
    .sgpr_spill_count: 0
    .symbol:         _ZN7rocprim17ROCPRIM_400000_NS6detail17trampoline_kernelINS0_14default_configENS1_33run_length_encode_config_selectorIhjNS0_4plusIjEEEEZZNS1_33reduce_by_key_impl_wrapped_configILNS1_25lookback_scan_determinismE0ES3_S7_PKhNS0_17constant_iteratorIjlEEPhPlSF_S6_NS0_8equal_toIhEEEE10hipError_tPvRmT2_T3_mT4_T5_T6_T7_T8_P12ihipStream_tbENKUlT_T0_E_clISt17integral_constantIbLb1EESZ_EEDaSU_SV_EUlSU_E_NS1_11comp_targetILNS1_3genE10ELNS1_11target_archE1201ELNS1_3gpuE5ELNS1_3repE0EEENS1_30default_config_static_selectorELNS0_4arch9wavefront6targetE1EEEvT1_.kd
    .uniform_work_group_size: 1
    .uses_dynamic_stack: false
    .vgpr_count:     0
    .vgpr_spill_count: 0
    .wavefront_size: 64
  - .agpr_count:     0
    .args:
      - .offset:         0
        .size:           128
        .value_kind:     by_value
    .group_segment_fixed_size: 0
    .kernarg_segment_align: 8
    .kernarg_segment_size: 128
    .language:       OpenCL C
    .language_version:
      - 2
      - 0
    .max_flat_workgroup_size: 384
    .name:           _ZN7rocprim17ROCPRIM_400000_NS6detail17trampoline_kernelINS0_14default_configENS1_33run_length_encode_config_selectorIhjNS0_4plusIjEEEEZZNS1_33reduce_by_key_impl_wrapped_configILNS1_25lookback_scan_determinismE0ES3_S7_PKhNS0_17constant_iteratorIjlEEPhPlSF_S6_NS0_8equal_toIhEEEE10hipError_tPvRmT2_T3_mT4_T5_T6_T7_T8_P12ihipStream_tbENKUlT_T0_E_clISt17integral_constantIbLb1EESZ_EEDaSU_SV_EUlSU_E_NS1_11comp_targetILNS1_3genE10ELNS1_11target_archE1200ELNS1_3gpuE4ELNS1_3repE0EEENS1_30default_config_static_selectorELNS0_4arch9wavefront6targetE1EEEvT1_
    .private_segment_fixed_size: 0
    .sgpr_count:     6
    .sgpr_spill_count: 0
    .symbol:         _ZN7rocprim17ROCPRIM_400000_NS6detail17trampoline_kernelINS0_14default_configENS1_33run_length_encode_config_selectorIhjNS0_4plusIjEEEEZZNS1_33reduce_by_key_impl_wrapped_configILNS1_25lookback_scan_determinismE0ES3_S7_PKhNS0_17constant_iteratorIjlEEPhPlSF_S6_NS0_8equal_toIhEEEE10hipError_tPvRmT2_T3_mT4_T5_T6_T7_T8_P12ihipStream_tbENKUlT_T0_E_clISt17integral_constantIbLb1EESZ_EEDaSU_SV_EUlSU_E_NS1_11comp_targetILNS1_3genE10ELNS1_11target_archE1200ELNS1_3gpuE4ELNS1_3repE0EEENS1_30default_config_static_selectorELNS0_4arch9wavefront6targetE1EEEvT1_.kd
    .uniform_work_group_size: 1
    .uses_dynamic_stack: false
    .vgpr_count:     0
    .vgpr_spill_count: 0
    .wavefront_size: 64
  - .agpr_count:     0
    .args:
      - .offset:         0
        .size:           128
        .value_kind:     by_value
    .group_segment_fixed_size: 0
    .kernarg_segment_align: 8
    .kernarg_segment_size: 128
    .language:       OpenCL C
    .language_version:
      - 2
      - 0
    .max_flat_workgroup_size: 384
    .name:           _ZN7rocprim17ROCPRIM_400000_NS6detail17trampoline_kernelINS0_14default_configENS1_33run_length_encode_config_selectorIhjNS0_4plusIjEEEEZZNS1_33reduce_by_key_impl_wrapped_configILNS1_25lookback_scan_determinismE0ES3_S7_PKhNS0_17constant_iteratorIjlEEPhPlSF_S6_NS0_8equal_toIhEEEE10hipError_tPvRmT2_T3_mT4_T5_T6_T7_T8_P12ihipStream_tbENKUlT_T0_E_clISt17integral_constantIbLb1EESZ_EEDaSU_SV_EUlSU_E_NS1_11comp_targetILNS1_3genE9ELNS1_11target_archE1100ELNS1_3gpuE3ELNS1_3repE0EEENS1_30default_config_static_selectorELNS0_4arch9wavefront6targetE1EEEvT1_
    .private_segment_fixed_size: 0
    .sgpr_count:     6
    .sgpr_spill_count: 0
    .symbol:         _ZN7rocprim17ROCPRIM_400000_NS6detail17trampoline_kernelINS0_14default_configENS1_33run_length_encode_config_selectorIhjNS0_4plusIjEEEEZZNS1_33reduce_by_key_impl_wrapped_configILNS1_25lookback_scan_determinismE0ES3_S7_PKhNS0_17constant_iteratorIjlEEPhPlSF_S6_NS0_8equal_toIhEEEE10hipError_tPvRmT2_T3_mT4_T5_T6_T7_T8_P12ihipStream_tbENKUlT_T0_E_clISt17integral_constantIbLb1EESZ_EEDaSU_SV_EUlSU_E_NS1_11comp_targetILNS1_3genE9ELNS1_11target_archE1100ELNS1_3gpuE3ELNS1_3repE0EEENS1_30default_config_static_selectorELNS0_4arch9wavefront6targetE1EEEvT1_.kd
    .uniform_work_group_size: 1
    .uses_dynamic_stack: false
    .vgpr_count:     0
    .vgpr_spill_count: 0
    .wavefront_size: 64
  - .agpr_count:     0
    .args:
      - .offset:         0
        .size:           128
        .value_kind:     by_value
    .group_segment_fixed_size: 0
    .kernarg_segment_align: 8
    .kernarg_segment_size: 128
    .language:       OpenCL C
    .language_version:
      - 2
      - 0
    .max_flat_workgroup_size: 384
    .name:           _ZN7rocprim17ROCPRIM_400000_NS6detail17trampoline_kernelINS0_14default_configENS1_33run_length_encode_config_selectorIhjNS0_4plusIjEEEEZZNS1_33reduce_by_key_impl_wrapped_configILNS1_25lookback_scan_determinismE0ES3_S7_PKhNS0_17constant_iteratorIjlEEPhPlSF_S6_NS0_8equal_toIhEEEE10hipError_tPvRmT2_T3_mT4_T5_T6_T7_T8_P12ihipStream_tbENKUlT_T0_E_clISt17integral_constantIbLb1EESZ_EEDaSU_SV_EUlSU_E_NS1_11comp_targetILNS1_3genE8ELNS1_11target_archE1030ELNS1_3gpuE2ELNS1_3repE0EEENS1_30default_config_static_selectorELNS0_4arch9wavefront6targetE1EEEvT1_
    .private_segment_fixed_size: 0
    .sgpr_count:     6
    .sgpr_spill_count: 0
    .symbol:         _ZN7rocprim17ROCPRIM_400000_NS6detail17trampoline_kernelINS0_14default_configENS1_33run_length_encode_config_selectorIhjNS0_4plusIjEEEEZZNS1_33reduce_by_key_impl_wrapped_configILNS1_25lookback_scan_determinismE0ES3_S7_PKhNS0_17constant_iteratorIjlEEPhPlSF_S6_NS0_8equal_toIhEEEE10hipError_tPvRmT2_T3_mT4_T5_T6_T7_T8_P12ihipStream_tbENKUlT_T0_E_clISt17integral_constantIbLb1EESZ_EEDaSU_SV_EUlSU_E_NS1_11comp_targetILNS1_3genE8ELNS1_11target_archE1030ELNS1_3gpuE2ELNS1_3repE0EEENS1_30default_config_static_selectorELNS0_4arch9wavefront6targetE1EEEvT1_.kd
    .uniform_work_group_size: 1
    .uses_dynamic_stack: false
    .vgpr_count:     0
    .vgpr_spill_count: 0
    .wavefront_size: 64
  - .agpr_count:     0
    .args:
      - .offset:         0
        .size:           128
        .value_kind:     by_value
    .group_segment_fixed_size: 0
    .kernarg_segment_align: 8
    .kernarg_segment_size: 128
    .language:       OpenCL C
    .language_version:
      - 2
      - 0
    .max_flat_workgroup_size: 256
    .name:           _ZN7rocprim17ROCPRIM_400000_NS6detail17trampoline_kernelINS0_14default_configENS1_33run_length_encode_config_selectorIhjNS0_4plusIjEEEEZZNS1_33reduce_by_key_impl_wrapped_configILNS1_25lookback_scan_determinismE0ES3_S7_PKhNS0_17constant_iteratorIjlEEPhPlSF_S6_NS0_8equal_toIhEEEE10hipError_tPvRmT2_T3_mT4_T5_T6_T7_T8_P12ihipStream_tbENKUlT_T0_E_clISt17integral_constantIbLb1EESY_IbLb0EEEEDaSU_SV_EUlSU_E_NS1_11comp_targetILNS1_3genE0ELNS1_11target_archE4294967295ELNS1_3gpuE0ELNS1_3repE0EEENS1_30default_config_static_selectorELNS0_4arch9wavefront6targetE1EEEvT1_
    .private_segment_fixed_size: 0
    .sgpr_count:     6
    .sgpr_spill_count: 0
    .symbol:         _ZN7rocprim17ROCPRIM_400000_NS6detail17trampoline_kernelINS0_14default_configENS1_33run_length_encode_config_selectorIhjNS0_4plusIjEEEEZZNS1_33reduce_by_key_impl_wrapped_configILNS1_25lookback_scan_determinismE0ES3_S7_PKhNS0_17constant_iteratorIjlEEPhPlSF_S6_NS0_8equal_toIhEEEE10hipError_tPvRmT2_T3_mT4_T5_T6_T7_T8_P12ihipStream_tbENKUlT_T0_E_clISt17integral_constantIbLb1EESY_IbLb0EEEEDaSU_SV_EUlSU_E_NS1_11comp_targetILNS1_3genE0ELNS1_11target_archE4294967295ELNS1_3gpuE0ELNS1_3repE0EEENS1_30default_config_static_selectorELNS0_4arch9wavefront6targetE1EEEvT1_.kd
    .uniform_work_group_size: 1
    .uses_dynamic_stack: false
    .vgpr_count:     0
    .vgpr_spill_count: 0
    .wavefront_size: 64
  - .agpr_count:     0
    .args:
      - .offset:         0
        .size:           128
        .value_kind:     by_value
    .group_segment_fixed_size: 30720
    .kernarg_segment_align: 8
    .kernarg_segment_size: 128
    .language:       OpenCL C
    .language_version:
      - 2
      - 0
    .max_flat_workgroup_size: 512
    .name:           _ZN7rocprim17ROCPRIM_400000_NS6detail17trampoline_kernelINS0_14default_configENS1_33run_length_encode_config_selectorIhjNS0_4plusIjEEEEZZNS1_33reduce_by_key_impl_wrapped_configILNS1_25lookback_scan_determinismE0ES3_S7_PKhNS0_17constant_iteratorIjlEEPhPlSF_S6_NS0_8equal_toIhEEEE10hipError_tPvRmT2_T3_mT4_T5_T6_T7_T8_P12ihipStream_tbENKUlT_T0_E_clISt17integral_constantIbLb1EESY_IbLb0EEEEDaSU_SV_EUlSU_E_NS1_11comp_targetILNS1_3genE5ELNS1_11target_archE942ELNS1_3gpuE9ELNS1_3repE0EEENS1_30default_config_static_selectorELNS0_4arch9wavefront6targetE1EEEvT1_
    .private_segment_fixed_size: 0
    .sgpr_count:     70
    .sgpr_spill_count: 0
    .symbol:         _ZN7rocprim17ROCPRIM_400000_NS6detail17trampoline_kernelINS0_14default_configENS1_33run_length_encode_config_selectorIhjNS0_4plusIjEEEEZZNS1_33reduce_by_key_impl_wrapped_configILNS1_25lookback_scan_determinismE0ES3_S7_PKhNS0_17constant_iteratorIjlEEPhPlSF_S6_NS0_8equal_toIhEEEE10hipError_tPvRmT2_T3_mT4_T5_T6_T7_T8_P12ihipStream_tbENKUlT_T0_E_clISt17integral_constantIbLb1EESY_IbLb0EEEEDaSU_SV_EUlSU_E_NS1_11comp_targetILNS1_3genE5ELNS1_11target_archE942ELNS1_3gpuE9ELNS1_3repE0EEENS1_30default_config_static_selectorELNS0_4arch9wavefront6targetE1EEEvT1_.kd
    .uniform_work_group_size: 1
    .uses_dynamic_stack: false
    .vgpr_count:     110
    .vgpr_spill_count: 0
    .wavefront_size: 64
  - .agpr_count:     0
    .args:
      - .offset:         0
        .size:           128
        .value_kind:     by_value
    .group_segment_fixed_size: 0
    .kernarg_segment_align: 8
    .kernarg_segment_size: 128
    .language:       OpenCL C
    .language_version:
      - 2
      - 0
    .max_flat_workgroup_size: 256
    .name:           _ZN7rocprim17ROCPRIM_400000_NS6detail17trampoline_kernelINS0_14default_configENS1_33run_length_encode_config_selectorIhjNS0_4plusIjEEEEZZNS1_33reduce_by_key_impl_wrapped_configILNS1_25lookback_scan_determinismE0ES3_S7_PKhNS0_17constant_iteratorIjlEEPhPlSF_S6_NS0_8equal_toIhEEEE10hipError_tPvRmT2_T3_mT4_T5_T6_T7_T8_P12ihipStream_tbENKUlT_T0_E_clISt17integral_constantIbLb1EESY_IbLb0EEEEDaSU_SV_EUlSU_E_NS1_11comp_targetILNS1_3genE4ELNS1_11target_archE910ELNS1_3gpuE8ELNS1_3repE0EEENS1_30default_config_static_selectorELNS0_4arch9wavefront6targetE1EEEvT1_
    .private_segment_fixed_size: 0
    .sgpr_count:     6
    .sgpr_spill_count: 0
    .symbol:         _ZN7rocprim17ROCPRIM_400000_NS6detail17trampoline_kernelINS0_14default_configENS1_33run_length_encode_config_selectorIhjNS0_4plusIjEEEEZZNS1_33reduce_by_key_impl_wrapped_configILNS1_25lookback_scan_determinismE0ES3_S7_PKhNS0_17constant_iteratorIjlEEPhPlSF_S6_NS0_8equal_toIhEEEE10hipError_tPvRmT2_T3_mT4_T5_T6_T7_T8_P12ihipStream_tbENKUlT_T0_E_clISt17integral_constantIbLb1EESY_IbLb0EEEEDaSU_SV_EUlSU_E_NS1_11comp_targetILNS1_3genE4ELNS1_11target_archE910ELNS1_3gpuE8ELNS1_3repE0EEENS1_30default_config_static_selectorELNS0_4arch9wavefront6targetE1EEEvT1_.kd
    .uniform_work_group_size: 1
    .uses_dynamic_stack: false
    .vgpr_count:     0
    .vgpr_spill_count: 0
    .wavefront_size: 64
  - .agpr_count:     0
    .args:
      - .offset:         0
        .size:           128
        .value_kind:     by_value
    .group_segment_fixed_size: 0
    .kernarg_segment_align: 8
    .kernarg_segment_size: 128
    .language:       OpenCL C
    .language_version:
      - 2
      - 0
    .max_flat_workgroup_size: 256
    .name:           _ZN7rocprim17ROCPRIM_400000_NS6detail17trampoline_kernelINS0_14default_configENS1_33run_length_encode_config_selectorIhjNS0_4plusIjEEEEZZNS1_33reduce_by_key_impl_wrapped_configILNS1_25lookback_scan_determinismE0ES3_S7_PKhNS0_17constant_iteratorIjlEEPhPlSF_S6_NS0_8equal_toIhEEEE10hipError_tPvRmT2_T3_mT4_T5_T6_T7_T8_P12ihipStream_tbENKUlT_T0_E_clISt17integral_constantIbLb1EESY_IbLb0EEEEDaSU_SV_EUlSU_E_NS1_11comp_targetILNS1_3genE3ELNS1_11target_archE908ELNS1_3gpuE7ELNS1_3repE0EEENS1_30default_config_static_selectorELNS0_4arch9wavefront6targetE1EEEvT1_
    .private_segment_fixed_size: 0
    .sgpr_count:     6
    .sgpr_spill_count: 0
    .symbol:         _ZN7rocprim17ROCPRIM_400000_NS6detail17trampoline_kernelINS0_14default_configENS1_33run_length_encode_config_selectorIhjNS0_4plusIjEEEEZZNS1_33reduce_by_key_impl_wrapped_configILNS1_25lookback_scan_determinismE0ES3_S7_PKhNS0_17constant_iteratorIjlEEPhPlSF_S6_NS0_8equal_toIhEEEE10hipError_tPvRmT2_T3_mT4_T5_T6_T7_T8_P12ihipStream_tbENKUlT_T0_E_clISt17integral_constantIbLb1EESY_IbLb0EEEEDaSU_SV_EUlSU_E_NS1_11comp_targetILNS1_3genE3ELNS1_11target_archE908ELNS1_3gpuE7ELNS1_3repE0EEENS1_30default_config_static_selectorELNS0_4arch9wavefront6targetE1EEEvT1_.kd
    .uniform_work_group_size: 1
    .uses_dynamic_stack: false
    .vgpr_count:     0
    .vgpr_spill_count: 0
    .wavefront_size: 64
  - .agpr_count:     0
    .args:
      - .offset:         0
        .size:           128
        .value_kind:     by_value
    .group_segment_fixed_size: 0
    .kernarg_segment_align: 8
    .kernarg_segment_size: 128
    .language:       OpenCL C
    .language_version:
      - 2
      - 0
    .max_flat_workgroup_size: 256
    .name:           _ZN7rocprim17ROCPRIM_400000_NS6detail17trampoline_kernelINS0_14default_configENS1_33run_length_encode_config_selectorIhjNS0_4plusIjEEEEZZNS1_33reduce_by_key_impl_wrapped_configILNS1_25lookback_scan_determinismE0ES3_S7_PKhNS0_17constant_iteratorIjlEEPhPlSF_S6_NS0_8equal_toIhEEEE10hipError_tPvRmT2_T3_mT4_T5_T6_T7_T8_P12ihipStream_tbENKUlT_T0_E_clISt17integral_constantIbLb1EESY_IbLb0EEEEDaSU_SV_EUlSU_E_NS1_11comp_targetILNS1_3genE2ELNS1_11target_archE906ELNS1_3gpuE6ELNS1_3repE0EEENS1_30default_config_static_selectorELNS0_4arch9wavefront6targetE1EEEvT1_
    .private_segment_fixed_size: 0
    .sgpr_count:     6
    .sgpr_spill_count: 0
    .symbol:         _ZN7rocprim17ROCPRIM_400000_NS6detail17trampoline_kernelINS0_14default_configENS1_33run_length_encode_config_selectorIhjNS0_4plusIjEEEEZZNS1_33reduce_by_key_impl_wrapped_configILNS1_25lookback_scan_determinismE0ES3_S7_PKhNS0_17constant_iteratorIjlEEPhPlSF_S6_NS0_8equal_toIhEEEE10hipError_tPvRmT2_T3_mT4_T5_T6_T7_T8_P12ihipStream_tbENKUlT_T0_E_clISt17integral_constantIbLb1EESY_IbLb0EEEEDaSU_SV_EUlSU_E_NS1_11comp_targetILNS1_3genE2ELNS1_11target_archE906ELNS1_3gpuE6ELNS1_3repE0EEENS1_30default_config_static_selectorELNS0_4arch9wavefront6targetE1EEEvT1_.kd
    .uniform_work_group_size: 1
    .uses_dynamic_stack: false
    .vgpr_count:     0
    .vgpr_spill_count: 0
    .wavefront_size: 64
  - .agpr_count:     0
    .args:
      - .offset:         0
        .size:           128
        .value_kind:     by_value
    .group_segment_fixed_size: 0
    .kernarg_segment_align: 8
    .kernarg_segment_size: 128
    .language:       OpenCL C
    .language_version:
      - 2
      - 0
    .max_flat_workgroup_size: 384
    .name:           _ZN7rocprim17ROCPRIM_400000_NS6detail17trampoline_kernelINS0_14default_configENS1_33run_length_encode_config_selectorIhjNS0_4plusIjEEEEZZNS1_33reduce_by_key_impl_wrapped_configILNS1_25lookback_scan_determinismE0ES3_S7_PKhNS0_17constant_iteratorIjlEEPhPlSF_S6_NS0_8equal_toIhEEEE10hipError_tPvRmT2_T3_mT4_T5_T6_T7_T8_P12ihipStream_tbENKUlT_T0_E_clISt17integral_constantIbLb1EESY_IbLb0EEEEDaSU_SV_EUlSU_E_NS1_11comp_targetILNS1_3genE10ELNS1_11target_archE1201ELNS1_3gpuE5ELNS1_3repE0EEENS1_30default_config_static_selectorELNS0_4arch9wavefront6targetE1EEEvT1_
    .private_segment_fixed_size: 0
    .sgpr_count:     6
    .sgpr_spill_count: 0
    .symbol:         _ZN7rocprim17ROCPRIM_400000_NS6detail17trampoline_kernelINS0_14default_configENS1_33run_length_encode_config_selectorIhjNS0_4plusIjEEEEZZNS1_33reduce_by_key_impl_wrapped_configILNS1_25lookback_scan_determinismE0ES3_S7_PKhNS0_17constant_iteratorIjlEEPhPlSF_S6_NS0_8equal_toIhEEEE10hipError_tPvRmT2_T3_mT4_T5_T6_T7_T8_P12ihipStream_tbENKUlT_T0_E_clISt17integral_constantIbLb1EESY_IbLb0EEEEDaSU_SV_EUlSU_E_NS1_11comp_targetILNS1_3genE10ELNS1_11target_archE1201ELNS1_3gpuE5ELNS1_3repE0EEENS1_30default_config_static_selectorELNS0_4arch9wavefront6targetE1EEEvT1_.kd
    .uniform_work_group_size: 1
    .uses_dynamic_stack: false
    .vgpr_count:     0
    .vgpr_spill_count: 0
    .wavefront_size: 64
  - .agpr_count:     0
    .args:
      - .offset:         0
        .size:           128
        .value_kind:     by_value
    .group_segment_fixed_size: 0
    .kernarg_segment_align: 8
    .kernarg_segment_size: 128
    .language:       OpenCL C
    .language_version:
      - 2
      - 0
    .max_flat_workgroup_size: 384
    .name:           _ZN7rocprim17ROCPRIM_400000_NS6detail17trampoline_kernelINS0_14default_configENS1_33run_length_encode_config_selectorIhjNS0_4plusIjEEEEZZNS1_33reduce_by_key_impl_wrapped_configILNS1_25lookback_scan_determinismE0ES3_S7_PKhNS0_17constant_iteratorIjlEEPhPlSF_S6_NS0_8equal_toIhEEEE10hipError_tPvRmT2_T3_mT4_T5_T6_T7_T8_P12ihipStream_tbENKUlT_T0_E_clISt17integral_constantIbLb1EESY_IbLb0EEEEDaSU_SV_EUlSU_E_NS1_11comp_targetILNS1_3genE10ELNS1_11target_archE1200ELNS1_3gpuE4ELNS1_3repE0EEENS1_30default_config_static_selectorELNS0_4arch9wavefront6targetE1EEEvT1_
    .private_segment_fixed_size: 0
    .sgpr_count:     6
    .sgpr_spill_count: 0
    .symbol:         _ZN7rocprim17ROCPRIM_400000_NS6detail17trampoline_kernelINS0_14default_configENS1_33run_length_encode_config_selectorIhjNS0_4plusIjEEEEZZNS1_33reduce_by_key_impl_wrapped_configILNS1_25lookback_scan_determinismE0ES3_S7_PKhNS0_17constant_iteratorIjlEEPhPlSF_S6_NS0_8equal_toIhEEEE10hipError_tPvRmT2_T3_mT4_T5_T6_T7_T8_P12ihipStream_tbENKUlT_T0_E_clISt17integral_constantIbLb1EESY_IbLb0EEEEDaSU_SV_EUlSU_E_NS1_11comp_targetILNS1_3genE10ELNS1_11target_archE1200ELNS1_3gpuE4ELNS1_3repE0EEENS1_30default_config_static_selectorELNS0_4arch9wavefront6targetE1EEEvT1_.kd
    .uniform_work_group_size: 1
    .uses_dynamic_stack: false
    .vgpr_count:     0
    .vgpr_spill_count: 0
    .wavefront_size: 64
  - .agpr_count:     0
    .args:
      - .offset:         0
        .size:           128
        .value_kind:     by_value
    .group_segment_fixed_size: 0
    .kernarg_segment_align: 8
    .kernarg_segment_size: 128
    .language:       OpenCL C
    .language_version:
      - 2
      - 0
    .max_flat_workgroup_size: 384
    .name:           _ZN7rocprim17ROCPRIM_400000_NS6detail17trampoline_kernelINS0_14default_configENS1_33run_length_encode_config_selectorIhjNS0_4plusIjEEEEZZNS1_33reduce_by_key_impl_wrapped_configILNS1_25lookback_scan_determinismE0ES3_S7_PKhNS0_17constant_iteratorIjlEEPhPlSF_S6_NS0_8equal_toIhEEEE10hipError_tPvRmT2_T3_mT4_T5_T6_T7_T8_P12ihipStream_tbENKUlT_T0_E_clISt17integral_constantIbLb1EESY_IbLb0EEEEDaSU_SV_EUlSU_E_NS1_11comp_targetILNS1_3genE9ELNS1_11target_archE1100ELNS1_3gpuE3ELNS1_3repE0EEENS1_30default_config_static_selectorELNS0_4arch9wavefront6targetE1EEEvT1_
    .private_segment_fixed_size: 0
    .sgpr_count:     6
    .sgpr_spill_count: 0
    .symbol:         _ZN7rocprim17ROCPRIM_400000_NS6detail17trampoline_kernelINS0_14default_configENS1_33run_length_encode_config_selectorIhjNS0_4plusIjEEEEZZNS1_33reduce_by_key_impl_wrapped_configILNS1_25lookback_scan_determinismE0ES3_S7_PKhNS0_17constant_iteratorIjlEEPhPlSF_S6_NS0_8equal_toIhEEEE10hipError_tPvRmT2_T3_mT4_T5_T6_T7_T8_P12ihipStream_tbENKUlT_T0_E_clISt17integral_constantIbLb1EESY_IbLb0EEEEDaSU_SV_EUlSU_E_NS1_11comp_targetILNS1_3genE9ELNS1_11target_archE1100ELNS1_3gpuE3ELNS1_3repE0EEENS1_30default_config_static_selectorELNS0_4arch9wavefront6targetE1EEEvT1_.kd
    .uniform_work_group_size: 1
    .uses_dynamic_stack: false
    .vgpr_count:     0
    .vgpr_spill_count: 0
    .wavefront_size: 64
  - .agpr_count:     0
    .args:
      - .offset:         0
        .size:           128
        .value_kind:     by_value
    .group_segment_fixed_size: 0
    .kernarg_segment_align: 8
    .kernarg_segment_size: 128
    .language:       OpenCL C
    .language_version:
      - 2
      - 0
    .max_flat_workgroup_size: 384
    .name:           _ZN7rocprim17ROCPRIM_400000_NS6detail17trampoline_kernelINS0_14default_configENS1_33run_length_encode_config_selectorIhjNS0_4plusIjEEEEZZNS1_33reduce_by_key_impl_wrapped_configILNS1_25lookback_scan_determinismE0ES3_S7_PKhNS0_17constant_iteratorIjlEEPhPlSF_S6_NS0_8equal_toIhEEEE10hipError_tPvRmT2_T3_mT4_T5_T6_T7_T8_P12ihipStream_tbENKUlT_T0_E_clISt17integral_constantIbLb1EESY_IbLb0EEEEDaSU_SV_EUlSU_E_NS1_11comp_targetILNS1_3genE8ELNS1_11target_archE1030ELNS1_3gpuE2ELNS1_3repE0EEENS1_30default_config_static_selectorELNS0_4arch9wavefront6targetE1EEEvT1_
    .private_segment_fixed_size: 0
    .sgpr_count:     6
    .sgpr_spill_count: 0
    .symbol:         _ZN7rocprim17ROCPRIM_400000_NS6detail17trampoline_kernelINS0_14default_configENS1_33run_length_encode_config_selectorIhjNS0_4plusIjEEEEZZNS1_33reduce_by_key_impl_wrapped_configILNS1_25lookback_scan_determinismE0ES3_S7_PKhNS0_17constant_iteratorIjlEEPhPlSF_S6_NS0_8equal_toIhEEEE10hipError_tPvRmT2_T3_mT4_T5_T6_T7_T8_P12ihipStream_tbENKUlT_T0_E_clISt17integral_constantIbLb1EESY_IbLb0EEEEDaSU_SV_EUlSU_E_NS1_11comp_targetILNS1_3genE8ELNS1_11target_archE1030ELNS1_3gpuE2ELNS1_3repE0EEENS1_30default_config_static_selectorELNS0_4arch9wavefront6targetE1EEEvT1_.kd
    .uniform_work_group_size: 1
    .uses_dynamic_stack: false
    .vgpr_count:     0
    .vgpr_spill_count: 0
    .wavefront_size: 64
  - .agpr_count:     0
    .args:
      - .offset:         0
        .size:           128
        .value_kind:     by_value
    .group_segment_fixed_size: 0
    .kernarg_segment_align: 8
    .kernarg_segment_size: 128
    .language:       OpenCL C
    .language_version:
      - 2
      - 0
    .max_flat_workgroup_size: 256
    .name:           _ZN7rocprim17ROCPRIM_400000_NS6detail17trampoline_kernelINS0_14default_configENS1_33run_length_encode_config_selectorIhjNS0_4plusIjEEEEZZNS1_33reduce_by_key_impl_wrapped_configILNS1_25lookback_scan_determinismE0ES3_S7_PKhNS0_17constant_iteratorIjlEEPhPlSF_S6_NS0_8equal_toIhEEEE10hipError_tPvRmT2_T3_mT4_T5_T6_T7_T8_P12ihipStream_tbENKUlT_T0_E_clISt17integral_constantIbLb0EESY_IbLb1EEEEDaSU_SV_EUlSU_E_NS1_11comp_targetILNS1_3genE0ELNS1_11target_archE4294967295ELNS1_3gpuE0ELNS1_3repE0EEENS1_30default_config_static_selectorELNS0_4arch9wavefront6targetE1EEEvT1_
    .private_segment_fixed_size: 0
    .sgpr_count:     6
    .sgpr_spill_count: 0
    .symbol:         _ZN7rocprim17ROCPRIM_400000_NS6detail17trampoline_kernelINS0_14default_configENS1_33run_length_encode_config_selectorIhjNS0_4plusIjEEEEZZNS1_33reduce_by_key_impl_wrapped_configILNS1_25lookback_scan_determinismE0ES3_S7_PKhNS0_17constant_iteratorIjlEEPhPlSF_S6_NS0_8equal_toIhEEEE10hipError_tPvRmT2_T3_mT4_T5_T6_T7_T8_P12ihipStream_tbENKUlT_T0_E_clISt17integral_constantIbLb0EESY_IbLb1EEEEDaSU_SV_EUlSU_E_NS1_11comp_targetILNS1_3genE0ELNS1_11target_archE4294967295ELNS1_3gpuE0ELNS1_3repE0EEENS1_30default_config_static_selectorELNS0_4arch9wavefront6targetE1EEEvT1_.kd
    .uniform_work_group_size: 1
    .uses_dynamic_stack: false
    .vgpr_count:     0
    .vgpr_spill_count: 0
    .wavefront_size: 64
  - .agpr_count:     0
    .args:
      - .offset:         0
        .size:           128
        .value_kind:     by_value
    .group_segment_fixed_size: 30720
    .kernarg_segment_align: 8
    .kernarg_segment_size: 128
    .language:       OpenCL C
    .language_version:
      - 2
      - 0
    .max_flat_workgroup_size: 512
    .name:           _ZN7rocprim17ROCPRIM_400000_NS6detail17trampoline_kernelINS0_14default_configENS1_33run_length_encode_config_selectorIhjNS0_4plusIjEEEEZZNS1_33reduce_by_key_impl_wrapped_configILNS1_25lookback_scan_determinismE0ES3_S7_PKhNS0_17constant_iteratorIjlEEPhPlSF_S6_NS0_8equal_toIhEEEE10hipError_tPvRmT2_T3_mT4_T5_T6_T7_T8_P12ihipStream_tbENKUlT_T0_E_clISt17integral_constantIbLb0EESY_IbLb1EEEEDaSU_SV_EUlSU_E_NS1_11comp_targetILNS1_3genE5ELNS1_11target_archE942ELNS1_3gpuE9ELNS1_3repE0EEENS1_30default_config_static_selectorELNS0_4arch9wavefront6targetE1EEEvT1_
    .private_segment_fixed_size: 0
    .sgpr_count:     72
    .sgpr_spill_count: 0
    .symbol:         _ZN7rocprim17ROCPRIM_400000_NS6detail17trampoline_kernelINS0_14default_configENS1_33run_length_encode_config_selectorIhjNS0_4plusIjEEEEZZNS1_33reduce_by_key_impl_wrapped_configILNS1_25lookback_scan_determinismE0ES3_S7_PKhNS0_17constant_iteratorIjlEEPhPlSF_S6_NS0_8equal_toIhEEEE10hipError_tPvRmT2_T3_mT4_T5_T6_T7_T8_P12ihipStream_tbENKUlT_T0_E_clISt17integral_constantIbLb0EESY_IbLb1EEEEDaSU_SV_EUlSU_E_NS1_11comp_targetILNS1_3genE5ELNS1_11target_archE942ELNS1_3gpuE9ELNS1_3repE0EEENS1_30default_config_static_selectorELNS0_4arch9wavefront6targetE1EEEvT1_.kd
    .uniform_work_group_size: 1
    .uses_dynamic_stack: false
    .vgpr_count:     109
    .vgpr_spill_count: 0
    .wavefront_size: 64
  - .agpr_count:     0
    .args:
      - .offset:         0
        .size:           128
        .value_kind:     by_value
    .group_segment_fixed_size: 0
    .kernarg_segment_align: 8
    .kernarg_segment_size: 128
    .language:       OpenCL C
    .language_version:
      - 2
      - 0
    .max_flat_workgroup_size: 256
    .name:           _ZN7rocprim17ROCPRIM_400000_NS6detail17trampoline_kernelINS0_14default_configENS1_33run_length_encode_config_selectorIhjNS0_4plusIjEEEEZZNS1_33reduce_by_key_impl_wrapped_configILNS1_25lookback_scan_determinismE0ES3_S7_PKhNS0_17constant_iteratorIjlEEPhPlSF_S6_NS0_8equal_toIhEEEE10hipError_tPvRmT2_T3_mT4_T5_T6_T7_T8_P12ihipStream_tbENKUlT_T0_E_clISt17integral_constantIbLb0EESY_IbLb1EEEEDaSU_SV_EUlSU_E_NS1_11comp_targetILNS1_3genE4ELNS1_11target_archE910ELNS1_3gpuE8ELNS1_3repE0EEENS1_30default_config_static_selectorELNS0_4arch9wavefront6targetE1EEEvT1_
    .private_segment_fixed_size: 0
    .sgpr_count:     6
    .sgpr_spill_count: 0
    .symbol:         _ZN7rocprim17ROCPRIM_400000_NS6detail17trampoline_kernelINS0_14default_configENS1_33run_length_encode_config_selectorIhjNS0_4plusIjEEEEZZNS1_33reduce_by_key_impl_wrapped_configILNS1_25lookback_scan_determinismE0ES3_S7_PKhNS0_17constant_iteratorIjlEEPhPlSF_S6_NS0_8equal_toIhEEEE10hipError_tPvRmT2_T3_mT4_T5_T6_T7_T8_P12ihipStream_tbENKUlT_T0_E_clISt17integral_constantIbLb0EESY_IbLb1EEEEDaSU_SV_EUlSU_E_NS1_11comp_targetILNS1_3genE4ELNS1_11target_archE910ELNS1_3gpuE8ELNS1_3repE0EEENS1_30default_config_static_selectorELNS0_4arch9wavefront6targetE1EEEvT1_.kd
    .uniform_work_group_size: 1
    .uses_dynamic_stack: false
    .vgpr_count:     0
    .vgpr_spill_count: 0
    .wavefront_size: 64
  - .agpr_count:     0
    .args:
      - .offset:         0
        .size:           128
        .value_kind:     by_value
    .group_segment_fixed_size: 0
    .kernarg_segment_align: 8
    .kernarg_segment_size: 128
    .language:       OpenCL C
    .language_version:
      - 2
      - 0
    .max_flat_workgroup_size: 256
    .name:           _ZN7rocprim17ROCPRIM_400000_NS6detail17trampoline_kernelINS0_14default_configENS1_33run_length_encode_config_selectorIhjNS0_4plusIjEEEEZZNS1_33reduce_by_key_impl_wrapped_configILNS1_25lookback_scan_determinismE0ES3_S7_PKhNS0_17constant_iteratorIjlEEPhPlSF_S6_NS0_8equal_toIhEEEE10hipError_tPvRmT2_T3_mT4_T5_T6_T7_T8_P12ihipStream_tbENKUlT_T0_E_clISt17integral_constantIbLb0EESY_IbLb1EEEEDaSU_SV_EUlSU_E_NS1_11comp_targetILNS1_3genE3ELNS1_11target_archE908ELNS1_3gpuE7ELNS1_3repE0EEENS1_30default_config_static_selectorELNS0_4arch9wavefront6targetE1EEEvT1_
    .private_segment_fixed_size: 0
    .sgpr_count:     6
    .sgpr_spill_count: 0
    .symbol:         _ZN7rocprim17ROCPRIM_400000_NS6detail17trampoline_kernelINS0_14default_configENS1_33run_length_encode_config_selectorIhjNS0_4plusIjEEEEZZNS1_33reduce_by_key_impl_wrapped_configILNS1_25lookback_scan_determinismE0ES3_S7_PKhNS0_17constant_iteratorIjlEEPhPlSF_S6_NS0_8equal_toIhEEEE10hipError_tPvRmT2_T3_mT4_T5_T6_T7_T8_P12ihipStream_tbENKUlT_T0_E_clISt17integral_constantIbLb0EESY_IbLb1EEEEDaSU_SV_EUlSU_E_NS1_11comp_targetILNS1_3genE3ELNS1_11target_archE908ELNS1_3gpuE7ELNS1_3repE0EEENS1_30default_config_static_selectorELNS0_4arch9wavefront6targetE1EEEvT1_.kd
    .uniform_work_group_size: 1
    .uses_dynamic_stack: false
    .vgpr_count:     0
    .vgpr_spill_count: 0
    .wavefront_size: 64
  - .agpr_count:     0
    .args:
      - .offset:         0
        .size:           128
        .value_kind:     by_value
    .group_segment_fixed_size: 0
    .kernarg_segment_align: 8
    .kernarg_segment_size: 128
    .language:       OpenCL C
    .language_version:
      - 2
      - 0
    .max_flat_workgroup_size: 256
    .name:           _ZN7rocprim17ROCPRIM_400000_NS6detail17trampoline_kernelINS0_14default_configENS1_33run_length_encode_config_selectorIhjNS0_4plusIjEEEEZZNS1_33reduce_by_key_impl_wrapped_configILNS1_25lookback_scan_determinismE0ES3_S7_PKhNS0_17constant_iteratorIjlEEPhPlSF_S6_NS0_8equal_toIhEEEE10hipError_tPvRmT2_T3_mT4_T5_T6_T7_T8_P12ihipStream_tbENKUlT_T0_E_clISt17integral_constantIbLb0EESY_IbLb1EEEEDaSU_SV_EUlSU_E_NS1_11comp_targetILNS1_3genE2ELNS1_11target_archE906ELNS1_3gpuE6ELNS1_3repE0EEENS1_30default_config_static_selectorELNS0_4arch9wavefront6targetE1EEEvT1_
    .private_segment_fixed_size: 0
    .sgpr_count:     6
    .sgpr_spill_count: 0
    .symbol:         _ZN7rocprim17ROCPRIM_400000_NS6detail17trampoline_kernelINS0_14default_configENS1_33run_length_encode_config_selectorIhjNS0_4plusIjEEEEZZNS1_33reduce_by_key_impl_wrapped_configILNS1_25lookback_scan_determinismE0ES3_S7_PKhNS0_17constant_iteratorIjlEEPhPlSF_S6_NS0_8equal_toIhEEEE10hipError_tPvRmT2_T3_mT4_T5_T6_T7_T8_P12ihipStream_tbENKUlT_T0_E_clISt17integral_constantIbLb0EESY_IbLb1EEEEDaSU_SV_EUlSU_E_NS1_11comp_targetILNS1_3genE2ELNS1_11target_archE906ELNS1_3gpuE6ELNS1_3repE0EEENS1_30default_config_static_selectorELNS0_4arch9wavefront6targetE1EEEvT1_.kd
    .uniform_work_group_size: 1
    .uses_dynamic_stack: false
    .vgpr_count:     0
    .vgpr_spill_count: 0
    .wavefront_size: 64
  - .agpr_count:     0
    .args:
      - .offset:         0
        .size:           128
        .value_kind:     by_value
    .group_segment_fixed_size: 0
    .kernarg_segment_align: 8
    .kernarg_segment_size: 128
    .language:       OpenCL C
    .language_version:
      - 2
      - 0
    .max_flat_workgroup_size: 384
    .name:           _ZN7rocprim17ROCPRIM_400000_NS6detail17trampoline_kernelINS0_14default_configENS1_33run_length_encode_config_selectorIhjNS0_4plusIjEEEEZZNS1_33reduce_by_key_impl_wrapped_configILNS1_25lookback_scan_determinismE0ES3_S7_PKhNS0_17constant_iteratorIjlEEPhPlSF_S6_NS0_8equal_toIhEEEE10hipError_tPvRmT2_T3_mT4_T5_T6_T7_T8_P12ihipStream_tbENKUlT_T0_E_clISt17integral_constantIbLb0EESY_IbLb1EEEEDaSU_SV_EUlSU_E_NS1_11comp_targetILNS1_3genE10ELNS1_11target_archE1201ELNS1_3gpuE5ELNS1_3repE0EEENS1_30default_config_static_selectorELNS0_4arch9wavefront6targetE1EEEvT1_
    .private_segment_fixed_size: 0
    .sgpr_count:     6
    .sgpr_spill_count: 0
    .symbol:         _ZN7rocprim17ROCPRIM_400000_NS6detail17trampoline_kernelINS0_14default_configENS1_33run_length_encode_config_selectorIhjNS0_4plusIjEEEEZZNS1_33reduce_by_key_impl_wrapped_configILNS1_25lookback_scan_determinismE0ES3_S7_PKhNS0_17constant_iteratorIjlEEPhPlSF_S6_NS0_8equal_toIhEEEE10hipError_tPvRmT2_T3_mT4_T5_T6_T7_T8_P12ihipStream_tbENKUlT_T0_E_clISt17integral_constantIbLb0EESY_IbLb1EEEEDaSU_SV_EUlSU_E_NS1_11comp_targetILNS1_3genE10ELNS1_11target_archE1201ELNS1_3gpuE5ELNS1_3repE0EEENS1_30default_config_static_selectorELNS0_4arch9wavefront6targetE1EEEvT1_.kd
    .uniform_work_group_size: 1
    .uses_dynamic_stack: false
    .vgpr_count:     0
    .vgpr_spill_count: 0
    .wavefront_size: 64
  - .agpr_count:     0
    .args:
      - .offset:         0
        .size:           128
        .value_kind:     by_value
    .group_segment_fixed_size: 0
    .kernarg_segment_align: 8
    .kernarg_segment_size: 128
    .language:       OpenCL C
    .language_version:
      - 2
      - 0
    .max_flat_workgroup_size: 384
    .name:           _ZN7rocprim17ROCPRIM_400000_NS6detail17trampoline_kernelINS0_14default_configENS1_33run_length_encode_config_selectorIhjNS0_4plusIjEEEEZZNS1_33reduce_by_key_impl_wrapped_configILNS1_25lookback_scan_determinismE0ES3_S7_PKhNS0_17constant_iteratorIjlEEPhPlSF_S6_NS0_8equal_toIhEEEE10hipError_tPvRmT2_T3_mT4_T5_T6_T7_T8_P12ihipStream_tbENKUlT_T0_E_clISt17integral_constantIbLb0EESY_IbLb1EEEEDaSU_SV_EUlSU_E_NS1_11comp_targetILNS1_3genE10ELNS1_11target_archE1200ELNS1_3gpuE4ELNS1_3repE0EEENS1_30default_config_static_selectorELNS0_4arch9wavefront6targetE1EEEvT1_
    .private_segment_fixed_size: 0
    .sgpr_count:     6
    .sgpr_spill_count: 0
    .symbol:         _ZN7rocprim17ROCPRIM_400000_NS6detail17trampoline_kernelINS0_14default_configENS1_33run_length_encode_config_selectorIhjNS0_4plusIjEEEEZZNS1_33reduce_by_key_impl_wrapped_configILNS1_25lookback_scan_determinismE0ES3_S7_PKhNS0_17constant_iteratorIjlEEPhPlSF_S6_NS0_8equal_toIhEEEE10hipError_tPvRmT2_T3_mT4_T5_T6_T7_T8_P12ihipStream_tbENKUlT_T0_E_clISt17integral_constantIbLb0EESY_IbLb1EEEEDaSU_SV_EUlSU_E_NS1_11comp_targetILNS1_3genE10ELNS1_11target_archE1200ELNS1_3gpuE4ELNS1_3repE0EEENS1_30default_config_static_selectorELNS0_4arch9wavefront6targetE1EEEvT1_.kd
    .uniform_work_group_size: 1
    .uses_dynamic_stack: false
    .vgpr_count:     0
    .vgpr_spill_count: 0
    .wavefront_size: 64
  - .agpr_count:     0
    .args:
      - .offset:         0
        .size:           128
        .value_kind:     by_value
    .group_segment_fixed_size: 0
    .kernarg_segment_align: 8
    .kernarg_segment_size: 128
    .language:       OpenCL C
    .language_version:
      - 2
      - 0
    .max_flat_workgroup_size: 384
    .name:           _ZN7rocprim17ROCPRIM_400000_NS6detail17trampoline_kernelINS0_14default_configENS1_33run_length_encode_config_selectorIhjNS0_4plusIjEEEEZZNS1_33reduce_by_key_impl_wrapped_configILNS1_25lookback_scan_determinismE0ES3_S7_PKhNS0_17constant_iteratorIjlEEPhPlSF_S6_NS0_8equal_toIhEEEE10hipError_tPvRmT2_T3_mT4_T5_T6_T7_T8_P12ihipStream_tbENKUlT_T0_E_clISt17integral_constantIbLb0EESY_IbLb1EEEEDaSU_SV_EUlSU_E_NS1_11comp_targetILNS1_3genE9ELNS1_11target_archE1100ELNS1_3gpuE3ELNS1_3repE0EEENS1_30default_config_static_selectorELNS0_4arch9wavefront6targetE1EEEvT1_
    .private_segment_fixed_size: 0
    .sgpr_count:     6
    .sgpr_spill_count: 0
    .symbol:         _ZN7rocprim17ROCPRIM_400000_NS6detail17trampoline_kernelINS0_14default_configENS1_33run_length_encode_config_selectorIhjNS0_4plusIjEEEEZZNS1_33reduce_by_key_impl_wrapped_configILNS1_25lookback_scan_determinismE0ES3_S7_PKhNS0_17constant_iteratorIjlEEPhPlSF_S6_NS0_8equal_toIhEEEE10hipError_tPvRmT2_T3_mT4_T5_T6_T7_T8_P12ihipStream_tbENKUlT_T0_E_clISt17integral_constantIbLb0EESY_IbLb1EEEEDaSU_SV_EUlSU_E_NS1_11comp_targetILNS1_3genE9ELNS1_11target_archE1100ELNS1_3gpuE3ELNS1_3repE0EEENS1_30default_config_static_selectorELNS0_4arch9wavefront6targetE1EEEvT1_.kd
    .uniform_work_group_size: 1
    .uses_dynamic_stack: false
    .vgpr_count:     0
    .vgpr_spill_count: 0
    .wavefront_size: 64
  - .agpr_count:     0
    .args:
      - .offset:         0
        .size:           128
        .value_kind:     by_value
    .group_segment_fixed_size: 0
    .kernarg_segment_align: 8
    .kernarg_segment_size: 128
    .language:       OpenCL C
    .language_version:
      - 2
      - 0
    .max_flat_workgroup_size: 384
    .name:           _ZN7rocprim17ROCPRIM_400000_NS6detail17trampoline_kernelINS0_14default_configENS1_33run_length_encode_config_selectorIhjNS0_4plusIjEEEEZZNS1_33reduce_by_key_impl_wrapped_configILNS1_25lookback_scan_determinismE0ES3_S7_PKhNS0_17constant_iteratorIjlEEPhPlSF_S6_NS0_8equal_toIhEEEE10hipError_tPvRmT2_T3_mT4_T5_T6_T7_T8_P12ihipStream_tbENKUlT_T0_E_clISt17integral_constantIbLb0EESY_IbLb1EEEEDaSU_SV_EUlSU_E_NS1_11comp_targetILNS1_3genE8ELNS1_11target_archE1030ELNS1_3gpuE2ELNS1_3repE0EEENS1_30default_config_static_selectorELNS0_4arch9wavefront6targetE1EEEvT1_
    .private_segment_fixed_size: 0
    .sgpr_count:     6
    .sgpr_spill_count: 0
    .symbol:         _ZN7rocprim17ROCPRIM_400000_NS6detail17trampoline_kernelINS0_14default_configENS1_33run_length_encode_config_selectorIhjNS0_4plusIjEEEEZZNS1_33reduce_by_key_impl_wrapped_configILNS1_25lookback_scan_determinismE0ES3_S7_PKhNS0_17constant_iteratorIjlEEPhPlSF_S6_NS0_8equal_toIhEEEE10hipError_tPvRmT2_T3_mT4_T5_T6_T7_T8_P12ihipStream_tbENKUlT_T0_E_clISt17integral_constantIbLb0EESY_IbLb1EEEEDaSU_SV_EUlSU_E_NS1_11comp_targetILNS1_3genE8ELNS1_11target_archE1030ELNS1_3gpuE2ELNS1_3repE0EEENS1_30default_config_static_selectorELNS0_4arch9wavefront6targetE1EEEvT1_.kd
    .uniform_work_group_size: 1
    .uses_dynamic_stack: false
    .vgpr_count:     0
    .vgpr_spill_count: 0
    .wavefront_size: 64
  - .agpr_count:     0
    .args:
      - .offset:         0
        .size:           8
        .value_kind:     by_value
      - .address_space:  global
        .offset:         8
        .size:           8
        .value_kind:     global_buffer
      - .address_space:  global
        .offset:         16
        .size:           8
        .value_kind:     global_buffer
      - .offset:         24
        .size:           4
        .value_kind:     hidden_block_count_x
      - .offset:         28
        .size:           4
        .value_kind:     hidden_block_count_y
      - .offset:         32
        .size:           4
        .value_kind:     hidden_block_count_z
      - .offset:         36
        .size:           2
        .value_kind:     hidden_group_size_x
      - .offset:         38
        .size:           2
        .value_kind:     hidden_group_size_y
      - .offset:         40
        .size:           2
        .value_kind:     hidden_group_size_z
      - .offset:         42
        .size:           2
        .value_kind:     hidden_remainder_x
      - .offset:         44
        .size:           2
        .value_kind:     hidden_remainder_y
      - .offset:         46
        .size:           2
        .value_kind:     hidden_remainder_z
      - .offset:         64
        .size:           8
        .value_kind:     hidden_global_offset_x
      - .offset:         72
        .size:           8
        .value_kind:     hidden_global_offset_y
      - .offset:         80
        .size:           8
        .value_kind:     hidden_global_offset_z
      - .offset:         88
        .size:           2
        .value_kind:     hidden_grid_dims
    .group_segment_fixed_size: 0
    .kernarg_segment_align: 8
    .kernarg_segment_size: 280
    .language:       OpenCL C
    .language_version:
      - 2
      - 0
    .max_flat_workgroup_size: 1024
    .name:           _ZN2at6native8internal12_GLOBAL__N_126adjacent_difference_kernelIPKaEEvlT_Pi
    .private_segment_fixed_size: 0
    .sgpr_count:     22
    .sgpr_spill_count: 0
    .symbol:         _ZN2at6native8internal12_GLOBAL__N_126adjacent_difference_kernelIPKaEEvlT_Pi.kd
    .uniform_work_group_size: 1
    .uses_dynamic_stack: false
    .vgpr_count:     10
    .vgpr_spill_count: 0
    .wavefront_size: 64
  - .agpr_count:     0
    .args:
      - .offset:         0
        .size:           112
        .value_kind:     by_value
    .group_segment_fixed_size: 0
    .kernarg_segment_align: 8
    .kernarg_segment_size: 112
    .language:       OpenCL C
    .language_version:
      - 2
      - 0
    .max_flat_workgroup_size: 256
    .name:           _ZN7rocprim17ROCPRIM_400000_NS6detail17trampoline_kernelINS0_14default_configENS1_25partition_config_selectorILNS1_17partition_subalgoE8EaNS0_10empty_typeEbEEZZNS1_14partition_implILS5_8ELb0ES3_jPKaPS6_PKS6_NS0_5tupleIJPaS6_EEENSE_IJSB_SB_EEENS0_18inequality_wrapperIN6hipcub16HIPCUB_304000_NS8EqualityEEEPlJS6_EEE10hipError_tPvRmT3_T4_T5_T6_T7_T9_mT8_P12ihipStream_tbDpT10_ENKUlT_T0_E_clISt17integral_constantIbLb0EES17_EEDaS12_S13_EUlS12_E_NS1_11comp_targetILNS1_3genE0ELNS1_11target_archE4294967295ELNS1_3gpuE0ELNS1_3repE0EEENS1_30default_config_static_selectorELNS0_4arch9wavefront6targetE1EEEvT1_
    .private_segment_fixed_size: 0
    .sgpr_count:     6
    .sgpr_spill_count: 0
    .symbol:         _ZN7rocprim17ROCPRIM_400000_NS6detail17trampoline_kernelINS0_14default_configENS1_25partition_config_selectorILNS1_17partition_subalgoE8EaNS0_10empty_typeEbEEZZNS1_14partition_implILS5_8ELb0ES3_jPKaPS6_PKS6_NS0_5tupleIJPaS6_EEENSE_IJSB_SB_EEENS0_18inequality_wrapperIN6hipcub16HIPCUB_304000_NS8EqualityEEEPlJS6_EEE10hipError_tPvRmT3_T4_T5_T6_T7_T9_mT8_P12ihipStream_tbDpT10_ENKUlT_T0_E_clISt17integral_constantIbLb0EES17_EEDaS12_S13_EUlS12_E_NS1_11comp_targetILNS1_3genE0ELNS1_11target_archE4294967295ELNS1_3gpuE0ELNS1_3repE0EEENS1_30default_config_static_selectorELNS0_4arch9wavefront6targetE1EEEvT1_.kd
    .uniform_work_group_size: 1
    .uses_dynamic_stack: false
    .vgpr_count:     0
    .vgpr_spill_count: 0
    .wavefront_size: 64
  - .agpr_count:     0
    .args:
      - .offset:         0
        .size:           112
        .value_kind:     by_value
    .group_segment_fixed_size: 16904
    .kernarg_segment_align: 8
    .kernarg_segment_size: 112
    .language:       OpenCL C
    .language_version:
      - 2
      - 0
    .max_flat_workgroup_size: 512
    .name:           _ZN7rocprim17ROCPRIM_400000_NS6detail17trampoline_kernelINS0_14default_configENS1_25partition_config_selectorILNS1_17partition_subalgoE8EaNS0_10empty_typeEbEEZZNS1_14partition_implILS5_8ELb0ES3_jPKaPS6_PKS6_NS0_5tupleIJPaS6_EEENSE_IJSB_SB_EEENS0_18inequality_wrapperIN6hipcub16HIPCUB_304000_NS8EqualityEEEPlJS6_EEE10hipError_tPvRmT3_T4_T5_T6_T7_T9_mT8_P12ihipStream_tbDpT10_ENKUlT_T0_E_clISt17integral_constantIbLb0EES17_EEDaS12_S13_EUlS12_E_NS1_11comp_targetILNS1_3genE5ELNS1_11target_archE942ELNS1_3gpuE9ELNS1_3repE0EEENS1_30default_config_static_selectorELNS0_4arch9wavefront6targetE1EEEvT1_
    .private_segment_fixed_size: 0
    .sgpr_count:     60
    .sgpr_spill_count: 0
    .symbol:         _ZN7rocprim17ROCPRIM_400000_NS6detail17trampoline_kernelINS0_14default_configENS1_25partition_config_selectorILNS1_17partition_subalgoE8EaNS0_10empty_typeEbEEZZNS1_14partition_implILS5_8ELb0ES3_jPKaPS6_PKS6_NS0_5tupleIJPaS6_EEENSE_IJSB_SB_EEENS0_18inequality_wrapperIN6hipcub16HIPCUB_304000_NS8EqualityEEEPlJS6_EEE10hipError_tPvRmT3_T4_T5_T6_T7_T9_mT8_P12ihipStream_tbDpT10_ENKUlT_T0_E_clISt17integral_constantIbLb0EES17_EEDaS12_S13_EUlS12_E_NS1_11comp_targetILNS1_3genE5ELNS1_11target_archE942ELNS1_3gpuE9ELNS1_3repE0EEENS1_30default_config_static_selectorELNS0_4arch9wavefront6targetE1EEEvT1_.kd
    .uniform_work_group_size: 1
    .uses_dynamic_stack: false
    .vgpr_count:     125
    .vgpr_spill_count: 0
    .wavefront_size: 64
  - .agpr_count:     0
    .args:
      - .offset:         0
        .size:           112
        .value_kind:     by_value
    .group_segment_fixed_size: 0
    .kernarg_segment_align: 8
    .kernarg_segment_size: 112
    .language:       OpenCL C
    .language_version:
      - 2
      - 0
    .max_flat_workgroup_size: 128
    .name:           _ZN7rocprim17ROCPRIM_400000_NS6detail17trampoline_kernelINS0_14default_configENS1_25partition_config_selectorILNS1_17partition_subalgoE8EaNS0_10empty_typeEbEEZZNS1_14partition_implILS5_8ELb0ES3_jPKaPS6_PKS6_NS0_5tupleIJPaS6_EEENSE_IJSB_SB_EEENS0_18inequality_wrapperIN6hipcub16HIPCUB_304000_NS8EqualityEEEPlJS6_EEE10hipError_tPvRmT3_T4_T5_T6_T7_T9_mT8_P12ihipStream_tbDpT10_ENKUlT_T0_E_clISt17integral_constantIbLb0EES17_EEDaS12_S13_EUlS12_E_NS1_11comp_targetILNS1_3genE4ELNS1_11target_archE910ELNS1_3gpuE8ELNS1_3repE0EEENS1_30default_config_static_selectorELNS0_4arch9wavefront6targetE1EEEvT1_
    .private_segment_fixed_size: 0
    .sgpr_count:     6
    .sgpr_spill_count: 0
    .symbol:         _ZN7rocprim17ROCPRIM_400000_NS6detail17trampoline_kernelINS0_14default_configENS1_25partition_config_selectorILNS1_17partition_subalgoE8EaNS0_10empty_typeEbEEZZNS1_14partition_implILS5_8ELb0ES3_jPKaPS6_PKS6_NS0_5tupleIJPaS6_EEENSE_IJSB_SB_EEENS0_18inequality_wrapperIN6hipcub16HIPCUB_304000_NS8EqualityEEEPlJS6_EEE10hipError_tPvRmT3_T4_T5_T6_T7_T9_mT8_P12ihipStream_tbDpT10_ENKUlT_T0_E_clISt17integral_constantIbLb0EES17_EEDaS12_S13_EUlS12_E_NS1_11comp_targetILNS1_3genE4ELNS1_11target_archE910ELNS1_3gpuE8ELNS1_3repE0EEENS1_30default_config_static_selectorELNS0_4arch9wavefront6targetE1EEEvT1_.kd
    .uniform_work_group_size: 1
    .uses_dynamic_stack: false
    .vgpr_count:     0
    .vgpr_spill_count: 0
    .wavefront_size: 64
  - .agpr_count:     0
    .args:
      - .offset:         0
        .size:           112
        .value_kind:     by_value
    .group_segment_fixed_size: 0
    .kernarg_segment_align: 8
    .kernarg_segment_size: 112
    .language:       OpenCL C
    .language_version:
      - 2
      - 0
    .max_flat_workgroup_size: 256
    .name:           _ZN7rocprim17ROCPRIM_400000_NS6detail17trampoline_kernelINS0_14default_configENS1_25partition_config_selectorILNS1_17partition_subalgoE8EaNS0_10empty_typeEbEEZZNS1_14partition_implILS5_8ELb0ES3_jPKaPS6_PKS6_NS0_5tupleIJPaS6_EEENSE_IJSB_SB_EEENS0_18inequality_wrapperIN6hipcub16HIPCUB_304000_NS8EqualityEEEPlJS6_EEE10hipError_tPvRmT3_T4_T5_T6_T7_T9_mT8_P12ihipStream_tbDpT10_ENKUlT_T0_E_clISt17integral_constantIbLb0EES17_EEDaS12_S13_EUlS12_E_NS1_11comp_targetILNS1_3genE3ELNS1_11target_archE908ELNS1_3gpuE7ELNS1_3repE0EEENS1_30default_config_static_selectorELNS0_4arch9wavefront6targetE1EEEvT1_
    .private_segment_fixed_size: 0
    .sgpr_count:     6
    .sgpr_spill_count: 0
    .symbol:         _ZN7rocprim17ROCPRIM_400000_NS6detail17trampoline_kernelINS0_14default_configENS1_25partition_config_selectorILNS1_17partition_subalgoE8EaNS0_10empty_typeEbEEZZNS1_14partition_implILS5_8ELb0ES3_jPKaPS6_PKS6_NS0_5tupleIJPaS6_EEENSE_IJSB_SB_EEENS0_18inequality_wrapperIN6hipcub16HIPCUB_304000_NS8EqualityEEEPlJS6_EEE10hipError_tPvRmT3_T4_T5_T6_T7_T9_mT8_P12ihipStream_tbDpT10_ENKUlT_T0_E_clISt17integral_constantIbLb0EES17_EEDaS12_S13_EUlS12_E_NS1_11comp_targetILNS1_3genE3ELNS1_11target_archE908ELNS1_3gpuE7ELNS1_3repE0EEENS1_30default_config_static_selectorELNS0_4arch9wavefront6targetE1EEEvT1_.kd
    .uniform_work_group_size: 1
    .uses_dynamic_stack: false
    .vgpr_count:     0
    .vgpr_spill_count: 0
    .wavefront_size: 64
  - .agpr_count:     0
    .args:
      - .offset:         0
        .size:           112
        .value_kind:     by_value
    .group_segment_fixed_size: 0
    .kernarg_segment_align: 8
    .kernarg_segment_size: 112
    .language:       OpenCL C
    .language_version:
      - 2
      - 0
    .max_flat_workgroup_size: 192
    .name:           _ZN7rocprim17ROCPRIM_400000_NS6detail17trampoline_kernelINS0_14default_configENS1_25partition_config_selectorILNS1_17partition_subalgoE8EaNS0_10empty_typeEbEEZZNS1_14partition_implILS5_8ELb0ES3_jPKaPS6_PKS6_NS0_5tupleIJPaS6_EEENSE_IJSB_SB_EEENS0_18inequality_wrapperIN6hipcub16HIPCUB_304000_NS8EqualityEEEPlJS6_EEE10hipError_tPvRmT3_T4_T5_T6_T7_T9_mT8_P12ihipStream_tbDpT10_ENKUlT_T0_E_clISt17integral_constantIbLb0EES17_EEDaS12_S13_EUlS12_E_NS1_11comp_targetILNS1_3genE2ELNS1_11target_archE906ELNS1_3gpuE6ELNS1_3repE0EEENS1_30default_config_static_selectorELNS0_4arch9wavefront6targetE1EEEvT1_
    .private_segment_fixed_size: 0
    .sgpr_count:     6
    .sgpr_spill_count: 0
    .symbol:         _ZN7rocprim17ROCPRIM_400000_NS6detail17trampoline_kernelINS0_14default_configENS1_25partition_config_selectorILNS1_17partition_subalgoE8EaNS0_10empty_typeEbEEZZNS1_14partition_implILS5_8ELb0ES3_jPKaPS6_PKS6_NS0_5tupleIJPaS6_EEENSE_IJSB_SB_EEENS0_18inequality_wrapperIN6hipcub16HIPCUB_304000_NS8EqualityEEEPlJS6_EEE10hipError_tPvRmT3_T4_T5_T6_T7_T9_mT8_P12ihipStream_tbDpT10_ENKUlT_T0_E_clISt17integral_constantIbLb0EES17_EEDaS12_S13_EUlS12_E_NS1_11comp_targetILNS1_3genE2ELNS1_11target_archE906ELNS1_3gpuE6ELNS1_3repE0EEENS1_30default_config_static_selectorELNS0_4arch9wavefront6targetE1EEEvT1_.kd
    .uniform_work_group_size: 1
    .uses_dynamic_stack: false
    .vgpr_count:     0
    .vgpr_spill_count: 0
    .wavefront_size: 64
  - .agpr_count:     0
    .args:
      - .offset:         0
        .size:           112
        .value_kind:     by_value
    .group_segment_fixed_size: 0
    .kernarg_segment_align: 8
    .kernarg_segment_size: 112
    .language:       OpenCL C
    .language_version:
      - 2
      - 0
    .max_flat_workgroup_size: 256
    .name:           _ZN7rocprim17ROCPRIM_400000_NS6detail17trampoline_kernelINS0_14default_configENS1_25partition_config_selectorILNS1_17partition_subalgoE8EaNS0_10empty_typeEbEEZZNS1_14partition_implILS5_8ELb0ES3_jPKaPS6_PKS6_NS0_5tupleIJPaS6_EEENSE_IJSB_SB_EEENS0_18inequality_wrapperIN6hipcub16HIPCUB_304000_NS8EqualityEEEPlJS6_EEE10hipError_tPvRmT3_T4_T5_T6_T7_T9_mT8_P12ihipStream_tbDpT10_ENKUlT_T0_E_clISt17integral_constantIbLb0EES17_EEDaS12_S13_EUlS12_E_NS1_11comp_targetILNS1_3genE10ELNS1_11target_archE1200ELNS1_3gpuE4ELNS1_3repE0EEENS1_30default_config_static_selectorELNS0_4arch9wavefront6targetE1EEEvT1_
    .private_segment_fixed_size: 0
    .sgpr_count:     6
    .sgpr_spill_count: 0
    .symbol:         _ZN7rocprim17ROCPRIM_400000_NS6detail17trampoline_kernelINS0_14default_configENS1_25partition_config_selectorILNS1_17partition_subalgoE8EaNS0_10empty_typeEbEEZZNS1_14partition_implILS5_8ELb0ES3_jPKaPS6_PKS6_NS0_5tupleIJPaS6_EEENSE_IJSB_SB_EEENS0_18inequality_wrapperIN6hipcub16HIPCUB_304000_NS8EqualityEEEPlJS6_EEE10hipError_tPvRmT3_T4_T5_T6_T7_T9_mT8_P12ihipStream_tbDpT10_ENKUlT_T0_E_clISt17integral_constantIbLb0EES17_EEDaS12_S13_EUlS12_E_NS1_11comp_targetILNS1_3genE10ELNS1_11target_archE1200ELNS1_3gpuE4ELNS1_3repE0EEENS1_30default_config_static_selectorELNS0_4arch9wavefront6targetE1EEEvT1_.kd
    .uniform_work_group_size: 1
    .uses_dynamic_stack: false
    .vgpr_count:     0
    .vgpr_spill_count: 0
    .wavefront_size: 64
  - .agpr_count:     0
    .args:
      - .offset:         0
        .size:           112
        .value_kind:     by_value
    .group_segment_fixed_size: 0
    .kernarg_segment_align: 8
    .kernarg_segment_size: 112
    .language:       OpenCL C
    .language_version:
      - 2
      - 0
    .max_flat_workgroup_size: 384
    .name:           _ZN7rocprim17ROCPRIM_400000_NS6detail17trampoline_kernelINS0_14default_configENS1_25partition_config_selectorILNS1_17partition_subalgoE8EaNS0_10empty_typeEbEEZZNS1_14partition_implILS5_8ELb0ES3_jPKaPS6_PKS6_NS0_5tupleIJPaS6_EEENSE_IJSB_SB_EEENS0_18inequality_wrapperIN6hipcub16HIPCUB_304000_NS8EqualityEEEPlJS6_EEE10hipError_tPvRmT3_T4_T5_T6_T7_T9_mT8_P12ihipStream_tbDpT10_ENKUlT_T0_E_clISt17integral_constantIbLb0EES17_EEDaS12_S13_EUlS12_E_NS1_11comp_targetILNS1_3genE9ELNS1_11target_archE1100ELNS1_3gpuE3ELNS1_3repE0EEENS1_30default_config_static_selectorELNS0_4arch9wavefront6targetE1EEEvT1_
    .private_segment_fixed_size: 0
    .sgpr_count:     6
    .sgpr_spill_count: 0
    .symbol:         _ZN7rocprim17ROCPRIM_400000_NS6detail17trampoline_kernelINS0_14default_configENS1_25partition_config_selectorILNS1_17partition_subalgoE8EaNS0_10empty_typeEbEEZZNS1_14partition_implILS5_8ELb0ES3_jPKaPS6_PKS6_NS0_5tupleIJPaS6_EEENSE_IJSB_SB_EEENS0_18inequality_wrapperIN6hipcub16HIPCUB_304000_NS8EqualityEEEPlJS6_EEE10hipError_tPvRmT3_T4_T5_T6_T7_T9_mT8_P12ihipStream_tbDpT10_ENKUlT_T0_E_clISt17integral_constantIbLb0EES17_EEDaS12_S13_EUlS12_E_NS1_11comp_targetILNS1_3genE9ELNS1_11target_archE1100ELNS1_3gpuE3ELNS1_3repE0EEENS1_30default_config_static_selectorELNS0_4arch9wavefront6targetE1EEEvT1_.kd
    .uniform_work_group_size: 1
    .uses_dynamic_stack: false
    .vgpr_count:     0
    .vgpr_spill_count: 0
    .wavefront_size: 64
  - .agpr_count:     0
    .args:
      - .offset:         0
        .size:           112
        .value_kind:     by_value
    .group_segment_fixed_size: 0
    .kernarg_segment_align: 8
    .kernarg_segment_size: 112
    .language:       OpenCL C
    .language_version:
      - 2
      - 0
    .max_flat_workgroup_size: 384
    .name:           _ZN7rocprim17ROCPRIM_400000_NS6detail17trampoline_kernelINS0_14default_configENS1_25partition_config_selectorILNS1_17partition_subalgoE8EaNS0_10empty_typeEbEEZZNS1_14partition_implILS5_8ELb0ES3_jPKaPS6_PKS6_NS0_5tupleIJPaS6_EEENSE_IJSB_SB_EEENS0_18inequality_wrapperIN6hipcub16HIPCUB_304000_NS8EqualityEEEPlJS6_EEE10hipError_tPvRmT3_T4_T5_T6_T7_T9_mT8_P12ihipStream_tbDpT10_ENKUlT_T0_E_clISt17integral_constantIbLb0EES17_EEDaS12_S13_EUlS12_E_NS1_11comp_targetILNS1_3genE8ELNS1_11target_archE1030ELNS1_3gpuE2ELNS1_3repE0EEENS1_30default_config_static_selectorELNS0_4arch9wavefront6targetE1EEEvT1_
    .private_segment_fixed_size: 0
    .sgpr_count:     6
    .sgpr_spill_count: 0
    .symbol:         _ZN7rocprim17ROCPRIM_400000_NS6detail17trampoline_kernelINS0_14default_configENS1_25partition_config_selectorILNS1_17partition_subalgoE8EaNS0_10empty_typeEbEEZZNS1_14partition_implILS5_8ELb0ES3_jPKaPS6_PKS6_NS0_5tupleIJPaS6_EEENSE_IJSB_SB_EEENS0_18inequality_wrapperIN6hipcub16HIPCUB_304000_NS8EqualityEEEPlJS6_EEE10hipError_tPvRmT3_T4_T5_T6_T7_T9_mT8_P12ihipStream_tbDpT10_ENKUlT_T0_E_clISt17integral_constantIbLb0EES17_EEDaS12_S13_EUlS12_E_NS1_11comp_targetILNS1_3genE8ELNS1_11target_archE1030ELNS1_3gpuE2ELNS1_3repE0EEENS1_30default_config_static_selectorELNS0_4arch9wavefront6targetE1EEEvT1_.kd
    .uniform_work_group_size: 1
    .uses_dynamic_stack: false
    .vgpr_count:     0
    .vgpr_spill_count: 0
    .wavefront_size: 64
  - .agpr_count:     0
    .args:
      - .offset:         0
        .size:           128
        .value_kind:     by_value
    .group_segment_fixed_size: 0
    .kernarg_segment_align: 8
    .kernarg_segment_size: 128
    .language:       OpenCL C
    .language_version:
      - 2
      - 0
    .max_flat_workgroup_size: 256
    .name:           _ZN7rocprim17ROCPRIM_400000_NS6detail17trampoline_kernelINS0_14default_configENS1_25partition_config_selectorILNS1_17partition_subalgoE8EaNS0_10empty_typeEbEEZZNS1_14partition_implILS5_8ELb0ES3_jPKaPS6_PKS6_NS0_5tupleIJPaS6_EEENSE_IJSB_SB_EEENS0_18inequality_wrapperIN6hipcub16HIPCUB_304000_NS8EqualityEEEPlJS6_EEE10hipError_tPvRmT3_T4_T5_T6_T7_T9_mT8_P12ihipStream_tbDpT10_ENKUlT_T0_E_clISt17integral_constantIbLb1EES17_EEDaS12_S13_EUlS12_E_NS1_11comp_targetILNS1_3genE0ELNS1_11target_archE4294967295ELNS1_3gpuE0ELNS1_3repE0EEENS1_30default_config_static_selectorELNS0_4arch9wavefront6targetE1EEEvT1_
    .private_segment_fixed_size: 0
    .sgpr_count:     6
    .sgpr_spill_count: 0
    .symbol:         _ZN7rocprim17ROCPRIM_400000_NS6detail17trampoline_kernelINS0_14default_configENS1_25partition_config_selectorILNS1_17partition_subalgoE8EaNS0_10empty_typeEbEEZZNS1_14partition_implILS5_8ELb0ES3_jPKaPS6_PKS6_NS0_5tupleIJPaS6_EEENSE_IJSB_SB_EEENS0_18inequality_wrapperIN6hipcub16HIPCUB_304000_NS8EqualityEEEPlJS6_EEE10hipError_tPvRmT3_T4_T5_T6_T7_T9_mT8_P12ihipStream_tbDpT10_ENKUlT_T0_E_clISt17integral_constantIbLb1EES17_EEDaS12_S13_EUlS12_E_NS1_11comp_targetILNS1_3genE0ELNS1_11target_archE4294967295ELNS1_3gpuE0ELNS1_3repE0EEENS1_30default_config_static_selectorELNS0_4arch9wavefront6targetE1EEEvT1_.kd
    .uniform_work_group_size: 1
    .uses_dynamic_stack: false
    .vgpr_count:     0
    .vgpr_spill_count: 0
    .wavefront_size: 64
  - .agpr_count:     0
    .args:
      - .offset:         0
        .size:           128
        .value_kind:     by_value
    .group_segment_fixed_size: 16904
    .kernarg_segment_align: 8
    .kernarg_segment_size: 128
    .language:       OpenCL C
    .language_version:
      - 2
      - 0
    .max_flat_workgroup_size: 512
    .name:           _ZN7rocprim17ROCPRIM_400000_NS6detail17trampoline_kernelINS0_14default_configENS1_25partition_config_selectorILNS1_17partition_subalgoE8EaNS0_10empty_typeEbEEZZNS1_14partition_implILS5_8ELb0ES3_jPKaPS6_PKS6_NS0_5tupleIJPaS6_EEENSE_IJSB_SB_EEENS0_18inequality_wrapperIN6hipcub16HIPCUB_304000_NS8EqualityEEEPlJS6_EEE10hipError_tPvRmT3_T4_T5_T6_T7_T9_mT8_P12ihipStream_tbDpT10_ENKUlT_T0_E_clISt17integral_constantIbLb1EES17_EEDaS12_S13_EUlS12_E_NS1_11comp_targetILNS1_3genE5ELNS1_11target_archE942ELNS1_3gpuE9ELNS1_3repE0EEENS1_30default_config_static_selectorELNS0_4arch9wavefront6targetE1EEEvT1_
    .private_segment_fixed_size: 0
    .sgpr_count:     66
    .sgpr_spill_count: 0
    .symbol:         _ZN7rocprim17ROCPRIM_400000_NS6detail17trampoline_kernelINS0_14default_configENS1_25partition_config_selectorILNS1_17partition_subalgoE8EaNS0_10empty_typeEbEEZZNS1_14partition_implILS5_8ELb0ES3_jPKaPS6_PKS6_NS0_5tupleIJPaS6_EEENSE_IJSB_SB_EEENS0_18inequality_wrapperIN6hipcub16HIPCUB_304000_NS8EqualityEEEPlJS6_EEE10hipError_tPvRmT3_T4_T5_T6_T7_T9_mT8_P12ihipStream_tbDpT10_ENKUlT_T0_E_clISt17integral_constantIbLb1EES17_EEDaS12_S13_EUlS12_E_NS1_11comp_targetILNS1_3genE5ELNS1_11target_archE942ELNS1_3gpuE9ELNS1_3repE0EEENS1_30default_config_static_selectorELNS0_4arch9wavefront6targetE1EEEvT1_.kd
    .uniform_work_group_size: 1
    .uses_dynamic_stack: false
    .vgpr_count:     124
    .vgpr_spill_count: 0
    .wavefront_size: 64
  - .agpr_count:     0
    .args:
      - .offset:         0
        .size:           128
        .value_kind:     by_value
    .group_segment_fixed_size: 0
    .kernarg_segment_align: 8
    .kernarg_segment_size: 128
    .language:       OpenCL C
    .language_version:
      - 2
      - 0
    .max_flat_workgroup_size: 128
    .name:           _ZN7rocprim17ROCPRIM_400000_NS6detail17trampoline_kernelINS0_14default_configENS1_25partition_config_selectorILNS1_17partition_subalgoE8EaNS0_10empty_typeEbEEZZNS1_14partition_implILS5_8ELb0ES3_jPKaPS6_PKS6_NS0_5tupleIJPaS6_EEENSE_IJSB_SB_EEENS0_18inequality_wrapperIN6hipcub16HIPCUB_304000_NS8EqualityEEEPlJS6_EEE10hipError_tPvRmT3_T4_T5_T6_T7_T9_mT8_P12ihipStream_tbDpT10_ENKUlT_T0_E_clISt17integral_constantIbLb1EES17_EEDaS12_S13_EUlS12_E_NS1_11comp_targetILNS1_3genE4ELNS1_11target_archE910ELNS1_3gpuE8ELNS1_3repE0EEENS1_30default_config_static_selectorELNS0_4arch9wavefront6targetE1EEEvT1_
    .private_segment_fixed_size: 0
    .sgpr_count:     6
    .sgpr_spill_count: 0
    .symbol:         _ZN7rocprim17ROCPRIM_400000_NS6detail17trampoline_kernelINS0_14default_configENS1_25partition_config_selectorILNS1_17partition_subalgoE8EaNS0_10empty_typeEbEEZZNS1_14partition_implILS5_8ELb0ES3_jPKaPS6_PKS6_NS0_5tupleIJPaS6_EEENSE_IJSB_SB_EEENS0_18inequality_wrapperIN6hipcub16HIPCUB_304000_NS8EqualityEEEPlJS6_EEE10hipError_tPvRmT3_T4_T5_T6_T7_T9_mT8_P12ihipStream_tbDpT10_ENKUlT_T0_E_clISt17integral_constantIbLb1EES17_EEDaS12_S13_EUlS12_E_NS1_11comp_targetILNS1_3genE4ELNS1_11target_archE910ELNS1_3gpuE8ELNS1_3repE0EEENS1_30default_config_static_selectorELNS0_4arch9wavefront6targetE1EEEvT1_.kd
    .uniform_work_group_size: 1
    .uses_dynamic_stack: false
    .vgpr_count:     0
    .vgpr_spill_count: 0
    .wavefront_size: 64
  - .agpr_count:     0
    .args:
      - .offset:         0
        .size:           128
        .value_kind:     by_value
    .group_segment_fixed_size: 0
    .kernarg_segment_align: 8
    .kernarg_segment_size: 128
    .language:       OpenCL C
    .language_version:
      - 2
      - 0
    .max_flat_workgroup_size: 256
    .name:           _ZN7rocprim17ROCPRIM_400000_NS6detail17trampoline_kernelINS0_14default_configENS1_25partition_config_selectorILNS1_17partition_subalgoE8EaNS0_10empty_typeEbEEZZNS1_14partition_implILS5_8ELb0ES3_jPKaPS6_PKS6_NS0_5tupleIJPaS6_EEENSE_IJSB_SB_EEENS0_18inequality_wrapperIN6hipcub16HIPCUB_304000_NS8EqualityEEEPlJS6_EEE10hipError_tPvRmT3_T4_T5_T6_T7_T9_mT8_P12ihipStream_tbDpT10_ENKUlT_T0_E_clISt17integral_constantIbLb1EES17_EEDaS12_S13_EUlS12_E_NS1_11comp_targetILNS1_3genE3ELNS1_11target_archE908ELNS1_3gpuE7ELNS1_3repE0EEENS1_30default_config_static_selectorELNS0_4arch9wavefront6targetE1EEEvT1_
    .private_segment_fixed_size: 0
    .sgpr_count:     6
    .sgpr_spill_count: 0
    .symbol:         _ZN7rocprim17ROCPRIM_400000_NS6detail17trampoline_kernelINS0_14default_configENS1_25partition_config_selectorILNS1_17partition_subalgoE8EaNS0_10empty_typeEbEEZZNS1_14partition_implILS5_8ELb0ES3_jPKaPS6_PKS6_NS0_5tupleIJPaS6_EEENSE_IJSB_SB_EEENS0_18inequality_wrapperIN6hipcub16HIPCUB_304000_NS8EqualityEEEPlJS6_EEE10hipError_tPvRmT3_T4_T5_T6_T7_T9_mT8_P12ihipStream_tbDpT10_ENKUlT_T0_E_clISt17integral_constantIbLb1EES17_EEDaS12_S13_EUlS12_E_NS1_11comp_targetILNS1_3genE3ELNS1_11target_archE908ELNS1_3gpuE7ELNS1_3repE0EEENS1_30default_config_static_selectorELNS0_4arch9wavefront6targetE1EEEvT1_.kd
    .uniform_work_group_size: 1
    .uses_dynamic_stack: false
    .vgpr_count:     0
    .vgpr_spill_count: 0
    .wavefront_size: 64
  - .agpr_count:     0
    .args:
      - .offset:         0
        .size:           128
        .value_kind:     by_value
    .group_segment_fixed_size: 0
    .kernarg_segment_align: 8
    .kernarg_segment_size: 128
    .language:       OpenCL C
    .language_version:
      - 2
      - 0
    .max_flat_workgroup_size: 192
    .name:           _ZN7rocprim17ROCPRIM_400000_NS6detail17trampoline_kernelINS0_14default_configENS1_25partition_config_selectorILNS1_17partition_subalgoE8EaNS0_10empty_typeEbEEZZNS1_14partition_implILS5_8ELb0ES3_jPKaPS6_PKS6_NS0_5tupleIJPaS6_EEENSE_IJSB_SB_EEENS0_18inequality_wrapperIN6hipcub16HIPCUB_304000_NS8EqualityEEEPlJS6_EEE10hipError_tPvRmT3_T4_T5_T6_T7_T9_mT8_P12ihipStream_tbDpT10_ENKUlT_T0_E_clISt17integral_constantIbLb1EES17_EEDaS12_S13_EUlS12_E_NS1_11comp_targetILNS1_3genE2ELNS1_11target_archE906ELNS1_3gpuE6ELNS1_3repE0EEENS1_30default_config_static_selectorELNS0_4arch9wavefront6targetE1EEEvT1_
    .private_segment_fixed_size: 0
    .sgpr_count:     6
    .sgpr_spill_count: 0
    .symbol:         _ZN7rocprim17ROCPRIM_400000_NS6detail17trampoline_kernelINS0_14default_configENS1_25partition_config_selectorILNS1_17partition_subalgoE8EaNS0_10empty_typeEbEEZZNS1_14partition_implILS5_8ELb0ES3_jPKaPS6_PKS6_NS0_5tupleIJPaS6_EEENSE_IJSB_SB_EEENS0_18inequality_wrapperIN6hipcub16HIPCUB_304000_NS8EqualityEEEPlJS6_EEE10hipError_tPvRmT3_T4_T5_T6_T7_T9_mT8_P12ihipStream_tbDpT10_ENKUlT_T0_E_clISt17integral_constantIbLb1EES17_EEDaS12_S13_EUlS12_E_NS1_11comp_targetILNS1_3genE2ELNS1_11target_archE906ELNS1_3gpuE6ELNS1_3repE0EEENS1_30default_config_static_selectorELNS0_4arch9wavefront6targetE1EEEvT1_.kd
    .uniform_work_group_size: 1
    .uses_dynamic_stack: false
    .vgpr_count:     0
    .vgpr_spill_count: 0
    .wavefront_size: 64
  - .agpr_count:     0
    .args:
      - .offset:         0
        .size:           128
        .value_kind:     by_value
    .group_segment_fixed_size: 0
    .kernarg_segment_align: 8
    .kernarg_segment_size: 128
    .language:       OpenCL C
    .language_version:
      - 2
      - 0
    .max_flat_workgroup_size: 256
    .name:           _ZN7rocprim17ROCPRIM_400000_NS6detail17trampoline_kernelINS0_14default_configENS1_25partition_config_selectorILNS1_17partition_subalgoE8EaNS0_10empty_typeEbEEZZNS1_14partition_implILS5_8ELb0ES3_jPKaPS6_PKS6_NS0_5tupleIJPaS6_EEENSE_IJSB_SB_EEENS0_18inequality_wrapperIN6hipcub16HIPCUB_304000_NS8EqualityEEEPlJS6_EEE10hipError_tPvRmT3_T4_T5_T6_T7_T9_mT8_P12ihipStream_tbDpT10_ENKUlT_T0_E_clISt17integral_constantIbLb1EES17_EEDaS12_S13_EUlS12_E_NS1_11comp_targetILNS1_3genE10ELNS1_11target_archE1200ELNS1_3gpuE4ELNS1_3repE0EEENS1_30default_config_static_selectorELNS0_4arch9wavefront6targetE1EEEvT1_
    .private_segment_fixed_size: 0
    .sgpr_count:     6
    .sgpr_spill_count: 0
    .symbol:         _ZN7rocprim17ROCPRIM_400000_NS6detail17trampoline_kernelINS0_14default_configENS1_25partition_config_selectorILNS1_17partition_subalgoE8EaNS0_10empty_typeEbEEZZNS1_14partition_implILS5_8ELb0ES3_jPKaPS6_PKS6_NS0_5tupleIJPaS6_EEENSE_IJSB_SB_EEENS0_18inequality_wrapperIN6hipcub16HIPCUB_304000_NS8EqualityEEEPlJS6_EEE10hipError_tPvRmT3_T4_T5_T6_T7_T9_mT8_P12ihipStream_tbDpT10_ENKUlT_T0_E_clISt17integral_constantIbLb1EES17_EEDaS12_S13_EUlS12_E_NS1_11comp_targetILNS1_3genE10ELNS1_11target_archE1200ELNS1_3gpuE4ELNS1_3repE0EEENS1_30default_config_static_selectorELNS0_4arch9wavefront6targetE1EEEvT1_.kd
    .uniform_work_group_size: 1
    .uses_dynamic_stack: false
    .vgpr_count:     0
    .vgpr_spill_count: 0
    .wavefront_size: 64
  - .agpr_count:     0
    .args:
      - .offset:         0
        .size:           128
        .value_kind:     by_value
    .group_segment_fixed_size: 0
    .kernarg_segment_align: 8
    .kernarg_segment_size: 128
    .language:       OpenCL C
    .language_version:
      - 2
      - 0
    .max_flat_workgroup_size: 384
    .name:           _ZN7rocprim17ROCPRIM_400000_NS6detail17trampoline_kernelINS0_14default_configENS1_25partition_config_selectorILNS1_17partition_subalgoE8EaNS0_10empty_typeEbEEZZNS1_14partition_implILS5_8ELb0ES3_jPKaPS6_PKS6_NS0_5tupleIJPaS6_EEENSE_IJSB_SB_EEENS0_18inequality_wrapperIN6hipcub16HIPCUB_304000_NS8EqualityEEEPlJS6_EEE10hipError_tPvRmT3_T4_T5_T6_T7_T9_mT8_P12ihipStream_tbDpT10_ENKUlT_T0_E_clISt17integral_constantIbLb1EES17_EEDaS12_S13_EUlS12_E_NS1_11comp_targetILNS1_3genE9ELNS1_11target_archE1100ELNS1_3gpuE3ELNS1_3repE0EEENS1_30default_config_static_selectorELNS0_4arch9wavefront6targetE1EEEvT1_
    .private_segment_fixed_size: 0
    .sgpr_count:     6
    .sgpr_spill_count: 0
    .symbol:         _ZN7rocprim17ROCPRIM_400000_NS6detail17trampoline_kernelINS0_14default_configENS1_25partition_config_selectorILNS1_17partition_subalgoE8EaNS0_10empty_typeEbEEZZNS1_14partition_implILS5_8ELb0ES3_jPKaPS6_PKS6_NS0_5tupleIJPaS6_EEENSE_IJSB_SB_EEENS0_18inequality_wrapperIN6hipcub16HIPCUB_304000_NS8EqualityEEEPlJS6_EEE10hipError_tPvRmT3_T4_T5_T6_T7_T9_mT8_P12ihipStream_tbDpT10_ENKUlT_T0_E_clISt17integral_constantIbLb1EES17_EEDaS12_S13_EUlS12_E_NS1_11comp_targetILNS1_3genE9ELNS1_11target_archE1100ELNS1_3gpuE3ELNS1_3repE0EEENS1_30default_config_static_selectorELNS0_4arch9wavefront6targetE1EEEvT1_.kd
    .uniform_work_group_size: 1
    .uses_dynamic_stack: false
    .vgpr_count:     0
    .vgpr_spill_count: 0
    .wavefront_size: 64
  - .agpr_count:     0
    .args:
      - .offset:         0
        .size:           128
        .value_kind:     by_value
    .group_segment_fixed_size: 0
    .kernarg_segment_align: 8
    .kernarg_segment_size: 128
    .language:       OpenCL C
    .language_version:
      - 2
      - 0
    .max_flat_workgroup_size: 384
    .name:           _ZN7rocprim17ROCPRIM_400000_NS6detail17trampoline_kernelINS0_14default_configENS1_25partition_config_selectorILNS1_17partition_subalgoE8EaNS0_10empty_typeEbEEZZNS1_14partition_implILS5_8ELb0ES3_jPKaPS6_PKS6_NS0_5tupleIJPaS6_EEENSE_IJSB_SB_EEENS0_18inequality_wrapperIN6hipcub16HIPCUB_304000_NS8EqualityEEEPlJS6_EEE10hipError_tPvRmT3_T4_T5_T6_T7_T9_mT8_P12ihipStream_tbDpT10_ENKUlT_T0_E_clISt17integral_constantIbLb1EES17_EEDaS12_S13_EUlS12_E_NS1_11comp_targetILNS1_3genE8ELNS1_11target_archE1030ELNS1_3gpuE2ELNS1_3repE0EEENS1_30default_config_static_selectorELNS0_4arch9wavefront6targetE1EEEvT1_
    .private_segment_fixed_size: 0
    .sgpr_count:     6
    .sgpr_spill_count: 0
    .symbol:         _ZN7rocprim17ROCPRIM_400000_NS6detail17trampoline_kernelINS0_14default_configENS1_25partition_config_selectorILNS1_17partition_subalgoE8EaNS0_10empty_typeEbEEZZNS1_14partition_implILS5_8ELb0ES3_jPKaPS6_PKS6_NS0_5tupleIJPaS6_EEENSE_IJSB_SB_EEENS0_18inequality_wrapperIN6hipcub16HIPCUB_304000_NS8EqualityEEEPlJS6_EEE10hipError_tPvRmT3_T4_T5_T6_T7_T9_mT8_P12ihipStream_tbDpT10_ENKUlT_T0_E_clISt17integral_constantIbLb1EES17_EEDaS12_S13_EUlS12_E_NS1_11comp_targetILNS1_3genE8ELNS1_11target_archE1030ELNS1_3gpuE2ELNS1_3repE0EEENS1_30default_config_static_selectorELNS0_4arch9wavefront6targetE1EEEvT1_.kd
    .uniform_work_group_size: 1
    .uses_dynamic_stack: false
    .vgpr_count:     0
    .vgpr_spill_count: 0
    .wavefront_size: 64
  - .agpr_count:     0
    .args:
      - .offset:         0
        .size:           112
        .value_kind:     by_value
    .group_segment_fixed_size: 0
    .kernarg_segment_align: 8
    .kernarg_segment_size: 112
    .language:       OpenCL C
    .language_version:
      - 2
      - 0
    .max_flat_workgroup_size: 256
    .name:           _ZN7rocprim17ROCPRIM_400000_NS6detail17trampoline_kernelINS0_14default_configENS1_25partition_config_selectorILNS1_17partition_subalgoE8EaNS0_10empty_typeEbEEZZNS1_14partition_implILS5_8ELb0ES3_jPKaPS6_PKS6_NS0_5tupleIJPaS6_EEENSE_IJSB_SB_EEENS0_18inequality_wrapperIN6hipcub16HIPCUB_304000_NS8EqualityEEEPlJS6_EEE10hipError_tPvRmT3_T4_T5_T6_T7_T9_mT8_P12ihipStream_tbDpT10_ENKUlT_T0_E_clISt17integral_constantIbLb1EES16_IbLb0EEEEDaS12_S13_EUlS12_E_NS1_11comp_targetILNS1_3genE0ELNS1_11target_archE4294967295ELNS1_3gpuE0ELNS1_3repE0EEENS1_30default_config_static_selectorELNS0_4arch9wavefront6targetE1EEEvT1_
    .private_segment_fixed_size: 0
    .sgpr_count:     6
    .sgpr_spill_count: 0
    .symbol:         _ZN7rocprim17ROCPRIM_400000_NS6detail17trampoline_kernelINS0_14default_configENS1_25partition_config_selectorILNS1_17partition_subalgoE8EaNS0_10empty_typeEbEEZZNS1_14partition_implILS5_8ELb0ES3_jPKaPS6_PKS6_NS0_5tupleIJPaS6_EEENSE_IJSB_SB_EEENS0_18inequality_wrapperIN6hipcub16HIPCUB_304000_NS8EqualityEEEPlJS6_EEE10hipError_tPvRmT3_T4_T5_T6_T7_T9_mT8_P12ihipStream_tbDpT10_ENKUlT_T0_E_clISt17integral_constantIbLb1EES16_IbLb0EEEEDaS12_S13_EUlS12_E_NS1_11comp_targetILNS1_3genE0ELNS1_11target_archE4294967295ELNS1_3gpuE0ELNS1_3repE0EEENS1_30default_config_static_selectorELNS0_4arch9wavefront6targetE1EEEvT1_.kd
    .uniform_work_group_size: 1
    .uses_dynamic_stack: false
    .vgpr_count:     0
    .vgpr_spill_count: 0
    .wavefront_size: 64
  - .agpr_count:     0
    .args:
      - .offset:         0
        .size:           112
        .value_kind:     by_value
    .group_segment_fixed_size: 16904
    .kernarg_segment_align: 8
    .kernarg_segment_size: 112
    .language:       OpenCL C
    .language_version:
      - 2
      - 0
    .max_flat_workgroup_size: 512
    .name:           _ZN7rocprim17ROCPRIM_400000_NS6detail17trampoline_kernelINS0_14default_configENS1_25partition_config_selectorILNS1_17partition_subalgoE8EaNS0_10empty_typeEbEEZZNS1_14partition_implILS5_8ELb0ES3_jPKaPS6_PKS6_NS0_5tupleIJPaS6_EEENSE_IJSB_SB_EEENS0_18inequality_wrapperIN6hipcub16HIPCUB_304000_NS8EqualityEEEPlJS6_EEE10hipError_tPvRmT3_T4_T5_T6_T7_T9_mT8_P12ihipStream_tbDpT10_ENKUlT_T0_E_clISt17integral_constantIbLb1EES16_IbLb0EEEEDaS12_S13_EUlS12_E_NS1_11comp_targetILNS1_3genE5ELNS1_11target_archE942ELNS1_3gpuE9ELNS1_3repE0EEENS1_30default_config_static_selectorELNS0_4arch9wavefront6targetE1EEEvT1_
    .private_segment_fixed_size: 0
    .sgpr_count:     60
    .sgpr_spill_count: 0
    .symbol:         _ZN7rocprim17ROCPRIM_400000_NS6detail17trampoline_kernelINS0_14default_configENS1_25partition_config_selectorILNS1_17partition_subalgoE8EaNS0_10empty_typeEbEEZZNS1_14partition_implILS5_8ELb0ES3_jPKaPS6_PKS6_NS0_5tupleIJPaS6_EEENSE_IJSB_SB_EEENS0_18inequality_wrapperIN6hipcub16HIPCUB_304000_NS8EqualityEEEPlJS6_EEE10hipError_tPvRmT3_T4_T5_T6_T7_T9_mT8_P12ihipStream_tbDpT10_ENKUlT_T0_E_clISt17integral_constantIbLb1EES16_IbLb0EEEEDaS12_S13_EUlS12_E_NS1_11comp_targetILNS1_3genE5ELNS1_11target_archE942ELNS1_3gpuE9ELNS1_3repE0EEENS1_30default_config_static_selectorELNS0_4arch9wavefront6targetE1EEEvT1_.kd
    .uniform_work_group_size: 1
    .uses_dynamic_stack: false
    .vgpr_count:     125
    .vgpr_spill_count: 0
    .wavefront_size: 64
  - .agpr_count:     0
    .args:
      - .offset:         0
        .size:           112
        .value_kind:     by_value
    .group_segment_fixed_size: 0
    .kernarg_segment_align: 8
    .kernarg_segment_size: 112
    .language:       OpenCL C
    .language_version:
      - 2
      - 0
    .max_flat_workgroup_size: 128
    .name:           _ZN7rocprim17ROCPRIM_400000_NS6detail17trampoline_kernelINS0_14default_configENS1_25partition_config_selectorILNS1_17partition_subalgoE8EaNS0_10empty_typeEbEEZZNS1_14partition_implILS5_8ELb0ES3_jPKaPS6_PKS6_NS0_5tupleIJPaS6_EEENSE_IJSB_SB_EEENS0_18inequality_wrapperIN6hipcub16HIPCUB_304000_NS8EqualityEEEPlJS6_EEE10hipError_tPvRmT3_T4_T5_T6_T7_T9_mT8_P12ihipStream_tbDpT10_ENKUlT_T0_E_clISt17integral_constantIbLb1EES16_IbLb0EEEEDaS12_S13_EUlS12_E_NS1_11comp_targetILNS1_3genE4ELNS1_11target_archE910ELNS1_3gpuE8ELNS1_3repE0EEENS1_30default_config_static_selectorELNS0_4arch9wavefront6targetE1EEEvT1_
    .private_segment_fixed_size: 0
    .sgpr_count:     6
    .sgpr_spill_count: 0
    .symbol:         _ZN7rocprim17ROCPRIM_400000_NS6detail17trampoline_kernelINS0_14default_configENS1_25partition_config_selectorILNS1_17partition_subalgoE8EaNS0_10empty_typeEbEEZZNS1_14partition_implILS5_8ELb0ES3_jPKaPS6_PKS6_NS0_5tupleIJPaS6_EEENSE_IJSB_SB_EEENS0_18inequality_wrapperIN6hipcub16HIPCUB_304000_NS8EqualityEEEPlJS6_EEE10hipError_tPvRmT3_T4_T5_T6_T7_T9_mT8_P12ihipStream_tbDpT10_ENKUlT_T0_E_clISt17integral_constantIbLb1EES16_IbLb0EEEEDaS12_S13_EUlS12_E_NS1_11comp_targetILNS1_3genE4ELNS1_11target_archE910ELNS1_3gpuE8ELNS1_3repE0EEENS1_30default_config_static_selectorELNS0_4arch9wavefront6targetE1EEEvT1_.kd
    .uniform_work_group_size: 1
    .uses_dynamic_stack: false
    .vgpr_count:     0
    .vgpr_spill_count: 0
    .wavefront_size: 64
  - .agpr_count:     0
    .args:
      - .offset:         0
        .size:           112
        .value_kind:     by_value
    .group_segment_fixed_size: 0
    .kernarg_segment_align: 8
    .kernarg_segment_size: 112
    .language:       OpenCL C
    .language_version:
      - 2
      - 0
    .max_flat_workgroup_size: 256
    .name:           _ZN7rocprim17ROCPRIM_400000_NS6detail17trampoline_kernelINS0_14default_configENS1_25partition_config_selectorILNS1_17partition_subalgoE8EaNS0_10empty_typeEbEEZZNS1_14partition_implILS5_8ELb0ES3_jPKaPS6_PKS6_NS0_5tupleIJPaS6_EEENSE_IJSB_SB_EEENS0_18inequality_wrapperIN6hipcub16HIPCUB_304000_NS8EqualityEEEPlJS6_EEE10hipError_tPvRmT3_T4_T5_T6_T7_T9_mT8_P12ihipStream_tbDpT10_ENKUlT_T0_E_clISt17integral_constantIbLb1EES16_IbLb0EEEEDaS12_S13_EUlS12_E_NS1_11comp_targetILNS1_3genE3ELNS1_11target_archE908ELNS1_3gpuE7ELNS1_3repE0EEENS1_30default_config_static_selectorELNS0_4arch9wavefront6targetE1EEEvT1_
    .private_segment_fixed_size: 0
    .sgpr_count:     6
    .sgpr_spill_count: 0
    .symbol:         _ZN7rocprim17ROCPRIM_400000_NS6detail17trampoline_kernelINS0_14default_configENS1_25partition_config_selectorILNS1_17partition_subalgoE8EaNS0_10empty_typeEbEEZZNS1_14partition_implILS5_8ELb0ES3_jPKaPS6_PKS6_NS0_5tupleIJPaS6_EEENSE_IJSB_SB_EEENS0_18inequality_wrapperIN6hipcub16HIPCUB_304000_NS8EqualityEEEPlJS6_EEE10hipError_tPvRmT3_T4_T5_T6_T7_T9_mT8_P12ihipStream_tbDpT10_ENKUlT_T0_E_clISt17integral_constantIbLb1EES16_IbLb0EEEEDaS12_S13_EUlS12_E_NS1_11comp_targetILNS1_3genE3ELNS1_11target_archE908ELNS1_3gpuE7ELNS1_3repE0EEENS1_30default_config_static_selectorELNS0_4arch9wavefront6targetE1EEEvT1_.kd
    .uniform_work_group_size: 1
    .uses_dynamic_stack: false
    .vgpr_count:     0
    .vgpr_spill_count: 0
    .wavefront_size: 64
  - .agpr_count:     0
    .args:
      - .offset:         0
        .size:           112
        .value_kind:     by_value
    .group_segment_fixed_size: 0
    .kernarg_segment_align: 8
    .kernarg_segment_size: 112
    .language:       OpenCL C
    .language_version:
      - 2
      - 0
    .max_flat_workgroup_size: 192
    .name:           _ZN7rocprim17ROCPRIM_400000_NS6detail17trampoline_kernelINS0_14default_configENS1_25partition_config_selectorILNS1_17partition_subalgoE8EaNS0_10empty_typeEbEEZZNS1_14partition_implILS5_8ELb0ES3_jPKaPS6_PKS6_NS0_5tupleIJPaS6_EEENSE_IJSB_SB_EEENS0_18inequality_wrapperIN6hipcub16HIPCUB_304000_NS8EqualityEEEPlJS6_EEE10hipError_tPvRmT3_T4_T5_T6_T7_T9_mT8_P12ihipStream_tbDpT10_ENKUlT_T0_E_clISt17integral_constantIbLb1EES16_IbLb0EEEEDaS12_S13_EUlS12_E_NS1_11comp_targetILNS1_3genE2ELNS1_11target_archE906ELNS1_3gpuE6ELNS1_3repE0EEENS1_30default_config_static_selectorELNS0_4arch9wavefront6targetE1EEEvT1_
    .private_segment_fixed_size: 0
    .sgpr_count:     6
    .sgpr_spill_count: 0
    .symbol:         _ZN7rocprim17ROCPRIM_400000_NS6detail17trampoline_kernelINS0_14default_configENS1_25partition_config_selectorILNS1_17partition_subalgoE8EaNS0_10empty_typeEbEEZZNS1_14partition_implILS5_8ELb0ES3_jPKaPS6_PKS6_NS0_5tupleIJPaS6_EEENSE_IJSB_SB_EEENS0_18inequality_wrapperIN6hipcub16HIPCUB_304000_NS8EqualityEEEPlJS6_EEE10hipError_tPvRmT3_T4_T5_T6_T7_T9_mT8_P12ihipStream_tbDpT10_ENKUlT_T0_E_clISt17integral_constantIbLb1EES16_IbLb0EEEEDaS12_S13_EUlS12_E_NS1_11comp_targetILNS1_3genE2ELNS1_11target_archE906ELNS1_3gpuE6ELNS1_3repE0EEENS1_30default_config_static_selectorELNS0_4arch9wavefront6targetE1EEEvT1_.kd
    .uniform_work_group_size: 1
    .uses_dynamic_stack: false
    .vgpr_count:     0
    .vgpr_spill_count: 0
    .wavefront_size: 64
  - .agpr_count:     0
    .args:
      - .offset:         0
        .size:           112
        .value_kind:     by_value
    .group_segment_fixed_size: 0
    .kernarg_segment_align: 8
    .kernarg_segment_size: 112
    .language:       OpenCL C
    .language_version:
      - 2
      - 0
    .max_flat_workgroup_size: 256
    .name:           _ZN7rocprim17ROCPRIM_400000_NS6detail17trampoline_kernelINS0_14default_configENS1_25partition_config_selectorILNS1_17partition_subalgoE8EaNS0_10empty_typeEbEEZZNS1_14partition_implILS5_8ELb0ES3_jPKaPS6_PKS6_NS0_5tupleIJPaS6_EEENSE_IJSB_SB_EEENS0_18inequality_wrapperIN6hipcub16HIPCUB_304000_NS8EqualityEEEPlJS6_EEE10hipError_tPvRmT3_T4_T5_T6_T7_T9_mT8_P12ihipStream_tbDpT10_ENKUlT_T0_E_clISt17integral_constantIbLb1EES16_IbLb0EEEEDaS12_S13_EUlS12_E_NS1_11comp_targetILNS1_3genE10ELNS1_11target_archE1200ELNS1_3gpuE4ELNS1_3repE0EEENS1_30default_config_static_selectorELNS0_4arch9wavefront6targetE1EEEvT1_
    .private_segment_fixed_size: 0
    .sgpr_count:     6
    .sgpr_spill_count: 0
    .symbol:         _ZN7rocprim17ROCPRIM_400000_NS6detail17trampoline_kernelINS0_14default_configENS1_25partition_config_selectorILNS1_17partition_subalgoE8EaNS0_10empty_typeEbEEZZNS1_14partition_implILS5_8ELb0ES3_jPKaPS6_PKS6_NS0_5tupleIJPaS6_EEENSE_IJSB_SB_EEENS0_18inequality_wrapperIN6hipcub16HIPCUB_304000_NS8EqualityEEEPlJS6_EEE10hipError_tPvRmT3_T4_T5_T6_T7_T9_mT8_P12ihipStream_tbDpT10_ENKUlT_T0_E_clISt17integral_constantIbLb1EES16_IbLb0EEEEDaS12_S13_EUlS12_E_NS1_11comp_targetILNS1_3genE10ELNS1_11target_archE1200ELNS1_3gpuE4ELNS1_3repE0EEENS1_30default_config_static_selectorELNS0_4arch9wavefront6targetE1EEEvT1_.kd
    .uniform_work_group_size: 1
    .uses_dynamic_stack: false
    .vgpr_count:     0
    .vgpr_spill_count: 0
    .wavefront_size: 64
  - .agpr_count:     0
    .args:
      - .offset:         0
        .size:           112
        .value_kind:     by_value
    .group_segment_fixed_size: 0
    .kernarg_segment_align: 8
    .kernarg_segment_size: 112
    .language:       OpenCL C
    .language_version:
      - 2
      - 0
    .max_flat_workgroup_size: 384
    .name:           _ZN7rocprim17ROCPRIM_400000_NS6detail17trampoline_kernelINS0_14default_configENS1_25partition_config_selectorILNS1_17partition_subalgoE8EaNS0_10empty_typeEbEEZZNS1_14partition_implILS5_8ELb0ES3_jPKaPS6_PKS6_NS0_5tupleIJPaS6_EEENSE_IJSB_SB_EEENS0_18inequality_wrapperIN6hipcub16HIPCUB_304000_NS8EqualityEEEPlJS6_EEE10hipError_tPvRmT3_T4_T5_T6_T7_T9_mT8_P12ihipStream_tbDpT10_ENKUlT_T0_E_clISt17integral_constantIbLb1EES16_IbLb0EEEEDaS12_S13_EUlS12_E_NS1_11comp_targetILNS1_3genE9ELNS1_11target_archE1100ELNS1_3gpuE3ELNS1_3repE0EEENS1_30default_config_static_selectorELNS0_4arch9wavefront6targetE1EEEvT1_
    .private_segment_fixed_size: 0
    .sgpr_count:     6
    .sgpr_spill_count: 0
    .symbol:         _ZN7rocprim17ROCPRIM_400000_NS6detail17trampoline_kernelINS0_14default_configENS1_25partition_config_selectorILNS1_17partition_subalgoE8EaNS0_10empty_typeEbEEZZNS1_14partition_implILS5_8ELb0ES3_jPKaPS6_PKS6_NS0_5tupleIJPaS6_EEENSE_IJSB_SB_EEENS0_18inequality_wrapperIN6hipcub16HIPCUB_304000_NS8EqualityEEEPlJS6_EEE10hipError_tPvRmT3_T4_T5_T6_T7_T9_mT8_P12ihipStream_tbDpT10_ENKUlT_T0_E_clISt17integral_constantIbLb1EES16_IbLb0EEEEDaS12_S13_EUlS12_E_NS1_11comp_targetILNS1_3genE9ELNS1_11target_archE1100ELNS1_3gpuE3ELNS1_3repE0EEENS1_30default_config_static_selectorELNS0_4arch9wavefront6targetE1EEEvT1_.kd
    .uniform_work_group_size: 1
    .uses_dynamic_stack: false
    .vgpr_count:     0
    .vgpr_spill_count: 0
    .wavefront_size: 64
  - .agpr_count:     0
    .args:
      - .offset:         0
        .size:           112
        .value_kind:     by_value
    .group_segment_fixed_size: 0
    .kernarg_segment_align: 8
    .kernarg_segment_size: 112
    .language:       OpenCL C
    .language_version:
      - 2
      - 0
    .max_flat_workgroup_size: 384
    .name:           _ZN7rocprim17ROCPRIM_400000_NS6detail17trampoline_kernelINS0_14default_configENS1_25partition_config_selectorILNS1_17partition_subalgoE8EaNS0_10empty_typeEbEEZZNS1_14partition_implILS5_8ELb0ES3_jPKaPS6_PKS6_NS0_5tupleIJPaS6_EEENSE_IJSB_SB_EEENS0_18inequality_wrapperIN6hipcub16HIPCUB_304000_NS8EqualityEEEPlJS6_EEE10hipError_tPvRmT3_T4_T5_T6_T7_T9_mT8_P12ihipStream_tbDpT10_ENKUlT_T0_E_clISt17integral_constantIbLb1EES16_IbLb0EEEEDaS12_S13_EUlS12_E_NS1_11comp_targetILNS1_3genE8ELNS1_11target_archE1030ELNS1_3gpuE2ELNS1_3repE0EEENS1_30default_config_static_selectorELNS0_4arch9wavefront6targetE1EEEvT1_
    .private_segment_fixed_size: 0
    .sgpr_count:     6
    .sgpr_spill_count: 0
    .symbol:         _ZN7rocprim17ROCPRIM_400000_NS6detail17trampoline_kernelINS0_14default_configENS1_25partition_config_selectorILNS1_17partition_subalgoE8EaNS0_10empty_typeEbEEZZNS1_14partition_implILS5_8ELb0ES3_jPKaPS6_PKS6_NS0_5tupleIJPaS6_EEENSE_IJSB_SB_EEENS0_18inequality_wrapperIN6hipcub16HIPCUB_304000_NS8EqualityEEEPlJS6_EEE10hipError_tPvRmT3_T4_T5_T6_T7_T9_mT8_P12ihipStream_tbDpT10_ENKUlT_T0_E_clISt17integral_constantIbLb1EES16_IbLb0EEEEDaS12_S13_EUlS12_E_NS1_11comp_targetILNS1_3genE8ELNS1_11target_archE1030ELNS1_3gpuE2ELNS1_3repE0EEENS1_30default_config_static_selectorELNS0_4arch9wavefront6targetE1EEEvT1_.kd
    .uniform_work_group_size: 1
    .uses_dynamic_stack: false
    .vgpr_count:     0
    .vgpr_spill_count: 0
    .wavefront_size: 64
  - .agpr_count:     0
    .args:
      - .offset:         0
        .size:           128
        .value_kind:     by_value
    .group_segment_fixed_size: 0
    .kernarg_segment_align: 8
    .kernarg_segment_size: 128
    .language:       OpenCL C
    .language_version:
      - 2
      - 0
    .max_flat_workgroup_size: 256
    .name:           _ZN7rocprim17ROCPRIM_400000_NS6detail17trampoline_kernelINS0_14default_configENS1_25partition_config_selectorILNS1_17partition_subalgoE8EaNS0_10empty_typeEbEEZZNS1_14partition_implILS5_8ELb0ES3_jPKaPS6_PKS6_NS0_5tupleIJPaS6_EEENSE_IJSB_SB_EEENS0_18inequality_wrapperIN6hipcub16HIPCUB_304000_NS8EqualityEEEPlJS6_EEE10hipError_tPvRmT3_T4_T5_T6_T7_T9_mT8_P12ihipStream_tbDpT10_ENKUlT_T0_E_clISt17integral_constantIbLb0EES16_IbLb1EEEEDaS12_S13_EUlS12_E_NS1_11comp_targetILNS1_3genE0ELNS1_11target_archE4294967295ELNS1_3gpuE0ELNS1_3repE0EEENS1_30default_config_static_selectorELNS0_4arch9wavefront6targetE1EEEvT1_
    .private_segment_fixed_size: 0
    .sgpr_count:     6
    .sgpr_spill_count: 0
    .symbol:         _ZN7rocprim17ROCPRIM_400000_NS6detail17trampoline_kernelINS0_14default_configENS1_25partition_config_selectorILNS1_17partition_subalgoE8EaNS0_10empty_typeEbEEZZNS1_14partition_implILS5_8ELb0ES3_jPKaPS6_PKS6_NS0_5tupleIJPaS6_EEENSE_IJSB_SB_EEENS0_18inequality_wrapperIN6hipcub16HIPCUB_304000_NS8EqualityEEEPlJS6_EEE10hipError_tPvRmT3_T4_T5_T6_T7_T9_mT8_P12ihipStream_tbDpT10_ENKUlT_T0_E_clISt17integral_constantIbLb0EES16_IbLb1EEEEDaS12_S13_EUlS12_E_NS1_11comp_targetILNS1_3genE0ELNS1_11target_archE4294967295ELNS1_3gpuE0ELNS1_3repE0EEENS1_30default_config_static_selectorELNS0_4arch9wavefront6targetE1EEEvT1_.kd
    .uniform_work_group_size: 1
    .uses_dynamic_stack: false
    .vgpr_count:     0
    .vgpr_spill_count: 0
    .wavefront_size: 64
  - .agpr_count:     0
    .args:
      - .offset:         0
        .size:           128
        .value_kind:     by_value
    .group_segment_fixed_size: 16904
    .kernarg_segment_align: 8
    .kernarg_segment_size: 128
    .language:       OpenCL C
    .language_version:
      - 2
      - 0
    .max_flat_workgroup_size: 512
    .name:           _ZN7rocprim17ROCPRIM_400000_NS6detail17trampoline_kernelINS0_14default_configENS1_25partition_config_selectorILNS1_17partition_subalgoE8EaNS0_10empty_typeEbEEZZNS1_14partition_implILS5_8ELb0ES3_jPKaPS6_PKS6_NS0_5tupleIJPaS6_EEENSE_IJSB_SB_EEENS0_18inequality_wrapperIN6hipcub16HIPCUB_304000_NS8EqualityEEEPlJS6_EEE10hipError_tPvRmT3_T4_T5_T6_T7_T9_mT8_P12ihipStream_tbDpT10_ENKUlT_T0_E_clISt17integral_constantIbLb0EES16_IbLb1EEEEDaS12_S13_EUlS12_E_NS1_11comp_targetILNS1_3genE5ELNS1_11target_archE942ELNS1_3gpuE9ELNS1_3repE0EEENS1_30default_config_static_selectorELNS0_4arch9wavefront6targetE1EEEvT1_
    .private_segment_fixed_size: 0
    .sgpr_count:     66
    .sgpr_spill_count: 0
    .symbol:         _ZN7rocprim17ROCPRIM_400000_NS6detail17trampoline_kernelINS0_14default_configENS1_25partition_config_selectorILNS1_17partition_subalgoE8EaNS0_10empty_typeEbEEZZNS1_14partition_implILS5_8ELb0ES3_jPKaPS6_PKS6_NS0_5tupleIJPaS6_EEENSE_IJSB_SB_EEENS0_18inequality_wrapperIN6hipcub16HIPCUB_304000_NS8EqualityEEEPlJS6_EEE10hipError_tPvRmT3_T4_T5_T6_T7_T9_mT8_P12ihipStream_tbDpT10_ENKUlT_T0_E_clISt17integral_constantIbLb0EES16_IbLb1EEEEDaS12_S13_EUlS12_E_NS1_11comp_targetILNS1_3genE5ELNS1_11target_archE942ELNS1_3gpuE9ELNS1_3repE0EEENS1_30default_config_static_selectorELNS0_4arch9wavefront6targetE1EEEvT1_.kd
    .uniform_work_group_size: 1
    .uses_dynamic_stack: false
    .vgpr_count:     124
    .vgpr_spill_count: 0
    .wavefront_size: 64
  - .agpr_count:     0
    .args:
      - .offset:         0
        .size:           128
        .value_kind:     by_value
    .group_segment_fixed_size: 0
    .kernarg_segment_align: 8
    .kernarg_segment_size: 128
    .language:       OpenCL C
    .language_version:
      - 2
      - 0
    .max_flat_workgroup_size: 128
    .name:           _ZN7rocprim17ROCPRIM_400000_NS6detail17trampoline_kernelINS0_14default_configENS1_25partition_config_selectorILNS1_17partition_subalgoE8EaNS0_10empty_typeEbEEZZNS1_14partition_implILS5_8ELb0ES3_jPKaPS6_PKS6_NS0_5tupleIJPaS6_EEENSE_IJSB_SB_EEENS0_18inequality_wrapperIN6hipcub16HIPCUB_304000_NS8EqualityEEEPlJS6_EEE10hipError_tPvRmT3_T4_T5_T6_T7_T9_mT8_P12ihipStream_tbDpT10_ENKUlT_T0_E_clISt17integral_constantIbLb0EES16_IbLb1EEEEDaS12_S13_EUlS12_E_NS1_11comp_targetILNS1_3genE4ELNS1_11target_archE910ELNS1_3gpuE8ELNS1_3repE0EEENS1_30default_config_static_selectorELNS0_4arch9wavefront6targetE1EEEvT1_
    .private_segment_fixed_size: 0
    .sgpr_count:     6
    .sgpr_spill_count: 0
    .symbol:         _ZN7rocprim17ROCPRIM_400000_NS6detail17trampoline_kernelINS0_14default_configENS1_25partition_config_selectorILNS1_17partition_subalgoE8EaNS0_10empty_typeEbEEZZNS1_14partition_implILS5_8ELb0ES3_jPKaPS6_PKS6_NS0_5tupleIJPaS6_EEENSE_IJSB_SB_EEENS0_18inequality_wrapperIN6hipcub16HIPCUB_304000_NS8EqualityEEEPlJS6_EEE10hipError_tPvRmT3_T4_T5_T6_T7_T9_mT8_P12ihipStream_tbDpT10_ENKUlT_T0_E_clISt17integral_constantIbLb0EES16_IbLb1EEEEDaS12_S13_EUlS12_E_NS1_11comp_targetILNS1_3genE4ELNS1_11target_archE910ELNS1_3gpuE8ELNS1_3repE0EEENS1_30default_config_static_selectorELNS0_4arch9wavefront6targetE1EEEvT1_.kd
    .uniform_work_group_size: 1
    .uses_dynamic_stack: false
    .vgpr_count:     0
    .vgpr_spill_count: 0
    .wavefront_size: 64
  - .agpr_count:     0
    .args:
      - .offset:         0
        .size:           128
        .value_kind:     by_value
    .group_segment_fixed_size: 0
    .kernarg_segment_align: 8
    .kernarg_segment_size: 128
    .language:       OpenCL C
    .language_version:
      - 2
      - 0
    .max_flat_workgroup_size: 256
    .name:           _ZN7rocprim17ROCPRIM_400000_NS6detail17trampoline_kernelINS0_14default_configENS1_25partition_config_selectorILNS1_17partition_subalgoE8EaNS0_10empty_typeEbEEZZNS1_14partition_implILS5_8ELb0ES3_jPKaPS6_PKS6_NS0_5tupleIJPaS6_EEENSE_IJSB_SB_EEENS0_18inequality_wrapperIN6hipcub16HIPCUB_304000_NS8EqualityEEEPlJS6_EEE10hipError_tPvRmT3_T4_T5_T6_T7_T9_mT8_P12ihipStream_tbDpT10_ENKUlT_T0_E_clISt17integral_constantIbLb0EES16_IbLb1EEEEDaS12_S13_EUlS12_E_NS1_11comp_targetILNS1_3genE3ELNS1_11target_archE908ELNS1_3gpuE7ELNS1_3repE0EEENS1_30default_config_static_selectorELNS0_4arch9wavefront6targetE1EEEvT1_
    .private_segment_fixed_size: 0
    .sgpr_count:     6
    .sgpr_spill_count: 0
    .symbol:         _ZN7rocprim17ROCPRIM_400000_NS6detail17trampoline_kernelINS0_14default_configENS1_25partition_config_selectorILNS1_17partition_subalgoE8EaNS0_10empty_typeEbEEZZNS1_14partition_implILS5_8ELb0ES3_jPKaPS6_PKS6_NS0_5tupleIJPaS6_EEENSE_IJSB_SB_EEENS0_18inequality_wrapperIN6hipcub16HIPCUB_304000_NS8EqualityEEEPlJS6_EEE10hipError_tPvRmT3_T4_T5_T6_T7_T9_mT8_P12ihipStream_tbDpT10_ENKUlT_T0_E_clISt17integral_constantIbLb0EES16_IbLb1EEEEDaS12_S13_EUlS12_E_NS1_11comp_targetILNS1_3genE3ELNS1_11target_archE908ELNS1_3gpuE7ELNS1_3repE0EEENS1_30default_config_static_selectorELNS0_4arch9wavefront6targetE1EEEvT1_.kd
    .uniform_work_group_size: 1
    .uses_dynamic_stack: false
    .vgpr_count:     0
    .vgpr_spill_count: 0
    .wavefront_size: 64
  - .agpr_count:     0
    .args:
      - .offset:         0
        .size:           128
        .value_kind:     by_value
    .group_segment_fixed_size: 0
    .kernarg_segment_align: 8
    .kernarg_segment_size: 128
    .language:       OpenCL C
    .language_version:
      - 2
      - 0
    .max_flat_workgroup_size: 192
    .name:           _ZN7rocprim17ROCPRIM_400000_NS6detail17trampoline_kernelINS0_14default_configENS1_25partition_config_selectorILNS1_17partition_subalgoE8EaNS0_10empty_typeEbEEZZNS1_14partition_implILS5_8ELb0ES3_jPKaPS6_PKS6_NS0_5tupleIJPaS6_EEENSE_IJSB_SB_EEENS0_18inequality_wrapperIN6hipcub16HIPCUB_304000_NS8EqualityEEEPlJS6_EEE10hipError_tPvRmT3_T4_T5_T6_T7_T9_mT8_P12ihipStream_tbDpT10_ENKUlT_T0_E_clISt17integral_constantIbLb0EES16_IbLb1EEEEDaS12_S13_EUlS12_E_NS1_11comp_targetILNS1_3genE2ELNS1_11target_archE906ELNS1_3gpuE6ELNS1_3repE0EEENS1_30default_config_static_selectorELNS0_4arch9wavefront6targetE1EEEvT1_
    .private_segment_fixed_size: 0
    .sgpr_count:     6
    .sgpr_spill_count: 0
    .symbol:         _ZN7rocprim17ROCPRIM_400000_NS6detail17trampoline_kernelINS0_14default_configENS1_25partition_config_selectorILNS1_17partition_subalgoE8EaNS0_10empty_typeEbEEZZNS1_14partition_implILS5_8ELb0ES3_jPKaPS6_PKS6_NS0_5tupleIJPaS6_EEENSE_IJSB_SB_EEENS0_18inequality_wrapperIN6hipcub16HIPCUB_304000_NS8EqualityEEEPlJS6_EEE10hipError_tPvRmT3_T4_T5_T6_T7_T9_mT8_P12ihipStream_tbDpT10_ENKUlT_T0_E_clISt17integral_constantIbLb0EES16_IbLb1EEEEDaS12_S13_EUlS12_E_NS1_11comp_targetILNS1_3genE2ELNS1_11target_archE906ELNS1_3gpuE6ELNS1_3repE0EEENS1_30default_config_static_selectorELNS0_4arch9wavefront6targetE1EEEvT1_.kd
    .uniform_work_group_size: 1
    .uses_dynamic_stack: false
    .vgpr_count:     0
    .vgpr_spill_count: 0
    .wavefront_size: 64
  - .agpr_count:     0
    .args:
      - .offset:         0
        .size:           128
        .value_kind:     by_value
    .group_segment_fixed_size: 0
    .kernarg_segment_align: 8
    .kernarg_segment_size: 128
    .language:       OpenCL C
    .language_version:
      - 2
      - 0
    .max_flat_workgroup_size: 256
    .name:           _ZN7rocprim17ROCPRIM_400000_NS6detail17trampoline_kernelINS0_14default_configENS1_25partition_config_selectorILNS1_17partition_subalgoE8EaNS0_10empty_typeEbEEZZNS1_14partition_implILS5_8ELb0ES3_jPKaPS6_PKS6_NS0_5tupleIJPaS6_EEENSE_IJSB_SB_EEENS0_18inequality_wrapperIN6hipcub16HIPCUB_304000_NS8EqualityEEEPlJS6_EEE10hipError_tPvRmT3_T4_T5_T6_T7_T9_mT8_P12ihipStream_tbDpT10_ENKUlT_T0_E_clISt17integral_constantIbLb0EES16_IbLb1EEEEDaS12_S13_EUlS12_E_NS1_11comp_targetILNS1_3genE10ELNS1_11target_archE1200ELNS1_3gpuE4ELNS1_3repE0EEENS1_30default_config_static_selectorELNS0_4arch9wavefront6targetE1EEEvT1_
    .private_segment_fixed_size: 0
    .sgpr_count:     6
    .sgpr_spill_count: 0
    .symbol:         _ZN7rocprim17ROCPRIM_400000_NS6detail17trampoline_kernelINS0_14default_configENS1_25partition_config_selectorILNS1_17partition_subalgoE8EaNS0_10empty_typeEbEEZZNS1_14partition_implILS5_8ELb0ES3_jPKaPS6_PKS6_NS0_5tupleIJPaS6_EEENSE_IJSB_SB_EEENS0_18inequality_wrapperIN6hipcub16HIPCUB_304000_NS8EqualityEEEPlJS6_EEE10hipError_tPvRmT3_T4_T5_T6_T7_T9_mT8_P12ihipStream_tbDpT10_ENKUlT_T0_E_clISt17integral_constantIbLb0EES16_IbLb1EEEEDaS12_S13_EUlS12_E_NS1_11comp_targetILNS1_3genE10ELNS1_11target_archE1200ELNS1_3gpuE4ELNS1_3repE0EEENS1_30default_config_static_selectorELNS0_4arch9wavefront6targetE1EEEvT1_.kd
    .uniform_work_group_size: 1
    .uses_dynamic_stack: false
    .vgpr_count:     0
    .vgpr_spill_count: 0
    .wavefront_size: 64
  - .agpr_count:     0
    .args:
      - .offset:         0
        .size:           128
        .value_kind:     by_value
    .group_segment_fixed_size: 0
    .kernarg_segment_align: 8
    .kernarg_segment_size: 128
    .language:       OpenCL C
    .language_version:
      - 2
      - 0
    .max_flat_workgroup_size: 384
    .name:           _ZN7rocprim17ROCPRIM_400000_NS6detail17trampoline_kernelINS0_14default_configENS1_25partition_config_selectorILNS1_17partition_subalgoE8EaNS0_10empty_typeEbEEZZNS1_14partition_implILS5_8ELb0ES3_jPKaPS6_PKS6_NS0_5tupleIJPaS6_EEENSE_IJSB_SB_EEENS0_18inequality_wrapperIN6hipcub16HIPCUB_304000_NS8EqualityEEEPlJS6_EEE10hipError_tPvRmT3_T4_T5_T6_T7_T9_mT8_P12ihipStream_tbDpT10_ENKUlT_T0_E_clISt17integral_constantIbLb0EES16_IbLb1EEEEDaS12_S13_EUlS12_E_NS1_11comp_targetILNS1_3genE9ELNS1_11target_archE1100ELNS1_3gpuE3ELNS1_3repE0EEENS1_30default_config_static_selectorELNS0_4arch9wavefront6targetE1EEEvT1_
    .private_segment_fixed_size: 0
    .sgpr_count:     6
    .sgpr_spill_count: 0
    .symbol:         _ZN7rocprim17ROCPRIM_400000_NS6detail17trampoline_kernelINS0_14default_configENS1_25partition_config_selectorILNS1_17partition_subalgoE8EaNS0_10empty_typeEbEEZZNS1_14partition_implILS5_8ELb0ES3_jPKaPS6_PKS6_NS0_5tupleIJPaS6_EEENSE_IJSB_SB_EEENS0_18inequality_wrapperIN6hipcub16HIPCUB_304000_NS8EqualityEEEPlJS6_EEE10hipError_tPvRmT3_T4_T5_T6_T7_T9_mT8_P12ihipStream_tbDpT10_ENKUlT_T0_E_clISt17integral_constantIbLb0EES16_IbLb1EEEEDaS12_S13_EUlS12_E_NS1_11comp_targetILNS1_3genE9ELNS1_11target_archE1100ELNS1_3gpuE3ELNS1_3repE0EEENS1_30default_config_static_selectorELNS0_4arch9wavefront6targetE1EEEvT1_.kd
    .uniform_work_group_size: 1
    .uses_dynamic_stack: false
    .vgpr_count:     0
    .vgpr_spill_count: 0
    .wavefront_size: 64
  - .agpr_count:     0
    .args:
      - .offset:         0
        .size:           128
        .value_kind:     by_value
    .group_segment_fixed_size: 0
    .kernarg_segment_align: 8
    .kernarg_segment_size: 128
    .language:       OpenCL C
    .language_version:
      - 2
      - 0
    .max_flat_workgroup_size: 384
    .name:           _ZN7rocprim17ROCPRIM_400000_NS6detail17trampoline_kernelINS0_14default_configENS1_25partition_config_selectorILNS1_17partition_subalgoE8EaNS0_10empty_typeEbEEZZNS1_14partition_implILS5_8ELb0ES3_jPKaPS6_PKS6_NS0_5tupleIJPaS6_EEENSE_IJSB_SB_EEENS0_18inequality_wrapperIN6hipcub16HIPCUB_304000_NS8EqualityEEEPlJS6_EEE10hipError_tPvRmT3_T4_T5_T6_T7_T9_mT8_P12ihipStream_tbDpT10_ENKUlT_T0_E_clISt17integral_constantIbLb0EES16_IbLb1EEEEDaS12_S13_EUlS12_E_NS1_11comp_targetILNS1_3genE8ELNS1_11target_archE1030ELNS1_3gpuE2ELNS1_3repE0EEENS1_30default_config_static_selectorELNS0_4arch9wavefront6targetE1EEEvT1_
    .private_segment_fixed_size: 0
    .sgpr_count:     6
    .sgpr_spill_count: 0
    .symbol:         _ZN7rocprim17ROCPRIM_400000_NS6detail17trampoline_kernelINS0_14default_configENS1_25partition_config_selectorILNS1_17partition_subalgoE8EaNS0_10empty_typeEbEEZZNS1_14partition_implILS5_8ELb0ES3_jPKaPS6_PKS6_NS0_5tupleIJPaS6_EEENSE_IJSB_SB_EEENS0_18inequality_wrapperIN6hipcub16HIPCUB_304000_NS8EqualityEEEPlJS6_EEE10hipError_tPvRmT3_T4_T5_T6_T7_T9_mT8_P12ihipStream_tbDpT10_ENKUlT_T0_E_clISt17integral_constantIbLb0EES16_IbLb1EEEEDaS12_S13_EUlS12_E_NS1_11comp_targetILNS1_3genE8ELNS1_11target_archE1030ELNS1_3gpuE2ELNS1_3repE0EEENS1_30default_config_static_selectorELNS0_4arch9wavefront6targetE1EEEvT1_.kd
    .uniform_work_group_size: 1
    .uses_dynamic_stack: false
    .vgpr_count:     0
    .vgpr_spill_count: 0
    .wavefront_size: 64
  - .agpr_count:     0
    .args:
      - .offset:         0
        .size:           128
        .value_kind:     by_value
    .group_segment_fixed_size: 0
    .kernarg_segment_align: 8
    .kernarg_segment_size: 128
    .language:       OpenCL C
    .language_version:
      - 2
      - 0
    .max_flat_workgroup_size: 256
    .name:           _ZN7rocprim17ROCPRIM_400000_NS6detail17trampoline_kernelINS0_14default_configENS1_33run_length_encode_config_selectorIajNS0_4plusIjEEEEZZNS1_33reduce_by_key_impl_wrapped_configILNS1_25lookback_scan_determinismE0ES3_S7_PKaNS0_17constant_iteratorIjlEEPaPlSF_S6_NS0_8equal_toIaEEEE10hipError_tPvRmT2_T3_mT4_T5_T6_T7_T8_P12ihipStream_tbENKUlT_T0_E_clISt17integral_constantIbLb0EESZ_EEDaSU_SV_EUlSU_E_NS1_11comp_targetILNS1_3genE0ELNS1_11target_archE4294967295ELNS1_3gpuE0ELNS1_3repE0EEENS1_30default_config_static_selectorELNS0_4arch9wavefront6targetE1EEEvT1_
    .private_segment_fixed_size: 0
    .sgpr_count:     6
    .sgpr_spill_count: 0
    .symbol:         _ZN7rocprim17ROCPRIM_400000_NS6detail17trampoline_kernelINS0_14default_configENS1_33run_length_encode_config_selectorIajNS0_4plusIjEEEEZZNS1_33reduce_by_key_impl_wrapped_configILNS1_25lookback_scan_determinismE0ES3_S7_PKaNS0_17constant_iteratorIjlEEPaPlSF_S6_NS0_8equal_toIaEEEE10hipError_tPvRmT2_T3_mT4_T5_T6_T7_T8_P12ihipStream_tbENKUlT_T0_E_clISt17integral_constantIbLb0EESZ_EEDaSU_SV_EUlSU_E_NS1_11comp_targetILNS1_3genE0ELNS1_11target_archE4294967295ELNS1_3gpuE0ELNS1_3repE0EEENS1_30default_config_static_selectorELNS0_4arch9wavefront6targetE1EEEvT1_.kd
    .uniform_work_group_size: 1
    .uses_dynamic_stack: false
    .vgpr_count:     0
    .vgpr_spill_count: 0
    .wavefront_size: 64
  - .agpr_count:     0
    .args:
      - .offset:         0
        .size:           128
        .value_kind:     by_value
    .group_segment_fixed_size: 30720
    .kernarg_segment_align: 8
    .kernarg_segment_size: 128
    .language:       OpenCL C
    .language_version:
      - 2
      - 0
    .max_flat_workgroup_size: 512
    .name:           _ZN7rocprim17ROCPRIM_400000_NS6detail17trampoline_kernelINS0_14default_configENS1_33run_length_encode_config_selectorIajNS0_4plusIjEEEEZZNS1_33reduce_by_key_impl_wrapped_configILNS1_25lookback_scan_determinismE0ES3_S7_PKaNS0_17constant_iteratorIjlEEPaPlSF_S6_NS0_8equal_toIaEEEE10hipError_tPvRmT2_T3_mT4_T5_T6_T7_T8_P12ihipStream_tbENKUlT_T0_E_clISt17integral_constantIbLb0EESZ_EEDaSU_SV_EUlSU_E_NS1_11comp_targetILNS1_3genE5ELNS1_11target_archE942ELNS1_3gpuE9ELNS1_3repE0EEENS1_30default_config_static_selectorELNS0_4arch9wavefront6targetE1EEEvT1_
    .private_segment_fixed_size: 0
    .sgpr_count:     70
    .sgpr_spill_count: 0
    .symbol:         _ZN7rocprim17ROCPRIM_400000_NS6detail17trampoline_kernelINS0_14default_configENS1_33run_length_encode_config_selectorIajNS0_4plusIjEEEEZZNS1_33reduce_by_key_impl_wrapped_configILNS1_25lookback_scan_determinismE0ES3_S7_PKaNS0_17constant_iteratorIjlEEPaPlSF_S6_NS0_8equal_toIaEEEE10hipError_tPvRmT2_T3_mT4_T5_T6_T7_T8_P12ihipStream_tbENKUlT_T0_E_clISt17integral_constantIbLb0EESZ_EEDaSU_SV_EUlSU_E_NS1_11comp_targetILNS1_3genE5ELNS1_11target_archE942ELNS1_3gpuE9ELNS1_3repE0EEENS1_30default_config_static_selectorELNS0_4arch9wavefront6targetE1EEEvT1_.kd
    .uniform_work_group_size: 1
    .uses_dynamic_stack: false
    .vgpr_count:     109
    .vgpr_spill_count: 0
    .wavefront_size: 64
  - .agpr_count:     0
    .args:
      - .offset:         0
        .size:           128
        .value_kind:     by_value
    .group_segment_fixed_size: 0
    .kernarg_segment_align: 8
    .kernarg_segment_size: 128
    .language:       OpenCL C
    .language_version:
      - 2
      - 0
    .max_flat_workgroup_size: 256
    .name:           _ZN7rocprim17ROCPRIM_400000_NS6detail17trampoline_kernelINS0_14default_configENS1_33run_length_encode_config_selectorIajNS0_4plusIjEEEEZZNS1_33reduce_by_key_impl_wrapped_configILNS1_25lookback_scan_determinismE0ES3_S7_PKaNS0_17constant_iteratorIjlEEPaPlSF_S6_NS0_8equal_toIaEEEE10hipError_tPvRmT2_T3_mT4_T5_T6_T7_T8_P12ihipStream_tbENKUlT_T0_E_clISt17integral_constantIbLb0EESZ_EEDaSU_SV_EUlSU_E_NS1_11comp_targetILNS1_3genE4ELNS1_11target_archE910ELNS1_3gpuE8ELNS1_3repE0EEENS1_30default_config_static_selectorELNS0_4arch9wavefront6targetE1EEEvT1_
    .private_segment_fixed_size: 0
    .sgpr_count:     6
    .sgpr_spill_count: 0
    .symbol:         _ZN7rocprim17ROCPRIM_400000_NS6detail17trampoline_kernelINS0_14default_configENS1_33run_length_encode_config_selectorIajNS0_4plusIjEEEEZZNS1_33reduce_by_key_impl_wrapped_configILNS1_25lookback_scan_determinismE0ES3_S7_PKaNS0_17constant_iteratorIjlEEPaPlSF_S6_NS0_8equal_toIaEEEE10hipError_tPvRmT2_T3_mT4_T5_T6_T7_T8_P12ihipStream_tbENKUlT_T0_E_clISt17integral_constantIbLb0EESZ_EEDaSU_SV_EUlSU_E_NS1_11comp_targetILNS1_3genE4ELNS1_11target_archE910ELNS1_3gpuE8ELNS1_3repE0EEENS1_30default_config_static_selectorELNS0_4arch9wavefront6targetE1EEEvT1_.kd
    .uniform_work_group_size: 1
    .uses_dynamic_stack: false
    .vgpr_count:     0
    .vgpr_spill_count: 0
    .wavefront_size: 64
  - .agpr_count:     0
    .args:
      - .offset:         0
        .size:           128
        .value_kind:     by_value
    .group_segment_fixed_size: 0
    .kernarg_segment_align: 8
    .kernarg_segment_size: 128
    .language:       OpenCL C
    .language_version:
      - 2
      - 0
    .max_flat_workgroup_size: 256
    .name:           _ZN7rocprim17ROCPRIM_400000_NS6detail17trampoline_kernelINS0_14default_configENS1_33run_length_encode_config_selectorIajNS0_4plusIjEEEEZZNS1_33reduce_by_key_impl_wrapped_configILNS1_25lookback_scan_determinismE0ES3_S7_PKaNS0_17constant_iteratorIjlEEPaPlSF_S6_NS0_8equal_toIaEEEE10hipError_tPvRmT2_T3_mT4_T5_T6_T7_T8_P12ihipStream_tbENKUlT_T0_E_clISt17integral_constantIbLb0EESZ_EEDaSU_SV_EUlSU_E_NS1_11comp_targetILNS1_3genE3ELNS1_11target_archE908ELNS1_3gpuE7ELNS1_3repE0EEENS1_30default_config_static_selectorELNS0_4arch9wavefront6targetE1EEEvT1_
    .private_segment_fixed_size: 0
    .sgpr_count:     6
    .sgpr_spill_count: 0
    .symbol:         _ZN7rocprim17ROCPRIM_400000_NS6detail17trampoline_kernelINS0_14default_configENS1_33run_length_encode_config_selectorIajNS0_4plusIjEEEEZZNS1_33reduce_by_key_impl_wrapped_configILNS1_25lookback_scan_determinismE0ES3_S7_PKaNS0_17constant_iteratorIjlEEPaPlSF_S6_NS0_8equal_toIaEEEE10hipError_tPvRmT2_T3_mT4_T5_T6_T7_T8_P12ihipStream_tbENKUlT_T0_E_clISt17integral_constantIbLb0EESZ_EEDaSU_SV_EUlSU_E_NS1_11comp_targetILNS1_3genE3ELNS1_11target_archE908ELNS1_3gpuE7ELNS1_3repE0EEENS1_30default_config_static_selectorELNS0_4arch9wavefront6targetE1EEEvT1_.kd
    .uniform_work_group_size: 1
    .uses_dynamic_stack: false
    .vgpr_count:     0
    .vgpr_spill_count: 0
    .wavefront_size: 64
  - .agpr_count:     0
    .args:
      - .offset:         0
        .size:           128
        .value_kind:     by_value
    .group_segment_fixed_size: 0
    .kernarg_segment_align: 8
    .kernarg_segment_size: 128
    .language:       OpenCL C
    .language_version:
      - 2
      - 0
    .max_flat_workgroup_size: 256
    .name:           _ZN7rocprim17ROCPRIM_400000_NS6detail17trampoline_kernelINS0_14default_configENS1_33run_length_encode_config_selectorIajNS0_4plusIjEEEEZZNS1_33reduce_by_key_impl_wrapped_configILNS1_25lookback_scan_determinismE0ES3_S7_PKaNS0_17constant_iteratorIjlEEPaPlSF_S6_NS0_8equal_toIaEEEE10hipError_tPvRmT2_T3_mT4_T5_T6_T7_T8_P12ihipStream_tbENKUlT_T0_E_clISt17integral_constantIbLb0EESZ_EEDaSU_SV_EUlSU_E_NS1_11comp_targetILNS1_3genE2ELNS1_11target_archE906ELNS1_3gpuE6ELNS1_3repE0EEENS1_30default_config_static_selectorELNS0_4arch9wavefront6targetE1EEEvT1_
    .private_segment_fixed_size: 0
    .sgpr_count:     6
    .sgpr_spill_count: 0
    .symbol:         _ZN7rocprim17ROCPRIM_400000_NS6detail17trampoline_kernelINS0_14default_configENS1_33run_length_encode_config_selectorIajNS0_4plusIjEEEEZZNS1_33reduce_by_key_impl_wrapped_configILNS1_25lookback_scan_determinismE0ES3_S7_PKaNS0_17constant_iteratorIjlEEPaPlSF_S6_NS0_8equal_toIaEEEE10hipError_tPvRmT2_T3_mT4_T5_T6_T7_T8_P12ihipStream_tbENKUlT_T0_E_clISt17integral_constantIbLb0EESZ_EEDaSU_SV_EUlSU_E_NS1_11comp_targetILNS1_3genE2ELNS1_11target_archE906ELNS1_3gpuE6ELNS1_3repE0EEENS1_30default_config_static_selectorELNS0_4arch9wavefront6targetE1EEEvT1_.kd
    .uniform_work_group_size: 1
    .uses_dynamic_stack: false
    .vgpr_count:     0
    .vgpr_spill_count: 0
    .wavefront_size: 64
  - .agpr_count:     0
    .args:
      - .offset:         0
        .size:           128
        .value_kind:     by_value
    .group_segment_fixed_size: 0
    .kernarg_segment_align: 8
    .kernarg_segment_size: 128
    .language:       OpenCL C
    .language_version:
      - 2
      - 0
    .max_flat_workgroup_size: 384
    .name:           _ZN7rocprim17ROCPRIM_400000_NS6detail17trampoline_kernelINS0_14default_configENS1_33run_length_encode_config_selectorIajNS0_4plusIjEEEEZZNS1_33reduce_by_key_impl_wrapped_configILNS1_25lookback_scan_determinismE0ES3_S7_PKaNS0_17constant_iteratorIjlEEPaPlSF_S6_NS0_8equal_toIaEEEE10hipError_tPvRmT2_T3_mT4_T5_T6_T7_T8_P12ihipStream_tbENKUlT_T0_E_clISt17integral_constantIbLb0EESZ_EEDaSU_SV_EUlSU_E_NS1_11comp_targetILNS1_3genE10ELNS1_11target_archE1201ELNS1_3gpuE5ELNS1_3repE0EEENS1_30default_config_static_selectorELNS0_4arch9wavefront6targetE1EEEvT1_
    .private_segment_fixed_size: 0
    .sgpr_count:     6
    .sgpr_spill_count: 0
    .symbol:         _ZN7rocprim17ROCPRIM_400000_NS6detail17trampoline_kernelINS0_14default_configENS1_33run_length_encode_config_selectorIajNS0_4plusIjEEEEZZNS1_33reduce_by_key_impl_wrapped_configILNS1_25lookback_scan_determinismE0ES3_S7_PKaNS0_17constant_iteratorIjlEEPaPlSF_S6_NS0_8equal_toIaEEEE10hipError_tPvRmT2_T3_mT4_T5_T6_T7_T8_P12ihipStream_tbENKUlT_T0_E_clISt17integral_constantIbLb0EESZ_EEDaSU_SV_EUlSU_E_NS1_11comp_targetILNS1_3genE10ELNS1_11target_archE1201ELNS1_3gpuE5ELNS1_3repE0EEENS1_30default_config_static_selectorELNS0_4arch9wavefront6targetE1EEEvT1_.kd
    .uniform_work_group_size: 1
    .uses_dynamic_stack: false
    .vgpr_count:     0
    .vgpr_spill_count: 0
    .wavefront_size: 64
  - .agpr_count:     0
    .args:
      - .offset:         0
        .size:           128
        .value_kind:     by_value
    .group_segment_fixed_size: 0
    .kernarg_segment_align: 8
    .kernarg_segment_size: 128
    .language:       OpenCL C
    .language_version:
      - 2
      - 0
    .max_flat_workgroup_size: 384
    .name:           _ZN7rocprim17ROCPRIM_400000_NS6detail17trampoline_kernelINS0_14default_configENS1_33run_length_encode_config_selectorIajNS0_4plusIjEEEEZZNS1_33reduce_by_key_impl_wrapped_configILNS1_25lookback_scan_determinismE0ES3_S7_PKaNS0_17constant_iteratorIjlEEPaPlSF_S6_NS0_8equal_toIaEEEE10hipError_tPvRmT2_T3_mT4_T5_T6_T7_T8_P12ihipStream_tbENKUlT_T0_E_clISt17integral_constantIbLb0EESZ_EEDaSU_SV_EUlSU_E_NS1_11comp_targetILNS1_3genE10ELNS1_11target_archE1200ELNS1_3gpuE4ELNS1_3repE0EEENS1_30default_config_static_selectorELNS0_4arch9wavefront6targetE1EEEvT1_
    .private_segment_fixed_size: 0
    .sgpr_count:     6
    .sgpr_spill_count: 0
    .symbol:         _ZN7rocprim17ROCPRIM_400000_NS6detail17trampoline_kernelINS0_14default_configENS1_33run_length_encode_config_selectorIajNS0_4plusIjEEEEZZNS1_33reduce_by_key_impl_wrapped_configILNS1_25lookback_scan_determinismE0ES3_S7_PKaNS0_17constant_iteratorIjlEEPaPlSF_S6_NS0_8equal_toIaEEEE10hipError_tPvRmT2_T3_mT4_T5_T6_T7_T8_P12ihipStream_tbENKUlT_T0_E_clISt17integral_constantIbLb0EESZ_EEDaSU_SV_EUlSU_E_NS1_11comp_targetILNS1_3genE10ELNS1_11target_archE1200ELNS1_3gpuE4ELNS1_3repE0EEENS1_30default_config_static_selectorELNS0_4arch9wavefront6targetE1EEEvT1_.kd
    .uniform_work_group_size: 1
    .uses_dynamic_stack: false
    .vgpr_count:     0
    .vgpr_spill_count: 0
    .wavefront_size: 64
  - .agpr_count:     0
    .args:
      - .offset:         0
        .size:           128
        .value_kind:     by_value
    .group_segment_fixed_size: 0
    .kernarg_segment_align: 8
    .kernarg_segment_size: 128
    .language:       OpenCL C
    .language_version:
      - 2
      - 0
    .max_flat_workgroup_size: 384
    .name:           _ZN7rocprim17ROCPRIM_400000_NS6detail17trampoline_kernelINS0_14default_configENS1_33run_length_encode_config_selectorIajNS0_4plusIjEEEEZZNS1_33reduce_by_key_impl_wrapped_configILNS1_25lookback_scan_determinismE0ES3_S7_PKaNS0_17constant_iteratorIjlEEPaPlSF_S6_NS0_8equal_toIaEEEE10hipError_tPvRmT2_T3_mT4_T5_T6_T7_T8_P12ihipStream_tbENKUlT_T0_E_clISt17integral_constantIbLb0EESZ_EEDaSU_SV_EUlSU_E_NS1_11comp_targetILNS1_3genE9ELNS1_11target_archE1100ELNS1_3gpuE3ELNS1_3repE0EEENS1_30default_config_static_selectorELNS0_4arch9wavefront6targetE1EEEvT1_
    .private_segment_fixed_size: 0
    .sgpr_count:     6
    .sgpr_spill_count: 0
    .symbol:         _ZN7rocprim17ROCPRIM_400000_NS6detail17trampoline_kernelINS0_14default_configENS1_33run_length_encode_config_selectorIajNS0_4plusIjEEEEZZNS1_33reduce_by_key_impl_wrapped_configILNS1_25lookback_scan_determinismE0ES3_S7_PKaNS0_17constant_iteratorIjlEEPaPlSF_S6_NS0_8equal_toIaEEEE10hipError_tPvRmT2_T3_mT4_T5_T6_T7_T8_P12ihipStream_tbENKUlT_T0_E_clISt17integral_constantIbLb0EESZ_EEDaSU_SV_EUlSU_E_NS1_11comp_targetILNS1_3genE9ELNS1_11target_archE1100ELNS1_3gpuE3ELNS1_3repE0EEENS1_30default_config_static_selectorELNS0_4arch9wavefront6targetE1EEEvT1_.kd
    .uniform_work_group_size: 1
    .uses_dynamic_stack: false
    .vgpr_count:     0
    .vgpr_spill_count: 0
    .wavefront_size: 64
  - .agpr_count:     0
    .args:
      - .offset:         0
        .size:           128
        .value_kind:     by_value
    .group_segment_fixed_size: 0
    .kernarg_segment_align: 8
    .kernarg_segment_size: 128
    .language:       OpenCL C
    .language_version:
      - 2
      - 0
    .max_flat_workgroup_size: 384
    .name:           _ZN7rocprim17ROCPRIM_400000_NS6detail17trampoline_kernelINS0_14default_configENS1_33run_length_encode_config_selectorIajNS0_4plusIjEEEEZZNS1_33reduce_by_key_impl_wrapped_configILNS1_25lookback_scan_determinismE0ES3_S7_PKaNS0_17constant_iteratorIjlEEPaPlSF_S6_NS0_8equal_toIaEEEE10hipError_tPvRmT2_T3_mT4_T5_T6_T7_T8_P12ihipStream_tbENKUlT_T0_E_clISt17integral_constantIbLb0EESZ_EEDaSU_SV_EUlSU_E_NS1_11comp_targetILNS1_3genE8ELNS1_11target_archE1030ELNS1_3gpuE2ELNS1_3repE0EEENS1_30default_config_static_selectorELNS0_4arch9wavefront6targetE1EEEvT1_
    .private_segment_fixed_size: 0
    .sgpr_count:     6
    .sgpr_spill_count: 0
    .symbol:         _ZN7rocprim17ROCPRIM_400000_NS6detail17trampoline_kernelINS0_14default_configENS1_33run_length_encode_config_selectorIajNS0_4plusIjEEEEZZNS1_33reduce_by_key_impl_wrapped_configILNS1_25lookback_scan_determinismE0ES3_S7_PKaNS0_17constant_iteratorIjlEEPaPlSF_S6_NS0_8equal_toIaEEEE10hipError_tPvRmT2_T3_mT4_T5_T6_T7_T8_P12ihipStream_tbENKUlT_T0_E_clISt17integral_constantIbLb0EESZ_EEDaSU_SV_EUlSU_E_NS1_11comp_targetILNS1_3genE8ELNS1_11target_archE1030ELNS1_3gpuE2ELNS1_3repE0EEENS1_30default_config_static_selectorELNS0_4arch9wavefront6targetE1EEEvT1_.kd
    .uniform_work_group_size: 1
    .uses_dynamic_stack: false
    .vgpr_count:     0
    .vgpr_spill_count: 0
    .wavefront_size: 64
  - .agpr_count:     0
    .args:
      - .offset:         0
        .size:           128
        .value_kind:     by_value
    .group_segment_fixed_size: 0
    .kernarg_segment_align: 8
    .kernarg_segment_size: 128
    .language:       OpenCL C
    .language_version:
      - 2
      - 0
    .max_flat_workgroup_size: 256
    .name:           _ZN7rocprim17ROCPRIM_400000_NS6detail17trampoline_kernelINS0_14default_configENS1_33run_length_encode_config_selectorIajNS0_4plusIjEEEEZZNS1_33reduce_by_key_impl_wrapped_configILNS1_25lookback_scan_determinismE0ES3_S7_PKaNS0_17constant_iteratorIjlEEPaPlSF_S6_NS0_8equal_toIaEEEE10hipError_tPvRmT2_T3_mT4_T5_T6_T7_T8_P12ihipStream_tbENKUlT_T0_E_clISt17integral_constantIbLb1EESZ_EEDaSU_SV_EUlSU_E_NS1_11comp_targetILNS1_3genE0ELNS1_11target_archE4294967295ELNS1_3gpuE0ELNS1_3repE0EEENS1_30default_config_static_selectorELNS0_4arch9wavefront6targetE1EEEvT1_
    .private_segment_fixed_size: 0
    .sgpr_count:     6
    .sgpr_spill_count: 0
    .symbol:         _ZN7rocprim17ROCPRIM_400000_NS6detail17trampoline_kernelINS0_14default_configENS1_33run_length_encode_config_selectorIajNS0_4plusIjEEEEZZNS1_33reduce_by_key_impl_wrapped_configILNS1_25lookback_scan_determinismE0ES3_S7_PKaNS0_17constant_iteratorIjlEEPaPlSF_S6_NS0_8equal_toIaEEEE10hipError_tPvRmT2_T3_mT4_T5_T6_T7_T8_P12ihipStream_tbENKUlT_T0_E_clISt17integral_constantIbLb1EESZ_EEDaSU_SV_EUlSU_E_NS1_11comp_targetILNS1_3genE0ELNS1_11target_archE4294967295ELNS1_3gpuE0ELNS1_3repE0EEENS1_30default_config_static_selectorELNS0_4arch9wavefront6targetE1EEEvT1_.kd
    .uniform_work_group_size: 1
    .uses_dynamic_stack: false
    .vgpr_count:     0
    .vgpr_spill_count: 0
    .wavefront_size: 64
  - .agpr_count:     0
    .args:
      - .offset:         0
        .size:           128
        .value_kind:     by_value
    .group_segment_fixed_size: 30720
    .kernarg_segment_align: 8
    .kernarg_segment_size: 128
    .language:       OpenCL C
    .language_version:
      - 2
      - 0
    .max_flat_workgroup_size: 512
    .name:           _ZN7rocprim17ROCPRIM_400000_NS6detail17trampoline_kernelINS0_14default_configENS1_33run_length_encode_config_selectorIajNS0_4plusIjEEEEZZNS1_33reduce_by_key_impl_wrapped_configILNS1_25lookback_scan_determinismE0ES3_S7_PKaNS0_17constant_iteratorIjlEEPaPlSF_S6_NS0_8equal_toIaEEEE10hipError_tPvRmT2_T3_mT4_T5_T6_T7_T8_P12ihipStream_tbENKUlT_T0_E_clISt17integral_constantIbLb1EESZ_EEDaSU_SV_EUlSU_E_NS1_11comp_targetILNS1_3genE5ELNS1_11target_archE942ELNS1_3gpuE9ELNS1_3repE0EEENS1_30default_config_static_selectorELNS0_4arch9wavefront6targetE1EEEvT1_
    .private_segment_fixed_size: 0
    .sgpr_count:     72
    .sgpr_spill_count: 0
    .symbol:         _ZN7rocprim17ROCPRIM_400000_NS6detail17trampoline_kernelINS0_14default_configENS1_33run_length_encode_config_selectorIajNS0_4plusIjEEEEZZNS1_33reduce_by_key_impl_wrapped_configILNS1_25lookback_scan_determinismE0ES3_S7_PKaNS0_17constant_iteratorIjlEEPaPlSF_S6_NS0_8equal_toIaEEEE10hipError_tPvRmT2_T3_mT4_T5_T6_T7_T8_P12ihipStream_tbENKUlT_T0_E_clISt17integral_constantIbLb1EESZ_EEDaSU_SV_EUlSU_E_NS1_11comp_targetILNS1_3genE5ELNS1_11target_archE942ELNS1_3gpuE9ELNS1_3repE0EEENS1_30default_config_static_selectorELNS0_4arch9wavefront6targetE1EEEvT1_.kd
    .uniform_work_group_size: 1
    .uses_dynamic_stack: false
    .vgpr_count:     110
    .vgpr_spill_count: 0
    .wavefront_size: 64
  - .agpr_count:     0
    .args:
      - .offset:         0
        .size:           128
        .value_kind:     by_value
    .group_segment_fixed_size: 0
    .kernarg_segment_align: 8
    .kernarg_segment_size: 128
    .language:       OpenCL C
    .language_version:
      - 2
      - 0
    .max_flat_workgroup_size: 256
    .name:           _ZN7rocprim17ROCPRIM_400000_NS6detail17trampoline_kernelINS0_14default_configENS1_33run_length_encode_config_selectorIajNS0_4plusIjEEEEZZNS1_33reduce_by_key_impl_wrapped_configILNS1_25lookback_scan_determinismE0ES3_S7_PKaNS0_17constant_iteratorIjlEEPaPlSF_S6_NS0_8equal_toIaEEEE10hipError_tPvRmT2_T3_mT4_T5_T6_T7_T8_P12ihipStream_tbENKUlT_T0_E_clISt17integral_constantIbLb1EESZ_EEDaSU_SV_EUlSU_E_NS1_11comp_targetILNS1_3genE4ELNS1_11target_archE910ELNS1_3gpuE8ELNS1_3repE0EEENS1_30default_config_static_selectorELNS0_4arch9wavefront6targetE1EEEvT1_
    .private_segment_fixed_size: 0
    .sgpr_count:     6
    .sgpr_spill_count: 0
    .symbol:         _ZN7rocprim17ROCPRIM_400000_NS6detail17trampoline_kernelINS0_14default_configENS1_33run_length_encode_config_selectorIajNS0_4plusIjEEEEZZNS1_33reduce_by_key_impl_wrapped_configILNS1_25lookback_scan_determinismE0ES3_S7_PKaNS0_17constant_iteratorIjlEEPaPlSF_S6_NS0_8equal_toIaEEEE10hipError_tPvRmT2_T3_mT4_T5_T6_T7_T8_P12ihipStream_tbENKUlT_T0_E_clISt17integral_constantIbLb1EESZ_EEDaSU_SV_EUlSU_E_NS1_11comp_targetILNS1_3genE4ELNS1_11target_archE910ELNS1_3gpuE8ELNS1_3repE0EEENS1_30default_config_static_selectorELNS0_4arch9wavefront6targetE1EEEvT1_.kd
    .uniform_work_group_size: 1
    .uses_dynamic_stack: false
    .vgpr_count:     0
    .vgpr_spill_count: 0
    .wavefront_size: 64
  - .agpr_count:     0
    .args:
      - .offset:         0
        .size:           128
        .value_kind:     by_value
    .group_segment_fixed_size: 0
    .kernarg_segment_align: 8
    .kernarg_segment_size: 128
    .language:       OpenCL C
    .language_version:
      - 2
      - 0
    .max_flat_workgroup_size: 256
    .name:           _ZN7rocprim17ROCPRIM_400000_NS6detail17trampoline_kernelINS0_14default_configENS1_33run_length_encode_config_selectorIajNS0_4plusIjEEEEZZNS1_33reduce_by_key_impl_wrapped_configILNS1_25lookback_scan_determinismE0ES3_S7_PKaNS0_17constant_iteratorIjlEEPaPlSF_S6_NS0_8equal_toIaEEEE10hipError_tPvRmT2_T3_mT4_T5_T6_T7_T8_P12ihipStream_tbENKUlT_T0_E_clISt17integral_constantIbLb1EESZ_EEDaSU_SV_EUlSU_E_NS1_11comp_targetILNS1_3genE3ELNS1_11target_archE908ELNS1_3gpuE7ELNS1_3repE0EEENS1_30default_config_static_selectorELNS0_4arch9wavefront6targetE1EEEvT1_
    .private_segment_fixed_size: 0
    .sgpr_count:     6
    .sgpr_spill_count: 0
    .symbol:         _ZN7rocprim17ROCPRIM_400000_NS6detail17trampoline_kernelINS0_14default_configENS1_33run_length_encode_config_selectorIajNS0_4plusIjEEEEZZNS1_33reduce_by_key_impl_wrapped_configILNS1_25lookback_scan_determinismE0ES3_S7_PKaNS0_17constant_iteratorIjlEEPaPlSF_S6_NS0_8equal_toIaEEEE10hipError_tPvRmT2_T3_mT4_T5_T6_T7_T8_P12ihipStream_tbENKUlT_T0_E_clISt17integral_constantIbLb1EESZ_EEDaSU_SV_EUlSU_E_NS1_11comp_targetILNS1_3genE3ELNS1_11target_archE908ELNS1_3gpuE7ELNS1_3repE0EEENS1_30default_config_static_selectorELNS0_4arch9wavefront6targetE1EEEvT1_.kd
    .uniform_work_group_size: 1
    .uses_dynamic_stack: false
    .vgpr_count:     0
    .vgpr_spill_count: 0
    .wavefront_size: 64
  - .agpr_count:     0
    .args:
      - .offset:         0
        .size:           128
        .value_kind:     by_value
    .group_segment_fixed_size: 0
    .kernarg_segment_align: 8
    .kernarg_segment_size: 128
    .language:       OpenCL C
    .language_version:
      - 2
      - 0
    .max_flat_workgroup_size: 256
    .name:           _ZN7rocprim17ROCPRIM_400000_NS6detail17trampoline_kernelINS0_14default_configENS1_33run_length_encode_config_selectorIajNS0_4plusIjEEEEZZNS1_33reduce_by_key_impl_wrapped_configILNS1_25lookback_scan_determinismE0ES3_S7_PKaNS0_17constant_iteratorIjlEEPaPlSF_S6_NS0_8equal_toIaEEEE10hipError_tPvRmT2_T3_mT4_T5_T6_T7_T8_P12ihipStream_tbENKUlT_T0_E_clISt17integral_constantIbLb1EESZ_EEDaSU_SV_EUlSU_E_NS1_11comp_targetILNS1_3genE2ELNS1_11target_archE906ELNS1_3gpuE6ELNS1_3repE0EEENS1_30default_config_static_selectorELNS0_4arch9wavefront6targetE1EEEvT1_
    .private_segment_fixed_size: 0
    .sgpr_count:     6
    .sgpr_spill_count: 0
    .symbol:         _ZN7rocprim17ROCPRIM_400000_NS6detail17trampoline_kernelINS0_14default_configENS1_33run_length_encode_config_selectorIajNS0_4plusIjEEEEZZNS1_33reduce_by_key_impl_wrapped_configILNS1_25lookback_scan_determinismE0ES3_S7_PKaNS0_17constant_iteratorIjlEEPaPlSF_S6_NS0_8equal_toIaEEEE10hipError_tPvRmT2_T3_mT4_T5_T6_T7_T8_P12ihipStream_tbENKUlT_T0_E_clISt17integral_constantIbLb1EESZ_EEDaSU_SV_EUlSU_E_NS1_11comp_targetILNS1_3genE2ELNS1_11target_archE906ELNS1_3gpuE6ELNS1_3repE0EEENS1_30default_config_static_selectorELNS0_4arch9wavefront6targetE1EEEvT1_.kd
    .uniform_work_group_size: 1
    .uses_dynamic_stack: false
    .vgpr_count:     0
    .vgpr_spill_count: 0
    .wavefront_size: 64
  - .agpr_count:     0
    .args:
      - .offset:         0
        .size:           128
        .value_kind:     by_value
    .group_segment_fixed_size: 0
    .kernarg_segment_align: 8
    .kernarg_segment_size: 128
    .language:       OpenCL C
    .language_version:
      - 2
      - 0
    .max_flat_workgroup_size: 384
    .name:           _ZN7rocprim17ROCPRIM_400000_NS6detail17trampoline_kernelINS0_14default_configENS1_33run_length_encode_config_selectorIajNS0_4plusIjEEEEZZNS1_33reduce_by_key_impl_wrapped_configILNS1_25lookback_scan_determinismE0ES3_S7_PKaNS0_17constant_iteratorIjlEEPaPlSF_S6_NS0_8equal_toIaEEEE10hipError_tPvRmT2_T3_mT4_T5_T6_T7_T8_P12ihipStream_tbENKUlT_T0_E_clISt17integral_constantIbLb1EESZ_EEDaSU_SV_EUlSU_E_NS1_11comp_targetILNS1_3genE10ELNS1_11target_archE1201ELNS1_3gpuE5ELNS1_3repE0EEENS1_30default_config_static_selectorELNS0_4arch9wavefront6targetE1EEEvT1_
    .private_segment_fixed_size: 0
    .sgpr_count:     6
    .sgpr_spill_count: 0
    .symbol:         _ZN7rocprim17ROCPRIM_400000_NS6detail17trampoline_kernelINS0_14default_configENS1_33run_length_encode_config_selectorIajNS0_4plusIjEEEEZZNS1_33reduce_by_key_impl_wrapped_configILNS1_25lookback_scan_determinismE0ES3_S7_PKaNS0_17constant_iteratorIjlEEPaPlSF_S6_NS0_8equal_toIaEEEE10hipError_tPvRmT2_T3_mT4_T5_T6_T7_T8_P12ihipStream_tbENKUlT_T0_E_clISt17integral_constantIbLb1EESZ_EEDaSU_SV_EUlSU_E_NS1_11comp_targetILNS1_3genE10ELNS1_11target_archE1201ELNS1_3gpuE5ELNS1_3repE0EEENS1_30default_config_static_selectorELNS0_4arch9wavefront6targetE1EEEvT1_.kd
    .uniform_work_group_size: 1
    .uses_dynamic_stack: false
    .vgpr_count:     0
    .vgpr_spill_count: 0
    .wavefront_size: 64
  - .agpr_count:     0
    .args:
      - .offset:         0
        .size:           128
        .value_kind:     by_value
    .group_segment_fixed_size: 0
    .kernarg_segment_align: 8
    .kernarg_segment_size: 128
    .language:       OpenCL C
    .language_version:
      - 2
      - 0
    .max_flat_workgroup_size: 384
    .name:           _ZN7rocprim17ROCPRIM_400000_NS6detail17trampoline_kernelINS0_14default_configENS1_33run_length_encode_config_selectorIajNS0_4plusIjEEEEZZNS1_33reduce_by_key_impl_wrapped_configILNS1_25lookback_scan_determinismE0ES3_S7_PKaNS0_17constant_iteratorIjlEEPaPlSF_S6_NS0_8equal_toIaEEEE10hipError_tPvRmT2_T3_mT4_T5_T6_T7_T8_P12ihipStream_tbENKUlT_T0_E_clISt17integral_constantIbLb1EESZ_EEDaSU_SV_EUlSU_E_NS1_11comp_targetILNS1_3genE10ELNS1_11target_archE1200ELNS1_3gpuE4ELNS1_3repE0EEENS1_30default_config_static_selectorELNS0_4arch9wavefront6targetE1EEEvT1_
    .private_segment_fixed_size: 0
    .sgpr_count:     6
    .sgpr_spill_count: 0
    .symbol:         _ZN7rocprim17ROCPRIM_400000_NS6detail17trampoline_kernelINS0_14default_configENS1_33run_length_encode_config_selectorIajNS0_4plusIjEEEEZZNS1_33reduce_by_key_impl_wrapped_configILNS1_25lookback_scan_determinismE0ES3_S7_PKaNS0_17constant_iteratorIjlEEPaPlSF_S6_NS0_8equal_toIaEEEE10hipError_tPvRmT2_T3_mT4_T5_T6_T7_T8_P12ihipStream_tbENKUlT_T0_E_clISt17integral_constantIbLb1EESZ_EEDaSU_SV_EUlSU_E_NS1_11comp_targetILNS1_3genE10ELNS1_11target_archE1200ELNS1_3gpuE4ELNS1_3repE0EEENS1_30default_config_static_selectorELNS0_4arch9wavefront6targetE1EEEvT1_.kd
    .uniform_work_group_size: 1
    .uses_dynamic_stack: false
    .vgpr_count:     0
    .vgpr_spill_count: 0
    .wavefront_size: 64
  - .agpr_count:     0
    .args:
      - .offset:         0
        .size:           128
        .value_kind:     by_value
    .group_segment_fixed_size: 0
    .kernarg_segment_align: 8
    .kernarg_segment_size: 128
    .language:       OpenCL C
    .language_version:
      - 2
      - 0
    .max_flat_workgroup_size: 384
    .name:           _ZN7rocprim17ROCPRIM_400000_NS6detail17trampoline_kernelINS0_14default_configENS1_33run_length_encode_config_selectorIajNS0_4plusIjEEEEZZNS1_33reduce_by_key_impl_wrapped_configILNS1_25lookback_scan_determinismE0ES3_S7_PKaNS0_17constant_iteratorIjlEEPaPlSF_S6_NS0_8equal_toIaEEEE10hipError_tPvRmT2_T3_mT4_T5_T6_T7_T8_P12ihipStream_tbENKUlT_T0_E_clISt17integral_constantIbLb1EESZ_EEDaSU_SV_EUlSU_E_NS1_11comp_targetILNS1_3genE9ELNS1_11target_archE1100ELNS1_3gpuE3ELNS1_3repE0EEENS1_30default_config_static_selectorELNS0_4arch9wavefront6targetE1EEEvT1_
    .private_segment_fixed_size: 0
    .sgpr_count:     6
    .sgpr_spill_count: 0
    .symbol:         _ZN7rocprim17ROCPRIM_400000_NS6detail17trampoline_kernelINS0_14default_configENS1_33run_length_encode_config_selectorIajNS0_4plusIjEEEEZZNS1_33reduce_by_key_impl_wrapped_configILNS1_25lookback_scan_determinismE0ES3_S7_PKaNS0_17constant_iteratorIjlEEPaPlSF_S6_NS0_8equal_toIaEEEE10hipError_tPvRmT2_T3_mT4_T5_T6_T7_T8_P12ihipStream_tbENKUlT_T0_E_clISt17integral_constantIbLb1EESZ_EEDaSU_SV_EUlSU_E_NS1_11comp_targetILNS1_3genE9ELNS1_11target_archE1100ELNS1_3gpuE3ELNS1_3repE0EEENS1_30default_config_static_selectorELNS0_4arch9wavefront6targetE1EEEvT1_.kd
    .uniform_work_group_size: 1
    .uses_dynamic_stack: false
    .vgpr_count:     0
    .vgpr_spill_count: 0
    .wavefront_size: 64
  - .agpr_count:     0
    .args:
      - .offset:         0
        .size:           128
        .value_kind:     by_value
    .group_segment_fixed_size: 0
    .kernarg_segment_align: 8
    .kernarg_segment_size: 128
    .language:       OpenCL C
    .language_version:
      - 2
      - 0
    .max_flat_workgroup_size: 384
    .name:           _ZN7rocprim17ROCPRIM_400000_NS6detail17trampoline_kernelINS0_14default_configENS1_33run_length_encode_config_selectorIajNS0_4plusIjEEEEZZNS1_33reduce_by_key_impl_wrapped_configILNS1_25lookback_scan_determinismE0ES3_S7_PKaNS0_17constant_iteratorIjlEEPaPlSF_S6_NS0_8equal_toIaEEEE10hipError_tPvRmT2_T3_mT4_T5_T6_T7_T8_P12ihipStream_tbENKUlT_T0_E_clISt17integral_constantIbLb1EESZ_EEDaSU_SV_EUlSU_E_NS1_11comp_targetILNS1_3genE8ELNS1_11target_archE1030ELNS1_3gpuE2ELNS1_3repE0EEENS1_30default_config_static_selectorELNS0_4arch9wavefront6targetE1EEEvT1_
    .private_segment_fixed_size: 0
    .sgpr_count:     6
    .sgpr_spill_count: 0
    .symbol:         _ZN7rocprim17ROCPRIM_400000_NS6detail17trampoline_kernelINS0_14default_configENS1_33run_length_encode_config_selectorIajNS0_4plusIjEEEEZZNS1_33reduce_by_key_impl_wrapped_configILNS1_25lookback_scan_determinismE0ES3_S7_PKaNS0_17constant_iteratorIjlEEPaPlSF_S6_NS0_8equal_toIaEEEE10hipError_tPvRmT2_T3_mT4_T5_T6_T7_T8_P12ihipStream_tbENKUlT_T0_E_clISt17integral_constantIbLb1EESZ_EEDaSU_SV_EUlSU_E_NS1_11comp_targetILNS1_3genE8ELNS1_11target_archE1030ELNS1_3gpuE2ELNS1_3repE0EEENS1_30default_config_static_selectorELNS0_4arch9wavefront6targetE1EEEvT1_.kd
    .uniform_work_group_size: 1
    .uses_dynamic_stack: false
    .vgpr_count:     0
    .vgpr_spill_count: 0
    .wavefront_size: 64
  - .agpr_count:     0
    .args:
      - .offset:         0
        .size:           128
        .value_kind:     by_value
    .group_segment_fixed_size: 0
    .kernarg_segment_align: 8
    .kernarg_segment_size: 128
    .language:       OpenCL C
    .language_version:
      - 2
      - 0
    .max_flat_workgroup_size: 256
    .name:           _ZN7rocprim17ROCPRIM_400000_NS6detail17trampoline_kernelINS0_14default_configENS1_33run_length_encode_config_selectorIajNS0_4plusIjEEEEZZNS1_33reduce_by_key_impl_wrapped_configILNS1_25lookback_scan_determinismE0ES3_S7_PKaNS0_17constant_iteratorIjlEEPaPlSF_S6_NS0_8equal_toIaEEEE10hipError_tPvRmT2_T3_mT4_T5_T6_T7_T8_P12ihipStream_tbENKUlT_T0_E_clISt17integral_constantIbLb1EESY_IbLb0EEEEDaSU_SV_EUlSU_E_NS1_11comp_targetILNS1_3genE0ELNS1_11target_archE4294967295ELNS1_3gpuE0ELNS1_3repE0EEENS1_30default_config_static_selectorELNS0_4arch9wavefront6targetE1EEEvT1_
    .private_segment_fixed_size: 0
    .sgpr_count:     6
    .sgpr_spill_count: 0
    .symbol:         _ZN7rocprim17ROCPRIM_400000_NS6detail17trampoline_kernelINS0_14default_configENS1_33run_length_encode_config_selectorIajNS0_4plusIjEEEEZZNS1_33reduce_by_key_impl_wrapped_configILNS1_25lookback_scan_determinismE0ES3_S7_PKaNS0_17constant_iteratorIjlEEPaPlSF_S6_NS0_8equal_toIaEEEE10hipError_tPvRmT2_T3_mT4_T5_T6_T7_T8_P12ihipStream_tbENKUlT_T0_E_clISt17integral_constantIbLb1EESY_IbLb0EEEEDaSU_SV_EUlSU_E_NS1_11comp_targetILNS1_3genE0ELNS1_11target_archE4294967295ELNS1_3gpuE0ELNS1_3repE0EEENS1_30default_config_static_selectorELNS0_4arch9wavefront6targetE1EEEvT1_.kd
    .uniform_work_group_size: 1
    .uses_dynamic_stack: false
    .vgpr_count:     0
    .vgpr_spill_count: 0
    .wavefront_size: 64
  - .agpr_count:     0
    .args:
      - .offset:         0
        .size:           128
        .value_kind:     by_value
    .group_segment_fixed_size: 30720
    .kernarg_segment_align: 8
    .kernarg_segment_size: 128
    .language:       OpenCL C
    .language_version:
      - 2
      - 0
    .max_flat_workgroup_size: 512
    .name:           _ZN7rocprim17ROCPRIM_400000_NS6detail17trampoline_kernelINS0_14default_configENS1_33run_length_encode_config_selectorIajNS0_4plusIjEEEEZZNS1_33reduce_by_key_impl_wrapped_configILNS1_25lookback_scan_determinismE0ES3_S7_PKaNS0_17constant_iteratorIjlEEPaPlSF_S6_NS0_8equal_toIaEEEE10hipError_tPvRmT2_T3_mT4_T5_T6_T7_T8_P12ihipStream_tbENKUlT_T0_E_clISt17integral_constantIbLb1EESY_IbLb0EEEEDaSU_SV_EUlSU_E_NS1_11comp_targetILNS1_3genE5ELNS1_11target_archE942ELNS1_3gpuE9ELNS1_3repE0EEENS1_30default_config_static_selectorELNS0_4arch9wavefront6targetE1EEEvT1_
    .private_segment_fixed_size: 0
    .sgpr_count:     70
    .sgpr_spill_count: 0
    .symbol:         _ZN7rocprim17ROCPRIM_400000_NS6detail17trampoline_kernelINS0_14default_configENS1_33run_length_encode_config_selectorIajNS0_4plusIjEEEEZZNS1_33reduce_by_key_impl_wrapped_configILNS1_25lookback_scan_determinismE0ES3_S7_PKaNS0_17constant_iteratorIjlEEPaPlSF_S6_NS0_8equal_toIaEEEE10hipError_tPvRmT2_T3_mT4_T5_T6_T7_T8_P12ihipStream_tbENKUlT_T0_E_clISt17integral_constantIbLb1EESY_IbLb0EEEEDaSU_SV_EUlSU_E_NS1_11comp_targetILNS1_3genE5ELNS1_11target_archE942ELNS1_3gpuE9ELNS1_3repE0EEENS1_30default_config_static_selectorELNS0_4arch9wavefront6targetE1EEEvT1_.kd
    .uniform_work_group_size: 1
    .uses_dynamic_stack: false
    .vgpr_count:     110
    .vgpr_spill_count: 0
    .wavefront_size: 64
  - .agpr_count:     0
    .args:
      - .offset:         0
        .size:           128
        .value_kind:     by_value
    .group_segment_fixed_size: 0
    .kernarg_segment_align: 8
    .kernarg_segment_size: 128
    .language:       OpenCL C
    .language_version:
      - 2
      - 0
    .max_flat_workgroup_size: 256
    .name:           _ZN7rocprim17ROCPRIM_400000_NS6detail17trampoline_kernelINS0_14default_configENS1_33run_length_encode_config_selectorIajNS0_4plusIjEEEEZZNS1_33reduce_by_key_impl_wrapped_configILNS1_25lookback_scan_determinismE0ES3_S7_PKaNS0_17constant_iteratorIjlEEPaPlSF_S6_NS0_8equal_toIaEEEE10hipError_tPvRmT2_T3_mT4_T5_T6_T7_T8_P12ihipStream_tbENKUlT_T0_E_clISt17integral_constantIbLb1EESY_IbLb0EEEEDaSU_SV_EUlSU_E_NS1_11comp_targetILNS1_3genE4ELNS1_11target_archE910ELNS1_3gpuE8ELNS1_3repE0EEENS1_30default_config_static_selectorELNS0_4arch9wavefront6targetE1EEEvT1_
    .private_segment_fixed_size: 0
    .sgpr_count:     6
    .sgpr_spill_count: 0
    .symbol:         _ZN7rocprim17ROCPRIM_400000_NS6detail17trampoline_kernelINS0_14default_configENS1_33run_length_encode_config_selectorIajNS0_4plusIjEEEEZZNS1_33reduce_by_key_impl_wrapped_configILNS1_25lookback_scan_determinismE0ES3_S7_PKaNS0_17constant_iteratorIjlEEPaPlSF_S6_NS0_8equal_toIaEEEE10hipError_tPvRmT2_T3_mT4_T5_T6_T7_T8_P12ihipStream_tbENKUlT_T0_E_clISt17integral_constantIbLb1EESY_IbLb0EEEEDaSU_SV_EUlSU_E_NS1_11comp_targetILNS1_3genE4ELNS1_11target_archE910ELNS1_3gpuE8ELNS1_3repE0EEENS1_30default_config_static_selectorELNS0_4arch9wavefront6targetE1EEEvT1_.kd
    .uniform_work_group_size: 1
    .uses_dynamic_stack: false
    .vgpr_count:     0
    .vgpr_spill_count: 0
    .wavefront_size: 64
  - .agpr_count:     0
    .args:
      - .offset:         0
        .size:           128
        .value_kind:     by_value
    .group_segment_fixed_size: 0
    .kernarg_segment_align: 8
    .kernarg_segment_size: 128
    .language:       OpenCL C
    .language_version:
      - 2
      - 0
    .max_flat_workgroup_size: 256
    .name:           _ZN7rocprim17ROCPRIM_400000_NS6detail17trampoline_kernelINS0_14default_configENS1_33run_length_encode_config_selectorIajNS0_4plusIjEEEEZZNS1_33reduce_by_key_impl_wrapped_configILNS1_25lookback_scan_determinismE0ES3_S7_PKaNS0_17constant_iteratorIjlEEPaPlSF_S6_NS0_8equal_toIaEEEE10hipError_tPvRmT2_T3_mT4_T5_T6_T7_T8_P12ihipStream_tbENKUlT_T0_E_clISt17integral_constantIbLb1EESY_IbLb0EEEEDaSU_SV_EUlSU_E_NS1_11comp_targetILNS1_3genE3ELNS1_11target_archE908ELNS1_3gpuE7ELNS1_3repE0EEENS1_30default_config_static_selectorELNS0_4arch9wavefront6targetE1EEEvT1_
    .private_segment_fixed_size: 0
    .sgpr_count:     6
    .sgpr_spill_count: 0
    .symbol:         _ZN7rocprim17ROCPRIM_400000_NS6detail17trampoline_kernelINS0_14default_configENS1_33run_length_encode_config_selectorIajNS0_4plusIjEEEEZZNS1_33reduce_by_key_impl_wrapped_configILNS1_25lookback_scan_determinismE0ES3_S7_PKaNS0_17constant_iteratorIjlEEPaPlSF_S6_NS0_8equal_toIaEEEE10hipError_tPvRmT2_T3_mT4_T5_T6_T7_T8_P12ihipStream_tbENKUlT_T0_E_clISt17integral_constantIbLb1EESY_IbLb0EEEEDaSU_SV_EUlSU_E_NS1_11comp_targetILNS1_3genE3ELNS1_11target_archE908ELNS1_3gpuE7ELNS1_3repE0EEENS1_30default_config_static_selectorELNS0_4arch9wavefront6targetE1EEEvT1_.kd
    .uniform_work_group_size: 1
    .uses_dynamic_stack: false
    .vgpr_count:     0
    .vgpr_spill_count: 0
    .wavefront_size: 64
  - .agpr_count:     0
    .args:
      - .offset:         0
        .size:           128
        .value_kind:     by_value
    .group_segment_fixed_size: 0
    .kernarg_segment_align: 8
    .kernarg_segment_size: 128
    .language:       OpenCL C
    .language_version:
      - 2
      - 0
    .max_flat_workgroup_size: 256
    .name:           _ZN7rocprim17ROCPRIM_400000_NS6detail17trampoline_kernelINS0_14default_configENS1_33run_length_encode_config_selectorIajNS0_4plusIjEEEEZZNS1_33reduce_by_key_impl_wrapped_configILNS1_25lookback_scan_determinismE0ES3_S7_PKaNS0_17constant_iteratorIjlEEPaPlSF_S6_NS0_8equal_toIaEEEE10hipError_tPvRmT2_T3_mT4_T5_T6_T7_T8_P12ihipStream_tbENKUlT_T0_E_clISt17integral_constantIbLb1EESY_IbLb0EEEEDaSU_SV_EUlSU_E_NS1_11comp_targetILNS1_3genE2ELNS1_11target_archE906ELNS1_3gpuE6ELNS1_3repE0EEENS1_30default_config_static_selectorELNS0_4arch9wavefront6targetE1EEEvT1_
    .private_segment_fixed_size: 0
    .sgpr_count:     6
    .sgpr_spill_count: 0
    .symbol:         _ZN7rocprim17ROCPRIM_400000_NS6detail17trampoline_kernelINS0_14default_configENS1_33run_length_encode_config_selectorIajNS0_4plusIjEEEEZZNS1_33reduce_by_key_impl_wrapped_configILNS1_25lookback_scan_determinismE0ES3_S7_PKaNS0_17constant_iteratorIjlEEPaPlSF_S6_NS0_8equal_toIaEEEE10hipError_tPvRmT2_T3_mT4_T5_T6_T7_T8_P12ihipStream_tbENKUlT_T0_E_clISt17integral_constantIbLb1EESY_IbLb0EEEEDaSU_SV_EUlSU_E_NS1_11comp_targetILNS1_3genE2ELNS1_11target_archE906ELNS1_3gpuE6ELNS1_3repE0EEENS1_30default_config_static_selectorELNS0_4arch9wavefront6targetE1EEEvT1_.kd
    .uniform_work_group_size: 1
    .uses_dynamic_stack: false
    .vgpr_count:     0
    .vgpr_spill_count: 0
    .wavefront_size: 64
  - .agpr_count:     0
    .args:
      - .offset:         0
        .size:           128
        .value_kind:     by_value
    .group_segment_fixed_size: 0
    .kernarg_segment_align: 8
    .kernarg_segment_size: 128
    .language:       OpenCL C
    .language_version:
      - 2
      - 0
    .max_flat_workgroup_size: 384
    .name:           _ZN7rocprim17ROCPRIM_400000_NS6detail17trampoline_kernelINS0_14default_configENS1_33run_length_encode_config_selectorIajNS0_4plusIjEEEEZZNS1_33reduce_by_key_impl_wrapped_configILNS1_25lookback_scan_determinismE0ES3_S7_PKaNS0_17constant_iteratorIjlEEPaPlSF_S6_NS0_8equal_toIaEEEE10hipError_tPvRmT2_T3_mT4_T5_T6_T7_T8_P12ihipStream_tbENKUlT_T0_E_clISt17integral_constantIbLb1EESY_IbLb0EEEEDaSU_SV_EUlSU_E_NS1_11comp_targetILNS1_3genE10ELNS1_11target_archE1201ELNS1_3gpuE5ELNS1_3repE0EEENS1_30default_config_static_selectorELNS0_4arch9wavefront6targetE1EEEvT1_
    .private_segment_fixed_size: 0
    .sgpr_count:     6
    .sgpr_spill_count: 0
    .symbol:         _ZN7rocprim17ROCPRIM_400000_NS6detail17trampoline_kernelINS0_14default_configENS1_33run_length_encode_config_selectorIajNS0_4plusIjEEEEZZNS1_33reduce_by_key_impl_wrapped_configILNS1_25lookback_scan_determinismE0ES3_S7_PKaNS0_17constant_iteratorIjlEEPaPlSF_S6_NS0_8equal_toIaEEEE10hipError_tPvRmT2_T3_mT4_T5_T6_T7_T8_P12ihipStream_tbENKUlT_T0_E_clISt17integral_constantIbLb1EESY_IbLb0EEEEDaSU_SV_EUlSU_E_NS1_11comp_targetILNS1_3genE10ELNS1_11target_archE1201ELNS1_3gpuE5ELNS1_3repE0EEENS1_30default_config_static_selectorELNS0_4arch9wavefront6targetE1EEEvT1_.kd
    .uniform_work_group_size: 1
    .uses_dynamic_stack: false
    .vgpr_count:     0
    .vgpr_spill_count: 0
    .wavefront_size: 64
  - .agpr_count:     0
    .args:
      - .offset:         0
        .size:           128
        .value_kind:     by_value
    .group_segment_fixed_size: 0
    .kernarg_segment_align: 8
    .kernarg_segment_size: 128
    .language:       OpenCL C
    .language_version:
      - 2
      - 0
    .max_flat_workgroup_size: 384
    .name:           _ZN7rocprim17ROCPRIM_400000_NS6detail17trampoline_kernelINS0_14default_configENS1_33run_length_encode_config_selectorIajNS0_4plusIjEEEEZZNS1_33reduce_by_key_impl_wrapped_configILNS1_25lookback_scan_determinismE0ES3_S7_PKaNS0_17constant_iteratorIjlEEPaPlSF_S6_NS0_8equal_toIaEEEE10hipError_tPvRmT2_T3_mT4_T5_T6_T7_T8_P12ihipStream_tbENKUlT_T0_E_clISt17integral_constantIbLb1EESY_IbLb0EEEEDaSU_SV_EUlSU_E_NS1_11comp_targetILNS1_3genE10ELNS1_11target_archE1200ELNS1_3gpuE4ELNS1_3repE0EEENS1_30default_config_static_selectorELNS0_4arch9wavefront6targetE1EEEvT1_
    .private_segment_fixed_size: 0
    .sgpr_count:     6
    .sgpr_spill_count: 0
    .symbol:         _ZN7rocprim17ROCPRIM_400000_NS6detail17trampoline_kernelINS0_14default_configENS1_33run_length_encode_config_selectorIajNS0_4plusIjEEEEZZNS1_33reduce_by_key_impl_wrapped_configILNS1_25lookback_scan_determinismE0ES3_S7_PKaNS0_17constant_iteratorIjlEEPaPlSF_S6_NS0_8equal_toIaEEEE10hipError_tPvRmT2_T3_mT4_T5_T6_T7_T8_P12ihipStream_tbENKUlT_T0_E_clISt17integral_constantIbLb1EESY_IbLb0EEEEDaSU_SV_EUlSU_E_NS1_11comp_targetILNS1_3genE10ELNS1_11target_archE1200ELNS1_3gpuE4ELNS1_3repE0EEENS1_30default_config_static_selectorELNS0_4arch9wavefront6targetE1EEEvT1_.kd
    .uniform_work_group_size: 1
    .uses_dynamic_stack: false
    .vgpr_count:     0
    .vgpr_spill_count: 0
    .wavefront_size: 64
  - .agpr_count:     0
    .args:
      - .offset:         0
        .size:           128
        .value_kind:     by_value
    .group_segment_fixed_size: 0
    .kernarg_segment_align: 8
    .kernarg_segment_size: 128
    .language:       OpenCL C
    .language_version:
      - 2
      - 0
    .max_flat_workgroup_size: 384
    .name:           _ZN7rocprim17ROCPRIM_400000_NS6detail17trampoline_kernelINS0_14default_configENS1_33run_length_encode_config_selectorIajNS0_4plusIjEEEEZZNS1_33reduce_by_key_impl_wrapped_configILNS1_25lookback_scan_determinismE0ES3_S7_PKaNS0_17constant_iteratorIjlEEPaPlSF_S6_NS0_8equal_toIaEEEE10hipError_tPvRmT2_T3_mT4_T5_T6_T7_T8_P12ihipStream_tbENKUlT_T0_E_clISt17integral_constantIbLb1EESY_IbLb0EEEEDaSU_SV_EUlSU_E_NS1_11comp_targetILNS1_3genE9ELNS1_11target_archE1100ELNS1_3gpuE3ELNS1_3repE0EEENS1_30default_config_static_selectorELNS0_4arch9wavefront6targetE1EEEvT1_
    .private_segment_fixed_size: 0
    .sgpr_count:     6
    .sgpr_spill_count: 0
    .symbol:         _ZN7rocprim17ROCPRIM_400000_NS6detail17trampoline_kernelINS0_14default_configENS1_33run_length_encode_config_selectorIajNS0_4plusIjEEEEZZNS1_33reduce_by_key_impl_wrapped_configILNS1_25lookback_scan_determinismE0ES3_S7_PKaNS0_17constant_iteratorIjlEEPaPlSF_S6_NS0_8equal_toIaEEEE10hipError_tPvRmT2_T3_mT4_T5_T6_T7_T8_P12ihipStream_tbENKUlT_T0_E_clISt17integral_constantIbLb1EESY_IbLb0EEEEDaSU_SV_EUlSU_E_NS1_11comp_targetILNS1_3genE9ELNS1_11target_archE1100ELNS1_3gpuE3ELNS1_3repE0EEENS1_30default_config_static_selectorELNS0_4arch9wavefront6targetE1EEEvT1_.kd
    .uniform_work_group_size: 1
    .uses_dynamic_stack: false
    .vgpr_count:     0
    .vgpr_spill_count: 0
    .wavefront_size: 64
  - .agpr_count:     0
    .args:
      - .offset:         0
        .size:           128
        .value_kind:     by_value
    .group_segment_fixed_size: 0
    .kernarg_segment_align: 8
    .kernarg_segment_size: 128
    .language:       OpenCL C
    .language_version:
      - 2
      - 0
    .max_flat_workgroup_size: 384
    .name:           _ZN7rocprim17ROCPRIM_400000_NS6detail17trampoline_kernelINS0_14default_configENS1_33run_length_encode_config_selectorIajNS0_4plusIjEEEEZZNS1_33reduce_by_key_impl_wrapped_configILNS1_25lookback_scan_determinismE0ES3_S7_PKaNS0_17constant_iteratorIjlEEPaPlSF_S6_NS0_8equal_toIaEEEE10hipError_tPvRmT2_T3_mT4_T5_T6_T7_T8_P12ihipStream_tbENKUlT_T0_E_clISt17integral_constantIbLb1EESY_IbLb0EEEEDaSU_SV_EUlSU_E_NS1_11comp_targetILNS1_3genE8ELNS1_11target_archE1030ELNS1_3gpuE2ELNS1_3repE0EEENS1_30default_config_static_selectorELNS0_4arch9wavefront6targetE1EEEvT1_
    .private_segment_fixed_size: 0
    .sgpr_count:     6
    .sgpr_spill_count: 0
    .symbol:         _ZN7rocprim17ROCPRIM_400000_NS6detail17trampoline_kernelINS0_14default_configENS1_33run_length_encode_config_selectorIajNS0_4plusIjEEEEZZNS1_33reduce_by_key_impl_wrapped_configILNS1_25lookback_scan_determinismE0ES3_S7_PKaNS0_17constant_iteratorIjlEEPaPlSF_S6_NS0_8equal_toIaEEEE10hipError_tPvRmT2_T3_mT4_T5_T6_T7_T8_P12ihipStream_tbENKUlT_T0_E_clISt17integral_constantIbLb1EESY_IbLb0EEEEDaSU_SV_EUlSU_E_NS1_11comp_targetILNS1_3genE8ELNS1_11target_archE1030ELNS1_3gpuE2ELNS1_3repE0EEENS1_30default_config_static_selectorELNS0_4arch9wavefront6targetE1EEEvT1_.kd
    .uniform_work_group_size: 1
    .uses_dynamic_stack: false
    .vgpr_count:     0
    .vgpr_spill_count: 0
    .wavefront_size: 64
  - .agpr_count:     0
    .args:
      - .offset:         0
        .size:           128
        .value_kind:     by_value
    .group_segment_fixed_size: 0
    .kernarg_segment_align: 8
    .kernarg_segment_size: 128
    .language:       OpenCL C
    .language_version:
      - 2
      - 0
    .max_flat_workgroup_size: 256
    .name:           _ZN7rocprim17ROCPRIM_400000_NS6detail17trampoline_kernelINS0_14default_configENS1_33run_length_encode_config_selectorIajNS0_4plusIjEEEEZZNS1_33reduce_by_key_impl_wrapped_configILNS1_25lookback_scan_determinismE0ES3_S7_PKaNS0_17constant_iteratorIjlEEPaPlSF_S6_NS0_8equal_toIaEEEE10hipError_tPvRmT2_T3_mT4_T5_T6_T7_T8_P12ihipStream_tbENKUlT_T0_E_clISt17integral_constantIbLb0EESY_IbLb1EEEEDaSU_SV_EUlSU_E_NS1_11comp_targetILNS1_3genE0ELNS1_11target_archE4294967295ELNS1_3gpuE0ELNS1_3repE0EEENS1_30default_config_static_selectorELNS0_4arch9wavefront6targetE1EEEvT1_
    .private_segment_fixed_size: 0
    .sgpr_count:     6
    .sgpr_spill_count: 0
    .symbol:         _ZN7rocprim17ROCPRIM_400000_NS6detail17trampoline_kernelINS0_14default_configENS1_33run_length_encode_config_selectorIajNS0_4plusIjEEEEZZNS1_33reduce_by_key_impl_wrapped_configILNS1_25lookback_scan_determinismE0ES3_S7_PKaNS0_17constant_iteratorIjlEEPaPlSF_S6_NS0_8equal_toIaEEEE10hipError_tPvRmT2_T3_mT4_T5_T6_T7_T8_P12ihipStream_tbENKUlT_T0_E_clISt17integral_constantIbLb0EESY_IbLb1EEEEDaSU_SV_EUlSU_E_NS1_11comp_targetILNS1_3genE0ELNS1_11target_archE4294967295ELNS1_3gpuE0ELNS1_3repE0EEENS1_30default_config_static_selectorELNS0_4arch9wavefront6targetE1EEEvT1_.kd
    .uniform_work_group_size: 1
    .uses_dynamic_stack: false
    .vgpr_count:     0
    .vgpr_spill_count: 0
    .wavefront_size: 64
  - .agpr_count:     0
    .args:
      - .offset:         0
        .size:           128
        .value_kind:     by_value
    .group_segment_fixed_size: 30720
    .kernarg_segment_align: 8
    .kernarg_segment_size: 128
    .language:       OpenCL C
    .language_version:
      - 2
      - 0
    .max_flat_workgroup_size: 512
    .name:           _ZN7rocprim17ROCPRIM_400000_NS6detail17trampoline_kernelINS0_14default_configENS1_33run_length_encode_config_selectorIajNS0_4plusIjEEEEZZNS1_33reduce_by_key_impl_wrapped_configILNS1_25lookback_scan_determinismE0ES3_S7_PKaNS0_17constant_iteratorIjlEEPaPlSF_S6_NS0_8equal_toIaEEEE10hipError_tPvRmT2_T3_mT4_T5_T6_T7_T8_P12ihipStream_tbENKUlT_T0_E_clISt17integral_constantIbLb0EESY_IbLb1EEEEDaSU_SV_EUlSU_E_NS1_11comp_targetILNS1_3genE5ELNS1_11target_archE942ELNS1_3gpuE9ELNS1_3repE0EEENS1_30default_config_static_selectorELNS0_4arch9wavefront6targetE1EEEvT1_
    .private_segment_fixed_size: 0
    .sgpr_count:     72
    .sgpr_spill_count: 0
    .symbol:         _ZN7rocprim17ROCPRIM_400000_NS6detail17trampoline_kernelINS0_14default_configENS1_33run_length_encode_config_selectorIajNS0_4plusIjEEEEZZNS1_33reduce_by_key_impl_wrapped_configILNS1_25lookback_scan_determinismE0ES3_S7_PKaNS0_17constant_iteratorIjlEEPaPlSF_S6_NS0_8equal_toIaEEEE10hipError_tPvRmT2_T3_mT4_T5_T6_T7_T8_P12ihipStream_tbENKUlT_T0_E_clISt17integral_constantIbLb0EESY_IbLb1EEEEDaSU_SV_EUlSU_E_NS1_11comp_targetILNS1_3genE5ELNS1_11target_archE942ELNS1_3gpuE9ELNS1_3repE0EEENS1_30default_config_static_selectorELNS0_4arch9wavefront6targetE1EEEvT1_.kd
    .uniform_work_group_size: 1
    .uses_dynamic_stack: false
    .vgpr_count:     109
    .vgpr_spill_count: 0
    .wavefront_size: 64
  - .agpr_count:     0
    .args:
      - .offset:         0
        .size:           128
        .value_kind:     by_value
    .group_segment_fixed_size: 0
    .kernarg_segment_align: 8
    .kernarg_segment_size: 128
    .language:       OpenCL C
    .language_version:
      - 2
      - 0
    .max_flat_workgroup_size: 256
    .name:           _ZN7rocprim17ROCPRIM_400000_NS6detail17trampoline_kernelINS0_14default_configENS1_33run_length_encode_config_selectorIajNS0_4plusIjEEEEZZNS1_33reduce_by_key_impl_wrapped_configILNS1_25lookback_scan_determinismE0ES3_S7_PKaNS0_17constant_iteratorIjlEEPaPlSF_S6_NS0_8equal_toIaEEEE10hipError_tPvRmT2_T3_mT4_T5_T6_T7_T8_P12ihipStream_tbENKUlT_T0_E_clISt17integral_constantIbLb0EESY_IbLb1EEEEDaSU_SV_EUlSU_E_NS1_11comp_targetILNS1_3genE4ELNS1_11target_archE910ELNS1_3gpuE8ELNS1_3repE0EEENS1_30default_config_static_selectorELNS0_4arch9wavefront6targetE1EEEvT1_
    .private_segment_fixed_size: 0
    .sgpr_count:     6
    .sgpr_spill_count: 0
    .symbol:         _ZN7rocprim17ROCPRIM_400000_NS6detail17trampoline_kernelINS0_14default_configENS1_33run_length_encode_config_selectorIajNS0_4plusIjEEEEZZNS1_33reduce_by_key_impl_wrapped_configILNS1_25lookback_scan_determinismE0ES3_S7_PKaNS0_17constant_iteratorIjlEEPaPlSF_S6_NS0_8equal_toIaEEEE10hipError_tPvRmT2_T3_mT4_T5_T6_T7_T8_P12ihipStream_tbENKUlT_T0_E_clISt17integral_constantIbLb0EESY_IbLb1EEEEDaSU_SV_EUlSU_E_NS1_11comp_targetILNS1_3genE4ELNS1_11target_archE910ELNS1_3gpuE8ELNS1_3repE0EEENS1_30default_config_static_selectorELNS0_4arch9wavefront6targetE1EEEvT1_.kd
    .uniform_work_group_size: 1
    .uses_dynamic_stack: false
    .vgpr_count:     0
    .vgpr_spill_count: 0
    .wavefront_size: 64
  - .agpr_count:     0
    .args:
      - .offset:         0
        .size:           128
        .value_kind:     by_value
    .group_segment_fixed_size: 0
    .kernarg_segment_align: 8
    .kernarg_segment_size: 128
    .language:       OpenCL C
    .language_version:
      - 2
      - 0
    .max_flat_workgroup_size: 256
    .name:           _ZN7rocprim17ROCPRIM_400000_NS6detail17trampoline_kernelINS0_14default_configENS1_33run_length_encode_config_selectorIajNS0_4plusIjEEEEZZNS1_33reduce_by_key_impl_wrapped_configILNS1_25lookback_scan_determinismE0ES3_S7_PKaNS0_17constant_iteratorIjlEEPaPlSF_S6_NS0_8equal_toIaEEEE10hipError_tPvRmT2_T3_mT4_T5_T6_T7_T8_P12ihipStream_tbENKUlT_T0_E_clISt17integral_constantIbLb0EESY_IbLb1EEEEDaSU_SV_EUlSU_E_NS1_11comp_targetILNS1_3genE3ELNS1_11target_archE908ELNS1_3gpuE7ELNS1_3repE0EEENS1_30default_config_static_selectorELNS0_4arch9wavefront6targetE1EEEvT1_
    .private_segment_fixed_size: 0
    .sgpr_count:     6
    .sgpr_spill_count: 0
    .symbol:         _ZN7rocprim17ROCPRIM_400000_NS6detail17trampoline_kernelINS0_14default_configENS1_33run_length_encode_config_selectorIajNS0_4plusIjEEEEZZNS1_33reduce_by_key_impl_wrapped_configILNS1_25lookback_scan_determinismE0ES3_S7_PKaNS0_17constant_iteratorIjlEEPaPlSF_S6_NS0_8equal_toIaEEEE10hipError_tPvRmT2_T3_mT4_T5_T6_T7_T8_P12ihipStream_tbENKUlT_T0_E_clISt17integral_constantIbLb0EESY_IbLb1EEEEDaSU_SV_EUlSU_E_NS1_11comp_targetILNS1_3genE3ELNS1_11target_archE908ELNS1_3gpuE7ELNS1_3repE0EEENS1_30default_config_static_selectorELNS0_4arch9wavefront6targetE1EEEvT1_.kd
    .uniform_work_group_size: 1
    .uses_dynamic_stack: false
    .vgpr_count:     0
    .vgpr_spill_count: 0
    .wavefront_size: 64
  - .agpr_count:     0
    .args:
      - .offset:         0
        .size:           128
        .value_kind:     by_value
    .group_segment_fixed_size: 0
    .kernarg_segment_align: 8
    .kernarg_segment_size: 128
    .language:       OpenCL C
    .language_version:
      - 2
      - 0
    .max_flat_workgroup_size: 256
    .name:           _ZN7rocprim17ROCPRIM_400000_NS6detail17trampoline_kernelINS0_14default_configENS1_33run_length_encode_config_selectorIajNS0_4plusIjEEEEZZNS1_33reduce_by_key_impl_wrapped_configILNS1_25lookback_scan_determinismE0ES3_S7_PKaNS0_17constant_iteratorIjlEEPaPlSF_S6_NS0_8equal_toIaEEEE10hipError_tPvRmT2_T3_mT4_T5_T6_T7_T8_P12ihipStream_tbENKUlT_T0_E_clISt17integral_constantIbLb0EESY_IbLb1EEEEDaSU_SV_EUlSU_E_NS1_11comp_targetILNS1_3genE2ELNS1_11target_archE906ELNS1_3gpuE6ELNS1_3repE0EEENS1_30default_config_static_selectorELNS0_4arch9wavefront6targetE1EEEvT1_
    .private_segment_fixed_size: 0
    .sgpr_count:     6
    .sgpr_spill_count: 0
    .symbol:         _ZN7rocprim17ROCPRIM_400000_NS6detail17trampoline_kernelINS0_14default_configENS1_33run_length_encode_config_selectorIajNS0_4plusIjEEEEZZNS1_33reduce_by_key_impl_wrapped_configILNS1_25lookback_scan_determinismE0ES3_S7_PKaNS0_17constant_iteratorIjlEEPaPlSF_S6_NS0_8equal_toIaEEEE10hipError_tPvRmT2_T3_mT4_T5_T6_T7_T8_P12ihipStream_tbENKUlT_T0_E_clISt17integral_constantIbLb0EESY_IbLb1EEEEDaSU_SV_EUlSU_E_NS1_11comp_targetILNS1_3genE2ELNS1_11target_archE906ELNS1_3gpuE6ELNS1_3repE0EEENS1_30default_config_static_selectorELNS0_4arch9wavefront6targetE1EEEvT1_.kd
    .uniform_work_group_size: 1
    .uses_dynamic_stack: false
    .vgpr_count:     0
    .vgpr_spill_count: 0
    .wavefront_size: 64
  - .agpr_count:     0
    .args:
      - .offset:         0
        .size:           128
        .value_kind:     by_value
    .group_segment_fixed_size: 0
    .kernarg_segment_align: 8
    .kernarg_segment_size: 128
    .language:       OpenCL C
    .language_version:
      - 2
      - 0
    .max_flat_workgroup_size: 384
    .name:           _ZN7rocprim17ROCPRIM_400000_NS6detail17trampoline_kernelINS0_14default_configENS1_33run_length_encode_config_selectorIajNS0_4plusIjEEEEZZNS1_33reduce_by_key_impl_wrapped_configILNS1_25lookback_scan_determinismE0ES3_S7_PKaNS0_17constant_iteratorIjlEEPaPlSF_S6_NS0_8equal_toIaEEEE10hipError_tPvRmT2_T3_mT4_T5_T6_T7_T8_P12ihipStream_tbENKUlT_T0_E_clISt17integral_constantIbLb0EESY_IbLb1EEEEDaSU_SV_EUlSU_E_NS1_11comp_targetILNS1_3genE10ELNS1_11target_archE1201ELNS1_3gpuE5ELNS1_3repE0EEENS1_30default_config_static_selectorELNS0_4arch9wavefront6targetE1EEEvT1_
    .private_segment_fixed_size: 0
    .sgpr_count:     6
    .sgpr_spill_count: 0
    .symbol:         _ZN7rocprim17ROCPRIM_400000_NS6detail17trampoline_kernelINS0_14default_configENS1_33run_length_encode_config_selectorIajNS0_4plusIjEEEEZZNS1_33reduce_by_key_impl_wrapped_configILNS1_25lookback_scan_determinismE0ES3_S7_PKaNS0_17constant_iteratorIjlEEPaPlSF_S6_NS0_8equal_toIaEEEE10hipError_tPvRmT2_T3_mT4_T5_T6_T7_T8_P12ihipStream_tbENKUlT_T0_E_clISt17integral_constantIbLb0EESY_IbLb1EEEEDaSU_SV_EUlSU_E_NS1_11comp_targetILNS1_3genE10ELNS1_11target_archE1201ELNS1_3gpuE5ELNS1_3repE0EEENS1_30default_config_static_selectorELNS0_4arch9wavefront6targetE1EEEvT1_.kd
    .uniform_work_group_size: 1
    .uses_dynamic_stack: false
    .vgpr_count:     0
    .vgpr_spill_count: 0
    .wavefront_size: 64
  - .agpr_count:     0
    .args:
      - .offset:         0
        .size:           128
        .value_kind:     by_value
    .group_segment_fixed_size: 0
    .kernarg_segment_align: 8
    .kernarg_segment_size: 128
    .language:       OpenCL C
    .language_version:
      - 2
      - 0
    .max_flat_workgroup_size: 384
    .name:           _ZN7rocprim17ROCPRIM_400000_NS6detail17trampoline_kernelINS0_14default_configENS1_33run_length_encode_config_selectorIajNS0_4plusIjEEEEZZNS1_33reduce_by_key_impl_wrapped_configILNS1_25lookback_scan_determinismE0ES3_S7_PKaNS0_17constant_iteratorIjlEEPaPlSF_S6_NS0_8equal_toIaEEEE10hipError_tPvRmT2_T3_mT4_T5_T6_T7_T8_P12ihipStream_tbENKUlT_T0_E_clISt17integral_constantIbLb0EESY_IbLb1EEEEDaSU_SV_EUlSU_E_NS1_11comp_targetILNS1_3genE10ELNS1_11target_archE1200ELNS1_3gpuE4ELNS1_3repE0EEENS1_30default_config_static_selectorELNS0_4arch9wavefront6targetE1EEEvT1_
    .private_segment_fixed_size: 0
    .sgpr_count:     6
    .sgpr_spill_count: 0
    .symbol:         _ZN7rocprim17ROCPRIM_400000_NS6detail17trampoline_kernelINS0_14default_configENS1_33run_length_encode_config_selectorIajNS0_4plusIjEEEEZZNS1_33reduce_by_key_impl_wrapped_configILNS1_25lookback_scan_determinismE0ES3_S7_PKaNS0_17constant_iteratorIjlEEPaPlSF_S6_NS0_8equal_toIaEEEE10hipError_tPvRmT2_T3_mT4_T5_T6_T7_T8_P12ihipStream_tbENKUlT_T0_E_clISt17integral_constantIbLb0EESY_IbLb1EEEEDaSU_SV_EUlSU_E_NS1_11comp_targetILNS1_3genE10ELNS1_11target_archE1200ELNS1_3gpuE4ELNS1_3repE0EEENS1_30default_config_static_selectorELNS0_4arch9wavefront6targetE1EEEvT1_.kd
    .uniform_work_group_size: 1
    .uses_dynamic_stack: false
    .vgpr_count:     0
    .vgpr_spill_count: 0
    .wavefront_size: 64
  - .agpr_count:     0
    .args:
      - .offset:         0
        .size:           128
        .value_kind:     by_value
    .group_segment_fixed_size: 0
    .kernarg_segment_align: 8
    .kernarg_segment_size: 128
    .language:       OpenCL C
    .language_version:
      - 2
      - 0
    .max_flat_workgroup_size: 384
    .name:           _ZN7rocprim17ROCPRIM_400000_NS6detail17trampoline_kernelINS0_14default_configENS1_33run_length_encode_config_selectorIajNS0_4plusIjEEEEZZNS1_33reduce_by_key_impl_wrapped_configILNS1_25lookback_scan_determinismE0ES3_S7_PKaNS0_17constant_iteratorIjlEEPaPlSF_S6_NS0_8equal_toIaEEEE10hipError_tPvRmT2_T3_mT4_T5_T6_T7_T8_P12ihipStream_tbENKUlT_T0_E_clISt17integral_constantIbLb0EESY_IbLb1EEEEDaSU_SV_EUlSU_E_NS1_11comp_targetILNS1_3genE9ELNS1_11target_archE1100ELNS1_3gpuE3ELNS1_3repE0EEENS1_30default_config_static_selectorELNS0_4arch9wavefront6targetE1EEEvT1_
    .private_segment_fixed_size: 0
    .sgpr_count:     6
    .sgpr_spill_count: 0
    .symbol:         _ZN7rocprim17ROCPRIM_400000_NS6detail17trampoline_kernelINS0_14default_configENS1_33run_length_encode_config_selectorIajNS0_4plusIjEEEEZZNS1_33reduce_by_key_impl_wrapped_configILNS1_25lookback_scan_determinismE0ES3_S7_PKaNS0_17constant_iteratorIjlEEPaPlSF_S6_NS0_8equal_toIaEEEE10hipError_tPvRmT2_T3_mT4_T5_T6_T7_T8_P12ihipStream_tbENKUlT_T0_E_clISt17integral_constantIbLb0EESY_IbLb1EEEEDaSU_SV_EUlSU_E_NS1_11comp_targetILNS1_3genE9ELNS1_11target_archE1100ELNS1_3gpuE3ELNS1_3repE0EEENS1_30default_config_static_selectorELNS0_4arch9wavefront6targetE1EEEvT1_.kd
    .uniform_work_group_size: 1
    .uses_dynamic_stack: false
    .vgpr_count:     0
    .vgpr_spill_count: 0
    .wavefront_size: 64
  - .agpr_count:     0
    .args:
      - .offset:         0
        .size:           128
        .value_kind:     by_value
    .group_segment_fixed_size: 0
    .kernarg_segment_align: 8
    .kernarg_segment_size: 128
    .language:       OpenCL C
    .language_version:
      - 2
      - 0
    .max_flat_workgroup_size: 384
    .name:           _ZN7rocprim17ROCPRIM_400000_NS6detail17trampoline_kernelINS0_14default_configENS1_33run_length_encode_config_selectorIajNS0_4plusIjEEEEZZNS1_33reduce_by_key_impl_wrapped_configILNS1_25lookback_scan_determinismE0ES3_S7_PKaNS0_17constant_iteratorIjlEEPaPlSF_S6_NS0_8equal_toIaEEEE10hipError_tPvRmT2_T3_mT4_T5_T6_T7_T8_P12ihipStream_tbENKUlT_T0_E_clISt17integral_constantIbLb0EESY_IbLb1EEEEDaSU_SV_EUlSU_E_NS1_11comp_targetILNS1_3genE8ELNS1_11target_archE1030ELNS1_3gpuE2ELNS1_3repE0EEENS1_30default_config_static_selectorELNS0_4arch9wavefront6targetE1EEEvT1_
    .private_segment_fixed_size: 0
    .sgpr_count:     6
    .sgpr_spill_count: 0
    .symbol:         _ZN7rocprim17ROCPRIM_400000_NS6detail17trampoline_kernelINS0_14default_configENS1_33run_length_encode_config_selectorIajNS0_4plusIjEEEEZZNS1_33reduce_by_key_impl_wrapped_configILNS1_25lookback_scan_determinismE0ES3_S7_PKaNS0_17constant_iteratorIjlEEPaPlSF_S6_NS0_8equal_toIaEEEE10hipError_tPvRmT2_T3_mT4_T5_T6_T7_T8_P12ihipStream_tbENKUlT_T0_E_clISt17integral_constantIbLb0EESY_IbLb1EEEEDaSU_SV_EUlSU_E_NS1_11comp_targetILNS1_3genE8ELNS1_11target_archE1030ELNS1_3gpuE2ELNS1_3repE0EEENS1_30default_config_static_selectorELNS0_4arch9wavefront6targetE1EEEvT1_.kd
    .uniform_work_group_size: 1
    .uses_dynamic_stack: false
    .vgpr_count:     0
    .vgpr_spill_count: 0
    .wavefront_size: 64
  - .agpr_count:     0
    .args:
      - .offset:         0
        .size:           8
        .value_kind:     by_value
      - .address_space:  global
        .offset:         8
        .size:           8
        .value_kind:     global_buffer
      - .address_space:  global
        .offset:         16
        .size:           8
        .value_kind:     global_buffer
      - .offset:         24
        .size:           4
        .value_kind:     hidden_block_count_x
      - .offset:         28
        .size:           4
        .value_kind:     hidden_block_count_y
      - .offset:         32
        .size:           4
        .value_kind:     hidden_block_count_z
      - .offset:         36
        .size:           2
        .value_kind:     hidden_group_size_x
      - .offset:         38
        .size:           2
        .value_kind:     hidden_group_size_y
      - .offset:         40
        .size:           2
        .value_kind:     hidden_group_size_z
      - .offset:         42
        .size:           2
        .value_kind:     hidden_remainder_x
      - .offset:         44
        .size:           2
        .value_kind:     hidden_remainder_y
      - .offset:         46
        .size:           2
        .value_kind:     hidden_remainder_z
      - .offset:         64
        .size:           8
        .value_kind:     hidden_global_offset_x
      - .offset:         72
        .size:           8
        .value_kind:     hidden_global_offset_y
      - .offset:         80
        .size:           8
        .value_kind:     hidden_global_offset_z
      - .offset:         88
        .size:           2
        .value_kind:     hidden_grid_dims
    .group_segment_fixed_size: 0
    .kernarg_segment_align: 8
    .kernarg_segment_size: 280
    .language:       OpenCL C
    .language_version:
      - 2
      - 0
    .max_flat_workgroup_size: 1024
    .name:           _ZN2at6native8internal12_GLOBAL__N_126adjacent_difference_kernelIPKdEEvlT_Pi
    .private_segment_fixed_size: 0
    .sgpr_count:     22
    .sgpr_spill_count: 0
    .symbol:         _ZN2at6native8internal12_GLOBAL__N_126adjacent_difference_kernelIPKdEEvlT_Pi.kd
    .uniform_work_group_size: 1
    .uses_dynamic_stack: false
    .vgpr_count:     14
    .vgpr_spill_count: 0
    .wavefront_size: 64
  - .agpr_count:     0
    .args:
      - .offset:         0
        .size:           112
        .value_kind:     by_value
    .group_segment_fixed_size: 0
    .kernarg_segment_align: 8
    .kernarg_segment_size: 112
    .language:       OpenCL C
    .language_version:
      - 2
      - 0
    .max_flat_workgroup_size: 512
    .name:           _ZN7rocprim17ROCPRIM_400000_NS6detail17trampoline_kernelINS0_14default_configENS1_25partition_config_selectorILNS1_17partition_subalgoE8EdNS0_10empty_typeEbEEZZNS1_14partition_implILS5_8ELb0ES3_jPKdPS6_PKS6_NS0_5tupleIJPdS6_EEENSE_IJSB_SB_EEENS0_18inequality_wrapperIN6hipcub16HIPCUB_304000_NS8EqualityEEEPlJS6_EEE10hipError_tPvRmT3_T4_T5_T6_T7_T9_mT8_P12ihipStream_tbDpT10_ENKUlT_T0_E_clISt17integral_constantIbLb0EES17_EEDaS12_S13_EUlS12_E_NS1_11comp_targetILNS1_3genE0ELNS1_11target_archE4294967295ELNS1_3gpuE0ELNS1_3repE0EEENS1_30default_config_static_selectorELNS0_4arch9wavefront6targetE1EEEvT1_
    .private_segment_fixed_size: 0
    .sgpr_count:     6
    .sgpr_spill_count: 0
    .symbol:         _ZN7rocprim17ROCPRIM_400000_NS6detail17trampoline_kernelINS0_14default_configENS1_25partition_config_selectorILNS1_17partition_subalgoE8EdNS0_10empty_typeEbEEZZNS1_14partition_implILS5_8ELb0ES3_jPKdPS6_PKS6_NS0_5tupleIJPdS6_EEENSE_IJSB_SB_EEENS0_18inequality_wrapperIN6hipcub16HIPCUB_304000_NS8EqualityEEEPlJS6_EEE10hipError_tPvRmT3_T4_T5_T6_T7_T9_mT8_P12ihipStream_tbDpT10_ENKUlT_T0_E_clISt17integral_constantIbLb0EES17_EEDaS12_S13_EUlS12_E_NS1_11comp_targetILNS1_3genE0ELNS1_11target_archE4294967295ELNS1_3gpuE0ELNS1_3repE0EEENS1_30default_config_static_selectorELNS0_4arch9wavefront6targetE1EEEvT1_.kd
    .uniform_work_group_size: 1
    .uses_dynamic_stack: false
    .vgpr_count:     0
    .vgpr_spill_count: 0
    .wavefront_size: 64
  - .agpr_count:     0
    .args:
      - .offset:         0
        .size:           112
        .value_kind:     by_value
    .group_segment_fixed_size: 28680
    .kernarg_segment_align: 8
    .kernarg_segment_size: 112
    .language:       OpenCL C
    .language_version:
      - 2
      - 0
    .max_flat_workgroup_size: 512
    .name:           _ZN7rocprim17ROCPRIM_400000_NS6detail17trampoline_kernelINS0_14default_configENS1_25partition_config_selectorILNS1_17partition_subalgoE8EdNS0_10empty_typeEbEEZZNS1_14partition_implILS5_8ELb0ES3_jPKdPS6_PKS6_NS0_5tupleIJPdS6_EEENSE_IJSB_SB_EEENS0_18inequality_wrapperIN6hipcub16HIPCUB_304000_NS8EqualityEEEPlJS6_EEE10hipError_tPvRmT3_T4_T5_T6_T7_T9_mT8_P12ihipStream_tbDpT10_ENKUlT_T0_E_clISt17integral_constantIbLb0EES17_EEDaS12_S13_EUlS12_E_NS1_11comp_targetILNS1_3genE5ELNS1_11target_archE942ELNS1_3gpuE9ELNS1_3repE0EEENS1_30default_config_static_selectorELNS0_4arch9wavefront6targetE1EEEvT1_
    .private_segment_fixed_size: 0
    .sgpr_count:     46
    .sgpr_spill_count: 0
    .symbol:         _ZN7rocprim17ROCPRIM_400000_NS6detail17trampoline_kernelINS0_14default_configENS1_25partition_config_selectorILNS1_17partition_subalgoE8EdNS0_10empty_typeEbEEZZNS1_14partition_implILS5_8ELb0ES3_jPKdPS6_PKS6_NS0_5tupleIJPdS6_EEENSE_IJSB_SB_EEENS0_18inequality_wrapperIN6hipcub16HIPCUB_304000_NS8EqualityEEEPlJS6_EEE10hipError_tPvRmT3_T4_T5_T6_T7_T9_mT8_P12ihipStream_tbDpT10_ENKUlT_T0_E_clISt17integral_constantIbLb0EES17_EEDaS12_S13_EUlS12_E_NS1_11comp_targetILNS1_3genE5ELNS1_11target_archE942ELNS1_3gpuE9ELNS1_3repE0EEENS1_30default_config_static_selectorELNS0_4arch9wavefront6targetE1EEEvT1_.kd
    .uniform_work_group_size: 1
    .uses_dynamic_stack: false
    .vgpr_count:     53
    .vgpr_spill_count: 0
    .wavefront_size: 64
  - .agpr_count:     0
    .args:
      - .offset:         0
        .size:           112
        .value_kind:     by_value
    .group_segment_fixed_size: 0
    .kernarg_segment_align: 8
    .kernarg_segment_size: 112
    .language:       OpenCL C
    .language_version:
      - 2
      - 0
    .max_flat_workgroup_size: 256
    .name:           _ZN7rocprim17ROCPRIM_400000_NS6detail17trampoline_kernelINS0_14default_configENS1_25partition_config_selectorILNS1_17partition_subalgoE8EdNS0_10empty_typeEbEEZZNS1_14partition_implILS5_8ELb0ES3_jPKdPS6_PKS6_NS0_5tupleIJPdS6_EEENSE_IJSB_SB_EEENS0_18inequality_wrapperIN6hipcub16HIPCUB_304000_NS8EqualityEEEPlJS6_EEE10hipError_tPvRmT3_T4_T5_T6_T7_T9_mT8_P12ihipStream_tbDpT10_ENKUlT_T0_E_clISt17integral_constantIbLb0EES17_EEDaS12_S13_EUlS12_E_NS1_11comp_targetILNS1_3genE4ELNS1_11target_archE910ELNS1_3gpuE8ELNS1_3repE0EEENS1_30default_config_static_selectorELNS0_4arch9wavefront6targetE1EEEvT1_
    .private_segment_fixed_size: 0
    .sgpr_count:     6
    .sgpr_spill_count: 0
    .symbol:         _ZN7rocprim17ROCPRIM_400000_NS6detail17trampoline_kernelINS0_14default_configENS1_25partition_config_selectorILNS1_17partition_subalgoE8EdNS0_10empty_typeEbEEZZNS1_14partition_implILS5_8ELb0ES3_jPKdPS6_PKS6_NS0_5tupleIJPdS6_EEENSE_IJSB_SB_EEENS0_18inequality_wrapperIN6hipcub16HIPCUB_304000_NS8EqualityEEEPlJS6_EEE10hipError_tPvRmT3_T4_T5_T6_T7_T9_mT8_P12ihipStream_tbDpT10_ENKUlT_T0_E_clISt17integral_constantIbLb0EES17_EEDaS12_S13_EUlS12_E_NS1_11comp_targetILNS1_3genE4ELNS1_11target_archE910ELNS1_3gpuE8ELNS1_3repE0EEENS1_30default_config_static_selectorELNS0_4arch9wavefront6targetE1EEEvT1_.kd
    .uniform_work_group_size: 1
    .uses_dynamic_stack: false
    .vgpr_count:     0
    .vgpr_spill_count: 0
    .wavefront_size: 64
  - .agpr_count:     0
    .args:
      - .offset:         0
        .size:           112
        .value_kind:     by_value
    .group_segment_fixed_size: 0
    .kernarg_segment_align: 8
    .kernarg_segment_size: 112
    .language:       OpenCL C
    .language_version:
      - 2
      - 0
    .max_flat_workgroup_size: 512
    .name:           _ZN7rocprim17ROCPRIM_400000_NS6detail17trampoline_kernelINS0_14default_configENS1_25partition_config_selectorILNS1_17partition_subalgoE8EdNS0_10empty_typeEbEEZZNS1_14partition_implILS5_8ELb0ES3_jPKdPS6_PKS6_NS0_5tupleIJPdS6_EEENSE_IJSB_SB_EEENS0_18inequality_wrapperIN6hipcub16HIPCUB_304000_NS8EqualityEEEPlJS6_EEE10hipError_tPvRmT3_T4_T5_T6_T7_T9_mT8_P12ihipStream_tbDpT10_ENKUlT_T0_E_clISt17integral_constantIbLb0EES17_EEDaS12_S13_EUlS12_E_NS1_11comp_targetILNS1_3genE3ELNS1_11target_archE908ELNS1_3gpuE7ELNS1_3repE0EEENS1_30default_config_static_selectorELNS0_4arch9wavefront6targetE1EEEvT1_
    .private_segment_fixed_size: 0
    .sgpr_count:     6
    .sgpr_spill_count: 0
    .symbol:         _ZN7rocprim17ROCPRIM_400000_NS6detail17trampoline_kernelINS0_14default_configENS1_25partition_config_selectorILNS1_17partition_subalgoE8EdNS0_10empty_typeEbEEZZNS1_14partition_implILS5_8ELb0ES3_jPKdPS6_PKS6_NS0_5tupleIJPdS6_EEENSE_IJSB_SB_EEENS0_18inequality_wrapperIN6hipcub16HIPCUB_304000_NS8EqualityEEEPlJS6_EEE10hipError_tPvRmT3_T4_T5_T6_T7_T9_mT8_P12ihipStream_tbDpT10_ENKUlT_T0_E_clISt17integral_constantIbLb0EES17_EEDaS12_S13_EUlS12_E_NS1_11comp_targetILNS1_3genE3ELNS1_11target_archE908ELNS1_3gpuE7ELNS1_3repE0EEENS1_30default_config_static_selectorELNS0_4arch9wavefront6targetE1EEEvT1_.kd
    .uniform_work_group_size: 1
    .uses_dynamic_stack: false
    .vgpr_count:     0
    .vgpr_spill_count: 0
    .wavefront_size: 64
  - .agpr_count:     0
    .args:
      - .offset:         0
        .size:           112
        .value_kind:     by_value
    .group_segment_fixed_size: 0
    .kernarg_segment_align: 8
    .kernarg_segment_size: 112
    .language:       OpenCL C
    .language_version:
      - 2
      - 0
    .max_flat_workgroup_size: 256
    .name:           _ZN7rocprim17ROCPRIM_400000_NS6detail17trampoline_kernelINS0_14default_configENS1_25partition_config_selectorILNS1_17partition_subalgoE8EdNS0_10empty_typeEbEEZZNS1_14partition_implILS5_8ELb0ES3_jPKdPS6_PKS6_NS0_5tupleIJPdS6_EEENSE_IJSB_SB_EEENS0_18inequality_wrapperIN6hipcub16HIPCUB_304000_NS8EqualityEEEPlJS6_EEE10hipError_tPvRmT3_T4_T5_T6_T7_T9_mT8_P12ihipStream_tbDpT10_ENKUlT_T0_E_clISt17integral_constantIbLb0EES17_EEDaS12_S13_EUlS12_E_NS1_11comp_targetILNS1_3genE2ELNS1_11target_archE906ELNS1_3gpuE6ELNS1_3repE0EEENS1_30default_config_static_selectorELNS0_4arch9wavefront6targetE1EEEvT1_
    .private_segment_fixed_size: 0
    .sgpr_count:     6
    .sgpr_spill_count: 0
    .symbol:         _ZN7rocprim17ROCPRIM_400000_NS6detail17trampoline_kernelINS0_14default_configENS1_25partition_config_selectorILNS1_17partition_subalgoE8EdNS0_10empty_typeEbEEZZNS1_14partition_implILS5_8ELb0ES3_jPKdPS6_PKS6_NS0_5tupleIJPdS6_EEENSE_IJSB_SB_EEENS0_18inequality_wrapperIN6hipcub16HIPCUB_304000_NS8EqualityEEEPlJS6_EEE10hipError_tPvRmT3_T4_T5_T6_T7_T9_mT8_P12ihipStream_tbDpT10_ENKUlT_T0_E_clISt17integral_constantIbLb0EES17_EEDaS12_S13_EUlS12_E_NS1_11comp_targetILNS1_3genE2ELNS1_11target_archE906ELNS1_3gpuE6ELNS1_3repE0EEENS1_30default_config_static_selectorELNS0_4arch9wavefront6targetE1EEEvT1_.kd
    .uniform_work_group_size: 1
    .uses_dynamic_stack: false
    .vgpr_count:     0
    .vgpr_spill_count: 0
    .wavefront_size: 64
  - .agpr_count:     0
    .args:
      - .offset:         0
        .size:           112
        .value_kind:     by_value
    .group_segment_fixed_size: 0
    .kernarg_segment_align: 8
    .kernarg_segment_size: 112
    .language:       OpenCL C
    .language_version:
      - 2
      - 0
    .max_flat_workgroup_size: 384
    .name:           _ZN7rocprim17ROCPRIM_400000_NS6detail17trampoline_kernelINS0_14default_configENS1_25partition_config_selectorILNS1_17partition_subalgoE8EdNS0_10empty_typeEbEEZZNS1_14partition_implILS5_8ELb0ES3_jPKdPS6_PKS6_NS0_5tupleIJPdS6_EEENSE_IJSB_SB_EEENS0_18inequality_wrapperIN6hipcub16HIPCUB_304000_NS8EqualityEEEPlJS6_EEE10hipError_tPvRmT3_T4_T5_T6_T7_T9_mT8_P12ihipStream_tbDpT10_ENKUlT_T0_E_clISt17integral_constantIbLb0EES17_EEDaS12_S13_EUlS12_E_NS1_11comp_targetILNS1_3genE10ELNS1_11target_archE1200ELNS1_3gpuE4ELNS1_3repE0EEENS1_30default_config_static_selectorELNS0_4arch9wavefront6targetE1EEEvT1_
    .private_segment_fixed_size: 0
    .sgpr_count:     6
    .sgpr_spill_count: 0
    .symbol:         _ZN7rocprim17ROCPRIM_400000_NS6detail17trampoline_kernelINS0_14default_configENS1_25partition_config_selectorILNS1_17partition_subalgoE8EdNS0_10empty_typeEbEEZZNS1_14partition_implILS5_8ELb0ES3_jPKdPS6_PKS6_NS0_5tupleIJPdS6_EEENSE_IJSB_SB_EEENS0_18inequality_wrapperIN6hipcub16HIPCUB_304000_NS8EqualityEEEPlJS6_EEE10hipError_tPvRmT3_T4_T5_T6_T7_T9_mT8_P12ihipStream_tbDpT10_ENKUlT_T0_E_clISt17integral_constantIbLb0EES17_EEDaS12_S13_EUlS12_E_NS1_11comp_targetILNS1_3genE10ELNS1_11target_archE1200ELNS1_3gpuE4ELNS1_3repE0EEENS1_30default_config_static_selectorELNS0_4arch9wavefront6targetE1EEEvT1_.kd
    .uniform_work_group_size: 1
    .uses_dynamic_stack: false
    .vgpr_count:     0
    .vgpr_spill_count: 0
    .wavefront_size: 64
  - .agpr_count:     0
    .args:
      - .offset:         0
        .size:           112
        .value_kind:     by_value
    .group_segment_fixed_size: 0
    .kernarg_segment_align: 8
    .kernarg_segment_size: 112
    .language:       OpenCL C
    .language_version:
      - 2
      - 0
    .max_flat_workgroup_size: 512
    .name:           _ZN7rocprim17ROCPRIM_400000_NS6detail17trampoline_kernelINS0_14default_configENS1_25partition_config_selectorILNS1_17partition_subalgoE8EdNS0_10empty_typeEbEEZZNS1_14partition_implILS5_8ELb0ES3_jPKdPS6_PKS6_NS0_5tupleIJPdS6_EEENSE_IJSB_SB_EEENS0_18inequality_wrapperIN6hipcub16HIPCUB_304000_NS8EqualityEEEPlJS6_EEE10hipError_tPvRmT3_T4_T5_T6_T7_T9_mT8_P12ihipStream_tbDpT10_ENKUlT_T0_E_clISt17integral_constantIbLb0EES17_EEDaS12_S13_EUlS12_E_NS1_11comp_targetILNS1_3genE9ELNS1_11target_archE1100ELNS1_3gpuE3ELNS1_3repE0EEENS1_30default_config_static_selectorELNS0_4arch9wavefront6targetE1EEEvT1_
    .private_segment_fixed_size: 0
    .sgpr_count:     6
    .sgpr_spill_count: 0
    .symbol:         _ZN7rocprim17ROCPRIM_400000_NS6detail17trampoline_kernelINS0_14default_configENS1_25partition_config_selectorILNS1_17partition_subalgoE8EdNS0_10empty_typeEbEEZZNS1_14partition_implILS5_8ELb0ES3_jPKdPS6_PKS6_NS0_5tupleIJPdS6_EEENSE_IJSB_SB_EEENS0_18inequality_wrapperIN6hipcub16HIPCUB_304000_NS8EqualityEEEPlJS6_EEE10hipError_tPvRmT3_T4_T5_T6_T7_T9_mT8_P12ihipStream_tbDpT10_ENKUlT_T0_E_clISt17integral_constantIbLb0EES17_EEDaS12_S13_EUlS12_E_NS1_11comp_targetILNS1_3genE9ELNS1_11target_archE1100ELNS1_3gpuE3ELNS1_3repE0EEENS1_30default_config_static_selectorELNS0_4arch9wavefront6targetE1EEEvT1_.kd
    .uniform_work_group_size: 1
    .uses_dynamic_stack: false
    .vgpr_count:     0
    .vgpr_spill_count: 0
    .wavefront_size: 64
  - .agpr_count:     0
    .args:
      - .offset:         0
        .size:           112
        .value_kind:     by_value
    .group_segment_fixed_size: 0
    .kernarg_segment_align: 8
    .kernarg_segment_size: 112
    .language:       OpenCL C
    .language_version:
      - 2
      - 0
    .max_flat_workgroup_size: 512
    .name:           _ZN7rocprim17ROCPRIM_400000_NS6detail17trampoline_kernelINS0_14default_configENS1_25partition_config_selectorILNS1_17partition_subalgoE8EdNS0_10empty_typeEbEEZZNS1_14partition_implILS5_8ELb0ES3_jPKdPS6_PKS6_NS0_5tupleIJPdS6_EEENSE_IJSB_SB_EEENS0_18inequality_wrapperIN6hipcub16HIPCUB_304000_NS8EqualityEEEPlJS6_EEE10hipError_tPvRmT3_T4_T5_T6_T7_T9_mT8_P12ihipStream_tbDpT10_ENKUlT_T0_E_clISt17integral_constantIbLb0EES17_EEDaS12_S13_EUlS12_E_NS1_11comp_targetILNS1_3genE8ELNS1_11target_archE1030ELNS1_3gpuE2ELNS1_3repE0EEENS1_30default_config_static_selectorELNS0_4arch9wavefront6targetE1EEEvT1_
    .private_segment_fixed_size: 0
    .sgpr_count:     6
    .sgpr_spill_count: 0
    .symbol:         _ZN7rocprim17ROCPRIM_400000_NS6detail17trampoline_kernelINS0_14default_configENS1_25partition_config_selectorILNS1_17partition_subalgoE8EdNS0_10empty_typeEbEEZZNS1_14partition_implILS5_8ELb0ES3_jPKdPS6_PKS6_NS0_5tupleIJPdS6_EEENSE_IJSB_SB_EEENS0_18inequality_wrapperIN6hipcub16HIPCUB_304000_NS8EqualityEEEPlJS6_EEE10hipError_tPvRmT3_T4_T5_T6_T7_T9_mT8_P12ihipStream_tbDpT10_ENKUlT_T0_E_clISt17integral_constantIbLb0EES17_EEDaS12_S13_EUlS12_E_NS1_11comp_targetILNS1_3genE8ELNS1_11target_archE1030ELNS1_3gpuE2ELNS1_3repE0EEENS1_30default_config_static_selectorELNS0_4arch9wavefront6targetE1EEEvT1_.kd
    .uniform_work_group_size: 1
    .uses_dynamic_stack: false
    .vgpr_count:     0
    .vgpr_spill_count: 0
    .wavefront_size: 64
  - .agpr_count:     0
    .args:
      - .offset:         0
        .size:           128
        .value_kind:     by_value
    .group_segment_fixed_size: 0
    .kernarg_segment_align: 8
    .kernarg_segment_size: 128
    .language:       OpenCL C
    .language_version:
      - 2
      - 0
    .max_flat_workgroup_size: 512
    .name:           _ZN7rocprim17ROCPRIM_400000_NS6detail17trampoline_kernelINS0_14default_configENS1_25partition_config_selectorILNS1_17partition_subalgoE8EdNS0_10empty_typeEbEEZZNS1_14partition_implILS5_8ELb0ES3_jPKdPS6_PKS6_NS0_5tupleIJPdS6_EEENSE_IJSB_SB_EEENS0_18inequality_wrapperIN6hipcub16HIPCUB_304000_NS8EqualityEEEPlJS6_EEE10hipError_tPvRmT3_T4_T5_T6_T7_T9_mT8_P12ihipStream_tbDpT10_ENKUlT_T0_E_clISt17integral_constantIbLb1EES17_EEDaS12_S13_EUlS12_E_NS1_11comp_targetILNS1_3genE0ELNS1_11target_archE4294967295ELNS1_3gpuE0ELNS1_3repE0EEENS1_30default_config_static_selectorELNS0_4arch9wavefront6targetE1EEEvT1_
    .private_segment_fixed_size: 0
    .sgpr_count:     6
    .sgpr_spill_count: 0
    .symbol:         _ZN7rocprim17ROCPRIM_400000_NS6detail17trampoline_kernelINS0_14default_configENS1_25partition_config_selectorILNS1_17partition_subalgoE8EdNS0_10empty_typeEbEEZZNS1_14partition_implILS5_8ELb0ES3_jPKdPS6_PKS6_NS0_5tupleIJPdS6_EEENSE_IJSB_SB_EEENS0_18inequality_wrapperIN6hipcub16HIPCUB_304000_NS8EqualityEEEPlJS6_EEE10hipError_tPvRmT3_T4_T5_T6_T7_T9_mT8_P12ihipStream_tbDpT10_ENKUlT_T0_E_clISt17integral_constantIbLb1EES17_EEDaS12_S13_EUlS12_E_NS1_11comp_targetILNS1_3genE0ELNS1_11target_archE4294967295ELNS1_3gpuE0ELNS1_3repE0EEENS1_30default_config_static_selectorELNS0_4arch9wavefront6targetE1EEEvT1_.kd
    .uniform_work_group_size: 1
    .uses_dynamic_stack: false
    .vgpr_count:     0
    .vgpr_spill_count: 0
    .wavefront_size: 64
  - .agpr_count:     0
    .args:
      - .offset:         0
        .size:           128
        .value_kind:     by_value
    .group_segment_fixed_size: 28680
    .kernarg_segment_align: 8
    .kernarg_segment_size: 128
    .language:       OpenCL C
    .language_version:
      - 2
      - 0
    .max_flat_workgroup_size: 512
    .name:           _ZN7rocprim17ROCPRIM_400000_NS6detail17trampoline_kernelINS0_14default_configENS1_25partition_config_selectorILNS1_17partition_subalgoE8EdNS0_10empty_typeEbEEZZNS1_14partition_implILS5_8ELb0ES3_jPKdPS6_PKS6_NS0_5tupleIJPdS6_EEENSE_IJSB_SB_EEENS0_18inequality_wrapperIN6hipcub16HIPCUB_304000_NS8EqualityEEEPlJS6_EEE10hipError_tPvRmT3_T4_T5_T6_T7_T9_mT8_P12ihipStream_tbDpT10_ENKUlT_T0_E_clISt17integral_constantIbLb1EES17_EEDaS12_S13_EUlS12_E_NS1_11comp_targetILNS1_3genE5ELNS1_11target_archE942ELNS1_3gpuE9ELNS1_3repE0EEENS1_30default_config_static_selectorELNS0_4arch9wavefront6targetE1EEEvT1_
    .private_segment_fixed_size: 0
    .sgpr_count:     46
    .sgpr_spill_count: 0
    .symbol:         _ZN7rocprim17ROCPRIM_400000_NS6detail17trampoline_kernelINS0_14default_configENS1_25partition_config_selectorILNS1_17partition_subalgoE8EdNS0_10empty_typeEbEEZZNS1_14partition_implILS5_8ELb0ES3_jPKdPS6_PKS6_NS0_5tupleIJPdS6_EEENSE_IJSB_SB_EEENS0_18inequality_wrapperIN6hipcub16HIPCUB_304000_NS8EqualityEEEPlJS6_EEE10hipError_tPvRmT3_T4_T5_T6_T7_T9_mT8_P12ihipStream_tbDpT10_ENKUlT_T0_E_clISt17integral_constantIbLb1EES17_EEDaS12_S13_EUlS12_E_NS1_11comp_targetILNS1_3genE5ELNS1_11target_archE942ELNS1_3gpuE9ELNS1_3repE0EEENS1_30default_config_static_selectorELNS0_4arch9wavefront6targetE1EEEvT1_.kd
    .uniform_work_group_size: 1
    .uses_dynamic_stack: false
    .vgpr_count:     55
    .vgpr_spill_count: 0
    .wavefront_size: 64
  - .agpr_count:     0
    .args:
      - .offset:         0
        .size:           128
        .value_kind:     by_value
    .group_segment_fixed_size: 0
    .kernarg_segment_align: 8
    .kernarg_segment_size: 128
    .language:       OpenCL C
    .language_version:
      - 2
      - 0
    .max_flat_workgroup_size: 256
    .name:           _ZN7rocprim17ROCPRIM_400000_NS6detail17trampoline_kernelINS0_14default_configENS1_25partition_config_selectorILNS1_17partition_subalgoE8EdNS0_10empty_typeEbEEZZNS1_14partition_implILS5_8ELb0ES3_jPKdPS6_PKS6_NS0_5tupleIJPdS6_EEENSE_IJSB_SB_EEENS0_18inequality_wrapperIN6hipcub16HIPCUB_304000_NS8EqualityEEEPlJS6_EEE10hipError_tPvRmT3_T4_T5_T6_T7_T9_mT8_P12ihipStream_tbDpT10_ENKUlT_T0_E_clISt17integral_constantIbLb1EES17_EEDaS12_S13_EUlS12_E_NS1_11comp_targetILNS1_3genE4ELNS1_11target_archE910ELNS1_3gpuE8ELNS1_3repE0EEENS1_30default_config_static_selectorELNS0_4arch9wavefront6targetE1EEEvT1_
    .private_segment_fixed_size: 0
    .sgpr_count:     6
    .sgpr_spill_count: 0
    .symbol:         _ZN7rocprim17ROCPRIM_400000_NS6detail17trampoline_kernelINS0_14default_configENS1_25partition_config_selectorILNS1_17partition_subalgoE8EdNS0_10empty_typeEbEEZZNS1_14partition_implILS5_8ELb0ES3_jPKdPS6_PKS6_NS0_5tupleIJPdS6_EEENSE_IJSB_SB_EEENS0_18inequality_wrapperIN6hipcub16HIPCUB_304000_NS8EqualityEEEPlJS6_EEE10hipError_tPvRmT3_T4_T5_T6_T7_T9_mT8_P12ihipStream_tbDpT10_ENKUlT_T0_E_clISt17integral_constantIbLb1EES17_EEDaS12_S13_EUlS12_E_NS1_11comp_targetILNS1_3genE4ELNS1_11target_archE910ELNS1_3gpuE8ELNS1_3repE0EEENS1_30default_config_static_selectorELNS0_4arch9wavefront6targetE1EEEvT1_.kd
    .uniform_work_group_size: 1
    .uses_dynamic_stack: false
    .vgpr_count:     0
    .vgpr_spill_count: 0
    .wavefront_size: 64
  - .agpr_count:     0
    .args:
      - .offset:         0
        .size:           128
        .value_kind:     by_value
    .group_segment_fixed_size: 0
    .kernarg_segment_align: 8
    .kernarg_segment_size: 128
    .language:       OpenCL C
    .language_version:
      - 2
      - 0
    .max_flat_workgroup_size: 512
    .name:           _ZN7rocprim17ROCPRIM_400000_NS6detail17trampoline_kernelINS0_14default_configENS1_25partition_config_selectorILNS1_17partition_subalgoE8EdNS0_10empty_typeEbEEZZNS1_14partition_implILS5_8ELb0ES3_jPKdPS6_PKS6_NS0_5tupleIJPdS6_EEENSE_IJSB_SB_EEENS0_18inequality_wrapperIN6hipcub16HIPCUB_304000_NS8EqualityEEEPlJS6_EEE10hipError_tPvRmT3_T4_T5_T6_T7_T9_mT8_P12ihipStream_tbDpT10_ENKUlT_T0_E_clISt17integral_constantIbLb1EES17_EEDaS12_S13_EUlS12_E_NS1_11comp_targetILNS1_3genE3ELNS1_11target_archE908ELNS1_3gpuE7ELNS1_3repE0EEENS1_30default_config_static_selectorELNS0_4arch9wavefront6targetE1EEEvT1_
    .private_segment_fixed_size: 0
    .sgpr_count:     6
    .sgpr_spill_count: 0
    .symbol:         _ZN7rocprim17ROCPRIM_400000_NS6detail17trampoline_kernelINS0_14default_configENS1_25partition_config_selectorILNS1_17partition_subalgoE8EdNS0_10empty_typeEbEEZZNS1_14partition_implILS5_8ELb0ES3_jPKdPS6_PKS6_NS0_5tupleIJPdS6_EEENSE_IJSB_SB_EEENS0_18inequality_wrapperIN6hipcub16HIPCUB_304000_NS8EqualityEEEPlJS6_EEE10hipError_tPvRmT3_T4_T5_T6_T7_T9_mT8_P12ihipStream_tbDpT10_ENKUlT_T0_E_clISt17integral_constantIbLb1EES17_EEDaS12_S13_EUlS12_E_NS1_11comp_targetILNS1_3genE3ELNS1_11target_archE908ELNS1_3gpuE7ELNS1_3repE0EEENS1_30default_config_static_selectorELNS0_4arch9wavefront6targetE1EEEvT1_.kd
    .uniform_work_group_size: 1
    .uses_dynamic_stack: false
    .vgpr_count:     0
    .vgpr_spill_count: 0
    .wavefront_size: 64
  - .agpr_count:     0
    .args:
      - .offset:         0
        .size:           128
        .value_kind:     by_value
    .group_segment_fixed_size: 0
    .kernarg_segment_align: 8
    .kernarg_segment_size: 128
    .language:       OpenCL C
    .language_version:
      - 2
      - 0
    .max_flat_workgroup_size: 256
    .name:           _ZN7rocprim17ROCPRIM_400000_NS6detail17trampoline_kernelINS0_14default_configENS1_25partition_config_selectorILNS1_17partition_subalgoE8EdNS0_10empty_typeEbEEZZNS1_14partition_implILS5_8ELb0ES3_jPKdPS6_PKS6_NS0_5tupleIJPdS6_EEENSE_IJSB_SB_EEENS0_18inequality_wrapperIN6hipcub16HIPCUB_304000_NS8EqualityEEEPlJS6_EEE10hipError_tPvRmT3_T4_T5_T6_T7_T9_mT8_P12ihipStream_tbDpT10_ENKUlT_T0_E_clISt17integral_constantIbLb1EES17_EEDaS12_S13_EUlS12_E_NS1_11comp_targetILNS1_3genE2ELNS1_11target_archE906ELNS1_3gpuE6ELNS1_3repE0EEENS1_30default_config_static_selectorELNS0_4arch9wavefront6targetE1EEEvT1_
    .private_segment_fixed_size: 0
    .sgpr_count:     6
    .sgpr_spill_count: 0
    .symbol:         _ZN7rocprim17ROCPRIM_400000_NS6detail17trampoline_kernelINS0_14default_configENS1_25partition_config_selectorILNS1_17partition_subalgoE8EdNS0_10empty_typeEbEEZZNS1_14partition_implILS5_8ELb0ES3_jPKdPS6_PKS6_NS0_5tupleIJPdS6_EEENSE_IJSB_SB_EEENS0_18inequality_wrapperIN6hipcub16HIPCUB_304000_NS8EqualityEEEPlJS6_EEE10hipError_tPvRmT3_T4_T5_T6_T7_T9_mT8_P12ihipStream_tbDpT10_ENKUlT_T0_E_clISt17integral_constantIbLb1EES17_EEDaS12_S13_EUlS12_E_NS1_11comp_targetILNS1_3genE2ELNS1_11target_archE906ELNS1_3gpuE6ELNS1_3repE0EEENS1_30default_config_static_selectorELNS0_4arch9wavefront6targetE1EEEvT1_.kd
    .uniform_work_group_size: 1
    .uses_dynamic_stack: false
    .vgpr_count:     0
    .vgpr_spill_count: 0
    .wavefront_size: 64
  - .agpr_count:     0
    .args:
      - .offset:         0
        .size:           128
        .value_kind:     by_value
    .group_segment_fixed_size: 0
    .kernarg_segment_align: 8
    .kernarg_segment_size: 128
    .language:       OpenCL C
    .language_version:
      - 2
      - 0
    .max_flat_workgroup_size: 384
    .name:           _ZN7rocprim17ROCPRIM_400000_NS6detail17trampoline_kernelINS0_14default_configENS1_25partition_config_selectorILNS1_17partition_subalgoE8EdNS0_10empty_typeEbEEZZNS1_14partition_implILS5_8ELb0ES3_jPKdPS6_PKS6_NS0_5tupleIJPdS6_EEENSE_IJSB_SB_EEENS0_18inequality_wrapperIN6hipcub16HIPCUB_304000_NS8EqualityEEEPlJS6_EEE10hipError_tPvRmT3_T4_T5_T6_T7_T9_mT8_P12ihipStream_tbDpT10_ENKUlT_T0_E_clISt17integral_constantIbLb1EES17_EEDaS12_S13_EUlS12_E_NS1_11comp_targetILNS1_3genE10ELNS1_11target_archE1200ELNS1_3gpuE4ELNS1_3repE0EEENS1_30default_config_static_selectorELNS0_4arch9wavefront6targetE1EEEvT1_
    .private_segment_fixed_size: 0
    .sgpr_count:     6
    .sgpr_spill_count: 0
    .symbol:         _ZN7rocprim17ROCPRIM_400000_NS6detail17trampoline_kernelINS0_14default_configENS1_25partition_config_selectorILNS1_17partition_subalgoE8EdNS0_10empty_typeEbEEZZNS1_14partition_implILS5_8ELb0ES3_jPKdPS6_PKS6_NS0_5tupleIJPdS6_EEENSE_IJSB_SB_EEENS0_18inequality_wrapperIN6hipcub16HIPCUB_304000_NS8EqualityEEEPlJS6_EEE10hipError_tPvRmT3_T4_T5_T6_T7_T9_mT8_P12ihipStream_tbDpT10_ENKUlT_T0_E_clISt17integral_constantIbLb1EES17_EEDaS12_S13_EUlS12_E_NS1_11comp_targetILNS1_3genE10ELNS1_11target_archE1200ELNS1_3gpuE4ELNS1_3repE0EEENS1_30default_config_static_selectorELNS0_4arch9wavefront6targetE1EEEvT1_.kd
    .uniform_work_group_size: 1
    .uses_dynamic_stack: false
    .vgpr_count:     0
    .vgpr_spill_count: 0
    .wavefront_size: 64
  - .agpr_count:     0
    .args:
      - .offset:         0
        .size:           128
        .value_kind:     by_value
    .group_segment_fixed_size: 0
    .kernarg_segment_align: 8
    .kernarg_segment_size: 128
    .language:       OpenCL C
    .language_version:
      - 2
      - 0
    .max_flat_workgroup_size: 512
    .name:           _ZN7rocprim17ROCPRIM_400000_NS6detail17trampoline_kernelINS0_14default_configENS1_25partition_config_selectorILNS1_17partition_subalgoE8EdNS0_10empty_typeEbEEZZNS1_14partition_implILS5_8ELb0ES3_jPKdPS6_PKS6_NS0_5tupleIJPdS6_EEENSE_IJSB_SB_EEENS0_18inequality_wrapperIN6hipcub16HIPCUB_304000_NS8EqualityEEEPlJS6_EEE10hipError_tPvRmT3_T4_T5_T6_T7_T9_mT8_P12ihipStream_tbDpT10_ENKUlT_T0_E_clISt17integral_constantIbLb1EES17_EEDaS12_S13_EUlS12_E_NS1_11comp_targetILNS1_3genE9ELNS1_11target_archE1100ELNS1_3gpuE3ELNS1_3repE0EEENS1_30default_config_static_selectorELNS0_4arch9wavefront6targetE1EEEvT1_
    .private_segment_fixed_size: 0
    .sgpr_count:     6
    .sgpr_spill_count: 0
    .symbol:         _ZN7rocprim17ROCPRIM_400000_NS6detail17trampoline_kernelINS0_14default_configENS1_25partition_config_selectorILNS1_17partition_subalgoE8EdNS0_10empty_typeEbEEZZNS1_14partition_implILS5_8ELb0ES3_jPKdPS6_PKS6_NS0_5tupleIJPdS6_EEENSE_IJSB_SB_EEENS0_18inequality_wrapperIN6hipcub16HIPCUB_304000_NS8EqualityEEEPlJS6_EEE10hipError_tPvRmT3_T4_T5_T6_T7_T9_mT8_P12ihipStream_tbDpT10_ENKUlT_T0_E_clISt17integral_constantIbLb1EES17_EEDaS12_S13_EUlS12_E_NS1_11comp_targetILNS1_3genE9ELNS1_11target_archE1100ELNS1_3gpuE3ELNS1_3repE0EEENS1_30default_config_static_selectorELNS0_4arch9wavefront6targetE1EEEvT1_.kd
    .uniform_work_group_size: 1
    .uses_dynamic_stack: false
    .vgpr_count:     0
    .vgpr_spill_count: 0
    .wavefront_size: 64
  - .agpr_count:     0
    .args:
      - .offset:         0
        .size:           128
        .value_kind:     by_value
    .group_segment_fixed_size: 0
    .kernarg_segment_align: 8
    .kernarg_segment_size: 128
    .language:       OpenCL C
    .language_version:
      - 2
      - 0
    .max_flat_workgroup_size: 512
    .name:           _ZN7rocprim17ROCPRIM_400000_NS6detail17trampoline_kernelINS0_14default_configENS1_25partition_config_selectorILNS1_17partition_subalgoE8EdNS0_10empty_typeEbEEZZNS1_14partition_implILS5_8ELb0ES3_jPKdPS6_PKS6_NS0_5tupleIJPdS6_EEENSE_IJSB_SB_EEENS0_18inequality_wrapperIN6hipcub16HIPCUB_304000_NS8EqualityEEEPlJS6_EEE10hipError_tPvRmT3_T4_T5_T6_T7_T9_mT8_P12ihipStream_tbDpT10_ENKUlT_T0_E_clISt17integral_constantIbLb1EES17_EEDaS12_S13_EUlS12_E_NS1_11comp_targetILNS1_3genE8ELNS1_11target_archE1030ELNS1_3gpuE2ELNS1_3repE0EEENS1_30default_config_static_selectorELNS0_4arch9wavefront6targetE1EEEvT1_
    .private_segment_fixed_size: 0
    .sgpr_count:     6
    .sgpr_spill_count: 0
    .symbol:         _ZN7rocprim17ROCPRIM_400000_NS6detail17trampoline_kernelINS0_14default_configENS1_25partition_config_selectorILNS1_17partition_subalgoE8EdNS0_10empty_typeEbEEZZNS1_14partition_implILS5_8ELb0ES3_jPKdPS6_PKS6_NS0_5tupleIJPdS6_EEENSE_IJSB_SB_EEENS0_18inequality_wrapperIN6hipcub16HIPCUB_304000_NS8EqualityEEEPlJS6_EEE10hipError_tPvRmT3_T4_T5_T6_T7_T9_mT8_P12ihipStream_tbDpT10_ENKUlT_T0_E_clISt17integral_constantIbLb1EES17_EEDaS12_S13_EUlS12_E_NS1_11comp_targetILNS1_3genE8ELNS1_11target_archE1030ELNS1_3gpuE2ELNS1_3repE0EEENS1_30default_config_static_selectorELNS0_4arch9wavefront6targetE1EEEvT1_.kd
    .uniform_work_group_size: 1
    .uses_dynamic_stack: false
    .vgpr_count:     0
    .vgpr_spill_count: 0
    .wavefront_size: 64
  - .agpr_count:     0
    .args:
      - .offset:         0
        .size:           112
        .value_kind:     by_value
    .group_segment_fixed_size: 0
    .kernarg_segment_align: 8
    .kernarg_segment_size: 112
    .language:       OpenCL C
    .language_version:
      - 2
      - 0
    .max_flat_workgroup_size: 512
    .name:           _ZN7rocprim17ROCPRIM_400000_NS6detail17trampoline_kernelINS0_14default_configENS1_25partition_config_selectorILNS1_17partition_subalgoE8EdNS0_10empty_typeEbEEZZNS1_14partition_implILS5_8ELb0ES3_jPKdPS6_PKS6_NS0_5tupleIJPdS6_EEENSE_IJSB_SB_EEENS0_18inequality_wrapperIN6hipcub16HIPCUB_304000_NS8EqualityEEEPlJS6_EEE10hipError_tPvRmT3_T4_T5_T6_T7_T9_mT8_P12ihipStream_tbDpT10_ENKUlT_T0_E_clISt17integral_constantIbLb1EES16_IbLb0EEEEDaS12_S13_EUlS12_E_NS1_11comp_targetILNS1_3genE0ELNS1_11target_archE4294967295ELNS1_3gpuE0ELNS1_3repE0EEENS1_30default_config_static_selectorELNS0_4arch9wavefront6targetE1EEEvT1_
    .private_segment_fixed_size: 0
    .sgpr_count:     6
    .sgpr_spill_count: 0
    .symbol:         _ZN7rocprim17ROCPRIM_400000_NS6detail17trampoline_kernelINS0_14default_configENS1_25partition_config_selectorILNS1_17partition_subalgoE8EdNS0_10empty_typeEbEEZZNS1_14partition_implILS5_8ELb0ES3_jPKdPS6_PKS6_NS0_5tupleIJPdS6_EEENSE_IJSB_SB_EEENS0_18inequality_wrapperIN6hipcub16HIPCUB_304000_NS8EqualityEEEPlJS6_EEE10hipError_tPvRmT3_T4_T5_T6_T7_T9_mT8_P12ihipStream_tbDpT10_ENKUlT_T0_E_clISt17integral_constantIbLb1EES16_IbLb0EEEEDaS12_S13_EUlS12_E_NS1_11comp_targetILNS1_3genE0ELNS1_11target_archE4294967295ELNS1_3gpuE0ELNS1_3repE0EEENS1_30default_config_static_selectorELNS0_4arch9wavefront6targetE1EEEvT1_.kd
    .uniform_work_group_size: 1
    .uses_dynamic_stack: false
    .vgpr_count:     0
    .vgpr_spill_count: 0
    .wavefront_size: 64
  - .agpr_count:     0
    .args:
      - .offset:         0
        .size:           112
        .value_kind:     by_value
    .group_segment_fixed_size: 28680
    .kernarg_segment_align: 8
    .kernarg_segment_size: 112
    .language:       OpenCL C
    .language_version:
      - 2
      - 0
    .max_flat_workgroup_size: 512
    .name:           _ZN7rocprim17ROCPRIM_400000_NS6detail17trampoline_kernelINS0_14default_configENS1_25partition_config_selectorILNS1_17partition_subalgoE8EdNS0_10empty_typeEbEEZZNS1_14partition_implILS5_8ELb0ES3_jPKdPS6_PKS6_NS0_5tupleIJPdS6_EEENSE_IJSB_SB_EEENS0_18inequality_wrapperIN6hipcub16HIPCUB_304000_NS8EqualityEEEPlJS6_EEE10hipError_tPvRmT3_T4_T5_T6_T7_T9_mT8_P12ihipStream_tbDpT10_ENKUlT_T0_E_clISt17integral_constantIbLb1EES16_IbLb0EEEEDaS12_S13_EUlS12_E_NS1_11comp_targetILNS1_3genE5ELNS1_11target_archE942ELNS1_3gpuE9ELNS1_3repE0EEENS1_30default_config_static_selectorELNS0_4arch9wavefront6targetE1EEEvT1_
    .private_segment_fixed_size: 0
    .sgpr_count:     46
    .sgpr_spill_count: 0
    .symbol:         _ZN7rocprim17ROCPRIM_400000_NS6detail17trampoline_kernelINS0_14default_configENS1_25partition_config_selectorILNS1_17partition_subalgoE8EdNS0_10empty_typeEbEEZZNS1_14partition_implILS5_8ELb0ES3_jPKdPS6_PKS6_NS0_5tupleIJPdS6_EEENSE_IJSB_SB_EEENS0_18inequality_wrapperIN6hipcub16HIPCUB_304000_NS8EqualityEEEPlJS6_EEE10hipError_tPvRmT3_T4_T5_T6_T7_T9_mT8_P12ihipStream_tbDpT10_ENKUlT_T0_E_clISt17integral_constantIbLb1EES16_IbLb0EEEEDaS12_S13_EUlS12_E_NS1_11comp_targetILNS1_3genE5ELNS1_11target_archE942ELNS1_3gpuE9ELNS1_3repE0EEENS1_30default_config_static_selectorELNS0_4arch9wavefront6targetE1EEEvT1_.kd
    .uniform_work_group_size: 1
    .uses_dynamic_stack: false
    .vgpr_count:     53
    .vgpr_spill_count: 0
    .wavefront_size: 64
  - .agpr_count:     0
    .args:
      - .offset:         0
        .size:           112
        .value_kind:     by_value
    .group_segment_fixed_size: 0
    .kernarg_segment_align: 8
    .kernarg_segment_size: 112
    .language:       OpenCL C
    .language_version:
      - 2
      - 0
    .max_flat_workgroup_size: 256
    .name:           _ZN7rocprim17ROCPRIM_400000_NS6detail17trampoline_kernelINS0_14default_configENS1_25partition_config_selectorILNS1_17partition_subalgoE8EdNS0_10empty_typeEbEEZZNS1_14partition_implILS5_8ELb0ES3_jPKdPS6_PKS6_NS0_5tupleIJPdS6_EEENSE_IJSB_SB_EEENS0_18inequality_wrapperIN6hipcub16HIPCUB_304000_NS8EqualityEEEPlJS6_EEE10hipError_tPvRmT3_T4_T5_T6_T7_T9_mT8_P12ihipStream_tbDpT10_ENKUlT_T0_E_clISt17integral_constantIbLb1EES16_IbLb0EEEEDaS12_S13_EUlS12_E_NS1_11comp_targetILNS1_3genE4ELNS1_11target_archE910ELNS1_3gpuE8ELNS1_3repE0EEENS1_30default_config_static_selectorELNS0_4arch9wavefront6targetE1EEEvT1_
    .private_segment_fixed_size: 0
    .sgpr_count:     6
    .sgpr_spill_count: 0
    .symbol:         _ZN7rocprim17ROCPRIM_400000_NS6detail17trampoline_kernelINS0_14default_configENS1_25partition_config_selectorILNS1_17partition_subalgoE8EdNS0_10empty_typeEbEEZZNS1_14partition_implILS5_8ELb0ES3_jPKdPS6_PKS6_NS0_5tupleIJPdS6_EEENSE_IJSB_SB_EEENS0_18inequality_wrapperIN6hipcub16HIPCUB_304000_NS8EqualityEEEPlJS6_EEE10hipError_tPvRmT3_T4_T5_T6_T7_T9_mT8_P12ihipStream_tbDpT10_ENKUlT_T0_E_clISt17integral_constantIbLb1EES16_IbLb0EEEEDaS12_S13_EUlS12_E_NS1_11comp_targetILNS1_3genE4ELNS1_11target_archE910ELNS1_3gpuE8ELNS1_3repE0EEENS1_30default_config_static_selectorELNS0_4arch9wavefront6targetE1EEEvT1_.kd
    .uniform_work_group_size: 1
    .uses_dynamic_stack: false
    .vgpr_count:     0
    .vgpr_spill_count: 0
    .wavefront_size: 64
  - .agpr_count:     0
    .args:
      - .offset:         0
        .size:           112
        .value_kind:     by_value
    .group_segment_fixed_size: 0
    .kernarg_segment_align: 8
    .kernarg_segment_size: 112
    .language:       OpenCL C
    .language_version:
      - 2
      - 0
    .max_flat_workgroup_size: 512
    .name:           _ZN7rocprim17ROCPRIM_400000_NS6detail17trampoline_kernelINS0_14default_configENS1_25partition_config_selectorILNS1_17partition_subalgoE8EdNS0_10empty_typeEbEEZZNS1_14partition_implILS5_8ELb0ES3_jPKdPS6_PKS6_NS0_5tupleIJPdS6_EEENSE_IJSB_SB_EEENS0_18inequality_wrapperIN6hipcub16HIPCUB_304000_NS8EqualityEEEPlJS6_EEE10hipError_tPvRmT3_T4_T5_T6_T7_T9_mT8_P12ihipStream_tbDpT10_ENKUlT_T0_E_clISt17integral_constantIbLb1EES16_IbLb0EEEEDaS12_S13_EUlS12_E_NS1_11comp_targetILNS1_3genE3ELNS1_11target_archE908ELNS1_3gpuE7ELNS1_3repE0EEENS1_30default_config_static_selectorELNS0_4arch9wavefront6targetE1EEEvT1_
    .private_segment_fixed_size: 0
    .sgpr_count:     6
    .sgpr_spill_count: 0
    .symbol:         _ZN7rocprim17ROCPRIM_400000_NS6detail17trampoline_kernelINS0_14default_configENS1_25partition_config_selectorILNS1_17partition_subalgoE8EdNS0_10empty_typeEbEEZZNS1_14partition_implILS5_8ELb0ES3_jPKdPS6_PKS6_NS0_5tupleIJPdS6_EEENSE_IJSB_SB_EEENS0_18inequality_wrapperIN6hipcub16HIPCUB_304000_NS8EqualityEEEPlJS6_EEE10hipError_tPvRmT3_T4_T5_T6_T7_T9_mT8_P12ihipStream_tbDpT10_ENKUlT_T0_E_clISt17integral_constantIbLb1EES16_IbLb0EEEEDaS12_S13_EUlS12_E_NS1_11comp_targetILNS1_3genE3ELNS1_11target_archE908ELNS1_3gpuE7ELNS1_3repE0EEENS1_30default_config_static_selectorELNS0_4arch9wavefront6targetE1EEEvT1_.kd
    .uniform_work_group_size: 1
    .uses_dynamic_stack: false
    .vgpr_count:     0
    .vgpr_spill_count: 0
    .wavefront_size: 64
  - .agpr_count:     0
    .args:
      - .offset:         0
        .size:           112
        .value_kind:     by_value
    .group_segment_fixed_size: 0
    .kernarg_segment_align: 8
    .kernarg_segment_size: 112
    .language:       OpenCL C
    .language_version:
      - 2
      - 0
    .max_flat_workgroup_size: 256
    .name:           _ZN7rocprim17ROCPRIM_400000_NS6detail17trampoline_kernelINS0_14default_configENS1_25partition_config_selectorILNS1_17partition_subalgoE8EdNS0_10empty_typeEbEEZZNS1_14partition_implILS5_8ELb0ES3_jPKdPS6_PKS6_NS0_5tupleIJPdS6_EEENSE_IJSB_SB_EEENS0_18inequality_wrapperIN6hipcub16HIPCUB_304000_NS8EqualityEEEPlJS6_EEE10hipError_tPvRmT3_T4_T5_T6_T7_T9_mT8_P12ihipStream_tbDpT10_ENKUlT_T0_E_clISt17integral_constantIbLb1EES16_IbLb0EEEEDaS12_S13_EUlS12_E_NS1_11comp_targetILNS1_3genE2ELNS1_11target_archE906ELNS1_3gpuE6ELNS1_3repE0EEENS1_30default_config_static_selectorELNS0_4arch9wavefront6targetE1EEEvT1_
    .private_segment_fixed_size: 0
    .sgpr_count:     6
    .sgpr_spill_count: 0
    .symbol:         _ZN7rocprim17ROCPRIM_400000_NS6detail17trampoline_kernelINS0_14default_configENS1_25partition_config_selectorILNS1_17partition_subalgoE8EdNS0_10empty_typeEbEEZZNS1_14partition_implILS5_8ELb0ES3_jPKdPS6_PKS6_NS0_5tupleIJPdS6_EEENSE_IJSB_SB_EEENS0_18inequality_wrapperIN6hipcub16HIPCUB_304000_NS8EqualityEEEPlJS6_EEE10hipError_tPvRmT3_T4_T5_T6_T7_T9_mT8_P12ihipStream_tbDpT10_ENKUlT_T0_E_clISt17integral_constantIbLb1EES16_IbLb0EEEEDaS12_S13_EUlS12_E_NS1_11comp_targetILNS1_3genE2ELNS1_11target_archE906ELNS1_3gpuE6ELNS1_3repE0EEENS1_30default_config_static_selectorELNS0_4arch9wavefront6targetE1EEEvT1_.kd
    .uniform_work_group_size: 1
    .uses_dynamic_stack: false
    .vgpr_count:     0
    .vgpr_spill_count: 0
    .wavefront_size: 64
  - .agpr_count:     0
    .args:
      - .offset:         0
        .size:           112
        .value_kind:     by_value
    .group_segment_fixed_size: 0
    .kernarg_segment_align: 8
    .kernarg_segment_size: 112
    .language:       OpenCL C
    .language_version:
      - 2
      - 0
    .max_flat_workgroup_size: 384
    .name:           _ZN7rocprim17ROCPRIM_400000_NS6detail17trampoline_kernelINS0_14default_configENS1_25partition_config_selectorILNS1_17partition_subalgoE8EdNS0_10empty_typeEbEEZZNS1_14partition_implILS5_8ELb0ES3_jPKdPS6_PKS6_NS0_5tupleIJPdS6_EEENSE_IJSB_SB_EEENS0_18inequality_wrapperIN6hipcub16HIPCUB_304000_NS8EqualityEEEPlJS6_EEE10hipError_tPvRmT3_T4_T5_T6_T7_T9_mT8_P12ihipStream_tbDpT10_ENKUlT_T0_E_clISt17integral_constantIbLb1EES16_IbLb0EEEEDaS12_S13_EUlS12_E_NS1_11comp_targetILNS1_3genE10ELNS1_11target_archE1200ELNS1_3gpuE4ELNS1_3repE0EEENS1_30default_config_static_selectorELNS0_4arch9wavefront6targetE1EEEvT1_
    .private_segment_fixed_size: 0
    .sgpr_count:     6
    .sgpr_spill_count: 0
    .symbol:         _ZN7rocprim17ROCPRIM_400000_NS6detail17trampoline_kernelINS0_14default_configENS1_25partition_config_selectorILNS1_17partition_subalgoE8EdNS0_10empty_typeEbEEZZNS1_14partition_implILS5_8ELb0ES3_jPKdPS6_PKS6_NS0_5tupleIJPdS6_EEENSE_IJSB_SB_EEENS0_18inequality_wrapperIN6hipcub16HIPCUB_304000_NS8EqualityEEEPlJS6_EEE10hipError_tPvRmT3_T4_T5_T6_T7_T9_mT8_P12ihipStream_tbDpT10_ENKUlT_T0_E_clISt17integral_constantIbLb1EES16_IbLb0EEEEDaS12_S13_EUlS12_E_NS1_11comp_targetILNS1_3genE10ELNS1_11target_archE1200ELNS1_3gpuE4ELNS1_3repE0EEENS1_30default_config_static_selectorELNS0_4arch9wavefront6targetE1EEEvT1_.kd
    .uniform_work_group_size: 1
    .uses_dynamic_stack: false
    .vgpr_count:     0
    .vgpr_spill_count: 0
    .wavefront_size: 64
  - .agpr_count:     0
    .args:
      - .offset:         0
        .size:           112
        .value_kind:     by_value
    .group_segment_fixed_size: 0
    .kernarg_segment_align: 8
    .kernarg_segment_size: 112
    .language:       OpenCL C
    .language_version:
      - 2
      - 0
    .max_flat_workgroup_size: 512
    .name:           _ZN7rocprim17ROCPRIM_400000_NS6detail17trampoline_kernelINS0_14default_configENS1_25partition_config_selectorILNS1_17partition_subalgoE8EdNS0_10empty_typeEbEEZZNS1_14partition_implILS5_8ELb0ES3_jPKdPS6_PKS6_NS0_5tupleIJPdS6_EEENSE_IJSB_SB_EEENS0_18inequality_wrapperIN6hipcub16HIPCUB_304000_NS8EqualityEEEPlJS6_EEE10hipError_tPvRmT3_T4_T5_T6_T7_T9_mT8_P12ihipStream_tbDpT10_ENKUlT_T0_E_clISt17integral_constantIbLb1EES16_IbLb0EEEEDaS12_S13_EUlS12_E_NS1_11comp_targetILNS1_3genE9ELNS1_11target_archE1100ELNS1_3gpuE3ELNS1_3repE0EEENS1_30default_config_static_selectorELNS0_4arch9wavefront6targetE1EEEvT1_
    .private_segment_fixed_size: 0
    .sgpr_count:     6
    .sgpr_spill_count: 0
    .symbol:         _ZN7rocprim17ROCPRIM_400000_NS6detail17trampoline_kernelINS0_14default_configENS1_25partition_config_selectorILNS1_17partition_subalgoE8EdNS0_10empty_typeEbEEZZNS1_14partition_implILS5_8ELb0ES3_jPKdPS6_PKS6_NS0_5tupleIJPdS6_EEENSE_IJSB_SB_EEENS0_18inequality_wrapperIN6hipcub16HIPCUB_304000_NS8EqualityEEEPlJS6_EEE10hipError_tPvRmT3_T4_T5_T6_T7_T9_mT8_P12ihipStream_tbDpT10_ENKUlT_T0_E_clISt17integral_constantIbLb1EES16_IbLb0EEEEDaS12_S13_EUlS12_E_NS1_11comp_targetILNS1_3genE9ELNS1_11target_archE1100ELNS1_3gpuE3ELNS1_3repE0EEENS1_30default_config_static_selectorELNS0_4arch9wavefront6targetE1EEEvT1_.kd
    .uniform_work_group_size: 1
    .uses_dynamic_stack: false
    .vgpr_count:     0
    .vgpr_spill_count: 0
    .wavefront_size: 64
  - .agpr_count:     0
    .args:
      - .offset:         0
        .size:           112
        .value_kind:     by_value
    .group_segment_fixed_size: 0
    .kernarg_segment_align: 8
    .kernarg_segment_size: 112
    .language:       OpenCL C
    .language_version:
      - 2
      - 0
    .max_flat_workgroup_size: 512
    .name:           _ZN7rocprim17ROCPRIM_400000_NS6detail17trampoline_kernelINS0_14default_configENS1_25partition_config_selectorILNS1_17partition_subalgoE8EdNS0_10empty_typeEbEEZZNS1_14partition_implILS5_8ELb0ES3_jPKdPS6_PKS6_NS0_5tupleIJPdS6_EEENSE_IJSB_SB_EEENS0_18inequality_wrapperIN6hipcub16HIPCUB_304000_NS8EqualityEEEPlJS6_EEE10hipError_tPvRmT3_T4_T5_T6_T7_T9_mT8_P12ihipStream_tbDpT10_ENKUlT_T0_E_clISt17integral_constantIbLb1EES16_IbLb0EEEEDaS12_S13_EUlS12_E_NS1_11comp_targetILNS1_3genE8ELNS1_11target_archE1030ELNS1_3gpuE2ELNS1_3repE0EEENS1_30default_config_static_selectorELNS0_4arch9wavefront6targetE1EEEvT1_
    .private_segment_fixed_size: 0
    .sgpr_count:     6
    .sgpr_spill_count: 0
    .symbol:         _ZN7rocprim17ROCPRIM_400000_NS6detail17trampoline_kernelINS0_14default_configENS1_25partition_config_selectorILNS1_17partition_subalgoE8EdNS0_10empty_typeEbEEZZNS1_14partition_implILS5_8ELb0ES3_jPKdPS6_PKS6_NS0_5tupleIJPdS6_EEENSE_IJSB_SB_EEENS0_18inequality_wrapperIN6hipcub16HIPCUB_304000_NS8EqualityEEEPlJS6_EEE10hipError_tPvRmT3_T4_T5_T6_T7_T9_mT8_P12ihipStream_tbDpT10_ENKUlT_T0_E_clISt17integral_constantIbLb1EES16_IbLb0EEEEDaS12_S13_EUlS12_E_NS1_11comp_targetILNS1_3genE8ELNS1_11target_archE1030ELNS1_3gpuE2ELNS1_3repE0EEENS1_30default_config_static_selectorELNS0_4arch9wavefront6targetE1EEEvT1_.kd
    .uniform_work_group_size: 1
    .uses_dynamic_stack: false
    .vgpr_count:     0
    .vgpr_spill_count: 0
    .wavefront_size: 64
  - .agpr_count:     0
    .args:
      - .offset:         0
        .size:           128
        .value_kind:     by_value
    .group_segment_fixed_size: 0
    .kernarg_segment_align: 8
    .kernarg_segment_size: 128
    .language:       OpenCL C
    .language_version:
      - 2
      - 0
    .max_flat_workgroup_size: 512
    .name:           _ZN7rocprim17ROCPRIM_400000_NS6detail17trampoline_kernelINS0_14default_configENS1_25partition_config_selectorILNS1_17partition_subalgoE8EdNS0_10empty_typeEbEEZZNS1_14partition_implILS5_8ELb0ES3_jPKdPS6_PKS6_NS0_5tupleIJPdS6_EEENSE_IJSB_SB_EEENS0_18inequality_wrapperIN6hipcub16HIPCUB_304000_NS8EqualityEEEPlJS6_EEE10hipError_tPvRmT3_T4_T5_T6_T7_T9_mT8_P12ihipStream_tbDpT10_ENKUlT_T0_E_clISt17integral_constantIbLb0EES16_IbLb1EEEEDaS12_S13_EUlS12_E_NS1_11comp_targetILNS1_3genE0ELNS1_11target_archE4294967295ELNS1_3gpuE0ELNS1_3repE0EEENS1_30default_config_static_selectorELNS0_4arch9wavefront6targetE1EEEvT1_
    .private_segment_fixed_size: 0
    .sgpr_count:     6
    .sgpr_spill_count: 0
    .symbol:         _ZN7rocprim17ROCPRIM_400000_NS6detail17trampoline_kernelINS0_14default_configENS1_25partition_config_selectorILNS1_17partition_subalgoE8EdNS0_10empty_typeEbEEZZNS1_14partition_implILS5_8ELb0ES3_jPKdPS6_PKS6_NS0_5tupleIJPdS6_EEENSE_IJSB_SB_EEENS0_18inequality_wrapperIN6hipcub16HIPCUB_304000_NS8EqualityEEEPlJS6_EEE10hipError_tPvRmT3_T4_T5_T6_T7_T9_mT8_P12ihipStream_tbDpT10_ENKUlT_T0_E_clISt17integral_constantIbLb0EES16_IbLb1EEEEDaS12_S13_EUlS12_E_NS1_11comp_targetILNS1_3genE0ELNS1_11target_archE4294967295ELNS1_3gpuE0ELNS1_3repE0EEENS1_30default_config_static_selectorELNS0_4arch9wavefront6targetE1EEEvT1_.kd
    .uniform_work_group_size: 1
    .uses_dynamic_stack: false
    .vgpr_count:     0
    .vgpr_spill_count: 0
    .wavefront_size: 64
  - .agpr_count:     0
    .args:
      - .offset:         0
        .size:           128
        .value_kind:     by_value
    .group_segment_fixed_size: 28680
    .kernarg_segment_align: 8
    .kernarg_segment_size: 128
    .language:       OpenCL C
    .language_version:
      - 2
      - 0
    .max_flat_workgroup_size: 512
    .name:           _ZN7rocprim17ROCPRIM_400000_NS6detail17trampoline_kernelINS0_14default_configENS1_25partition_config_selectorILNS1_17partition_subalgoE8EdNS0_10empty_typeEbEEZZNS1_14partition_implILS5_8ELb0ES3_jPKdPS6_PKS6_NS0_5tupleIJPdS6_EEENSE_IJSB_SB_EEENS0_18inequality_wrapperIN6hipcub16HIPCUB_304000_NS8EqualityEEEPlJS6_EEE10hipError_tPvRmT3_T4_T5_T6_T7_T9_mT8_P12ihipStream_tbDpT10_ENKUlT_T0_E_clISt17integral_constantIbLb0EES16_IbLb1EEEEDaS12_S13_EUlS12_E_NS1_11comp_targetILNS1_3genE5ELNS1_11target_archE942ELNS1_3gpuE9ELNS1_3repE0EEENS1_30default_config_static_selectorELNS0_4arch9wavefront6targetE1EEEvT1_
    .private_segment_fixed_size: 0
    .sgpr_count:     44
    .sgpr_spill_count: 0
    .symbol:         _ZN7rocprim17ROCPRIM_400000_NS6detail17trampoline_kernelINS0_14default_configENS1_25partition_config_selectorILNS1_17partition_subalgoE8EdNS0_10empty_typeEbEEZZNS1_14partition_implILS5_8ELb0ES3_jPKdPS6_PKS6_NS0_5tupleIJPdS6_EEENSE_IJSB_SB_EEENS0_18inequality_wrapperIN6hipcub16HIPCUB_304000_NS8EqualityEEEPlJS6_EEE10hipError_tPvRmT3_T4_T5_T6_T7_T9_mT8_P12ihipStream_tbDpT10_ENKUlT_T0_E_clISt17integral_constantIbLb0EES16_IbLb1EEEEDaS12_S13_EUlS12_E_NS1_11comp_targetILNS1_3genE5ELNS1_11target_archE942ELNS1_3gpuE9ELNS1_3repE0EEENS1_30default_config_static_selectorELNS0_4arch9wavefront6targetE1EEEvT1_.kd
    .uniform_work_group_size: 1
    .uses_dynamic_stack: false
    .vgpr_count:     55
    .vgpr_spill_count: 0
    .wavefront_size: 64
  - .agpr_count:     0
    .args:
      - .offset:         0
        .size:           128
        .value_kind:     by_value
    .group_segment_fixed_size: 0
    .kernarg_segment_align: 8
    .kernarg_segment_size: 128
    .language:       OpenCL C
    .language_version:
      - 2
      - 0
    .max_flat_workgroup_size: 256
    .name:           _ZN7rocprim17ROCPRIM_400000_NS6detail17trampoline_kernelINS0_14default_configENS1_25partition_config_selectorILNS1_17partition_subalgoE8EdNS0_10empty_typeEbEEZZNS1_14partition_implILS5_8ELb0ES3_jPKdPS6_PKS6_NS0_5tupleIJPdS6_EEENSE_IJSB_SB_EEENS0_18inequality_wrapperIN6hipcub16HIPCUB_304000_NS8EqualityEEEPlJS6_EEE10hipError_tPvRmT3_T4_T5_T6_T7_T9_mT8_P12ihipStream_tbDpT10_ENKUlT_T0_E_clISt17integral_constantIbLb0EES16_IbLb1EEEEDaS12_S13_EUlS12_E_NS1_11comp_targetILNS1_3genE4ELNS1_11target_archE910ELNS1_3gpuE8ELNS1_3repE0EEENS1_30default_config_static_selectorELNS0_4arch9wavefront6targetE1EEEvT1_
    .private_segment_fixed_size: 0
    .sgpr_count:     6
    .sgpr_spill_count: 0
    .symbol:         _ZN7rocprim17ROCPRIM_400000_NS6detail17trampoline_kernelINS0_14default_configENS1_25partition_config_selectorILNS1_17partition_subalgoE8EdNS0_10empty_typeEbEEZZNS1_14partition_implILS5_8ELb0ES3_jPKdPS6_PKS6_NS0_5tupleIJPdS6_EEENSE_IJSB_SB_EEENS0_18inequality_wrapperIN6hipcub16HIPCUB_304000_NS8EqualityEEEPlJS6_EEE10hipError_tPvRmT3_T4_T5_T6_T7_T9_mT8_P12ihipStream_tbDpT10_ENKUlT_T0_E_clISt17integral_constantIbLb0EES16_IbLb1EEEEDaS12_S13_EUlS12_E_NS1_11comp_targetILNS1_3genE4ELNS1_11target_archE910ELNS1_3gpuE8ELNS1_3repE0EEENS1_30default_config_static_selectorELNS0_4arch9wavefront6targetE1EEEvT1_.kd
    .uniform_work_group_size: 1
    .uses_dynamic_stack: false
    .vgpr_count:     0
    .vgpr_spill_count: 0
    .wavefront_size: 64
  - .agpr_count:     0
    .args:
      - .offset:         0
        .size:           128
        .value_kind:     by_value
    .group_segment_fixed_size: 0
    .kernarg_segment_align: 8
    .kernarg_segment_size: 128
    .language:       OpenCL C
    .language_version:
      - 2
      - 0
    .max_flat_workgroup_size: 512
    .name:           _ZN7rocprim17ROCPRIM_400000_NS6detail17trampoline_kernelINS0_14default_configENS1_25partition_config_selectorILNS1_17partition_subalgoE8EdNS0_10empty_typeEbEEZZNS1_14partition_implILS5_8ELb0ES3_jPKdPS6_PKS6_NS0_5tupleIJPdS6_EEENSE_IJSB_SB_EEENS0_18inequality_wrapperIN6hipcub16HIPCUB_304000_NS8EqualityEEEPlJS6_EEE10hipError_tPvRmT3_T4_T5_T6_T7_T9_mT8_P12ihipStream_tbDpT10_ENKUlT_T0_E_clISt17integral_constantIbLb0EES16_IbLb1EEEEDaS12_S13_EUlS12_E_NS1_11comp_targetILNS1_3genE3ELNS1_11target_archE908ELNS1_3gpuE7ELNS1_3repE0EEENS1_30default_config_static_selectorELNS0_4arch9wavefront6targetE1EEEvT1_
    .private_segment_fixed_size: 0
    .sgpr_count:     6
    .sgpr_spill_count: 0
    .symbol:         _ZN7rocprim17ROCPRIM_400000_NS6detail17trampoline_kernelINS0_14default_configENS1_25partition_config_selectorILNS1_17partition_subalgoE8EdNS0_10empty_typeEbEEZZNS1_14partition_implILS5_8ELb0ES3_jPKdPS6_PKS6_NS0_5tupleIJPdS6_EEENSE_IJSB_SB_EEENS0_18inequality_wrapperIN6hipcub16HIPCUB_304000_NS8EqualityEEEPlJS6_EEE10hipError_tPvRmT3_T4_T5_T6_T7_T9_mT8_P12ihipStream_tbDpT10_ENKUlT_T0_E_clISt17integral_constantIbLb0EES16_IbLb1EEEEDaS12_S13_EUlS12_E_NS1_11comp_targetILNS1_3genE3ELNS1_11target_archE908ELNS1_3gpuE7ELNS1_3repE0EEENS1_30default_config_static_selectorELNS0_4arch9wavefront6targetE1EEEvT1_.kd
    .uniform_work_group_size: 1
    .uses_dynamic_stack: false
    .vgpr_count:     0
    .vgpr_spill_count: 0
    .wavefront_size: 64
  - .agpr_count:     0
    .args:
      - .offset:         0
        .size:           128
        .value_kind:     by_value
    .group_segment_fixed_size: 0
    .kernarg_segment_align: 8
    .kernarg_segment_size: 128
    .language:       OpenCL C
    .language_version:
      - 2
      - 0
    .max_flat_workgroup_size: 256
    .name:           _ZN7rocprim17ROCPRIM_400000_NS6detail17trampoline_kernelINS0_14default_configENS1_25partition_config_selectorILNS1_17partition_subalgoE8EdNS0_10empty_typeEbEEZZNS1_14partition_implILS5_8ELb0ES3_jPKdPS6_PKS6_NS0_5tupleIJPdS6_EEENSE_IJSB_SB_EEENS0_18inequality_wrapperIN6hipcub16HIPCUB_304000_NS8EqualityEEEPlJS6_EEE10hipError_tPvRmT3_T4_T5_T6_T7_T9_mT8_P12ihipStream_tbDpT10_ENKUlT_T0_E_clISt17integral_constantIbLb0EES16_IbLb1EEEEDaS12_S13_EUlS12_E_NS1_11comp_targetILNS1_3genE2ELNS1_11target_archE906ELNS1_3gpuE6ELNS1_3repE0EEENS1_30default_config_static_selectorELNS0_4arch9wavefront6targetE1EEEvT1_
    .private_segment_fixed_size: 0
    .sgpr_count:     6
    .sgpr_spill_count: 0
    .symbol:         _ZN7rocprim17ROCPRIM_400000_NS6detail17trampoline_kernelINS0_14default_configENS1_25partition_config_selectorILNS1_17partition_subalgoE8EdNS0_10empty_typeEbEEZZNS1_14partition_implILS5_8ELb0ES3_jPKdPS6_PKS6_NS0_5tupleIJPdS6_EEENSE_IJSB_SB_EEENS0_18inequality_wrapperIN6hipcub16HIPCUB_304000_NS8EqualityEEEPlJS6_EEE10hipError_tPvRmT3_T4_T5_T6_T7_T9_mT8_P12ihipStream_tbDpT10_ENKUlT_T0_E_clISt17integral_constantIbLb0EES16_IbLb1EEEEDaS12_S13_EUlS12_E_NS1_11comp_targetILNS1_3genE2ELNS1_11target_archE906ELNS1_3gpuE6ELNS1_3repE0EEENS1_30default_config_static_selectorELNS0_4arch9wavefront6targetE1EEEvT1_.kd
    .uniform_work_group_size: 1
    .uses_dynamic_stack: false
    .vgpr_count:     0
    .vgpr_spill_count: 0
    .wavefront_size: 64
  - .agpr_count:     0
    .args:
      - .offset:         0
        .size:           128
        .value_kind:     by_value
    .group_segment_fixed_size: 0
    .kernarg_segment_align: 8
    .kernarg_segment_size: 128
    .language:       OpenCL C
    .language_version:
      - 2
      - 0
    .max_flat_workgroup_size: 384
    .name:           _ZN7rocprim17ROCPRIM_400000_NS6detail17trampoline_kernelINS0_14default_configENS1_25partition_config_selectorILNS1_17partition_subalgoE8EdNS0_10empty_typeEbEEZZNS1_14partition_implILS5_8ELb0ES3_jPKdPS6_PKS6_NS0_5tupleIJPdS6_EEENSE_IJSB_SB_EEENS0_18inequality_wrapperIN6hipcub16HIPCUB_304000_NS8EqualityEEEPlJS6_EEE10hipError_tPvRmT3_T4_T5_T6_T7_T9_mT8_P12ihipStream_tbDpT10_ENKUlT_T0_E_clISt17integral_constantIbLb0EES16_IbLb1EEEEDaS12_S13_EUlS12_E_NS1_11comp_targetILNS1_3genE10ELNS1_11target_archE1200ELNS1_3gpuE4ELNS1_3repE0EEENS1_30default_config_static_selectorELNS0_4arch9wavefront6targetE1EEEvT1_
    .private_segment_fixed_size: 0
    .sgpr_count:     6
    .sgpr_spill_count: 0
    .symbol:         _ZN7rocprim17ROCPRIM_400000_NS6detail17trampoline_kernelINS0_14default_configENS1_25partition_config_selectorILNS1_17partition_subalgoE8EdNS0_10empty_typeEbEEZZNS1_14partition_implILS5_8ELb0ES3_jPKdPS6_PKS6_NS0_5tupleIJPdS6_EEENSE_IJSB_SB_EEENS0_18inequality_wrapperIN6hipcub16HIPCUB_304000_NS8EqualityEEEPlJS6_EEE10hipError_tPvRmT3_T4_T5_T6_T7_T9_mT8_P12ihipStream_tbDpT10_ENKUlT_T0_E_clISt17integral_constantIbLb0EES16_IbLb1EEEEDaS12_S13_EUlS12_E_NS1_11comp_targetILNS1_3genE10ELNS1_11target_archE1200ELNS1_3gpuE4ELNS1_3repE0EEENS1_30default_config_static_selectorELNS0_4arch9wavefront6targetE1EEEvT1_.kd
    .uniform_work_group_size: 1
    .uses_dynamic_stack: false
    .vgpr_count:     0
    .vgpr_spill_count: 0
    .wavefront_size: 64
  - .agpr_count:     0
    .args:
      - .offset:         0
        .size:           128
        .value_kind:     by_value
    .group_segment_fixed_size: 0
    .kernarg_segment_align: 8
    .kernarg_segment_size: 128
    .language:       OpenCL C
    .language_version:
      - 2
      - 0
    .max_flat_workgroup_size: 512
    .name:           _ZN7rocprim17ROCPRIM_400000_NS6detail17trampoline_kernelINS0_14default_configENS1_25partition_config_selectorILNS1_17partition_subalgoE8EdNS0_10empty_typeEbEEZZNS1_14partition_implILS5_8ELb0ES3_jPKdPS6_PKS6_NS0_5tupleIJPdS6_EEENSE_IJSB_SB_EEENS0_18inequality_wrapperIN6hipcub16HIPCUB_304000_NS8EqualityEEEPlJS6_EEE10hipError_tPvRmT3_T4_T5_T6_T7_T9_mT8_P12ihipStream_tbDpT10_ENKUlT_T0_E_clISt17integral_constantIbLb0EES16_IbLb1EEEEDaS12_S13_EUlS12_E_NS1_11comp_targetILNS1_3genE9ELNS1_11target_archE1100ELNS1_3gpuE3ELNS1_3repE0EEENS1_30default_config_static_selectorELNS0_4arch9wavefront6targetE1EEEvT1_
    .private_segment_fixed_size: 0
    .sgpr_count:     6
    .sgpr_spill_count: 0
    .symbol:         _ZN7rocprim17ROCPRIM_400000_NS6detail17trampoline_kernelINS0_14default_configENS1_25partition_config_selectorILNS1_17partition_subalgoE8EdNS0_10empty_typeEbEEZZNS1_14partition_implILS5_8ELb0ES3_jPKdPS6_PKS6_NS0_5tupleIJPdS6_EEENSE_IJSB_SB_EEENS0_18inequality_wrapperIN6hipcub16HIPCUB_304000_NS8EqualityEEEPlJS6_EEE10hipError_tPvRmT3_T4_T5_T6_T7_T9_mT8_P12ihipStream_tbDpT10_ENKUlT_T0_E_clISt17integral_constantIbLb0EES16_IbLb1EEEEDaS12_S13_EUlS12_E_NS1_11comp_targetILNS1_3genE9ELNS1_11target_archE1100ELNS1_3gpuE3ELNS1_3repE0EEENS1_30default_config_static_selectorELNS0_4arch9wavefront6targetE1EEEvT1_.kd
    .uniform_work_group_size: 1
    .uses_dynamic_stack: false
    .vgpr_count:     0
    .vgpr_spill_count: 0
    .wavefront_size: 64
  - .agpr_count:     0
    .args:
      - .offset:         0
        .size:           128
        .value_kind:     by_value
    .group_segment_fixed_size: 0
    .kernarg_segment_align: 8
    .kernarg_segment_size: 128
    .language:       OpenCL C
    .language_version:
      - 2
      - 0
    .max_flat_workgroup_size: 512
    .name:           _ZN7rocprim17ROCPRIM_400000_NS6detail17trampoline_kernelINS0_14default_configENS1_25partition_config_selectorILNS1_17partition_subalgoE8EdNS0_10empty_typeEbEEZZNS1_14partition_implILS5_8ELb0ES3_jPKdPS6_PKS6_NS0_5tupleIJPdS6_EEENSE_IJSB_SB_EEENS0_18inequality_wrapperIN6hipcub16HIPCUB_304000_NS8EqualityEEEPlJS6_EEE10hipError_tPvRmT3_T4_T5_T6_T7_T9_mT8_P12ihipStream_tbDpT10_ENKUlT_T0_E_clISt17integral_constantIbLb0EES16_IbLb1EEEEDaS12_S13_EUlS12_E_NS1_11comp_targetILNS1_3genE8ELNS1_11target_archE1030ELNS1_3gpuE2ELNS1_3repE0EEENS1_30default_config_static_selectorELNS0_4arch9wavefront6targetE1EEEvT1_
    .private_segment_fixed_size: 0
    .sgpr_count:     6
    .sgpr_spill_count: 0
    .symbol:         _ZN7rocprim17ROCPRIM_400000_NS6detail17trampoline_kernelINS0_14default_configENS1_25partition_config_selectorILNS1_17partition_subalgoE8EdNS0_10empty_typeEbEEZZNS1_14partition_implILS5_8ELb0ES3_jPKdPS6_PKS6_NS0_5tupleIJPdS6_EEENSE_IJSB_SB_EEENS0_18inequality_wrapperIN6hipcub16HIPCUB_304000_NS8EqualityEEEPlJS6_EEE10hipError_tPvRmT3_T4_T5_T6_T7_T9_mT8_P12ihipStream_tbDpT10_ENKUlT_T0_E_clISt17integral_constantIbLb0EES16_IbLb1EEEEDaS12_S13_EUlS12_E_NS1_11comp_targetILNS1_3genE8ELNS1_11target_archE1030ELNS1_3gpuE2ELNS1_3repE0EEENS1_30default_config_static_selectorELNS0_4arch9wavefront6targetE1EEEvT1_.kd
    .uniform_work_group_size: 1
    .uses_dynamic_stack: false
    .vgpr_count:     0
    .vgpr_spill_count: 0
    .wavefront_size: 64
  - .agpr_count:     0
    .args:
      - .offset:         0
        .size:           128
        .value_kind:     by_value
    .group_segment_fixed_size: 0
    .kernarg_segment_align: 8
    .kernarg_segment_size: 128
    .language:       OpenCL C
    .language_version:
      - 2
      - 0
    .max_flat_workgroup_size: 256
    .name:           _ZN7rocprim17ROCPRIM_400000_NS6detail17trampoline_kernelINS0_14default_configENS1_33run_length_encode_config_selectorIdjNS0_4plusIjEEEEZZNS1_33reduce_by_key_impl_wrapped_configILNS1_25lookback_scan_determinismE0ES3_S7_PKdNS0_17constant_iteratorIjlEEPdPlSF_S6_NS0_8equal_toIdEEEE10hipError_tPvRmT2_T3_mT4_T5_T6_T7_T8_P12ihipStream_tbENKUlT_T0_E_clISt17integral_constantIbLb0EESZ_EEDaSU_SV_EUlSU_E_NS1_11comp_targetILNS1_3genE0ELNS1_11target_archE4294967295ELNS1_3gpuE0ELNS1_3repE0EEENS1_30default_config_static_selectorELNS0_4arch9wavefront6targetE1EEEvT1_
    .private_segment_fixed_size: 0
    .sgpr_count:     6
    .sgpr_spill_count: 0
    .symbol:         _ZN7rocprim17ROCPRIM_400000_NS6detail17trampoline_kernelINS0_14default_configENS1_33run_length_encode_config_selectorIdjNS0_4plusIjEEEEZZNS1_33reduce_by_key_impl_wrapped_configILNS1_25lookback_scan_determinismE0ES3_S7_PKdNS0_17constant_iteratorIjlEEPdPlSF_S6_NS0_8equal_toIdEEEE10hipError_tPvRmT2_T3_mT4_T5_T6_T7_T8_P12ihipStream_tbENKUlT_T0_E_clISt17integral_constantIbLb0EESZ_EEDaSU_SV_EUlSU_E_NS1_11comp_targetILNS1_3genE0ELNS1_11target_archE4294967295ELNS1_3gpuE0ELNS1_3repE0EEENS1_30default_config_static_selectorELNS0_4arch9wavefront6targetE1EEEvT1_.kd
    .uniform_work_group_size: 1
    .uses_dynamic_stack: false
    .vgpr_count:     0
    .vgpr_spill_count: 0
    .wavefront_size: 64
  - .agpr_count:     0
    .args:
      - .offset:         0
        .size:           128
        .value_kind:     by_value
    .group_segment_fixed_size: 61440
    .kernarg_segment_align: 8
    .kernarg_segment_size: 128
    .language:       OpenCL C
    .language_version:
      - 2
      - 0
    .max_flat_workgroup_size: 512
    .name:           _ZN7rocprim17ROCPRIM_400000_NS6detail17trampoline_kernelINS0_14default_configENS1_33run_length_encode_config_selectorIdjNS0_4plusIjEEEEZZNS1_33reduce_by_key_impl_wrapped_configILNS1_25lookback_scan_determinismE0ES3_S7_PKdNS0_17constant_iteratorIjlEEPdPlSF_S6_NS0_8equal_toIdEEEE10hipError_tPvRmT2_T3_mT4_T5_T6_T7_T8_P12ihipStream_tbENKUlT_T0_E_clISt17integral_constantIbLb0EESZ_EEDaSU_SV_EUlSU_E_NS1_11comp_targetILNS1_3genE5ELNS1_11target_archE942ELNS1_3gpuE9ELNS1_3repE0EEENS1_30default_config_static_selectorELNS0_4arch9wavefront6targetE1EEEvT1_
    .private_segment_fixed_size: 0
    .sgpr_count:     70
    .sgpr_spill_count: 0
    .symbol:         _ZN7rocprim17ROCPRIM_400000_NS6detail17trampoline_kernelINS0_14default_configENS1_33run_length_encode_config_selectorIdjNS0_4plusIjEEEEZZNS1_33reduce_by_key_impl_wrapped_configILNS1_25lookback_scan_determinismE0ES3_S7_PKdNS0_17constant_iteratorIjlEEPdPlSF_S6_NS0_8equal_toIdEEEE10hipError_tPvRmT2_T3_mT4_T5_T6_T7_T8_P12ihipStream_tbENKUlT_T0_E_clISt17integral_constantIbLb0EESZ_EEDaSU_SV_EUlSU_E_NS1_11comp_targetILNS1_3genE5ELNS1_11target_archE942ELNS1_3gpuE9ELNS1_3repE0EEENS1_30default_config_static_selectorELNS0_4arch9wavefront6targetE1EEEvT1_.kd
    .uniform_work_group_size: 1
    .uses_dynamic_stack: false
    .vgpr_count:     90
    .vgpr_spill_count: 0
    .wavefront_size: 64
  - .agpr_count:     0
    .args:
      - .offset:         0
        .size:           128
        .value_kind:     by_value
    .group_segment_fixed_size: 0
    .kernarg_segment_align: 8
    .kernarg_segment_size: 128
    .language:       OpenCL C
    .language_version:
      - 2
      - 0
    .max_flat_workgroup_size: 256
    .name:           _ZN7rocprim17ROCPRIM_400000_NS6detail17trampoline_kernelINS0_14default_configENS1_33run_length_encode_config_selectorIdjNS0_4plusIjEEEEZZNS1_33reduce_by_key_impl_wrapped_configILNS1_25lookback_scan_determinismE0ES3_S7_PKdNS0_17constant_iteratorIjlEEPdPlSF_S6_NS0_8equal_toIdEEEE10hipError_tPvRmT2_T3_mT4_T5_T6_T7_T8_P12ihipStream_tbENKUlT_T0_E_clISt17integral_constantIbLb0EESZ_EEDaSU_SV_EUlSU_E_NS1_11comp_targetILNS1_3genE4ELNS1_11target_archE910ELNS1_3gpuE8ELNS1_3repE0EEENS1_30default_config_static_selectorELNS0_4arch9wavefront6targetE1EEEvT1_
    .private_segment_fixed_size: 0
    .sgpr_count:     6
    .sgpr_spill_count: 0
    .symbol:         _ZN7rocprim17ROCPRIM_400000_NS6detail17trampoline_kernelINS0_14default_configENS1_33run_length_encode_config_selectorIdjNS0_4plusIjEEEEZZNS1_33reduce_by_key_impl_wrapped_configILNS1_25lookback_scan_determinismE0ES3_S7_PKdNS0_17constant_iteratorIjlEEPdPlSF_S6_NS0_8equal_toIdEEEE10hipError_tPvRmT2_T3_mT4_T5_T6_T7_T8_P12ihipStream_tbENKUlT_T0_E_clISt17integral_constantIbLb0EESZ_EEDaSU_SV_EUlSU_E_NS1_11comp_targetILNS1_3genE4ELNS1_11target_archE910ELNS1_3gpuE8ELNS1_3repE0EEENS1_30default_config_static_selectorELNS0_4arch9wavefront6targetE1EEEvT1_.kd
    .uniform_work_group_size: 1
    .uses_dynamic_stack: false
    .vgpr_count:     0
    .vgpr_spill_count: 0
    .wavefront_size: 64
  - .agpr_count:     0
    .args:
      - .offset:         0
        .size:           128
        .value_kind:     by_value
    .group_segment_fixed_size: 0
    .kernarg_segment_align: 8
    .kernarg_segment_size: 128
    .language:       OpenCL C
    .language_version:
      - 2
      - 0
    .max_flat_workgroup_size: 256
    .name:           _ZN7rocprim17ROCPRIM_400000_NS6detail17trampoline_kernelINS0_14default_configENS1_33run_length_encode_config_selectorIdjNS0_4plusIjEEEEZZNS1_33reduce_by_key_impl_wrapped_configILNS1_25lookback_scan_determinismE0ES3_S7_PKdNS0_17constant_iteratorIjlEEPdPlSF_S6_NS0_8equal_toIdEEEE10hipError_tPvRmT2_T3_mT4_T5_T6_T7_T8_P12ihipStream_tbENKUlT_T0_E_clISt17integral_constantIbLb0EESZ_EEDaSU_SV_EUlSU_E_NS1_11comp_targetILNS1_3genE3ELNS1_11target_archE908ELNS1_3gpuE7ELNS1_3repE0EEENS1_30default_config_static_selectorELNS0_4arch9wavefront6targetE1EEEvT1_
    .private_segment_fixed_size: 0
    .sgpr_count:     6
    .sgpr_spill_count: 0
    .symbol:         _ZN7rocprim17ROCPRIM_400000_NS6detail17trampoline_kernelINS0_14default_configENS1_33run_length_encode_config_selectorIdjNS0_4plusIjEEEEZZNS1_33reduce_by_key_impl_wrapped_configILNS1_25lookback_scan_determinismE0ES3_S7_PKdNS0_17constant_iteratorIjlEEPdPlSF_S6_NS0_8equal_toIdEEEE10hipError_tPvRmT2_T3_mT4_T5_T6_T7_T8_P12ihipStream_tbENKUlT_T0_E_clISt17integral_constantIbLb0EESZ_EEDaSU_SV_EUlSU_E_NS1_11comp_targetILNS1_3genE3ELNS1_11target_archE908ELNS1_3gpuE7ELNS1_3repE0EEENS1_30default_config_static_selectorELNS0_4arch9wavefront6targetE1EEEvT1_.kd
    .uniform_work_group_size: 1
    .uses_dynamic_stack: false
    .vgpr_count:     0
    .vgpr_spill_count: 0
    .wavefront_size: 64
  - .agpr_count:     0
    .args:
      - .offset:         0
        .size:           128
        .value_kind:     by_value
    .group_segment_fixed_size: 0
    .kernarg_segment_align: 8
    .kernarg_segment_size: 128
    .language:       OpenCL C
    .language_version:
      - 2
      - 0
    .max_flat_workgroup_size: 256
    .name:           _ZN7rocprim17ROCPRIM_400000_NS6detail17trampoline_kernelINS0_14default_configENS1_33run_length_encode_config_selectorIdjNS0_4plusIjEEEEZZNS1_33reduce_by_key_impl_wrapped_configILNS1_25lookback_scan_determinismE0ES3_S7_PKdNS0_17constant_iteratorIjlEEPdPlSF_S6_NS0_8equal_toIdEEEE10hipError_tPvRmT2_T3_mT4_T5_T6_T7_T8_P12ihipStream_tbENKUlT_T0_E_clISt17integral_constantIbLb0EESZ_EEDaSU_SV_EUlSU_E_NS1_11comp_targetILNS1_3genE2ELNS1_11target_archE906ELNS1_3gpuE6ELNS1_3repE0EEENS1_30default_config_static_selectorELNS0_4arch9wavefront6targetE1EEEvT1_
    .private_segment_fixed_size: 0
    .sgpr_count:     6
    .sgpr_spill_count: 0
    .symbol:         _ZN7rocprim17ROCPRIM_400000_NS6detail17trampoline_kernelINS0_14default_configENS1_33run_length_encode_config_selectorIdjNS0_4plusIjEEEEZZNS1_33reduce_by_key_impl_wrapped_configILNS1_25lookback_scan_determinismE0ES3_S7_PKdNS0_17constant_iteratorIjlEEPdPlSF_S6_NS0_8equal_toIdEEEE10hipError_tPvRmT2_T3_mT4_T5_T6_T7_T8_P12ihipStream_tbENKUlT_T0_E_clISt17integral_constantIbLb0EESZ_EEDaSU_SV_EUlSU_E_NS1_11comp_targetILNS1_3genE2ELNS1_11target_archE906ELNS1_3gpuE6ELNS1_3repE0EEENS1_30default_config_static_selectorELNS0_4arch9wavefront6targetE1EEEvT1_.kd
    .uniform_work_group_size: 1
    .uses_dynamic_stack: false
    .vgpr_count:     0
    .vgpr_spill_count: 0
    .wavefront_size: 64
  - .agpr_count:     0
    .args:
      - .offset:         0
        .size:           128
        .value_kind:     by_value
    .group_segment_fixed_size: 0
    .kernarg_segment_align: 8
    .kernarg_segment_size: 128
    .language:       OpenCL C
    .language_version:
      - 2
      - 0
    .max_flat_workgroup_size: 512
    .name:           _ZN7rocprim17ROCPRIM_400000_NS6detail17trampoline_kernelINS0_14default_configENS1_33run_length_encode_config_selectorIdjNS0_4plusIjEEEEZZNS1_33reduce_by_key_impl_wrapped_configILNS1_25lookback_scan_determinismE0ES3_S7_PKdNS0_17constant_iteratorIjlEEPdPlSF_S6_NS0_8equal_toIdEEEE10hipError_tPvRmT2_T3_mT4_T5_T6_T7_T8_P12ihipStream_tbENKUlT_T0_E_clISt17integral_constantIbLb0EESZ_EEDaSU_SV_EUlSU_E_NS1_11comp_targetILNS1_3genE10ELNS1_11target_archE1201ELNS1_3gpuE5ELNS1_3repE0EEENS1_30default_config_static_selectorELNS0_4arch9wavefront6targetE1EEEvT1_
    .private_segment_fixed_size: 0
    .sgpr_count:     6
    .sgpr_spill_count: 0
    .symbol:         _ZN7rocprim17ROCPRIM_400000_NS6detail17trampoline_kernelINS0_14default_configENS1_33run_length_encode_config_selectorIdjNS0_4plusIjEEEEZZNS1_33reduce_by_key_impl_wrapped_configILNS1_25lookback_scan_determinismE0ES3_S7_PKdNS0_17constant_iteratorIjlEEPdPlSF_S6_NS0_8equal_toIdEEEE10hipError_tPvRmT2_T3_mT4_T5_T6_T7_T8_P12ihipStream_tbENKUlT_T0_E_clISt17integral_constantIbLb0EESZ_EEDaSU_SV_EUlSU_E_NS1_11comp_targetILNS1_3genE10ELNS1_11target_archE1201ELNS1_3gpuE5ELNS1_3repE0EEENS1_30default_config_static_selectorELNS0_4arch9wavefront6targetE1EEEvT1_.kd
    .uniform_work_group_size: 1
    .uses_dynamic_stack: false
    .vgpr_count:     0
    .vgpr_spill_count: 0
    .wavefront_size: 64
  - .agpr_count:     0
    .args:
      - .offset:         0
        .size:           128
        .value_kind:     by_value
    .group_segment_fixed_size: 0
    .kernarg_segment_align: 8
    .kernarg_segment_size: 128
    .language:       OpenCL C
    .language_version:
      - 2
      - 0
    .max_flat_workgroup_size: 512
    .name:           _ZN7rocprim17ROCPRIM_400000_NS6detail17trampoline_kernelINS0_14default_configENS1_33run_length_encode_config_selectorIdjNS0_4plusIjEEEEZZNS1_33reduce_by_key_impl_wrapped_configILNS1_25lookback_scan_determinismE0ES3_S7_PKdNS0_17constant_iteratorIjlEEPdPlSF_S6_NS0_8equal_toIdEEEE10hipError_tPvRmT2_T3_mT4_T5_T6_T7_T8_P12ihipStream_tbENKUlT_T0_E_clISt17integral_constantIbLb0EESZ_EEDaSU_SV_EUlSU_E_NS1_11comp_targetILNS1_3genE10ELNS1_11target_archE1200ELNS1_3gpuE4ELNS1_3repE0EEENS1_30default_config_static_selectorELNS0_4arch9wavefront6targetE1EEEvT1_
    .private_segment_fixed_size: 0
    .sgpr_count:     6
    .sgpr_spill_count: 0
    .symbol:         _ZN7rocprim17ROCPRIM_400000_NS6detail17trampoline_kernelINS0_14default_configENS1_33run_length_encode_config_selectorIdjNS0_4plusIjEEEEZZNS1_33reduce_by_key_impl_wrapped_configILNS1_25lookback_scan_determinismE0ES3_S7_PKdNS0_17constant_iteratorIjlEEPdPlSF_S6_NS0_8equal_toIdEEEE10hipError_tPvRmT2_T3_mT4_T5_T6_T7_T8_P12ihipStream_tbENKUlT_T0_E_clISt17integral_constantIbLb0EESZ_EEDaSU_SV_EUlSU_E_NS1_11comp_targetILNS1_3genE10ELNS1_11target_archE1200ELNS1_3gpuE4ELNS1_3repE0EEENS1_30default_config_static_selectorELNS0_4arch9wavefront6targetE1EEEvT1_.kd
    .uniform_work_group_size: 1
    .uses_dynamic_stack: false
    .vgpr_count:     0
    .vgpr_spill_count: 0
    .wavefront_size: 64
  - .agpr_count:     0
    .args:
      - .offset:         0
        .size:           128
        .value_kind:     by_value
    .group_segment_fixed_size: 0
    .kernarg_segment_align: 8
    .kernarg_segment_size: 128
    .language:       OpenCL C
    .language_version:
      - 2
      - 0
    .max_flat_workgroup_size: 512
    .name:           _ZN7rocprim17ROCPRIM_400000_NS6detail17trampoline_kernelINS0_14default_configENS1_33run_length_encode_config_selectorIdjNS0_4plusIjEEEEZZNS1_33reduce_by_key_impl_wrapped_configILNS1_25lookback_scan_determinismE0ES3_S7_PKdNS0_17constant_iteratorIjlEEPdPlSF_S6_NS0_8equal_toIdEEEE10hipError_tPvRmT2_T3_mT4_T5_T6_T7_T8_P12ihipStream_tbENKUlT_T0_E_clISt17integral_constantIbLb0EESZ_EEDaSU_SV_EUlSU_E_NS1_11comp_targetILNS1_3genE9ELNS1_11target_archE1100ELNS1_3gpuE3ELNS1_3repE0EEENS1_30default_config_static_selectorELNS0_4arch9wavefront6targetE1EEEvT1_
    .private_segment_fixed_size: 0
    .sgpr_count:     6
    .sgpr_spill_count: 0
    .symbol:         _ZN7rocprim17ROCPRIM_400000_NS6detail17trampoline_kernelINS0_14default_configENS1_33run_length_encode_config_selectorIdjNS0_4plusIjEEEEZZNS1_33reduce_by_key_impl_wrapped_configILNS1_25lookback_scan_determinismE0ES3_S7_PKdNS0_17constant_iteratorIjlEEPdPlSF_S6_NS0_8equal_toIdEEEE10hipError_tPvRmT2_T3_mT4_T5_T6_T7_T8_P12ihipStream_tbENKUlT_T0_E_clISt17integral_constantIbLb0EESZ_EEDaSU_SV_EUlSU_E_NS1_11comp_targetILNS1_3genE9ELNS1_11target_archE1100ELNS1_3gpuE3ELNS1_3repE0EEENS1_30default_config_static_selectorELNS0_4arch9wavefront6targetE1EEEvT1_.kd
    .uniform_work_group_size: 1
    .uses_dynamic_stack: false
    .vgpr_count:     0
    .vgpr_spill_count: 0
    .wavefront_size: 64
  - .agpr_count:     0
    .args:
      - .offset:         0
        .size:           128
        .value_kind:     by_value
    .group_segment_fixed_size: 0
    .kernarg_segment_align: 8
    .kernarg_segment_size: 128
    .language:       OpenCL C
    .language_version:
      - 2
      - 0
    .max_flat_workgroup_size: 512
    .name:           _ZN7rocprim17ROCPRIM_400000_NS6detail17trampoline_kernelINS0_14default_configENS1_33run_length_encode_config_selectorIdjNS0_4plusIjEEEEZZNS1_33reduce_by_key_impl_wrapped_configILNS1_25lookback_scan_determinismE0ES3_S7_PKdNS0_17constant_iteratorIjlEEPdPlSF_S6_NS0_8equal_toIdEEEE10hipError_tPvRmT2_T3_mT4_T5_T6_T7_T8_P12ihipStream_tbENKUlT_T0_E_clISt17integral_constantIbLb0EESZ_EEDaSU_SV_EUlSU_E_NS1_11comp_targetILNS1_3genE8ELNS1_11target_archE1030ELNS1_3gpuE2ELNS1_3repE0EEENS1_30default_config_static_selectorELNS0_4arch9wavefront6targetE1EEEvT1_
    .private_segment_fixed_size: 0
    .sgpr_count:     6
    .sgpr_spill_count: 0
    .symbol:         _ZN7rocprim17ROCPRIM_400000_NS6detail17trampoline_kernelINS0_14default_configENS1_33run_length_encode_config_selectorIdjNS0_4plusIjEEEEZZNS1_33reduce_by_key_impl_wrapped_configILNS1_25lookback_scan_determinismE0ES3_S7_PKdNS0_17constant_iteratorIjlEEPdPlSF_S6_NS0_8equal_toIdEEEE10hipError_tPvRmT2_T3_mT4_T5_T6_T7_T8_P12ihipStream_tbENKUlT_T0_E_clISt17integral_constantIbLb0EESZ_EEDaSU_SV_EUlSU_E_NS1_11comp_targetILNS1_3genE8ELNS1_11target_archE1030ELNS1_3gpuE2ELNS1_3repE0EEENS1_30default_config_static_selectorELNS0_4arch9wavefront6targetE1EEEvT1_.kd
    .uniform_work_group_size: 1
    .uses_dynamic_stack: false
    .vgpr_count:     0
    .vgpr_spill_count: 0
    .wavefront_size: 64
  - .agpr_count:     0
    .args:
      - .offset:         0
        .size:           128
        .value_kind:     by_value
    .group_segment_fixed_size: 0
    .kernarg_segment_align: 8
    .kernarg_segment_size: 128
    .language:       OpenCL C
    .language_version:
      - 2
      - 0
    .max_flat_workgroup_size: 256
    .name:           _ZN7rocprim17ROCPRIM_400000_NS6detail17trampoline_kernelINS0_14default_configENS1_33run_length_encode_config_selectorIdjNS0_4plusIjEEEEZZNS1_33reduce_by_key_impl_wrapped_configILNS1_25lookback_scan_determinismE0ES3_S7_PKdNS0_17constant_iteratorIjlEEPdPlSF_S6_NS0_8equal_toIdEEEE10hipError_tPvRmT2_T3_mT4_T5_T6_T7_T8_P12ihipStream_tbENKUlT_T0_E_clISt17integral_constantIbLb1EESZ_EEDaSU_SV_EUlSU_E_NS1_11comp_targetILNS1_3genE0ELNS1_11target_archE4294967295ELNS1_3gpuE0ELNS1_3repE0EEENS1_30default_config_static_selectorELNS0_4arch9wavefront6targetE1EEEvT1_
    .private_segment_fixed_size: 0
    .sgpr_count:     6
    .sgpr_spill_count: 0
    .symbol:         _ZN7rocprim17ROCPRIM_400000_NS6detail17trampoline_kernelINS0_14default_configENS1_33run_length_encode_config_selectorIdjNS0_4plusIjEEEEZZNS1_33reduce_by_key_impl_wrapped_configILNS1_25lookback_scan_determinismE0ES3_S7_PKdNS0_17constant_iteratorIjlEEPdPlSF_S6_NS0_8equal_toIdEEEE10hipError_tPvRmT2_T3_mT4_T5_T6_T7_T8_P12ihipStream_tbENKUlT_T0_E_clISt17integral_constantIbLb1EESZ_EEDaSU_SV_EUlSU_E_NS1_11comp_targetILNS1_3genE0ELNS1_11target_archE4294967295ELNS1_3gpuE0ELNS1_3repE0EEENS1_30default_config_static_selectorELNS0_4arch9wavefront6targetE1EEEvT1_.kd
    .uniform_work_group_size: 1
    .uses_dynamic_stack: false
    .vgpr_count:     0
    .vgpr_spill_count: 0
    .wavefront_size: 64
  - .agpr_count:     0
    .args:
      - .offset:         0
        .size:           128
        .value_kind:     by_value
    .group_segment_fixed_size: 61440
    .kernarg_segment_align: 8
    .kernarg_segment_size: 128
    .language:       OpenCL C
    .language_version:
      - 2
      - 0
    .max_flat_workgroup_size: 512
    .name:           _ZN7rocprim17ROCPRIM_400000_NS6detail17trampoline_kernelINS0_14default_configENS1_33run_length_encode_config_selectorIdjNS0_4plusIjEEEEZZNS1_33reduce_by_key_impl_wrapped_configILNS1_25lookback_scan_determinismE0ES3_S7_PKdNS0_17constant_iteratorIjlEEPdPlSF_S6_NS0_8equal_toIdEEEE10hipError_tPvRmT2_T3_mT4_T5_T6_T7_T8_P12ihipStream_tbENKUlT_T0_E_clISt17integral_constantIbLb1EESZ_EEDaSU_SV_EUlSU_E_NS1_11comp_targetILNS1_3genE5ELNS1_11target_archE942ELNS1_3gpuE9ELNS1_3repE0EEENS1_30default_config_static_selectorELNS0_4arch9wavefront6targetE1EEEvT1_
    .private_segment_fixed_size: 0
    .sgpr_count:     72
    .sgpr_spill_count: 0
    .symbol:         _ZN7rocprim17ROCPRIM_400000_NS6detail17trampoline_kernelINS0_14default_configENS1_33run_length_encode_config_selectorIdjNS0_4plusIjEEEEZZNS1_33reduce_by_key_impl_wrapped_configILNS1_25lookback_scan_determinismE0ES3_S7_PKdNS0_17constant_iteratorIjlEEPdPlSF_S6_NS0_8equal_toIdEEEE10hipError_tPvRmT2_T3_mT4_T5_T6_T7_T8_P12ihipStream_tbENKUlT_T0_E_clISt17integral_constantIbLb1EESZ_EEDaSU_SV_EUlSU_E_NS1_11comp_targetILNS1_3genE5ELNS1_11target_archE942ELNS1_3gpuE9ELNS1_3repE0EEENS1_30default_config_static_selectorELNS0_4arch9wavefront6targetE1EEEvT1_.kd
    .uniform_work_group_size: 1
    .uses_dynamic_stack: false
    .vgpr_count:     90
    .vgpr_spill_count: 0
    .wavefront_size: 64
  - .agpr_count:     0
    .args:
      - .offset:         0
        .size:           128
        .value_kind:     by_value
    .group_segment_fixed_size: 0
    .kernarg_segment_align: 8
    .kernarg_segment_size: 128
    .language:       OpenCL C
    .language_version:
      - 2
      - 0
    .max_flat_workgroup_size: 256
    .name:           _ZN7rocprim17ROCPRIM_400000_NS6detail17trampoline_kernelINS0_14default_configENS1_33run_length_encode_config_selectorIdjNS0_4plusIjEEEEZZNS1_33reduce_by_key_impl_wrapped_configILNS1_25lookback_scan_determinismE0ES3_S7_PKdNS0_17constant_iteratorIjlEEPdPlSF_S6_NS0_8equal_toIdEEEE10hipError_tPvRmT2_T3_mT4_T5_T6_T7_T8_P12ihipStream_tbENKUlT_T0_E_clISt17integral_constantIbLb1EESZ_EEDaSU_SV_EUlSU_E_NS1_11comp_targetILNS1_3genE4ELNS1_11target_archE910ELNS1_3gpuE8ELNS1_3repE0EEENS1_30default_config_static_selectorELNS0_4arch9wavefront6targetE1EEEvT1_
    .private_segment_fixed_size: 0
    .sgpr_count:     6
    .sgpr_spill_count: 0
    .symbol:         _ZN7rocprim17ROCPRIM_400000_NS6detail17trampoline_kernelINS0_14default_configENS1_33run_length_encode_config_selectorIdjNS0_4plusIjEEEEZZNS1_33reduce_by_key_impl_wrapped_configILNS1_25lookback_scan_determinismE0ES3_S7_PKdNS0_17constant_iteratorIjlEEPdPlSF_S6_NS0_8equal_toIdEEEE10hipError_tPvRmT2_T3_mT4_T5_T6_T7_T8_P12ihipStream_tbENKUlT_T0_E_clISt17integral_constantIbLb1EESZ_EEDaSU_SV_EUlSU_E_NS1_11comp_targetILNS1_3genE4ELNS1_11target_archE910ELNS1_3gpuE8ELNS1_3repE0EEENS1_30default_config_static_selectorELNS0_4arch9wavefront6targetE1EEEvT1_.kd
    .uniform_work_group_size: 1
    .uses_dynamic_stack: false
    .vgpr_count:     0
    .vgpr_spill_count: 0
    .wavefront_size: 64
  - .agpr_count:     0
    .args:
      - .offset:         0
        .size:           128
        .value_kind:     by_value
    .group_segment_fixed_size: 0
    .kernarg_segment_align: 8
    .kernarg_segment_size: 128
    .language:       OpenCL C
    .language_version:
      - 2
      - 0
    .max_flat_workgroup_size: 256
    .name:           _ZN7rocprim17ROCPRIM_400000_NS6detail17trampoline_kernelINS0_14default_configENS1_33run_length_encode_config_selectorIdjNS0_4plusIjEEEEZZNS1_33reduce_by_key_impl_wrapped_configILNS1_25lookback_scan_determinismE0ES3_S7_PKdNS0_17constant_iteratorIjlEEPdPlSF_S6_NS0_8equal_toIdEEEE10hipError_tPvRmT2_T3_mT4_T5_T6_T7_T8_P12ihipStream_tbENKUlT_T0_E_clISt17integral_constantIbLb1EESZ_EEDaSU_SV_EUlSU_E_NS1_11comp_targetILNS1_3genE3ELNS1_11target_archE908ELNS1_3gpuE7ELNS1_3repE0EEENS1_30default_config_static_selectorELNS0_4arch9wavefront6targetE1EEEvT1_
    .private_segment_fixed_size: 0
    .sgpr_count:     6
    .sgpr_spill_count: 0
    .symbol:         _ZN7rocprim17ROCPRIM_400000_NS6detail17trampoline_kernelINS0_14default_configENS1_33run_length_encode_config_selectorIdjNS0_4plusIjEEEEZZNS1_33reduce_by_key_impl_wrapped_configILNS1_25lookback_scan_determinismE0ES3_S7_PKdNS0_17constant_iteratorIjlEEPdPlSF_S6_NS0_8equal_toIdEEEE10hipError_tPvRmT2_T3_mT4_T5_T6_T7_T8_P12ihipStream_tbENKUlT_T0_E_clISt17integral_constantIbLb1EESZ_EEDaSU_SV_EUlSU_E_NS1_11comp_targetILNS1_3genE3ELNS1_11target_archE908ELNS1_3gpuE7ELNS1_3repE0EEENS1_30default_config_static_selectorELNS0_4arch9wavefront6targetE1EEEvT1_.kd
    .uniform_work_group_size: 1
    .uses_dynamic_stack: false
    .vgpr_count:     0
    .vgpr_spill_count: 0
    .wavefront_size: 64
  - .agpr_count:     0
    .args:
      - .offset:         0
        .size:           128
        .value_kind:     by_value
    .group_segment_fixed_size: 0
    .kernarg_segment_align: 8
    .kernarg_segment_size: 128
    .language:       OpenCL C
    .language_version:
      - 2
      - 0
    .max_flat_workgroup_size: 256
    .name:           _ZN7rocprim17ROCPRIM_400000_NS6detail17trampoline_kernelINS0_14default_configENS1_33run_length_encode_config_selectorIdjNS0_4plusIjEEEEZZNS1_33reduce_by_key_impl_wrapped_configILNS1_25lookback_scan_determinismE0ES3_S7_PKdNS0_17constant_iteratorIjlEEPdPlSF_S6_NS0_8equal_toIdEEEE10hipError_tPvRmT2_T3_mT4_T5_T6_T7_T8_P12ihipStream_tbENKUlT_T0_E_clISt17integral_constantIbLb1EESZ_EEDaSU_SV_EUlSU_E_NS1_11comp_targetILNS1_3genE2ELNS1_11target_archE906ELNS1_3gpuE6ELNS1_3repE0EEENS1_30default_config_static_selectorELNS0_4arch9wavefront6targetE1EEEvT1_
    .private_segment_fixed_size: 0
    .sgpr_count:     6
    .sgpr_spill_count: 0
    .symbol:         _ZN7rocprim17ROCPRIM_400000_NS6detail17trampoline_kernelINS0_14default_configENS1_33run_length_encode_config_selectorIdjNS0_4plusIjEEEEZZNS1_33reduce_by_key_impl_wrapped_configILNS1_25lookback_scan_determinismE0ES3_S7_PKdNS0_17constant_iteratorIjlEEPdPlSF_S6_NS0_8equal_toIdEEEE10hipError_tPvRmT2_T3_mT4_T5_T6_T7_T8_P12ihipStream_tbENKUlT_T0_E_clISt17integral_constantIbLb1EESZ_EEDaSU_SV_EUlSU_E_NS1_11comp_targetILNS1_3genE2ELNS1_11target_archE906ELNS1_3gpuE6ELNS1_3repE0EEENS1_30default_config_static_selectorELNS0_4arch9wavefront6targetE1EEEvT1_.kd
    .uniform_work_group_size: 1
    .uses_dynamic_stack: false
    .vgpr_count:     0
    .vgpr_spill_count: 0
    .wavefront_size: 64
  - .agpr_count:     0
    .args:
      - .offset:         0
        .size:           128
        .value_kind:     by_value
    .group_segment_fixed_size: 0
    .kernarg_segment_align: 8
    .kernarg_segment_size: 128
    .language:       OpenCL C
    .language_version:
      - 2
      - 0
    .max_flat_workgroup_size: 512
    .name:           _ZN7rocprim17ROCPRIM_400000_NS6detail17trampoline_kernelINS0_14default_configENS1_33run_length_encode_config_selectorIdjNS0_4plusIjEEEEZZNS1_33reduce_by_key_impl_wrapped_configILNS1_25lookback_scan_determinismE0ES3_S7_PKdNS0_17constant_iteratorIjlEEPdPlSF_S6_NS0_8equal_toIdEEEE10hipError_tPvRmT2_T3_mT4_T5_T6_T7_T8_P12ihipStream_tbENKUlT_T0_E_clISt17integral_constantIbLb1EESZ_EEDaSU_SV_EUlSU_E_NS1_11comp_targetILNS1_3genE10ELNS1_11target_archE1201ELNS1_3gpuE5ELNS1_3repE0EEENS1_30default_config_static_selectorELNS0_4arch9wavefront6targetE1EEEvT1_
    .private_segment_fixed_size: 0
    .sgpr_count:     6
    .sgpr_spill_count: 0
    .symbol:         _ZN7rocprim17ROCPRIM_400000_NS6detail17trampoline_kernelINS0_14default_configENS1_33run_length_encode_config_selectorIdjNS0_4plusIjEEEEZZNS1_33reduce_by_key_impl_wrapped_configILNS1_25lookback_scan_determinismE0ES3_S7_PKdNS0_17constant_iteratorIjlEEPdPlSF_S6_NS0_8equal_toIdEEEE10hipError_tPvRmT2_T3_mT4_T5_T6_T7_T8_P12ihipStream_tbENKUlT_T0_E_clISt17integral_constantIbLb1EESZ_EEDaSU_SV_EUlSU_E_NS1_11comp_targetILNS1_3genE10ELNS1_11target_archE1201ELNS1_3gpuE5ELNS1_3repE0EEENS1_30default_config_static_selectorELNS0_4arch9wavefront6targetE1EEEvT1_.kd
    .uniform_work_group_size: 1
    .uses_dynamic_stack: false
    .vgpr_count:     0
    .vgpr_spill_count: 0
    .wavefront_size: 64
  - .agpr_count:     0
    .args:
      - .offset:         0
        .size:           128
        .value_kind:     by_value
    .group_segment_fixed_size: 0
    .kernarg_segment_align: 8
    .kernarg_segment_size: 128
    .language:       OpenCL C
    .language_version:
      - 2
      - 0
    .max_flat_workgroup_size: 512
    .name:           _ZN7rocprim17ROCPRIM_400000_NS6detail17trampoline_kernelINS0_14default_configENS1_33run_length_encode_config_selectorIdjNS0_4plusIjEEEEZZNS1_33reduce_by_key_impl_wrapped_configILNS1_25lookback_scan_determinismE0ES3_S7_PKdNS0_17constant_iteratorIjlEEPdPlSF_S6_NS0_8equal_toIdEEEE10hipError_tPvRmT2_T3_mT4_T5_T6_T7_T8_P12ihipStream_tbENKUlT_T0_E_clISt17integral_constantIbLb1EESZ_EEDaSU_SV_EUlSU_E_NS1_11comp_targetILNS1_3genE10ELNS1_11target_archE1200ELNS1_3gpuE4ELNS1_3repE0EEENS1_30default_config_static_selectorELNS0_4arch9wavefront6targetE1EEEvT1_
    .private_segment_fixed_size: 0
    .sgpr_count:     6
    .sgpr_spill_count: 0
    .symbol:         _ZN7rocprim17ROCPRIM_400000_NS6detail17trampoline_kernelINS0_14default_configENS1_33run_length_encode_config_selectorIdjNS0_4plusIjEEEEZZNS1_33reduce_by_key_impl_wrapped_configILNS1_25lookback_scan_determinismE0ES3_S7_PKdNS0_17constant_iteratorIjlEEPdPlSF_S6_NS0_8equal_toIdEEEE10hipError_tPvRmT2_T3_mT4_T5_T6_T7_T8_P12ihipStream_tbENKUlT_T0_E_clISt17integral_constantIbLb1EESZ_EEDaSU_SV_EUlSU_E_NS1_11comp_targetILNS1_3genE10ELNS1_11target_archE1200ELNS1_3gpuE4ELNS1_3repE0EEENS1_30default_config_static_selectorELNS0_4arch9wavefront6targetE1EEEvT1_.kd
    .uniform_work_group_size: 1
    .uses_dynamic_stack: false
    .vgpr_count:     0
    .vgpr_spill_count: 0
    .wavefront_size: 64
  - .agpr_count:     0
    .args:
      - .offset:         0
        .size:           128
        .value_kind:     by_value
    .group_segment_fixed_size: 0
    .kernarg_segment_align: 8
    .kernarg_segment_size: 128
    .language:       OpenCL C
    .language_version:
      - 2
      - 0
    .max_flat_workgroup_size: 512
    .name:           _ZN7rocprim17ROCPRIM_400000_NS6detail17trampoline_kernelINS0_14default_configENS1_33run_length_encode_config_selectorIdjNS0_4plusIjEEEEZZNS1_33reduce_by_key_impl_wrapped_configILNS1_25lookback_scan_determinismE0ES3_S7_PKdNS0_17constant_iteratorIjlEEPdPlSF_S6_NS0_8equal_toIdEEEE10hipError_tPvRmT2_T3_mT4_T5_T6_T7_T8_P12ihipStream_tbENKUlT_T0_E_clISt17integral_constantIbLb1EESZ_EEDaSU_SV_EUlSU_E_NS1_11comp_targetILNS1_3genE9ELNS1_11target_archE1100ELNS1_3gpuE3ELNS1_3repE0EEENS1_30default_config_static_selectorELNS0_4arch9wavefront6targetE1EEEvT1_
    .private_segment_fixed_size: 0
    .sgpr_count:     6
    .sgpr_spill_count: 0
    .symbol:         _ZN7rocprim17ROCPRIM_400000_NS6detail17trampoline_kernelINS0_14default_configENS1_33run_length_encode_config_selectorIdjNS0_4plusIjEEEEZZNS1_33reduce_by_key_impl_wrapped_configILNS1_25lookback_scan_determinismE0ES3_S7_PKdNS0_17constant_iteratorIjlEEPdPlSF_S6_NS0_8equal_toIdEEEE10hipError_tPvRmT2_T3_mT4_T5_T6_T7_T8_P12ihipStream_tbENKUlT_T0_E_clISt17integral_constantIbLb1EESZ_EEDaSU_SV_EUlSU_E_NS1_11comp_targetILNS1_3genE9ELNS1_11target_archE1100ELNS1_3gpuE3ELNS1_3repE0EEENS1_30default_config_static_selectorELNS0_4arch9wavefront6targetE1EEEvT1_.kd
    .uniform_work_group_size: 1
    .uses_dynamic_stack: false
    .vgpr_count:     0
    .vgpr_spill_count: 0
    .wavefront_size: 64
  - .agpr_count:     0
    .args:
      - .offset:         0
        .size:           128
        .value_kind:     by_value
    .group_segment_fixed_size: 0
    .kernarg_segment_align: 8
    .kernarg_segment_size: 128
    .language:       OpenCL C
    .language_version:
      - 2
      - 0
    .max_flat_workgroup_size: 512
    .name:           _ZN7rocprim17ROCPRIM_400000_NS6detail17trampoline_kernelINS0_14default_configENS1_33run_length_encode_config_selectorIdjNS0_4plusIjEEEEZZNS1_33reduce_by_key_impl_wrapped_configILNS1_25lookback_scan_determinismE0ES3_S7_PKdNS0_17constant_iteratorIjlEEPdPlSF_S6_NS0_8equal_toIdEEEE10hipError_tPvRmT2_T3_mT4_T5_T6_T7_T8_P12ihipStream_tbENKUlT_T0_E_clISt17integral_constantIbLb1EESZ_EEDaSU_SV_EUlSU_E_NS1_11comp_targetILNS1_3genE8ELNS1_11target_archE1030ELNS1_3gpuE2ELNS1_3repE0EEENS1_30default_config_static_selectorELNS0_4arch9wavefront6targetE1EEEvT1_
    .private_segment_fixed_size: 0
    .sgpr_count:     6
    .sgpr_spill_count: 0
    .symbol:         _ZN7rocprim17ROCPRIM_400000_NS6detail17trampoline_kernelINS0_14default_configENS1_33run_length_encode_config_selectorIdjNS0_4plusIjEEEEZZNS1_33reduce_by_key_impl_wrapped_configILNS1_25lookback_scan_determinismE0ES3_S7_PKdNS0_17constant_iteratorIjlEEPdPlSF_S6_NS0_8equal_toIdEEEE10hipError_tPvRmT2_T3_mT4_T5_T6_T7_T8_P12ihipStream_tbENKUlT_T0_E_clISt17integral_constantIbLb1EESZ_EEDaSU_SV_EUlSU_E_NS1_11comp_targetILNS1_3genE8ELNS1_11target_archE1030ELNS1_3gpuE2ELNS1_3repE0EEENS1_30default_config_static_selectorELNS0_4arch9wavefront6targetE1EEEvT1_.kd
    .uniform_work_group_size: 1
    .uses_dynamic_stack: false
    .vgpr_count:     0
    .vgpr_spill_count: 0
    .wavefront_size: 64
  - .agpr_count:     0
    .args:
      - .offset:         0
        .size:           128
        .value_kind:     by_value
    .group_segment_fixed_size: 0
    .kernarg_segment_align: 8
    .kernarg_segment_size: 128
    .language:       OpenCL C
    .language_version:
      - 2
      - 0
    .max_flat_workgroup_size: 256
    .name:           _ZN7rocprim17ROCPRIM_400000_NS6detail17trampoline_kernelINS0_14default_configENS1_33run_length_encode_config_selectorIdjNS0_4plusIjEEEEZZNS1_33reduce_by_key_impl_wrapped_configILNS1_25lookback_scan_determinismE0ES3_S7_PKdNS0_17constant_iteratorIjlEEPdPlSF_S6_NS0_8equal_toIdEEEE10hipError_tPvRmT2_T3_mT4_T5_T6_T7_T8_P12ihipStream_tbENKUlT_T0_E_clISt17integral_constantIbLb1EESY_IbLb0EEEEDaSU_SV_EUlSU_E_NS1_11comp_targetILNS1_3genE0ELNS1_11target_archE4294967295ELNS1_3gpuE0ELNS1_3repE0EEENS1_30default_config_static_selectorELNS0_4arch9wavefront6targetE1EEEvT1_
    .private_segment_fixed_size: 0
    .sgpr_count:     6
    .sgpr_spill_count: 0
    .symbol:         _ZN7rocprim17ROCPRIM_400000_NS6detail17trampoline_kernelINS0_14default_configENS1_33run_length_encode_config_selectorIdjNS0_4plusIjEEEEZZNS1_33reduce_by_key_impl_wrapped_configILNS1_25lookback_scan_determinismE0ES3_S7_PKdNS0_17constant_iteratorIjlEEPdPlSF_S6_NS0_8equal_toIdEEEE10hipError_tPvRmT2_T3_mT4_T5_T6_T7_T8_P12ihipStream_tbENKUlT_T0_E_clISt17integral_constantIbLb1EESY_IbLb0EEEEDaSU_SV_EUlSU_E_NS1_11comp_targetILNS1_3genE0ELNS1_11target_archE4294967295ELNS1_3gpuE0ELNS1_3repE0EEENS1_30default_config_static_selectorELNS0_4arch9wavefront6targetE1EEEvT1_.kd
    .uniform_work_group_size: 1
    .uses_dynamic_stack: false
    .vgpr_count:     0
    .vgpr_spill_count: 0
    .wavefront_size: 64
  - .agpr_count:     0
    .args:
      - .offset:         0
        .size:           128
        .value_kind:     by_value
    .group_segment_fixed_size: 61440
    .kernarg_segment_align: 8
    .kernarg_segment_size: 128
    .language:       OpenCL C
    .language_version:
      - 2
      - 0
    .max_flat_workgroup_size: 512
    .name:           _ZN7rocprim17ROCPRIM_400000_NS6detail17trampoline_kernelINS0_14default_configENS1_33run_length_encode_config_selectorIdjNS0_4plusIjEEEEZZNS1_33reduce_by_key_impl_wrapped_configILNS1_25lookback_scan_determinismE0ES3_S7_PKdNS0_17constant_iteratorIjlEEPdPlSF_S6_NS0_8equal_toIdEEEE10hipError_tPvRmT2_T3_mT4_T5_T6_T7_T8_P12ihipStream_tbENKUlT_T0_E_clISt17integral_constantIbLb1EESY_IbLb0EEEEDaSU_SV_EUlSU_E_NS1_11comp_targetILNS1_3genE5ELNS1_11target_archE942ELNS1_3gpuE9ELNS1_3repE0EEENS1_30default_config_static_selectorELNS0_4arch9wavefront6targetE1EEEvT1_
    .private_segment_fixed_size: 0
    .sgpr_count:     70
    .sgpr_spill_count: 0
    .symbol:         _ZN7rocprim17ROCPRIM_400000_NS6detail17trampoline_kernelINS0_14default_configENS1_33run_length_encode_config_selectorIdjNS0_4plusIjEEEEZZNS1_33reduce_by_key_impl_wrapped_configILNS1_25lookback_scan_determinismE0ES3_S7_PKdNS0_17constant_iteratorIjlEEPdPlSF_S6_NS0_8equal_toIdEEEE10hipError_tPvRmT2_T3_mT4_T5_T6_T7_T8_P12ihipStream_tbENKUlT_T0_E_clISt17integral_constantIbLb1EESY_IbLb0EEEEDaSU_SV_EUlSU_E_NS1_11comp_targetILNS1_3genE5ELNS1_11target_archE942ELNS1_3gpuE9ELNS1_3repE0EEENS1_30default_config_static_selectorELNS0_4arch9wavefront6targetE1EEEvT1_.kd
    .uniform_work_group_size: 1
    .uses_dynamic_stack: false
    .vgpr_count:     90
    .vgpr_spill_count: 0
    .wavefront_size: 64
  - .agpr_count:     0
    .args:
      - .offset:         0
        .size:           128
        .value_kind:     by_value
    .group_segment_fixed_size: 0
    .kernarg_segment_align: 8
    .kernarg_segment_size: 128
    .language:       OpenCL C
    .language_version:
      - 2
      - 0
    .max_flat_workgroup_size: 256
    .name:           _ZN7rocprim17ROCPRIM_400000_NS6detail17trampoline_kernelINS0_14default_configENS1_33run_length_encode_config_selectorIdjNS0_4plusIjEEEEZZNS1_33reduce_by_key_impl_wrapped_configILNS1_25lookback_scan_determinismE0ES3_S7_PKdNS0_17constant_iteratorIjlEEPdPlSF_S6_NS0_8equal_toIdEEEE10hipError_tPvRmT2_T3_mT4_T5_T6_T7_T8_P12ihipStream_tbENKUlT_T0_E_clISt17integral_constantIbLb1EESY_IbLb0EEEEDaSU_SV_EUlSU_E_NS1_11comp_targetILNS1_3genE4ELNS1_11target_archE910ELNS1_3gpuE8ELNS1_3repE0EEENS1_30default_config_static_selectorELNS0_4arch9wavefront6targetE1EEEvT1_
    .private_segment_fixed_size: 0
    .sgpr_count:     6
    .sgpr_spill_count: 0
    .symbol:         _ZN7rocprim17ROCPRIM_400000_NS6detail17trampoline_kernelINS0_14default_configENS1_33run_length_encode_config_selectorIdjNS0_4plusIjEEEEZZNS1_33reduce_by_key_impl_wrapped_configILNS1_25lookback_scan_determinismE0ES3_S7_PKdNS0_17constant_iteratorIjlEEPdPlSF_S6_NS0_8equal_toIdEEEE10hipError_tPvRmT2_T3_mT4_T5_T6_T7_T8_P12ihipStream_tbENKUlT_T0_E_clISt17integral_constantIbLb1EESY_IbLb0EEEEDaSU_SV_EUlSU_E_NS1_11comp_targetILNS1_3genE4ELNS1_11target_archE910ELNS1_3gpuE8ELNS1_3repE0EEENS1_30default_config_static_selectorELNS0_4arch9wavefront6targetE1EEEvT1_.kd
    .uniform_work_group_size: 1
    .uses_dynamic_stack: false
    .vgpr_count:     0
    .vgpr_spill_count: 0
    .wavefront_size: 64
  - .agpr_count:     0
    .args:
      - .offset:         0
        .size:           128
        .value_kind:     by_value
    .group_segment_fixed_size: 0
    .kernarg_segment_align: 8
    .kernarg_segment_size: 128
    .language:       OpenCL C
    .language_version:
      - 2
      - 0
    .max_flat_workgroup_size: 256
    .name:           _ZN7rocprim17ROCPRIM_400000_NS6detail17trampoline_kernelINS0_14default_configENS1_33run_length_encode_config_selectorIdjNS0_4plusIjEEEEZZNS1_33reduce_by_key_impl_wrapped_configILNS1_25lookback_scan_determinismE0ES3_S7_PKdNS0_17constant_iteratorIjlEEPdPlSF_S6_NS0_8equal_toIdEEEE10hipError_tPvRmT2_T3_mT4_T5_T6_T7_T8_P12ihipStream_tbENKUlT_T0_E_clISt17integral_constantIbLb1EESY_IbLb0EEEEDaSU_SV_EUlSU_E_NS1_11comp_targetILNS1_3genE3ELNS1_11target_archE908ELNS1_3gpuE7ELNS1_3repE0EEENS1_30default_config_static_selectorELNS0_4arch9wavefront6targetE1EEEvT1_
    .private_segment_fixed_size: 0
    .sgpr_count:     6
    .sgpr_spill_count: 0
    .symbol:         _ZN7rocprim17ROCPRIM_400000_NS6detail17trampoline_kernelINS0_14default_configENS1_33run_length_encode_config_selectorIdjNS0_4plusIjEEEEZZNS1_33reduce_by_key_impl_wrapped_configILNS1_25lookback_scan_determinismE0ES3_S7_PKdNS0_17constant_iteratorIjlEEPdPlSF_S6_NS0_8equal_toIdEEEE10hipError_tPvRmT2_T3_mT4_T5_T6_T7_T8_P12ihipStream_tbENKUlT_T0_E_clISt17integral_constantIbLb1EESY_IbLb0EEEEDaSU_SV_EUlSU_E_NS1_11comp_targetILNS1_3genE3ELNS1_11target_archE908ELNS1_3gpuE7ELNS1_3repE0EEENS1_30default_config_static_selectorELNS0_4arch9wavefront6targetE1EEEvT1_.kd
    .uniform_work_group_size: 1
    .uses_dynamic_stack: false
    .vgpr_count:     0
    .vgpr_spill_count: 0
    .wavefront_size: 64
  - .agpr_count:     0
    .args:
      - .offset:         0
        .size:           128
        .value_kind:     by_value
    .group_segment_fixed_size: 0
    .kernarg_segment_align: 8
    .kernarg_segment_size: 128
    .language:       OpenCL C
    .language_version:
      - 2
      - 0
    .max_flat_workgroup_size: 256
    .name:           _ZN7rocprim17ROCPRIM_400000_NS6detail17trampoline_kernelINS0_14default_configENS1_33run_length_encode_config_selectorIdjNS0_4plusIjEEEEZZNS1_33reduce_by_key_impl_wrapped_configILNS1_25lookback_scan_determinismE0ES3_S7_PKdNS0_17constant_iteratorIjlEEPdPlSF_S6_NS0_8equal_toIdEEEE10hipError_tPvRmT2_T3_mT4_T5_T6_T7_T8_P12ihipStream_tbENKUlT_T0_E_clISt17integral_constantIbLb1EESY_IbLb0EEEEDaSU_SV_EUlSU_E_NS1_11comp_targetILNS1_3genE2ELNS1_11target_archE906ELNS1_3gpuE6ELNS1_3repE0EEENS1_30default_config_static_selectorELNS0_4arch9wavefront6targetE1EEEvT1_
    .private_segment_fixed_size: 0
    .sgpr_count:     6
    .sgpr_spill_count: 0
    .symbol:         _ZN7rocprim17ROCPRIM_400000_NS6detail17trampoline_kernelINS0_14default_configENS1_33run_length_encode_config_selectorIdjNS0_4plusIjEEEEZZNS1_33reduce_by_key_impl_wrapped_configILNS1_25lookback_scan_determinismE0ES3_S7_PKdNS0_17constant_iteratorIjlEEPdPlSF_S6_NS0_8equal_toIdEEEE10hipError_tPvRmT2_T3_mT4_T5_T6_T7_T8_P12ihipStream_tbENKUlT_T0_E_clISt17integral_constantIbLb1EESY_IbLb0EEEEDaSU_SV_EUlSU_E_NS1_11comp_targetILNS1_3genE2ELNS1_11target_archE906ELNS1_3gpuE6ELNS1_3repE0EEENS1_30default_config_static_selectorELNS0_4arch9wavefront6targetE1EEEvT1_.kd
    .uniform_work_group_size: 1
    .uses_dynamic_stack: false
    .vgpr_count:     0
    .vgpr_spill_count: 0
    .wavefront_size: 64
  - .agpr_count:     0
    .args:
      - .offset:         0
        .size:           128
        .value_kind:     by_value
    .group_segment_fixed_size: 0
    .kernarg_segment_align: 8
    .kernarg_segment_size: 128
    .language:       OpenCL C
    .language_version:
      - 2
      - 0
    .max_flat_workgroup_size: 512
    .name:           _ZN7rocprim17ROCPRIM_400000_NS6detail17trampoline_kernelINS0_14default_configENS1_33run_length_encode_config_selectorIdjNS0_4plusIjEEEEZZNS1_33reduce_by_key_impl_wrapped_configILNS1_25lookback_scan_determinismE0ES3_S7_PKdNS0_17constant_iteratorIjlEEPdPlSF_S6_NS0_8equal_toIdEEEE10hipError_tPvRmT2_T3_mT4_T5_T6_T7_T8_P12ihipStream_tbENKUlT_T0_E_clISt17integral_constantIbLb1EESY_IbLb0EEEEDaSU_SV_EUlSU_E_NS1_11comp_targetILNS1_3genE10ELNS1_11target_archE1201ELNS1_3gpuE5ELNS1_3repE0EEENS1_30default_config_static_selectorELNS0_4arch9wavefront6targetE1EEEvT1_
    .private_segment_fixed_size: 0
    .sgpr_count:     6
    .sgpr_spill_count: 0
    .symbol:         _ZN7rocprim17ROCPRIM_400000_NS6detail17trampoline_kernelINS0_14default_configENS1_33run_length_encode_config_selectorIdjNS0_4plusIjEEEEZZNS1_33reduce_by_key_impl_wrapped_configILNS1_25lookback_scan_determinismE0ES3_S7_PKdNS0_17constant_iteratorIjlEEPdPlSF_S6_NS0_8equal_toIdEEEE10hipError_tPvRmT2_T3_mT4_T5_T6_T7_T8_P12ihipStream_tbENKUlT_T0_E_clISt17integral_constantIbLb1EESY_IbLb0EEEEDaSU_SV_EUlSU_E_NS1_11comp_targetILNS1_3genE10ELNS1_11target_archE1201ELNS1_3gpuE5ELNS1_3repE0EEENS1_30default_config_static_selectorELNS0_4arch9wavefront6targetE1EEEvT1_.kd
    .uniform_work_group_size: 1
    .uses_dynamic_stack: false
    .vgpr_count:     0
    .vgpr_spill_count: 0
    .wavefront_size: 64
  - .agpr_count:     0
    .args:
      - .offset:         0
        .size:           128
        .value_kind:     by_value
    .group_segment_fixed_size: 0
    .kernarg_segment_align: 8
    .kernarg_segment_size: 128
    .language:       OpenCL C
    .language_version:
      - 2
      - 0
    .max_flat_workgroup_size: 512
    .name:           _ZN7rocprim17ROCPRIM_400000_NS6detail17trampoline_kernelINS0_14default_configENS1_33run_length_encode_config_selectorIdjNS0_4plusIjEEEEZZNS1_33reduce_by_key_impl_wrapped_configILNS1_25lookback_scan_determinismE0ES3_S7_PKdNS0_17constant_iteratorIjlEEPdPlSF_S6_NS0_8equal_toIdEEEE10hipError_tPvRmT2_T3_mT4_T5_T6_T7_T8_P12ihipStream_tbENKUlT_T0_E_clISt17integral_constantIbLb1EESY_IbLb0EEEEDaSU_SV_EUlSU_E_NS1_11comp_targetILNS1_3genE10ELNS1_11target_archE1200ELNS1_3gpuE4ELNS1_3repE0EEENS1_30default_config_static_selectorELNS0_4arch9wavefront6targetE1EEEvT1_
    .private_segment_fixed_size: 0
    .sgpr_count:     6
    .sgpr_spill_count: 0
    .symbol:         _ZN7rocprim17ROCPRIM_400000_NS6detail17trampoline_kernelINS0_14default_configENS1_33run_length_encode_config_selectorIdjNS0_4plusIjEEEEZZNS1_33reduce_by_key_impl_wrapped_configILNS1_25lookback_scan_determinismE0ES3_S7_PKdNS0_17constant_iteratorIjlEEPdPlSF_S6_NS0_8equal_toIdEEEE10hipError_tPvRmT2_T3_mT4_T5_T6_T7_T8_P12ihipStream_tbENKUlT_T0_E_clISt17integral_constantIbLb1EESY_IbLb0EEEEDaSU_SV_EUlSU_E_NS1_11comp_targetILNS1_3genE10ELNS1_11target_archE1200ELNS1_3gpuE4ELNS1_3repE0EEENS1_30default_config_static_selectorELNS0_4arch9wavefront6targetE1EEEvT1_.kd
    .uniform_work_group_size: 1
    .uses_dynamic_stack: false
    .vgpr_count:     0
    .vgpr_spill_count: 0
    .wavefront_size: 64
  - .agpr_count:     0
    .args:
      - .offset:         0
        .size:           128
        .value_kind:     by_value
    .group_segment_fixed_size: 0
    .kernarg_segment_align: 8
    .kernarg_segment_size: 128
    .language:       OpenCL C
    .language_version:
      - 2
      - 0
    .max_flat_workgroup_size: 512
    .name:           _ZN7rocprim17ROCPRIM_400000_NS6detail17trampoline_kernelINS0_14default_configENS1_33run_length_encode_config_selectorIdjNS0_4plusIjEEEEZZNS1_33reduce_by_key_impl_wrapped_configILNS1_25lookback_scan_determinismE0ES3_S7_PKdNS0_17constant_iteratorIjlEEPdPlSF_S6_NS0_8equal_toIdEEEE10hipError_tPvRmT2_T3_mT4_T5_T6_T7_T8_P12ihipStream_tbENKUlT_T0_E_clISt17integral_constantIbLb1EESY_IbLb0EEEEDaSU_SV_EUlSU_E_NS1_11comp_targetILNS1_3genE9ELNS1_11target_archE1100ELNS1_3gpuE3ELNS1_3repE0EEENS1_30default_config_static_selectorELNS0_4arch9wavefront6targetE1EEEvT1_
    .private_segment_fixed_size: 0
    .sgpr_count:     6
    .sgpr_spill_count: 0
    .symbol:         _ZN7rocprim17ROCPRIM_400000_NS6detail17trampoline_kernelINS0_14default_configENS1_33run_length_encode_config_selectorIdjNS0_4plusIjEEEEZZNS1_33reduce_by_key_impl_wrapped_configILNS1_25lookback_scan_determinismE0ES3_S7_PKdNS0_17constant_iteratorIjlEEPdPlSF_S6_NS0_8equal_toIdEEEE10hipError_tPvRmT2_T3_mT4_T5_T6_T7_T8_P12ihipStream_tbENKUlT_T0_E_clISt17integral_constantIbLb1EESY_IbLb0EEEEDaSU_SV_EUlSU_E_NS1_11comp_targetILNS1_3genE9ELNS1_11target_archE1100ELNS1_3gpuE3ELNS1_3repE0EEENS1_30default_config_static_selectorELNS0_4arch9wavefront6targetE1EEEvT1_.kd
    .uniform_work_group_size: 1
    .uses_dynamic_stack: false
    .vgpr_count:     0
    .vgpr_spill_count: 0
    .wavefront_size: 64
  - .agpr_count:     0
    .args:
      - .offset:         0
        .size:           128
        .value_kind:     by_value
    .group_segment_fixed_size: 0
    .kernarg_segment_align: 8
    .kernarg_segment_size: 128
    .language:       OpenCL C
    .language_version:
      - 2
      - 0
    .max_flat_workgroup_size: 512
    .name:           _ZN7rocprim17ROCPRIM_400000_NS6detail17trampoline_kernelINS0_14default_configENS1_33run_length_encode_config_selectorIdjNS0_4plusIjEEEEZZNS1_33reduce_by_key_impl_wrapped_configILNS1_25lookback_scan_determinismE0ES3_S7_PKdNS0_17constant_iteratorIjlEEPdPlSF_S6_NS0_8equal_toIdEEEE10hipError_tPvRmT2_T3_mT4_T5_T6_T7_T8_P12ihipStream_tbENKUlT_T0_E_clISt17integral_constantIbLb1EESY_IbLb0EEEEDaSU_SV_EUlSU_E_NS1_11comp_targetILNS1_3genE8ELNS1_11target_archE1030ELNS1_3gpuE2ELNS1_3repE0EEENS1_30default_config_static_selectorELNS0_4arch9wavefront6targetE1EEEvT1_
    .private_segment_fixed_size: 0
    .sgpr_count:     6
    .sgpr_spill_count: 0
    .symbol:         _ZN7rocprim17ROCPRIM_400000_NS6detail17trampoline_kernelINS0_14default_configENS1_33run_length_encode_config_selectorIdjNS0_4plusIjEEEEZZNS1_33reduce_by_key_impl_wrapped_configILNS1_25lookback_scan_determinismE0ES3_S7_PKdNS0_17constant_iteratorIjlEEPdPlSF_S6_NS0_8equal_toIdEEEE10hipError_tPvRmT2_T3_mT4_T5_T6_T7_T8_P12ihipStream_tbENKUlT_T0_E_clISt17integral_constantIbLb1EESY_IbLb0EEEEDaSU_SV_EUlSU_E_NS1_11comp_targetILNS1_3genE8ELNS1_11target_archE1030ELNS1_3gpuE2ELNS1_3repE0EEENS1_30default_config_static_selectorELNS0_4arch9wavefront6targetE1EEEvT1_.kd
    .uniform_work_group_size: 1
    .uses_dynamic_stack: false
    .vgpr_count:     0
    .vgpr_spill_count: 0
    .wavefront_size: 64
  - .agpr_count:     0
    .args:
      - .offset:         0
        .size:           128
        .value_kind:     by_value
    .group_segment_fixed_size: 0
    .kernarg_segment_align: 8
    .kernarg_segment_size: 128
    .language:       OpenCL C
    .language_version:
      - 2
      - 0
    .max_flat_workgroup_size: 256
    .name:           _ZN7rocprim17ROCPRIM_400000_NS6detail17trampoline_kernelINS0_14default_configENS1_33run_length_encode_config_selectorIdjNS0_4plusIjEEEEZZNS1_33reduce_by_key_impl_wrapped_configILNS1_25lookback_scan_determinismE0ES3_S7_PKdNS0_17constant_iteratorIjlEEPdPlSF_S6_NS0_8equal_toIdEEEE10hipError_tPvRmT2_T3_mT4_T5_T6_T7_T8_P12ihipStream_tbENKUlT_T0_E_clISt17integral_constantIbLb0EESY_IbLb1EEEEDaSU_SV_EUlSU_E_NS1_11comp_targetILNS1_3genE0ELNS1_11target_archE4294967295ELNS1_3gpuE0ELNS1_3repE0EEENS1_30default_config_static_selectorELNS0_4arch9wavefront6targetE1EEEvT1_
    .private_segment_fixed_size: 0
    .sgpr_count:     6
    .sgpr_spill_count: 0
    .symbol:         _ZN7rocprim17ROCPRIM_400000_NS6detail17trampoline_kernelINS0_14default_configENS1_33run_length_encode_config_selectorIdjNS0_4plusIjEEEEZZNS1_33reduce_by_key_impl_wrapped_configILNS1_25lookback_scan_determinismE0ES3_S7_PKdNS0_17constant_iteratorIjlEEPdPlSF_S6_NS0_8equal_toIdEEEE10hipError_tPvRmT2_T3_mT4_T5_T6_T7_T8_P12ihipStream_tbENKUlT_T0_E_clISt17integral_constantIbLb0EESY_IbLb1EEEEDaSU_SV_EUlSU_E_NS1_11comp_targetILNS1_3genE0ELNS1_11target_archE4294967295ELNS1_3gpuE0ELNS1_3repE0EEENS1_30default_config_static_selectorELNS0_4arch9wavefront6targetE1EEEvT1_.kd
    .uniform_work_group_size: 1
    .uses_dynamic_stack: false
    .vgpr_count:     0
    .vgpr_spill_count: 0
    .wavefront_size: 64
  - .agpr_count:     0
    .args:
      - .offset:         0
        .size:           128
        .value_kind:     by_value
    .group_segment_fixed_size: 61440
    .kernarg_segment_align: 8
    .kernarg_segment_size: 128
    .language:       OpenCL C
    .language_version:
      - 2
      - 0
    .max_flat_workgroup_size: 512
    .name:           _ZN7rocprim17ROCPRIM_400000_NS6detail17trampoline_kernelINS0_14default_configENS1_33run_length_encode_config_selectorIdjNS0_4plusIjEEEEZZNS1_33reduce_by_key_impl_wrapped_configILNS1_25lookback_scan_determinismE0ES3_S7_PKdNS0_17constant_iteratorIjlEEPdPlSF_S6_NS0_8equal_toIdEEEE10hipError_tPvRmT2_T3_mT4_T5_T6_T7_T8_P12ihipStream_tbENKUlT_T0_E_clISt17integral_constantIbLb0EESY_IbLb1EEEEDaSU_SV_EUlSU_E_NS1_11comp_targetILNS1_3genE5ELNS1_11target_archE942ELNS1_3gpuE9ELNS1_3repE0EEENS1_30default_config_static_selectorELNS0_4arch9wavefront6targetE1EEEvT1_
    .private_segment_fixed_size: 0
    .sgpr_count:     72
    .sgpr_spill_count: 0
    .symbol:         _ZN7rocprim17ROCPRIM_400000_NS6detail17trampoline_kernelINS0_14default_configENS1_33run_length_encode_config_selectorIdjNS0_4plusIjEEEEZZNS1_33reduce_by_key_impl_wrapped_configILNS1_25lookback_scan_determinismE0ES3_S7_PKdNS0_17constant_iteratorIjlEEPdPlSF_S6_NS0_8equal_toIdEEEE10hipError_tPvRmT2_T3_mT4_T5_T6_T7_T8_P12ihipStream_tbENKUlT_T0_E_clISt17integral_constantIbLb0EESY_IbLb1EEEEDaSU_SV_EUlSU_E_NS1_11comp_targetILNS1_3genE5ELNS1_11target_archE942ELNS1_3gpuE9ELNS1_3repE0EEENS1_30default_config_static_selectorELNS0_4arch9wavefront6targetE1EEEvT1_.kd
    .uniform_work_group_size: 1
    .uses_dynamic_stack: false
    .vgpr_count:     90
    .vgpr_spill_count: 0
    .wavefront_size: 64
  - .agpr_count:     0
    .args:
      - .offset:         0
        .size:           128
        .value_kind:     by_value
    .group_segment_fixed_size: 0
    .kernarg_segment_align: 8
    .kernarg_segment_size: 128
    .language:       OpenCL C
    .language_version:
      - 2
      - 0
    .max_flat_workgroup_size: 256
    .name:           _ZN7rocprim17ROCPRIM_400000_NS6detail17trampoline_kernelINS0_14default_configENS1_33run_length_encode_config_selectorIdjNS0_4plusIjEEEEZZNS1_33reduce_by_key_impl_wrapped_configILNS1_25lookback_scan_determinismE0ES3_S7_PKdNS0_17constant_iteratorIjlEEPdPlSF_S6_NS0_8equal_toIdEEEE10hipError_tPvRmT2_T3_mT4_T5_T6_T7_T8_P12ihipStream_tbENKUlT_T0_E_clISt17integral_constantIbLb0EESY_IbLb1EEEEDaSU_SV_EUlSU_E_NS1_11comp_targetILNS1_3genE4ELNS1_11target_archE910ELNS1_3gpuE8ELNS1_3repE0EEENS1_30default_config_static_selectorELNS0_4arch9wavefront6targetE1EEEvT1_
    .private_segment_fixed_size: 0
    .sgpr_count:     6
    .sgpr_spill_count: 0
    .symbol:         _ZN7rocprim17ROCPRIM_400000_NS6detail17trampoline_kernelINS0_14default_configENS1_33run_length_encode_config_selectorIdjNS0_4plusIjEEEEZZNS1_33reduce_by_key_impl_wrapped_configILNS1_25lookback_scan_determinismE0ES3_S7_PKdNS0_17constant_iteratorIjlEEPdPlSF_S6_NS0_8equal_toIdEEEE10hipError_tPvRmT2_T3_mT4_T5_T6_T7_T8_P12ihipStream_tbENKUlT_T0_E_clISt17integral_constantIbLb0EESY_IbLb1EEEEDaSU_SV_EUlSU_E_NS1_11comp_targetILNS1_3genE4ELNS1_11target_archE910ELNS1_3gpuE8ELNS1_3repE0EEENS1_30default_config_static_selectorELNS0_4arch9wavefront6targetE1EEEvT1_.kd
    .uniform_work_group_size: 1
    .uses_dynamic_stack: false
    .vgpr_count:     0
    .vgpr_spill_count: 0
    .wavefront_size: 64
  - .agpr_count:     0
    .args:
      - .offset:         0
        .size:           128
        .value_kind:     by_value
    .group_segment_fixed_size: 0
    .kernarg_segment_align: 8
    .kernarg_segment_size: 128
    .language:       OpenCL C
    .language_version:
      - 2
      - 0
    .max_flat_workgroup_size: 256
    .name:           _ZN7rocprim17ROCPRIM_400000_NS6detail17trampoline_kernelINS0_14default_configENS1_33run_length_encode_config_selectorIdjNS0_4plusIjEEEEZZNS1_33reduce_by_key_impl_wrapped_configILNS1_25lookback_scan_determinismE0ES3_S7_PKdNS0_17constant_iteratorIjlEEPdPlSF_S6_NS0_8equal_toIdEEEE10hipError_tPvRmT2_T3_mT4_T5_T6_T7_T8_P12ihipStream_tbENKUlT_T0_E_clISt17integral_constantIbLb0EESY_IbLb1EEEEDaSU_SV_EUlSU_E_NS1_11comp_targetILNS1_3genE3ELNS1_11target_archE908ELNS1_3gpuE7ELNS1_3repE0EEENS1_30default_config_static_selectorELNS0_4arch9wavefront6targetE1EEEvT1_
    .private_segment_fixed_size: 0
    .sgpr_count:     6
    .sgpr_spill_count: 0
    .symbol:         _ZN7rocprim17ROCPRIM_400000_NS6detail17trampoline_kernelINS0_14default_configENS1_33run_length_encode_config_selectorIdjNS0_4plusIjEEEEZZNS1_33reduce_by_key_impl_wrapped_configILNS1_25lookback_scan_determinismE0ES3_S7_PKdNS0_17constant_iteratorIjlEEPdPlSF_S6_NS0_8equal_toIdEEEE10hipError_tPvRmT2_T3_mT4_T5_T6_T7_T8_P12ihipStream_tbENKUlT_T0_E_clISt17integral_constantIbLb0EESY_IbLb1EEEEDaSU_SV_EUlSU_E_NS1_11comp_targetILNS1_3genE3ELNS1_11target_archE908ELNS1_3gpuE7ELNS1_3repE0EEENS1_30default_config_static_selectorELNS0_4arch9wavefront6targetE1EEEvT1_.kd
    .uniform_work_group_size: 1
    .uses_dynamic_stack: false
    .vgpr_count:     0
    .vgpr_spill_count: 0
    .wavefront_size: 64
  - .agpr_count:     0
    .args:
      - .offset:         0
        .size:           128
        .value_kind:     by_value
    .group_segment_fixed_size: 0
    .kernarg_segment_align: 8
    .kernarg_segment_size: 128
    .language:       OpenCL C
    .language_version:
      - 2
      - 0
    .max_flat_workgroup_size: 256
    .name:           _ZN7rocprim17ROCPRIM_400000_NS6detail17trampoline_kernelINS0_14default_configENS1_33run_length_encode_config_selectorIdjNS0_4plusIjEEEEZZNS1_33reduce_by_key_impl_wrapped_configILNS1_25lookback_scan_determinismE0ES3_S7_PKdNS0_17constant_iteratorIjlEEPdPlSF_S6_NS0_8equal_toIdEEEE10hipError_tPvRmT2_T3_mT4_T5_T6_T7_T8_P12ihipStream_tbENKUlT_T0_E_clISt17integral_constantIbLb0EESY_IbLb1EEEEDaSU_SV_EUlSU_E_NS1_11comp_targetILNS1_3genE2ELNS1_11target_archE906ELNS1_3gpuE6ELNS1_3repE0EEENS1_30default_config_static_selectorELNS0_4arch9wavefront6targetE1EEEvT1_
    .private_segment_fixed_size: 0
    .sgpr_count:     6
    .sgpr_spill_count: 0
    .symbol:         _ZN7rocprim17ROCPRIM_400000_NS6detail17trampoline_kernelINS0_14default_configENS1_33run_length_encode_config_selectorIdjNS0_4plusIjEEEEZZNS1_33reduce_by_key_impl_wrapped_configILNS1_25lookback_scan_determinismE0ES3_S7_PKdNS0_17constant_iteratorIjlEEPdPlSF_S6_NS0_8equal_toIdEEEE10hipError_tPvRmT2_T3_mT4_T5_T6_T7_T8_P12ihipStream_tbENKUlT_T0_E_clISt17integral_constantIbLb0EESY_IbLb1EEEEDaSU_SV_EUlSU_E_NS1_11comp_targetILNS1_3genE2ELNS1_11target_archE906ELNS1_3gpuE6ELNS1_3repE0EEENS1_30default_config_static_selectorELNS0_4arch9wavefront6targetE1EEEvT1_.kd
    .uniform_work_group_size: 1
    .uses_dynamic_stack: false
    .vgpr_count:     0
    .vgpr_spill_count: 0
    .wavefront_size: 64
  - .agpr_count:     0
    .args:
      - .offset:         0
        .size:           128
        .value_kind:     by_value
    .group_segment_fixed_size: 0
    .kernarg_segment_align: 8
    .kernarg_segment_size: 128
    .language:       OpenCL C
    .language_version:
      - 2
      - 0
    .max_flat_workgroup_size: 512
    .name:           _ZN7rocprim17ROCPRIM_400000_NS6detail17trampoline_kernelINS0_14default_configENS1_33run_length_encode_config_selectorIdjNS0_4plusIjEEEEZZNS1_33reduce_by_key_impl_wrapped_configILNS1_25lookback_scan_determinismE0ES3_S7_PKdNS0_17constant_iteratorIjlEEPdPlSF_S6_NS0_8equal_toIdEEEE10hipError_tPvRmT2_T3_mT4_T5_T6_T7_T8_P12ihipStream_tbENKUlT_T0_E_clISt17integral_constantIbLb0EESY_IbLb1EEEEDaSU_SV_EUlSU_E_NS1_11comp_targetILNS1_3genE10ELNS1_11target_archE1201ELNS1_3gpuE5ELNS1_3repE0EEENS1_30default_config_static_selectorELNS0_4arch9wavefront6targetE1EEEvT1_
    .private_segment_fixed_size: 0
    .sgpr_count:     6
    .sgpr_spill_count: 0
    .symbol:         _ZN7rocprim17ROCPRIM_400000_NS6detail17trampoline_kernelINS0_14default_configENS1_33run_length_encode_config_selectorIdjNS0_4plusIjEEEEZZNS1_33reduce_by_key_impl_wrapped_configILNS1_25lookback_scan_determinismE0ES3_S7_PKdNS0_17constant_iteratorIjlEEPdPlSF_S6_NS0_8equal_toIdEEEE10hipError_tPvRmT2_T3_mT4_T5_T6_T7_T8_P12ihipStream_tbENKUlT_T0_E_clISt17integral_constantIbLb0EESY_IbLb1EEEEDaSU_SV_EUlSU_E_NS1_11comp_targetILNS1_3genE10ELNS1_11target_archE1201ELNS1_3gpuE5ELNS1_3repE0EEENS1_30default_config_static_selectorELNS0_4arch9wavefront6targetE1EEEvT1_.kd
    .uniform_work_group_size: 1
    .uses_dynamic_stack: false
    .vgpr_count:     0
    .vgpr_spill_count: 0
    .wavefront_size: 64
  - .agpr_count:     0
    .args:
      - .offset:         0
        .size:           128
        .value_kind:     by_value
    .group_segment_fixed_size: 0
    .kernarg_segment_align: 8
    .kernarg_segment_size: 128
    .language:       OpenCL C
    .language_version:
      - 2
      - 0
    .max_flat_workgroup_size: 512
    .name:           _ZN7rocprim17ROCPRIM_400000_NS6detail17trampoline_kernelINS0_14default_configENS1_33run_length_encode_config_selectorIdjNS0_4plusIjEEEEZZNS1_33reduce_by_key_impl_wrapped_configILNS1_25lookback_scan_determinismE0ES3_S7_PKdNS0_17constant_iteratorIjlEEPdPlSF_S6_NS0_8equal_toIdEEEE10hipError_tPvRmT2_T3_mT4_T5_T6_T7_T8_P12ihipStream_tbENKUlT_T0_E_clISt17integral_constantIbLb0EESY_IbLb1EEEEDaSU_SV_EUlSU_E_NS1_11comp_targetILNS1_3genE10ELNS1_11target_archE1200ELNS1_3gpuE4ELNS1_3repE0EEENS1_30default_config_static_selectorELNS0_4arch9wavefront6targetE1EEEvT1_
    .private_segment_fixed_size: 0
    .sgpr_count:     6
    .sgpr_spill_count: 0
    .symbol:         _ZN7rocprim17ROCPRIM_400000_NS6detail17trampoline_kernelINS0_14default_configENS1_33run_length_encode_config_selectorIdjNS0_4plusIjEEEEZZNS1_33reduce_by_key_impl_wrapped_configILNS1_25lookback_scan_determinismE0ES3_S7_PKdNS0_17constant_iteratorIjlEEPdPlSF_S6_NS0_8equal_toIdEEEE10hipError_tPvRmT2_T3_mT4_T5_T6_T7_T8_P12ihipStream_tbENKUlT_T0_E_clISt17integral_constantIbLb0EESY_IbLb1EEEEDaSU_SV_EUlSU_E_NS1_11comp_targetILNS1_3genE10ELNS1_11target_archE1200ELNS1_3gpuE4ELNS1_3repE0EEENS1_30default_config_static_selectorELNS0_4arch9wavefront6targetE1EEEvT1_.kd
    .uniform_work_group_size: 1
    .uses_dynamic_stack: false
    .vgpr_count:     0
    .vgpr_spill_count: 0
    .wavefront_size: 64
  - .agpr_count:     0
    .args:
      - .offset:         0
        .size:           128
        .value_kind:     by_value
    .group_segment_fixed_size: 0
    .kernarg_segment_align: 8
    .kernarg_segment_size: 128
    .language:       OpenCL C
    .language_version:
      - 2
      - 0
    .max_flat_workgroup_size: 512
    .name:           _ZN7rocprim17ROCPRIM_400000_NS6detail17trampoline_kernelINS0_14default_configENS1_33run_length_encode_config_selectorIdjNS0_4plusIjEEEEZZNS1_33reduce_by_key_impl_wrapped_configILNS1_25lookback_scan_determinismE0ES3_S7_PKdNS0_17constant_iteratorIjlEEPdPlSF_S6_NS0_8equal_toIdEEEE10hipError_tPvRmT2_T3_mT4_T5_T6_T7_T8_P12ihipStream_tbENKUlT_T0_E_clISt17integral_constantIbLb0EESY_IbLb1EEEEDaSU_SV_EUlSU_E_NS1_11comp_targetILNS1_3genE9ELNS1_11target_archE1100ELNS1_3gpuE3ELNS1_3repE0EEENS1_30default_config_static_selectorELNS0_4arch9wavefront6targetE1EEEvT1_
    .private_segment_fixed_size: 0
    .sgpr_count:     6
    .sgpr_spill_count: 0
    .symbol:         _ZN7rocprim17ROCPRIM_400000_NS6detail17trampoline_kernelINS0_14default_configENS1_33run_length_encode_config_selectorIdjNS0_4plusIjEEEEZZNS1_33reduce_by_key_impl_wrapped_configILNS1_25lookback_scan_determinismE0ES3_S7_PKdNS0_17constant_iteratorIjlEEPdPlSF_S6_NS0_8equal_toIdEEEE10hipError_tPvRmT2_T3_mT4_T5_T6_T7_T8_P12ihipStream_tbENKUlT_T0_E_clISt17integral_constantIbLb0EESY_IbLb1EEEEDaSU_SV_EUlSU_E_NS1_11comp_targetILNS1_3genE9ELNS1_11target_archE1100ELNS1_3gpuE3ELNS1_3repE0EEENS1_30default_config_static_selectorELNS0_4arch9wavefront6targetE1EEEvT1_.kd
    .uniform_work_group_size: 1
    .uses_dynamic_stack: false
    .vgpr_count:     0
    .vgpr_spill_count: 0
    .wavefront_size: 64
  - .agpr_count:     0
    .args:
      - .offset:         0
        .size:           128
        .value_kind:     by_value
    .group_segment_fixed_size: 0
    .kernarg_segment_align: 8
    .kernarg_segment_size: 128
    .language:       OpenCL C
    .language_version:
      - 2
      - 0
    .max_flat_workgroup_size: 512
    .name:           _ZN7rocprim17ROCPRIM_400000_NS6detail17trampoline_kernelINS0_14default_configENS1_33run_length_encode_config_selectorIdjNS0_4plusIjEEEEZZNS1_33reduce_by_key_impl_wrapped_configILNS1_25lookback_scan_determinismE0ES3_S7_PKdNS0_17constant_iteratorIjlEEPdPlSF_S6_NS0_8equal_toIdEEEE10hipError_tPvRmT2_T3_mT4_T5_T6_T7_T8_P12ihipStream_tbENKUlT_T0_E_clISt17integral_constantIbLb0EESY_IbLb1EEEEDaSU_SV_EUlSU_E_NS1_11comp_targetILNS1_3genE8ELNS1_11target_archE1030ELNS1_3gpuE2ELNS1_3repE0EEENS1_30default_config_static_selectorELNS0_4arch9wavefront6targetE1EEEvT1_
    .private_segment_fixed_size: 0
    .sgpr_count:     6
    .sgpr_spill_count: 0
    .symbol:         _ZN7rocprim17ROCPRIM_400000_NS6detail17trampoline_kernelINS0_14default_configENS1_33run_length_encode_config_selectorIdjNS0_4plusIjEEEEZZNS1_33reduce_by_key_impl_wrapped_configILNS1_25lookback_scan_determinismE0ES3_S7_PKdNS0_17constant_iteratorIjlEEPdPlSF_S6_NS0_8equal_toIdEEEE10hipError_tPvRmT2_T3_mT4_T5_T6_T7_T8_P12ihipStream_tbENKUlT_T0_E_clISt17integral_constantIbLb0EESY_IbLb1EEEEDaSU_SV_EUlSU_E_NS1_11comp_targetILNS1_3genE8ELNS1_11target_archE1030ELNS1_3gpuE2ELNS1_3repE0EEENS1_30default_config_static_selectorELNS0_4arch9wavefront6targetE1EEEvT1_.kd
    .uniform_work_group_size: 1
    .uses_dynamic_stack: false
    .vgpr_count:     0
    .vgpr_spill_count: 0
    .wavefront_size: 64
  - .agpr_count:     0
    .args:
      - .offset:         0
        .size:           8
        .value_kind:     by_value
      - .address_space:  global
        .offset:         8
        .size:           8
        .value_kind:     global_buffer
      - .address_space:  global
        .offset:         16
        .size:           8
        .value_kind:     global_buffer
      - .offset:         24
        .size:           4
        .value_kind:     hidden_block_count_x
      - .offset:         28
        .size:           4
        .value_kind:     hidden_block_count_y
      - .offset:         32
        .size:           4
        .value_kind:     hidden_block_count_z
      - .offset:         36
        .size:           2
        .value_kind:     hidden_group_size_x
      - .offset:         38
        .size:           2
        .value_kind:     hidden_group_size_y
      - .offset:         40
        .size:           2
        .value_kind:     hidden_group_size_z
      - .offset:         42
        .size:           2
        .value_kind:     hidden_remainder_x
      - .offset:         44
        .size:           2
        .value_kind:     hidden_remainder_y
      - .offset:         46
        .size:           2
        .value_kind:     hidden_remainder_z
      - .offset:         64
        .size:           8
        .value_kind:     hidden_global_offset_x
      - .offset:         72
        .size:           8
        .value_kind:     hidden_global_offset_y
      - .offset:         80
        .size:           8
        .value_kind:     hidden_global_offset_z
      - .offset:         88
        .size:           2
        .value_kind:     hidden_grid_dims
    .group_segment_fixed_size: 0
    .kernarg_segment_align: 8
    .kernarg_segment_size: 280
    .language:       OpenCL C
    .language_version:
      - 2
      - 0
    .max_flat_workgroup_size: 1024
    .name:           _ZN2at6native8internal12_GLOBAL__N_126adjacent_difference_kernelIPKfEEvlT_Pi
    .private_segment_fixed_size: 0
    .sgpr_count:     22
    .sgpr_spill_count: 0
    .symbol:         _ZN2at6native8internal12_GLOBAL__N_126adjacent_difference_kernelIPKfEEvlT_Pi.kd
    .uniform_work_group_size: 1
    .uses_dynamic_stack: false
    .vgpr_count:     11
    .vgpr_spill_count: 0
    .wavefront_size: 64
  - .agpr_count:     0
    .args:
      - .offset:         0
        .size:           112
        .value_kind:     by_value
    .group_segment_fixed_size: 0
    .kernarg_segment_align: 8
    .kernarg_segment_size: 112
    .language:       OpenCL C
    .language_version:
      - 2
      - 0
    .max_flat_workgroup_size: 512
    .name:           _ZN7rocprim17ROCPRIM_400000_NS6detail17trampoline_kernelINS0_14default_configENS1_25partition_config_selectorILNS1_17partition_subalgoE8EfNS0_10empty_typeEbEEZZNS1_14partition_implILS5_8ELb0ES3_jPKfPS6_PKS6_NS0_5tupleIJPfS6_EEENSE_IJSB_SB_EEENS0_18inequality_wrapperIN6hipcub16HIPCUB_304000_NS8EqualityEEEPlJS6_EEE10hipError_tPvRmT3_T4_T5_T6_T7_T9_mT8_P12ihipStream_tbDpT10_ENKUlT_T0_E_clISt17integral_constantIbLb0EES17_EEDaS12_S13_EUlS12_E_NS1_11comp_targetILNS1_3genE0ELNS1_11target_archE4294967295ELNS1_3gpuE0ELNS1_3repE0EEENS1_30default_config_static_selectorELNS0_4arch9wavefront6targetE1EEEvT1_
    .private_segment_fixed_size: 0
    .sgpr_count:     6
    .sgpr_spill_count: 0
    .symbol:         _ZN7rocprim17ROCPRIM_400000_NS6detail17trampoline_kernelINS0_14default_configENS1_25partition_config_selectorILNS1_17partition_subalgoE8EfNS0_10empty_typeEbEEZZNS1_14partition_implILS5_8ELb0ES3_jPKfPS6_PKS6_NS0_5tupleIJPfS6_EEENSE_IJSB_SB_EEENS0_18inequality_wrapperIN6hipcub16HIPCUB_304000_NS8EqualityEEEPlJS6_EEE10hipError_tPvRmT3_T4_T5_T6_T7_T9_mT8_P12ihipStream_tbDpT10_ENKUlT_T0_E_clISt17integral_constantIbLb0EES17_EEDaS12_S13_EUlS12_E_NS1_11comp_targetILNS1_3genE0ELNS1_11target_archE4294967295ELNS1_3gpuE0ELNS1_3repE0EEENS1_30default_config_static_selectorELNS0_4arch9wavefront6targetE1EEEvT1_.kd
    .uniform_work_group_size: 1
    .uses_dynamic_stack: false
    .vgpr_count:     0
    .vgpr_spill_count: 0
    .wavefront_size: 64
  - .agpr_count:     0
    .args:
      - .offset:         0
        .size:           112
        .value_kind:     by_value
    .group_segment_fixed_size: 30728
    .kernarg_segment_align: 8
    .kernarg_segment_size: 112
    .language:       OpenCL C
    .language_version:
      - 2
      - 0
    .max_flat_workgroup_size: 512
    .name:           _ZN7rocprim17ROCPRIM_400000_NS6detail17trampoline_kernelINS0_14default_configENS1_25partition_config_selectorILNS1_17partition_subalgoE8EfNS0_10empty_typeEbEEZZNS1_14partition_implILS5_8ELb0ES3_jPKfPS6_PKS6_NS0_5tupleIJPfS6_EEENSE_IJSB_SB_EEENS0_18inequality_wrapperIN6hipcub16HIPCUB_304000_NS8EqualityEEEPlJS6_EEE10hipError_tPvRmT3_T4_T5_T6_T7_T9_mT8_P12ihipStream_tbDpT10_ENKUlT_T0_E_clISt17integral_constantIbLb0EES17_EEDaS12_S13_EUlS12_E_NS1_11comp_targetILNS1_3genE5ELNS1_11target_archE942ELNS1_3gpuE9ELNS1_3repE0EEENS1_30default_config_static_selectorELNS0_4arch9wavefront6targetE1EEEvT1_
    .private_segment_fixed_size: 0
    .sgpr_count:     54
    .sgpr_spill_count: 0
    .symbol:         _ZN7rocprim17ROCPRIM_400000_NS6detail17trampoline_kernelINS0_14default_configENS1_25partition_config_selectorILNS1_17partition_subalgoE8EfNS0_10empty_typeEbEEZZNS1_14partition_implILS5_8ELb0ES3_jPKfPS6_PKS6_NS0_5tupleIJPfS6_EEENSE_IJSB_SB_EEENS0_18inequality_wrapperIN6hipcub16HIPCUB_304000_NS8EqualityEEEPlJS6_EEE10hipError_tPvRmT3_T4_T5_T6_T7_T9_mT8_P12ihipStream_tbDpT10_ENKUlT_T0_E_clISt17integral_constantIbLb0EES17_EEDaS12_S13_EUlS12_E_NS1_11comp_targetILNS1_3genE5ELNS1_11target_archE942ELNS1_3gpuE9ELNS1_3repE0EEENS1_30default_config_static_selectorELNS0_4arch9wavefront6targetE1EEEvT1_.kd
    .uniform_work_group_size: 1
    .uses_dynamic_stack: false
    .vgpr_count:     74
    .vgpr_spill_count: 0
    .wavefront_size: 64
  - .agpr_count:     0
    .args:
      - .offset:         0
        .size:           112
        .value_kind:     by_value
    .group_segment_fixed_size: 0
    .kernarg_segment_align: 8
    .kernarg_segment_size: 112
    .language:       OpenCL C
    .language_version:
      - 2
      - 0
    .max_flat_workgroup_size: 256
    .name:           _ZN7rocprim17ROCPRIM_400000_NS6detail17trampoline_kernelINS0_14default_configENS1_25partition_config_selectorILNS1_17partition_subalgoE8EfNS0_10empty_typeEbEEZZNS1_14partition_implILS5_8ELb0ES3_jPKfPS6_PKS6_NS0_5tupleIJPfS6_EEENSE_IJSB_SB_EEENS0_18inequality_wrapperIN6hipcub16HIPCUB_304000_NS8EqualityEEEPlJS6_EEE10hipError_tPvRmT3_T4_T5_T6_T7_T9_mT8_P12ihipStream_tbDpT10_ENKUlT_T0_E_clISt17integral_constantIbLb0EES17_EEDaS12_S13_EUlS12_E_NS1_11comp_targetILNS1_3genE4ELNS1_11target_archE910ELNS1_3gpuE8ELNS1_3repE0EEENS1_30default_config_static_selectorELNS0_4arch9wavefront6targetE1EEEvT1_
    .private_segment_fixed_size: 0
    .sgpr_count:     6
    .sgpr_spill_count: 0
    .symbol:         _ZN7rocprim17ROCPRIM_400000_NS6detail17trampoline_kernelINS0_14default_configENS1_25partition_config_selectorILNS1_17partition_subalgoE8EfNS0_10empty_typeEbEEZZNS1_14partition_implILS5_8ELb0ES3_jPKfPS6_PKS6_NS0_5tupleIJPfS6_EEENSE_IJSB_SB_EEENS0_18inequality_wrapperIN6hipcub16HIPCUB_304000_NS8EqualityEEEPlJS6_EEE10hipError_tPvRmT3_T4_T5_T6_T7_T9_mT8_P12ihipStream_tbDpT10_ENKUlT_T0_E_clISt17integral_constantIbLb0EES17_EEDaS12_S13_EUlS12_E_NS1_11comp_targetILNS1_3genE4ELNS1_11target_archE910ELNS1_3gpuE8ELNS1_3repE0EEENS1_30default_config_static_selectorELNS0_4arch9wavefront6targetE1EEEvT1_.kd
    .uniform_work_group_size: 1
    .uses_dynamic_stack: false
    .vgpr_count:     0
    .vgpr_spill_count: 0
    .wavefront_size: 64
  - .agpr_count:     0
    .args:
      - .offset:         0
        .size:           112
        .value_kind:     by_value
    .group_segment_fixed_size: 0
    .kernarg_segment_align: 8
    .kernarg_segment_size: 112
    .language:       OpenCL C
    .language_version:
      - 2
      - 0
    .max_flat_workgroup_size: 512
    .name:           _ZN7rocprim17ROCPRIM_400000_NS6detail17trampoline_kernelINS0_14default_configENS1_25partition_config_selectorILNS1_17partition_subalgoE8EfNS0_10empty_typeEbEEZZNS1_14partition_implILS5_8ELb0ES3_jPKfPS6_PKS6_NS0_5tupleIJPfS6_EEENSE_IJSB_SB_EEENS0_18inequality_wrapperIN6hipcub16HIPCUB_304000_NS8EqualityEEEPlJS6_EEE10hipError_tPvRmT3_T4_T5_T6_T7_T9_mT8_P12ihipStream_tbDpT10_ENKUlT_T0_E_clISt17integral_constantIbLb0EES17_EEDaS12_S13_EUlS12_E_NS1_11comp_targetILNS1_3genE3ELNS1_11target_archE908ELNS1_3gpuE7ELNS1_3repE0EEENS1_30default_config_static_selectorELNS0_4arch9wavefront6targetE1EEEvT1_
    .private_segment_fixed_size: 0
    .sgpr_count:     6
    .sgpr_spill_count: 0
    .symbol:         _ZN7rocprim17ROCPRIM_400000_NS6detail17trampoline_kernelINS0_14default_configENS1_25partition_config_selectorILNS1_17partition_subalgoE8EfNS0_10empty_typeEbEEZZNS1_14partition_implILS5_8ELb0ES3_jPKfPS6_PKS6_NS0_5tupleIJPfS6_EEENSE_IJSB_SB_EEENS0_18inequality_wrapperIN6hipcub16HIPCUB_304000_NS8EqualityEEEPlJS6_EEE10hipError_tPvRmT3_T4_T5_T6_T7_T9_mT8_P12ihipStream_tbDpT10_ENKUlT_T0_E_clISt17integral_constantIbLb0EES17_EEDaS12_S13_EUlS12_E_NS1_11comp_targetILNS1_3genE3ELNS1_11target_archE908ELNS1_3gpuE7ELNS1_3repE0EEENS1_30default_config_static_selectorELNS0_4arch9wavefront6targetE1EEEvT1_.kd
    .uniform_work_group_size: 1
    .uses_dynamic_stack: false
    .vgpr_count:     0
    .vgpr_spill_count: 0
    .wavefront_size: 64
  - .agpr_count:     0
    .args:
      - .offset:         0
        .size:           112
        .value_kind:     by_value
    .group_segment_fixed_size: 0
    .kernarg_segment_align: 8
    .kernarg_segment_size: 112
    .language:       OpenCL C
    .language_version:
      - 2
      - 0
    .max_flat_workgroup_size: 256
    .name:           _ZN7rocprim17ROCPRIM_400000_NS6detail17trampoline_kernelINS0_14default_configENS1_25partition_config_selectorILNS1_17partition_subalgoE8EfNS0_10empty_typeEbEEZZNS1_14partition_implILS5_8ELb0ES3_jPKfPS6_PKS6_NS0_5tupleIJPfS6_EEENSE_IJSB_SB_EEENS0_18inequality_wrapperIN6hipcub16HIPCUB_304000_NS8EqualityEEEPlJS6_EEE10hipError_tPvRmT3_T4_T5_T6_T7_T9_mT8_P12ihipStream_tbDpT10_ENKUlT_T0_E_clISt17integral_constantIbLb0EES17_EEDaS12_S13_EUlS12_E_NS1_11comp_targetILNS1_3genE2ELNS1_11target_archE906ELNS1_3gpuE6ELNS1_3repE0EEENS1_30default_config_static_selectorELNS0_4arch9wavefront6targetE1EEEvT1_
    .private_segment_fixed_size: 0
    .sgpr_count:     6
    .sgpr_spill_count: 0
    .symbol:         _ZN7rocprim17ROCPRIM_400000_NS6detail17trampoline_kernelINS0_14default_configENS1_25partition_config_selectorILNS1_17partition_subalgoE8EfNS0_10empty_typeEbEEZZNS1_14partition_implILS5_8ELb0ES3_jPKfPS6_PKS6_NS0_5tupleIJPfS6_EEENSE_IJSB_SB_EEENS0_18inequality_wrapperIN6hipcub16HIPCUB_304000_NS8EqualityEEEPlJS6_EEE10hipError_tPvRmT3_T4_T5_T6_T7_T9_mT8_P12ihipStream_tbDpT10_ENKUlT_T0_E_clISt17integral_constantIbLb0EES17_EEDaS12_S13_EUlS12_E_NS1_11comp_targetILNS1_3genE2ELNS1_11target_archE906ELNS1_3gpuE6ELNS1_3repE0EEENS1_30default_config_static_selectorELNS0_4arch9wavefront6targetE1EEEvT1_.kd
    .uniform_work_group_size: 1
    .uses_dynamic_stack: false
    .vgpr_count:     0
    .vgpr_spill_count: 0
    .wavefront_size: 64
  - .agpr_count:     0
    .args:
      - .offset:         0
        .size:           112
        .value_kind:     by_value
    .group_segment_fixed_size: 0
    .kernarg_segment_align: 8
    .kernarg_segment_size: 112
    .language:       OpenCL C
    .language_version:
      - 2
      - 0
    .max_flat_workgroup_size: 384
    .name:           _ZN7rocprim17ROCPRIM_400000_NS6detail17trampoline_kernelINS0_14default_configENS1_25partition_config_selectorILNS1_17partition_subalgoE8EfNS0_10empty_typeEbEEZZNS1_14partition_implILS5_8ELb0ES3_jPKfPS6_PKS6_NS0_5tupleIJPfS6_EEENSE_IJSB_SB_EEENS0_18inequality_wrapperIN6hipcub16HIPCUB_304000_NS8EqualityEEEPlJS6_EEE10hipError_tPvRmT3_T4_T5_T6_T7_T9_mT8_P12ihipStream_tbDpT10_ENKUlT_T0_E_clISt17integral_constantIbLb0EES17_EEDaS12_S13_EUlS12_E_NS1_11comp_targetILNS1_3genE10ELNS1_11target_archE1200ELNS1_3gpuE4ELNS1_3repE0EEENS1_30default_config_static_selectorELNS0_4arch9wavefront6targetE1EEEvT1_
    .private_segment_fixed_size: 0
    .sgpr_count:     6
    .sgpr_spill_count: 0
    .symbol:         _ZN7rocprim17ROCPRIM_400000_NS6detail17trampoline_kernelINS0_14default_configENS1_25partition_config_selectorILNS1_17partition_subalgoE8EfNS0_10empty_typeEbEEZZNS1_14partition_implILS5_8ELb0ES3_jPKfPS6_PKS6_NS0_5tupleIJPfS6_EEENSE_IJSB_SB_EEENS0_18inequality_wrapperIN6hipcub16HIPCUB_304000_NS8EqualityEEEPlJS6_EEE10hipError_tPvRmT3_T4_T5_T6_T7_T9_mT8_P12ihipStream_tbDpT10_ENKUlT_T0_E_clISt17integral_constantIbLb0EES17_EEDaS12_S13_EUlS12_E_NS1_11comp_targetILNS1_3genE10ELNS1_11target_archE1200ELNS1_3gpuE4ELNS1_3repE0EEENS1_30default_config_static_selectorELNS0_4arch9wavefront6targetE1EEEvT1_.kd
    .uniform_work_group_size: 1
    .uses_dynamic_stack: false
    .vgpr_count:     0
    .vgpr_spill_count: 0
    .wavefront_size: 64
  - .agpr_count:     0
    .args:
      - .offset:         0
        .size:           112
        .value_kind:     by_value
    .group_segment_fixed_size: 0
    .kernarg_segment_align: 8
    .kernarg_segment_size: 112
    .language:       OpenCL C
    .language_version:
      - 2
      - 0
    .max_flat_workgroup_size: 128
    .name:           _ZN7rocprim17ROCPRIM_400000_NS6detail17trampoline_kernelINS0_14default_configENS1_25partition_config_selectorILNS1_17partition_subalgoE8EfNS0_10empty_typeEbEEZZNS1_14partition_implILS5_8ELb0ES3_jPKfPS6_PKS6_NS0_5tupleIJPfS6_EEENSE_IJSB_SB_EEENS0_18inequality_wrapperIN6hipcub16HIPCUB_304000_NS8EqualityEEEPlJS6_EEE10hipError_tPvRmT3_T4_T5_T6_T7_T9_mT8_P12ihipStream_tbDpT10_ENKUlT_T0_E_clISt17integral_constantIbLb0EES17_EEDaS12_S13_EUlS12_E_NS1_11comp_targetILNS1_3genE9ELNS1_11target_archE1100ELNS1_3gpuE3ELNS1_3repE0EEENS1_30default_config_static_selectorELNS0_4arch9wavefront6targetE1EEEvT1_
    .private_segment_fixed_size: 0
    .sgpr_count:     6
    .sgpr_spill_count: 0
    .symbol:         _ZN7rocprim17ROCPRIM_400000_NS6detail17trampoline_kernelINS0_14default_configENS1_25partition_config_selectorILNS1_17partition_subalgoE8EfNS0_10empty_typeEbEEZZNS1_14partition_implILS5_8ELb0ES3_jPKfPS6_PKS6_NS0_5tupleIJPfS6_EEENSE_IJSB_SB_EEENS0_18inequality_wrapperIN6hipcub16HIPCUB_304000_NS8EqualityEEEPlJS6_EEE10hipError_tPvRmT3_T4_T5_T6_T7_T9_mT8_P12ihipStream_tbDpT10_ENKUlT_T0_E_clISt17integral_constantIbLb0EES17_EEDaS12_S13_EUlS12_E_NS1_11comp_targetILNS1_3genE9ELNS1_11target_archE1100ELNS1_3gpuE3ELNS1_3repE0EEENS1_30default_config_static_selectorELNS0_4arch9wavefront6targetE1EEEvT1_.kd
    .uniform_work_group_size: 1
    .uses_dynamic_stack: false
    .vgpr_count:     0
    .vgpr_spill_count: 0
    .wavefront_size: 64
  - .agpr_count:     0
    .args:
      - .offset:         0
        .size:           112
        .value_kind:     by_value
    .group_segment_fixed_size: 0
    .kernarg_segment_align: 8
    .kernarg_segment_size: 112
    .language:       OpenCL C
    .language_version:
      - 2
      - 0
    .max_flat_workgroup_size: 512
    .name:           _ZN7rocprim17ROCPRIM_400000_NS6detail17trampoline_kernelINS0_14default_configENS1_25partition_config_selectorILNS1_17partition_subalgoE8EfNS0_10empty_typeEbEEZZNS1_14partition_implILS5_8ELb0ES3_jPKfPS6_PKS6_NS0_5tupleIJPfS6_EEENSE_IJSB_SB_EEENS0_18inequality_wrapperIN6hipcub16HIPCUB_304000_NS8EqualityEEEPlJS6_EEE10hipError_tPvRmT3_T4_T5_T6_T7_T9_mT8_P12ihipStream_tbDpT10_ENKUlT_T0_E_clISt17integral_constantIbLb0EES17_EEDaS12_S13_EUlS12_E_NS1_11comp_targetILNS1_3genE8ELNS1_11target_archE1030ELNS1_3gpuE2ELNS1_3repE0EEENS1_30default_config_static_selectorELNS0_4arch9wavefront6targetE1EEEvT1_
    .private_segment_fixed_size: 0
    .sgpr_count:     6
    .sgpr_spill_count: 0
    .symbol:         _ZN7rocprim17ROCPRIM_400000_NS6detail17trampoline_kernelINS0_14default_configENS1_25partition_config_selectorILNS1_17partition_subalgoE8EfNS0_10empty_typeEbEEZZNS1_14partition_implILS5_8ELb0ES3_jPKfPS6_PKS6_NS0_5tupleIJPfS6_EEENSE_IJSB_SB_EEENS0_18inequality_wrapperIN6hipcub16HIPCUB_304000_NS8EqualityEEEPlJS6_EEE10hipError_tPvRmT3_T4_T5_T6_T7_T9_mT8_P12ihipStream_tbDpT10_ENKUlT_T0_E_clISt17integral_constantIbLb0EES17_EEDaS12_S13_EUlS12_E_NS1_11comp_targetILNS1_3genE8ELNS1_11target_archE1030ELNS1_3gpuE2ELNS1_3repE0EEENS1_30default_config_static_selectorELNS0_4arch9wavefront6targetE1EEEvT1_.kd
    .uniform_work_group_size: 1
    .uses_dynamic_stack: false
    .vgpr_count:     0
    .vgpr_spill_count: 0
    .wavefront_size: 64
  - .agpr_count:     0
    .args:
      - .offset:         0
        .size:           128
        .value_kind:     by_value
    .group_segment_fixed_size: 0
    .kernarg_segment_align: 8
    .kernarg_segment_size: 128
    .language:       OpenCL C
    .language_version:
      - 2
      - 0
    .max_flat_workgroup_size: 512
    .name:           _ZN7rocprim17ROCPRIM_400000_NS6detail17trampoline_kernelINS0_14default_configENS1_25partition_config_selectorILNS1_17partition_subalgoE8EfNS0_10empty_typeEbEEZZNS1_14partition_implILS5_8ELb0ES3_jPKfPS6_PKS6_NS0_5tupleIJPfS6_EEENSE_IJSB_SB_EEENS0_18inequality_wrapperIN6hipcub16HIPCUB_304000_NS8EqualityEEEPlJS6_EEE10hipError_tPvRmT3_T4_T5_T6_T7_T9_mT8_P12ihipStream_tbDpT10_ENKUlT_T0_E_clISt17integral_constantIbLb1EES17_EEDaS12_S13_EUlS12_E_NS1_11comp_targetILNS1_3genE0ELNS1_11target_archE4294967295ELNS1_3gpuE0ELNS1_3repE0EEENS1_30default_config_static_selectorELNS0_4arch9wavefront6targetE1EEEvT1_
    .private_segment_fixed_size: 0
    .sgpr_count:     6
    .sgpr_spill_count: 0
    .symbol:         _ZN7rocprim17ROCPRIM_400000_NS6detail17trampoline_kernelINS0_14default_configENS1_25partition_config_selectorILNS1_17partition_subalgoE8EfNS0_10empty_typeEbEEZZNS1_14partition_implILS5_8ELb0ES3_jPKfPS6_PKS6_NS0_5tupleIJPfS6_EEENSE_IJSB_SB_EEENS0_18inequality_wrapperIN6hipcub16HIPCUB_304000_NS8EqualityEEEPlJS6_EEE10hipError_tPvRmT3_T4_T5_T6_T7_T9_mT8_P12ihipStream_tbDpT10_ENKUlT_T0_E_clISt17integral_constantIbLb1EES17_EEDaS12_S13_EUlS12_E_NS1_11comp_targetILNS1_3genE0ELNS1_11target_archE4294967295ELNS1_3gpuE0ELNS1_3repE0EEENS1_30default_config_static_selectorELNS0_4arch9wavefront6targetE1EEEvT1_.kd
    .uniform_work_group_size: 1
    .uses_dynamic_stack: false
    .vgpr_count:     0
    .vgpr_spill_count: 0
    .wavefront_size: 64
  - .agpr_count:     0
    .args:
      - .offset:         0
        .size:           128
        .value_kind:     by_value
    .group_segment_fixed_size: 30728
    .kernarg_segment_align: 8
    .kernarg_segment_size: 128
    .language:       OpenCL C
    .language_version:
      - 2
      - 0
    .max_flat_workgroup_size: 512
    .name:           _ZN7rocprim17ROCPRIM_400000_NS6detail17trampoline_kernelINS0_14default_configENS1_25partition_config_selectorILNS1_17partition_subalgoE8EfNS0_10empty_typeEbEEZZNS1_14partition_implILS5_8ELb0ES3_jPKfPS6_PKS6_NS0_5tupleIJPfS6_EEENSE_IJSB_SB_EEENS0_18inequality_wrapperIN6hipcub16HIPCUB_304000_NS8EqualityEEEPlJS6_EEE10hipError_tPvRmT3_T4_T5_T6_T7_T9_mT8_P12ihipStream_tbDpT10_ENKUlT_T0_E_clISt17integral_constantIbLb1EES17_EEDaS12_S13_EUlS12_E_NS1_11comp_targetILNS1_3genE5ELNS1_11target_archE942ELNS1_3gpuE9ELNS1_3repE0EEENS1_30default_config_static_selectorELNS0_4arch9wavefront6targetE1EEEvT1_
    .private_segment_fixed_size: 0
    .sgpr_count:     57
    .sgpr_spill_count: 0
    .symbol:         _ZN7rocprim17ROCPRIM_400000_NS6detail17trampoline_kernelINS0_14default_configENS1_25partition_config_selectorILNS1_17partition_subalgoE8EfNS0_10empty_typeEbEEZZNS1_14partition_implILS5_8ELb0ES3_jPKfPS6_PKS6_NS0_5tupleIJPfS6_EEENSE_IJSB_SB_EEENS0_18inequality_wrapperIN6hipcub16HIPCUB_304000_NS8EqualityEEEPlJS6_EEE10hipError_tPvRmT3_T4_T5_T6_T7_T9_mT8_P12ihipStream_tbDpT10_ENKUlT_T0_E_clISt17integral_constantIbLb1EES17_EEDaS12_S13_EUlS12_E_NS1_11comp_targetILNS1_3genE5ELNS1_11target_archE942ELNS1_3gpuE9ELNS1_3repE0EEENS1_30default_config_static_selectorELNS0_4arch9wavefront6targetE1EEEvT1_.kd
    .uniform_work_group_size: 1
    .uses_dynamic_stack: false
    .vgpr_count:     76
    .vgpr_spill_count: 0
    .wavefront_size: 64
  - .agpr_count:     0
    .args:
      - .offset:         0
        .size:           128
        .value_kind:     by_value
    .group_segment_fixed_size: 0
    .kernarg_segment_align: 8
    .kernarg_segment_size: 128
    .language:       OpenCL C
    .language_version:
      - 2
      - 0
    .max_flat_workgroup_size: 256
    .name:           _ZN7rocprim17ROCPRIM_400000_NS6detail17trampoline_kernelINS0_14default_configENS1_25partition_config_selectorILNS1_17partition_subalgoE8EfNS0_10empty_typeEbEEZZNS1_14partition_implILS5_8ELb0ES3_jPKfPS6_PKS6_NS0_5tupleIJPfS6_EEENSE_IJSB_SB_EEENS0_18inequality_wrapperIN6hipcub16HIPCUB_304000_NS8EqualityEEEPlJS6_EEE10hipError_tPvRmT3_T4_T5_T6_T7_T9_mT8_P12ihipStream_tbDpT10_ENKUlT_T0_E_clISt17integral_constantIbLb1EES17_EEDaS12_S13_EUlS12_E_NS1_11comp_targetILNS1_3genE4ELNS1_11target_archE910ELNS1_3gpuE8ELNS1_3repE0EEENS1_30default_config_static_selectorELNS0_4arch9wavefront6targetE1EEEvT1_
    .private_segment_fixed_size: 0
    .sgpr_count:     6
    .sgpr_spill_count: 0
    .symbol:         _ZN7rocprim17ROCPRIM_400000_NS6detail17trampoline_kernelINS0_14default_configENS1_25partition_config_selectorILNS1_17partition_subalgoE8EfNS0_10empty_typeEbEEZZNS1_14partition_implILS5_8ELb0ES3_jPKfPS6_PKS6_NS0_5tupleIJPfS6_EEENSE_IJSB_SB_EEENS0_18inequality_wrapperIN6hipcub16HIPCUB_304000_NS8EqualityEEEPlJS6_EEE10hipError_tPvRmT3_T4_T5_T6_T7_T9_mT8_P12ihipStream_tbDpT10_ENKUlT_T0_E_clISt17integral_constantIbLb1EES17_EEDaS12_S13_EUlS12_E_NS1_11comp_targetILNS1_3genE4ELNS1_11target_archE910ELNS1_3gpuE8ELNS1_3repE0EEENS1_30default_config_static_selectorELNS0_4arch9wavefront6targetE1EEEvT1_.kd
    .uniform_work_group_size: 1
    .uses_dynamic_stack: false
    .vgpr_count:     0
    .vgpr_spill_count: 0
    .wavefront_size: 64
  - .agpr_count:     0
    .args:
      - .offset:         0
        .size:           128
        .value_kind:     by_value
    .group_segment_fixed_size: 0
    .kernarg_segment_align: 8
    .kernarg_segment_size: 128
    .language:       OpenCL C
    .language_version:
      - 2
      - 0
    .max_flat_workgroup_size: 512
    .name:           _ZN7rocprim17ROCPRIM_400000_NS6detail17trampoline_kernelINS0_14default_configENS1_25partition_config_selectorILNS1_17partition_subalgoE8EfNS0_10empty_typeEbEEZZNS1_14partition_implILS5_8ELb0ES3_jPKfPS6_PKS6_NS0_5tupleIJPfS6_EEENSE_IJSB_SB_EEENS0_18inequality_wrapperIN6hipcub16HIPCUB_304000_NS8EqualityEEEPlJS6_EEE10hipError_tPvRmT3_T4_T5_T6_T7_T9_mT8_P12ihipStream_tbDpT10_ENKUlT_T0_E_clISt17integral_constantIbLb1EES17_EEDaS12_S13_EUlS12_E_NS1_11comp_targetILNS1_3genE3ELNS1_11target_archE908ELNS1_3gpuE7ELNS1_3repE0EEENS1_30default_config_static_selectorELNS0_4arch9wavefront6targetE1EEEvT1_
    .private_segment_fixed_size: 0
    .sgpr_count:     6
    .sgpr_spill_count: 0
    .symbol:         _ZN7rocprim17ROCPRIM_400000_NS6detail17trampoline_kernelINS0_14default_configENS1_25partition_config_selectorILNS1_17partition_subalgoE8EfNS0_10empty_typeEbEEZZNS1_14partition_implILS5_8ELb0ES3_jPKfPS6_PKS6_NS0_5tupleIJPfS6_EEENSE_IJSB_SB_EEENS0_18inequality_wrapperIN6hipcub16HIPCUB_304000_NS8EqualityEEEPlJS6_EEE10hipError_tPvRmT3_T4_T5_T6_T7_T9_mT8_P12ihipStream_tbDpT10_ENKUlT_T0_E_clISt17integral_constantIbLb1EES17_EEDaS12_S13_EUlS12_E_NS1_11comp_targetILNS1_3genE3ELNS1_11target_archE908ELNS1_3gpuE7ELNS1_3repE0EEENS1_30default_config_static_selectorELNS0_4arch9wavefront6targetE1EEEvT1_.kd
    .uniform_work_group_size: 1
    .uses_dynamic_stack: false
    .vgpr_count:     0
    .vgpr_spill_count: 0
    .wavefront_size: 64
  - .agpr_count:     0
    .args:
      - .offset:         0
        .size:           128
        .value_kind:     by_value
    .group_segment_fixed_size: 0
    .kernarg_segment_align: 8
    .kernarg_segment_size: 128
    .language:       OpenCL C
    .language_version:
      - 2
      - 0
    .max_flat_workgroup_size: 256
    .name:           _ZN7rocprim17ROCPRIM_400000_NS6detail17trampoline_kernelINS0_14default_configENS1_25partition_config_selectorILNS1_17partition_subalgoE8EfNS0_10empty_typeEbEEZZNS1_14partition_implILS5_8ELb0ES3_jPKfPS6_PKS6_NS0_5tupleIJPfS6_EEENSE_IJSB_SB_EEENS0_18inequality_wrapperIN6hipcub16HIPCUB_304000_NS8EqualityEEEPlJS6_EEE10hipError_tPvRmT3_T4_T5_T6_T7_T9_mT8_P12ihipStream_tbDpT10_ENKUlT_T0_E_clISt17integral_constantIbLb1EES17_EEDaS12_S13_EUlS12_E_NS1_11comp_targetILNS1_3genE2ELNS1_11target_archE906ELNS1_3gpuE6ELNS1_3repE0EEENS1_30default_config_static_selectorELNS0_4arch9wavefront6targetE1EEEvT1_
    .private_segment_fixed_size: 0
    .sgpr_count:     6
    .sgpr_spill_count: 0
    .symbol:         _ZN7rocprim17ROCPRIM_400000_NS6detail17trampoline_kernelINS0_14default_configENS1_25partition_config_selectorILNS1_17partition_subalgoE8EfNS0_10empty_typeEbEEZZNS1_14partition_implILS5_8ELb0ES3_jPKfPS6_PKS6_NS0_5tupleIJPfS6_EEENSE_IJSB_SB_EEENS0_18inequality_wrapperIN6hipcub16HIPCUB_304000_NS8EqualityEEEPlJS6_EEE10hipError_tPvRmT3_T4_T5_T6_T7_T9_mT8_P12ihipStream_tbDpT10_ENKUlT_T0_E_clISt17integral_constantIbLb1EES17_EEDaS12_S13_EUlS12_E_NS1_11comp_targetILNS1_3genE2ELNS1_11target_archE906ELNS1_3gpuE6ELNS1_3repE0EEENS1_30default_config_static_selectorELNS0_4arch9wavefront6targetE1EEEvT1_.kd
    .uniform_work_group_size: 1
    .uses_dynamic_stack: false
    .vgpr_count:     0
    .vgpr_spill_count: 0
    .wavefront_size: 64
  - .agpr_count:     0
    .args:
      - .offset:         0
        .size:           128
        .value_kind:     by_value
    .group_segment_fixed_size: 0
    .kernarg_segment_align: 8
    .kernarg_segment_size: 128
    .language:       OpenCL C
    .language_version:
      - 2
      - 0
    .max_flat_workgroup_size: 384
    .name:           _ZN7rocprim17ROCPRIM_400000_NS6detail17trampoline_kernelINS0_14default_configENS1_25partition_config_selectorILNS1_17partition_subalgoE8EfNS0_10empty_typeEbEEZZNS1_14partition_implILS5_8ELb0ES3_jPKfPS6_PKS6_NS0_5tupleIJPfS6_EEENSE_IJSB_SB_EEENS0_18inequality_wrapperIN6hipcub16HIPCUB_304000_NS8EqualityEEEPlJS6_EEE10hipError_tPvRmT3_T4_T5_T6_T7_T9_mT8_P12ihipStream_tbDpT10_ENKUlT_T0_E_clISt17integral_constantIbLb1EES17_EEDaS12_S13_EUlS12_E_NS1_11comp_targetILNS1_3genE10ELNS1_11target_archE1200ELNS1_3gpuE4ELNS1_3repE0EEENS1_30default_config_static_selectorELNS0_4arch9wavefront6targetE1EEEvT1_
    .private_segment_fixed_size: 0
    .sgpr_count:     6
    .sgpr_spill_count: 0
    .symbol:         _ZN7rocprim17ROCPRIM_400000_NS6detail17trampoline_kernelINS0_14default_configENS1_25partition_config_selectorILNS1_17partition_subalgoE8EfNS0_10empty_typeEbEEZZNS1_14partition_implILS5_8ELb0ES3_jPKfPS6_PKS6_NS0_5tupleIJPfS6_EEENSE_IJSB_SB_EEENS0_18inequality_wrapperIN6hipcub16HIPCUB_304000_NS8EqualityEEEPlJS6_EEE10hipError_tPvRmT3_T4_T5_T6_T7_T9_mT8_P12ihipStream_tbDpT10_ENKUlT_T0_E_clISt17integral_constantIbLb1EES17_EEDaS12_S13_EUlS12_E_NS1_11comp_targetILNS1_3genE10ELNS1_11target_archE1200ELNS1_3gpuE4ELNS1_3repE0EEENS1_30default_config_static_selectorELNS0_4arch9wavefront6targetE1EEEvT1_.kd
    .uniform_work_group_size: 1
    .uses_dynamic_stack: false
    .vgpr_count:     0
    .vgpr_spill_count: 0
    .wavefront_size: 64
  - .agpr_count:     0
    .args:
      - .offset:         0
        .size:           128
        .value_kind:     by_value
    .group_segment_fixed_size: 0
    .kernarg_segment_align: 8
    .kernarg_segment_size: 128
    .language:       OpenCL C
    .language_version:
      - 2
      - 0
    .max_flat_workgroup_size: 128
    .name:           _ZN7rocprim17ROCPRIM_400000_NS6detail17trampoline_kernelINS0_14default_configENS1_25partition_config_selectorILNS1_17partition_subalgoE8EfNS0_10empty_typeEbEEZZNS1_14partition_implILS5_8ELb0ES3_jPKfPS6_PKS6_NS0_5tupleIJPfS6_EEENSE_IJSB_SB_EEENS0_18inequality_wrapperIN6hipcub16HIPCUB_304000_NS8EqualityEEEPlJS6_EEE10hipError_tPvRmT3_T4_T5_T6_T7_T9_mT8_P12ihipStream_tbDpT10_ENKUlT_T0_E_clISt17integral_constantIbLb1EES17_EEDaS12_S13_EUlS12_E_NS1_11comp_targetILNS1_3genE9ELNS1_11target_archE1100ELNS1_3gpuE3ELNS1_3repE0EEENS1_30default_config_static_selectorELNS0_4arch9wavefront6targetE1EEEvT1_
    .private_segment_fixed_size: 0
    .sgpr_count:     6
    .sgpr_spill_count: 0
    .symbol:         _ZN7rocprim17ROCPRIM_400000_NS6detail17trampoline_kernelINS0_14default_configENS1_25partition_config_selectorILNS1_17partition_subalgoE8EfNS0_10empty_typeEbEEZZNS1_14partition_implILS5_8ELb0ES3_jPKfPS6_PKS6_NS0_5tupleIJPfS6_EEENSE_IJSB_SB_EEENS0_18inequality_wrapperIN6hipcub16HIPCUB_304000_NS8EqualityEEEPlJS6_EEE10hipError_tPvRmT3_T4_T5_T6_T7_T9_mT8_P12ihipStream_tbDpT10_ENKUlT_T0_E_clISt17integral_constantIbLb1EES17_EEDaS12_S13_EUlS12_E_NS1_11comp_targetILNS1_3genE9ELNS1_11target_archE1100ELNS1_3gpuE3ELNS1_3repE0EEENS1_30default_config_static_selectorELNS0_4arch9wavefront6targetE1EEEvT1_.kd
    .uniform_work_group_size: 1
    .uses_dynamic_stack: false
    .vgpr_count:     0
    .vgpr_spill_count: 0
    .wavefront_size: 64
  - .agpr_count:     0
    .args:
      - .offset:         0
        .size:           128
        .value_kind:     by_value
    .group_segment_fixed_size: 0
    .kernarg_segment_align: 8
    .kernarg_segment_size: 128
    .language:       OpenCL C
    .language_version:
      - 2
      - 0
    .max_flat_workgroup_size: 512
    .name:           _ZN7rocprim17ROCPRIM_400000_NS6detail17trampoline_kernelINS0_14default_configENS1_25partition_config_selectorILNS1_17partition_subalgoE8EfNS0_10empty_typeEbEEZZNS1_14partition_implILS5_8ELb0ES3_jPKfPS6_PKS6_NS0_5tupleIJPfS6_EEENSE_IJSB_SB_EEENS0_18inequality_wrapperIN6hipcub16HIPCUB_304000_NS8EqualityEEEPlJS6_EEE10hipError_tPvRmT3_T4_T5_T6_T7_T9_mT8_P12ihipStream_tbDpT10_ENKUlT_T0_E_clISt17integral_constantIbLb1EES17_EEDaS12_S13_EUlS12_E_NS1_11comp_targetILNS1_3genE8ELNS1_11target_archE1030ELNS1_3gpuE2ELNS1_3repE0EEENS1_30default_config_static_selectorELNS0_4arch9wavefront6targetE1EEEvT1_
    .private_segment_fixed_size: 0
    .sgpr_count:     6
    .sgpr_spill_count: 0
    .symbol:         _ZN7rocprim17ROCPRIM_400000_NS6detail17trampoline_kernelINS0_14default_configENS1_25partition_config_selectorILNS1_17partition_subalgoE8EfNS0_10empty_typeEbEEZZNS1_14partition_implILS5_8ELb0ES3_jPKfPS6_PKS6_NS0_5tupleIJPfS6_EEENSE_IJSB_SB_EEENS0_18inequality_wrapperIN6hipcub16HIPCUB_304000_NS8EqualityEEEPlJS6_EEE10hipError_tPvRmT3_T4_T5_T6_T7_T9_mT8_P12ihipStream_tbDpT10_ENKUlT_T0_E_clISt17integral_constantIbLb1EES17_EEDaS12_S13_EUlS12_E_NS1_11comp_targetILNS1_3genE8ELNS1_11target_archE1030ELNS1_3gpuE2ELNS1_3repE0EEENS1_30default_config_static_selectorELNS0_4arch9wavefront6targetE1EEEvT1_.kd
    .uniform_work_group_size: 1
    .uses_dynamic_stack: false
    .vgpr_count:     0
    .vgpr_spill_count: 0
    .wavefront_size: 64
  - .agpr_count:     0
    .args:
      - .offset:         0
        .size:           112
        .value_kind:     by_value
    .group_segment_fixed_size: 0
    .kernarg_segment_align: 8
    .kernarg_segment_size: 112
    .language:       OpenCL C
    .language_version:
      - 2
      - 0
    .max_flat_workgroup_size: 512
    .name:           _ZN7rocprim17ROCPRIM_400000_NS6detail17trampoline_kernelINS0_14default_configENS1_25partition_config_selectorILNS1_17partition_subalgoE8EfNS0_10empty_typeEbEEZZNS1_14partition_implILS5_8ELb0ES3_jPKfPS6_PKS6_NS0_5tupleIJPfS6_EEENSE_IJSB_SB_EEENS0_18inequality_wrapperIN6hipcub16HIPCUB_304000_NS8EqualityEEEPlJS6_EEE10hipError_tPvRmT3_T4_T5_T6_T7_T9_mT8_P12ihipStream_tbDpT10_ENKUlT_T0_E_clISt17integral_constantIbLb1EES16_IbLb0EEEEDaS12_S13_EUlS12_E_NS1_11comp_targetILNS1_3genE0ELNS1_11target_archE4294967295ELNS1_3gpuE0ELNS1_3repE0EEENS1_30default_config_static_selectorELNS0_4arch9wavefront6targetE1EEEvT1_
    .private_segment_fixed_size: 0
    .sgpr_count:     6
    .sgpr_spill_count: 0
    .symbol:         _ZN7rocprim17ROCPRIM_400000_NS6detail17trampoline_kernelINS0_14default_configENS1_25partition_config_selectorILNS1_17partition_subalgoE8EfNS0_10empty_typeEbEEZZNS1_14partition_implILS5_8ELb0ES3_jPKfPS6_PKS6_NS0_5tupleIJPfS6_EEENSE_IJSB_SB_EEENS0_18inequality_wrapperIN6hipcub16HIPCUB_304000_NS8EqualityEEEPlJS6_EEE10hipError_tPvRmT3_T4_T5_T6_T7_T9_mT8_P12ihipStream_tbDpT10_ENKUlT_T0_E_clISt17integral_constantIbLb1EES16_IbLb0EEEEDaS12_S13_EUlS12_E_NS1_11comp_targetILNS1_3genE0ELNS1_11target_archE4294967295ELNS1_3gpuE0ELNS1_3repE0EEENS1_30default_config_static_selectorELNS0_4arch9wavefront6targetE1EEEvT1_.kd
    .uniform_work_group_size: 1
    .uses_dynamic_stack: false
    .vgpr_count:     0
    .vgpr_spill_count: 0
    .wavefront_size: 64
  - .agpr_count:     0
    .args:
      - .offset:         0
        .size:           112
        .value_kind:     by_value
    .group_segment_fixed_size: 30728
    .kernarg_segment_align: 8
    .kernarg_segment_size: 112
    .language:       OpenCL C
    .language_version:
      - 2
      - 0
    .max_flat_workgroup_size: 512
    .name:           _ZN7rocprim17ROCPRIM_400000_NS6detail17trampoline_kernelINS0_14default_configENS1_25partition_config_selectorILNS1_17partition_subalgoE8EfNS0_10empty_typeEbEEZZNS1_14partition_implILS5_8ELb0ES3_jPKfPS6_PKS6_NS0_5tupleIJPfS6_EEENSE_IJSB_SB_EEENS0_18inequality_wrapperIN6hipcub16HIPCUB_304000_NS8EqualityEEEPlJS6_EEE10hipError_tPvRmT3_T4_T5_T6_T7_T9_mT8_P12ihipStream_tbDpT10_ENKUlT_T0_E_clISt17integral_constantIbLb1EES16_IbLb0EEEEDaS12_S13_EUlS12_E_NS1_11comp_targetILNS1_3genE5ELNS1_11target_archE942ELNS1_3gpuE9ELNS1_3repE0EEENS1_30default_config_static_selectorELNS0_4arch9wavefront6targetE1EEEvT1_
    .private_segment_fixed_size: 0
    .sgpr_count:     54
    .sgpr_spill_count: 0
    .symbol:         _ZN7rocprim17ROCPRIM_400000_NS6detail17trampoline_kernelINS0_14default_configENS1_25partition_config_selectorILNS1_17partition_subalgoE8EfNS0_10empty_typeEbEEZZNS1_14partition_implILS5_8ELb0ES3_jPKfPS6_PKS6_NS0_5tupleIJPfS6_EEENSE_IJSB_SB_EEENS0_18inequality_wrapperIN6hipcub16HIPCUB_304000_NS8EqualityEEEPlJS6_EEE10hipError_tPvRmT3_T4_T5_T6_T7_T9_mT8_P12ihipStream_tbDpT10_ENKUlT_T0_E_clISt17integral_constantIbLb1EES16_IbLb0EEEEDaS12_S13_EUlS12_E_NS1_11comp_targetILNS1_3genE5ELNS1_11target_archE942ELNS1_3gpuE9ELNS1_3repE0EEENS1_30default_config_static_selectorELNS0_4arch9wavefront6targetE1EEEvT1_.kd
    .uniform_work_group_size: 1
    .uses_dynamic_stack: false
    .vgpr_count:     74
    .vgpr_spill_count: 0
    .wavefront_size: 64
  - .agpr_count:     0
    .args:
      - .offset:         0
        .size:           112
        .value_kind:     by_value
    .group_segment_fixed_size: 0
    .kernarg_segment_align: 8
    .kernarg_segment_size: 112
    .language:       OpenCL C
    .language_version:
      - 2
      - 0
    .max_flat_workgroup_size: 256
    .name:           _ZN7rocprim17ROCPRIM_400000_NS6detail17trampoline_kernelINS0_14default_configENS1_25partition_config_selectorILNS1_17partition_subalgoE8EfNS0_10empty_typeEbEEZZNS1_14partition_implILS5_8ELb0ES3_jPKfPS6_PKS6_NS0_5tupleIJPfS6_EEENSE_IJSB_SB_EEENS0_18inequality_wrapperIN6hipcub16HIPCUB_304000_NS8EqualityEEEPlJS6_EEE10hipError_tPvRmT3_T4_T5_T6_T7_T9_mT8_P12ihipStream_tbDpT10_ENKUlT_T0_E_clISt17integral_constantIbLb1EES16_IbLb0EEEEDaS12_S13_EUlS12_E_NS1_11comp_targetILNS1_3genE4ELNS1_11target_archE910ELNS1_3gpuE8ELNS1_3repE0EEENS1_30default_config_static_selectorELNS0_4arch9wavefront6targetE1EEEvT1_
    .private_segment_fixed_size: 0
    .sgpr_count:     6
    .sgpr_spill_count: 0
    .symbol:         _ZN7rocprim17ROCPRIM_400000_NS6detail17trampoline_kernelINS0_14default_configENS1_25partition_config_selectorILNS1_17partition_subalgoE8EfNS0_10empty_typeEbEEZZNS1_14partition_implILS5_8ELb0ES3_jPKfPS6_PKS6_NS0_5tupleIJPfS6_EEENSE_IJSB_SB_EEENS0_18inequality_wrapperIN6hipcub16HIPCUB_304000_NS8EqualityEEEPlJS6_EEE10hipError_tPvRmT3_T4_T5_T6_T7_T9_mT8_P12ihipStream_tbDpT10_ENKUlT_T0_E_clISt17integral_constantIbLb1EES16_IbLb0EEEEDaS12_S13_EUlS12_E_NS1_11comp_targetILNS1_3genE4ELNS1_11target_archE910ELNS1_3gpuE8ELNS1_3repE0EEENS1_30default_config_static_selectorELNS0_4arch9wavefront6targetE1EEEvT1_.kd
    .uniform_work_group_size: 1
    .uses_dynamic_stack: false
    .vgpr_count:     0
    .vgpr_spill_count: 0
    .wavefront_size: 64
  - .agpr_count:     0
    .args:
      - .offset:         0
        .size:           112
        .value_kind:     by_value
    .group_segment_fixed_size: 0
    .kernarg_segment_align: 8
    .kernarg_segment_size: 112
    .language:       OpenCL C
    .language_version:
      - 2
      - 0
    .max_flat_workgroup_size: 512
    .name:           _ZN7rocprim17ROCPRIM_400000_NS6detail17trampoline_kernelINS0_14default_configENS1_25partition_config_selectorILNS1_17partition_subalgoE8EfNS0_10empty_typeEbEEZZNS1_14partition_implILS5_8ELb0ES3_jPKfPS6_PKS6_NS0_5tupleIJPfS6_EEENSE_IJSB_SB_EEENS0_18inequality_wrapperIN6hipcub16HIPCUB_304000_NS8EqualityEEEPlJS6_EEE10hipError_tPvRmT3_T4_T5_T6_T7_T9_mT8_P12ihipStream_tbDpT10_ENKUlT_T0_E_clISt17integral_constantIbLb1EES16_IbLb0EEEEDaS12_S13_EUlS12_E_NS1_11comp_targetILNS1_3genE3ELNS1_11target_archE908ELNS1_3gpuE7ELNS1_3repE0EEENS1_30default_config_static_selectorELNS0_4arch9wavefront6targetE1EEEvT1_
    .private_segment_fixed_size: 0
    .sgpr_count:     6
    .sgpr_spill_count: 0
    .symbol:         _ZN7rocprim17ROCPRIM_400000_NS6detail17trampoline_kernelINS0_14default_configENS1_25partition_config_selectorILNS1_17partition_subalgoE8EfNS0_10empty_typeEbEEZZNS1_14partition_implILS5_8ELb0ES3_jPKfPS6_PKS6_NS0_5tupleIJPfS6_EEENSE_IJSB_SB_EEENS0_18inequality_wrapperIN6hipcub16HIPCUB_304000_NS8EqualityEEEPlJS6_EEE10hipError_tPvRmT3_T4_T5_T6_T7_T9_mT8_P12ihipStream_tbDpT10_ENKUlT_T0_E_clISt17integral_constantIbLb1EES16_IbLb0EEEEDaS12_S13_EUlS12_E_NS1_11comp_targetILNS1_3genE3ELNS1_11target_archE908ELNS1_3gpuE7ELNS1_3repE0EEENS1_30default_config_static_selectorELNS0_4arch9wavefront6targetE1EEEvT1_.kd
    .uniform_work_group_size: 1
    .uses_dynamic_stack: false
    .vgpr_count:     0
    .vgpr_spill_count: 0
    .wavefront_size: 64
  - .agpr_count:     0
    .args:
      - .offset:         0
        .size:           112
        .value_kind:     by_value
    .group_segment_fixed_size: 0
    .kernarg_segment_align: 8
    .kernarg_segment_size: 112
    .language:       OpenCL C
    .language_version:
      - 2
      - 0
    .max_flat_workgroup_size: 256
    .name:           _ZN7rocprim17ROCPRIM_400000_NS6detail17trampoline_kernelINS0_14default_configENS1_25partition_config_selectorILNS1_17partition_subalgoE8EfNS0_10empty_typeEbEEZZNS1_14partition_implILS5_8ELb0ES3_jPKfPS6_PKS6_NS0_5tupleIJPfS6_EEENSE_IJSB_SB_EEENS0_18inequality_wrapperIN6hipcub16HIPCUB_304000_NS8EqualityEEEPlJS6_EEE10hipError_tPvRmT3_T4_T5_T6_T7_T9_mT8_P12ihipStream_tbDpT10_ENKUlT_T0_E_clISt17integral_constantIbLb1EES16_IbLb0EEEEDaS12_S13_EUlS12_E_NS1_11comp_targetILNS1_3genE2ELNS1_11target_archE906ELNS1_3gpuE6ELNS1_3repE0EEENS1_30default_config_static_selectorELNS0_4arch9wavefront6targetE1EEEvT1_
    .private_segment_fixed_size: 0
    .sgpr_count:     6
    .sgpr_spill_count: 0
    .symbol:         _ZN7rocprim17ROCPRIM_400000_NS6detail17trampoline_kernelINS0_14default_configENS1_25partition_config_selectorILNS1_17partition_subalgoE8EfNS0_10empty_typeEbEEZZNS1_14partition_implILS5_8ELb0ES3_jPKfPS6_PKS6_NS0_5tupleIJPfS6_EEENSE_IJSB_SB_EEENS0_18inequality_wrapperIN6hipcub16HIPCUB_304000_NS8EqualityEEEPlJS6_EEE10hipError_tPvRmT3_T4_T5_T6_T7_T9_mT8_P12ihipStream_tbDpT10_ENKUlT_T0_E_clISt17integral_constantIbLb1EES16_IbLb0EEEEDaS12_S13_EUlS12_E_NS1_11comp_targetILNS1_3genE2ELNS1_11target_archE906ELNS1_3gpuE6ELNS1_3repE0EEENS1_30default_config_static_selectorELNS0_4arch9wavefront6targetE1EEEvT1_.kd
    .uniform_work_group_size: 1
    .uses_dynamic_stack: false
    .vgpr_count:     0
    .vgpr_spill_count: 0
    .wavefront_size: 64
  - .agpr_count:     0
    .args:
      - .offset:         0
        .size:           112
        .value_kind:     by_value
    .group_segment_fixed_size: 0
    .kernarg_segment_align: 8
    .kernarg_segment_size: 112
    .language:       OpenCL C
    .language_version:
      - 2
      - 0
    .max_flat_workgroup_size: 384
    .name:           _ZN7rocprim17ROCPRIM_400000_NS6detail17trampoline_kernelINS0_14default_configENS1_25partition_config_selectorILNS1_17partition_subalgoE8EfNS0_10empty_typeEbEEZZNS1_14partition_implILS5_8ELb0ES3_jPKfPS6_PKS6_NS0_5tupleIJPfS6_EEENSE_IJSB_SB_EEENS0_18inequality_wrapperIN6hipcub16HIPCUB_304000_NS8EqualityEEEPlJS6_EEE10hipError_tPvRmT3_T4_T5_T6_T7_T9_mT8_P12ihipStream_tbDpT10_ENKUlT_T0_E_clISt17integral_constantIbLb1EES16_IbLb0EEEEDaS12_S13_EUlS12_E_NS1_11comp_targetILNS1_3genE10ELNS1_11target_archE1200ELNS1_3gpuE4ELNS1_3repE0EEENS1_30default_config_static_selectorELNS0_4arch9wavefront6targetE1EEEvT1_
    .private_segment_fixed_size: 0
    .sgpr_count:     6
    .sgpr_spill_count: 0
    .symbol:         _ZN7rocprim17ROCPRIM_400000_NS6detail17trampoline_kernelINS0_14default_configENS1_25partition_config_selectorILNS1_17partition_subalgoE8EfNS0_10empty_typeEbEEZZNS1_14partition_implILS5_8ELb0ES3_jPKfPS6_PKS6_NS0_5tupleIJPfS6_EEENSE_IJSB_SB_EEENS0_18inequality_wrapperIN6hipcub16HIPCUB_304000_NS8EqualityEEEPlJS6_EEE10hipError_tPvRmT3_T4_T5_T6_T7_T9_mT8_P12ihipStream_tbDpT10_ENKUlT_T0_E_clISt17integral_constantIbLb1EES16_IbLb0EEEEDaS12_S13_EUlS12_E_NS1_11comp_targetILNS1_3genE10ELNS1_11target_archE1200ELNS1_3gpuE4ELNS1_3repE0EEENS1_30default_config_static_selectorELNS0_4arch9wavefront6targetE1EEEvT1_.kd
    .uniform_work_group_size: 1
    .uses_dynamic_stack: false
    .vgpr_count:     0
    .vgpr_spill_count: 0
    .wavefront_size: 64
  - .agpr_count:     0
    .args:
      - .offset:         0
        .size:           112
        .value_kind:     by_value
    .group_segment_fixed_size: 0
    .kernarg_segment_align: 8
    .kernarg_segment_size: 112
    .language:       OpenCL C
    .language_version:
      - 2
      - 0
    .max_flat_workgroup_size: 128
    .name:           _ZN7rocprim17ROCPRIM_400000_NS6detail17trampoline_kernelINS0_14default_configENS1_25partition_config_selectorILNS1_17partition_subalgoE8EfNS0_10empty_typeEbEEZZNS1_14partition_implILS5_8ELb0ES3_jPKfPS6_PKS6_NS0_5tupleIJPfS6_EEENSE_IJSB_SB_EEENS0_18inequality_wrapperIN6hipcub16HIPCUB_304000_NS8EqualityEEEPlJS6_EEE10hipError_tPvRmT3_T4_T5_T6_T7_T9_mT8_P12ihipStream_tbDpT10_ENKUlT_T0_E_clISt17integral_constantIbLb1EES16_IbLb0EEEEDaS12_S13_EUlS12_E_NS1_11comp_targetILNS1_3genE9ELNS1_11target_archE1100ELNS1_3gpuE3ELNS1_3repE0EEENS1_30default_config_static_selectorELNS0_4arch9wavefront6targetE1EEEvT1_
    .private_segment_fixed_size: 0
    .sgpr_count:     6
    .sgpr_spill_count: 0
    .symbol:         _ZN7rocprim17ROCPRIM_400000_NS6detail17trampoline_kernelINS0_14default_configENS1_25partition_config_selectorILNS1_17partition_subalgoE8EfNS0_10empty_typeEbEEZZNS1_14partition_implILS5_8ELb0ES3_jPKfPS6_PKS6_NS0_5tupleIJPfS6_EEENSE_IJSB_SB_EEENS0_18inequality_wrapperIN6hipcub16HIPCUB_304000_NS8EqualityEEEPlJS6_EEE10hipError_tPvRmT3_T4_T5_T6_T7_T9_mT8_P12ihipStream_tbDpT10_ENKUlT_T0_E_clISt17integral_constantIbLb1EES16_IbLb0EEEEDaS12_S13_EUlS12_E_NS1_11comp_targetILNS1_3genE9ELNS1_11target_archE1100ELNS1_3gpuE3ELNS1_3repE0EEENS1_30default_config_static_selectorELNS0_4arch9wavefront6targetE1EEEvT1_.kd
    .uniform_work_group_size: 1
    .uses_dynamic_stack: false
    .vgpr_count:     0
    .vgpr_spill_count: 0
    .wavefront_size: 64
  - .agpr_count:     0
    .args:
      - .offset:         0
        .size:           112
        .value_kind:     by_value
    .group_segment_fixed_size: 0
    .kernarg_segment_align: 8
    .kernarg_segment_size: 112
    .language:       OpenCL C
    .language_version:
      - 2
      - 0
    .max_flat_workgroup_size: 512
    .name:           _ZN7rocprim17ROCPRIM_400000_NS6detail17trampoline_kernelINS0_14default_configENS1_25partition_config_selectorILNS1_17partition_subalgoE8EfNS0_10empty_typeEbEEZZNS1_14partition_implILS5_8ELb0ES3_jPKfPS6_PKS6_NS0_5tupleIJPfS6_EEENSE_IJSB_SB_EEENS0_18inequality_wrapperIN6hipcub16HIPCUB_304000_NS8EqualityEEEPlJS6_EEE10hipError_tPvRmT3_T4_T5_T6_T7_T9_mT8_P12ihipStream_tbDpT10_ENKUlT_T0_E_clISt17integral_constantIbLb1EES16_IbLb0EEEEDaS12_S13_EUlS12_E_NS1_11comp_targetILNS1_3genE8ELNS1_11target_archE1030ELNS1_3gpuE2ELNS1_3repE0EEENS1_30default_config_static_selectorELNS0_4arch9wavefront6targetE1EEEvT1_
    .private_segment_fixed_size: 0
    .sgpr_count:     6
    .sgpr_spill_count: 0
    .symbol:         _ZN7rocprim17ROCPRIM_400000_NS6detail17trampoline_kernelINS0_14default_configENS1_25partition_config_selectorILNS1_17partition_subalgoE8EfNS0_10empty_typeEbEEZZNS1_14partition_implILS5_8ELb0ES3_jPKfPS6_PKS6_NS0_5tupleIJPfS6_EEENSE_IJSB_SB_EEENS0_18inequality_wrapperIN6hipcub16HIPCUB_304000_NS8EqualityEEEPlJS6_EEE10hipError_tPvRmT3_T4_T5_T6_T7_T9_mT8_P12ihipStream_tbDpT10_ENKUlT_T0_E_clISt17integral_constantIbLb1EES16_IbLb0EEEEDaS12_S13_EUlS12_E_NS1_11comp_targetILNS1_3genE8ELNS1_11target_archE1030ELNS1_3gpuE2ELNS1_3repE0EEENS1_30default_config_static_selectorELNS0_4arch9wavefront6targetE1EEEvT1_.kd
    .uniform_work_group_size: 1
    .uses_dynamic_stack: false
    .vgpr_count:     0
    .vgpr_spill_count: 0
    .wavefront_size: 64
  - .agpr_count:     0
    .args:
      - .offset:         0
        .size:           128
        .value_kind:     by_value
    .group_segment_fixed_size: 0
    .kernarg_segment_align: 8
    .kernarg_segment_size: 128
    .language:       OpenCL C
    .language_version:
      - 2
      - 0
    .max_flat_workgroup_size: 512
    .name:           _ZN7rocprim17ROCPRIM_400000_NS6detail17trampoline_kernelINS0_14default_configENS1_25partition_config_selectorILNS1_17partition_subalgoE8EfNS0_10empty_typeEbEEZZNS1_14partition_implILS5_8ELb0ES3_jPKfPS6_PKS6_NS0_5tupleIJPfS6_EEENSE_IJSB_SB_EEENS0_18inequality_wrapperIN6hipcub16HIPCUB_304000_NS8EqualityEEEPlJS6_EEE10hipError_tPvRmT3_T4_T5_T6_T7_T9_mT8_P12ihipStream_tbDpT10_ENKUlT_T0_E_clISt17integral_constantIbLb0EES16_IbLb1EEEEDaS12_S13_EUlS12_E_NS1_11comp_targetILNS1_3genE0ELNS1_11target_archE4294967295ELNS1_3gpuE0ELNS1_3repE0EEENS1_30default_config_static_selectorELNS0_4arch9wavefront6targetE1EEEvT1_
    .private_segment_fixed_size: 0
    .sgpr_count:     6
    .sgpr_spill_count: 0
    .symbol:         _ZN7rocprim17ROCPRIM_400000_NS6detail17trampoline_kernelINS0_14default_configENS1_25partition_config_selectorILNS1_17partition_subalgoE8EfNS0_10empty_typeEbEEZZNS1_14partition_implILS5_8ELb0ES3_jPKfPS6_PKS6_NS0_5tupleIJPfS6_EEENSE_IJSB_SB_EEENS0_18inequality_wrapperIN6hipcub16HIPCUB_304000_NS8EqualityEEEPlJS6_EEE10hipError_tPvRmT3_T4_T5_T6_T7_T9_mT8_P12ihipStream_tbDpT10_ENKUlT_T0_E_clISt17integral_constantIbLb0EES16_IbLb1EEEEDaS12_S13_EUlS12_E_NS1_11comp_targetILNS1_3genE0ELNS1_11target_archE4294967295ELNS1_3gpuE0ELNS1_3repE0EEENS1_30default_config_static_selectorELNS0_4arch9wavefront6targetE1EEEvT1_.kd
    .uniform_work_group_size: 1
    .uses_dynamic_stack: false
    .vgpr_count:     0
    .vgpr_spill_count: 0
    .wavefront_size: 64
  - .agpr_count:     0
    .args:
      - .offset:         0
        .size:           128
        .value_kind:     by_value
    .group_segment_fixed_size: 30728
    .kernarg_segment_align: 8
    .kernarg_segment_size: 128
    .language:       OpenCL C
    .language_version:
      - 2
      - 0
    .max_flat_workgroup_size: 512
    .name:           _ZN7rocprim17ROCPRIM_400000_NS6detail17trampoline_kernelINS0_14default_configENS1_25partition_config_selectorILNS1_17partition_subalgoE8EfNS0_10empty_typeEbEEZZNS1_14partition_implILS5_8ELb0ES3_jPKfPS6_PKS6_NS0_5tupleIJPfS6_EEENSE_IJSB_SB_EEENS0_18inequality_wrapperIN6hipcub16HIPCUB_304000_NS8EqualityEEEPlJS6_EEE10hipError_tPvRmT3_T4_T5_T6_T7_T9_mT8_P12ihipStream_tbDpT10_ENKUlT_T0_E_clISt17integral_constantIbLb0EES16_IbLb1EEEEDaS12_S13_EUlS12_E_NS1_11comp_targetILNS1_3genE5ELNS1_11target_archE942ELNS1_3gpuE9ELNS1_3repE0EEENS1_30default_config_static_selectorELNS0_4arch9wavefront6targetE1EEEvT1_
    .private_segment_fixed_size: 0
    .sgpr_count:     57
    .sgpr_spill_count: 0
    .symbol:         _ZN7rocprim17ROCPRIM_400000_NS6detail17trampoline_kernelINS0_14default_configENS1_25partition_config_selectorILNS1_17partition_subalgoE8EfNS0_10empty_typeEbEEZZNS1_14partition_implILS5_8ELb0ES3_jPKfPS6_PKS6_NS0_5tupleIJPfS6_EEENSE_IJSB_SB_EEENS0_18inequality_wrapperIN6hipcub16HIPCUB_304000_NS8EqualityEEEPlJS6_EEE10hipError_tPvRmT3_T4_T5_T6_T7_T9_mT8_P12ihipStream_tbDpT10_ENKUlT_T0_E_clISt17integral_constantIbLb0EES16_IbLb1EEEEDaS12_S13_EUlS12_E_NS1_11comp_targetILNS1_3genE5ELNS1_11target_archE942ELNS1_3gpuE9ELNS1_3repE0EEENS1_30default_config_static_selectorELNS0_4arch9wavefront6targetE1EEEvT1_.kd
    .uniform_work_group_size: 1
    .uses_dynamic_stack: false
    .vgpr_count:     76
    .vgpr_spill_count: 0
    .wavefront_size: 64
  - .agpr_count:     0
    .args:
      - .offset:         0
        .size:           128
        .value_kind:     by_value
    .group_segment_fixed_size: 0
    .kernarg_segment_align: 8
    .kernarg_segment_size: 128
    .language:       OpenCL C
    .language_version:
      - 2
      - 0
    .max_flat_workgroup_size: 256
    .name:           _ZN7rocprim17ROCPRIM_400000_NS6detail17trampoline_kernelINS0_14default_configENS1_25partition_config_selectorILNS1_17partition_subalgoE8EfNS0_10empty_typeEbEEZZNS1_14partition_implILS5_8ELb0ES3_jPKfPS6_PKS6_NS0_5tupleIJPfS6_EEENSE_IJSB_SB_EEENS0_18inequality_wrapperIN6hipcub16HIPCUB_304000_NS8EqualityEEEPlJS6_EEE10hipError_tPvRmT3_T4_T5_T6_T7_T9_mT8_P12ihipStream_tbDpT10_ENKUlT_T0_E_clISt17integral_constantIbLb0EES16_IbLb1EEEEDaS12_S13_EUlS12_E_NS1_11comp_targetILNS1_3genE4ELNS1_11target_archE910ELNS1_3gpuE8ELNS1_3repE0EEENS1_30default_config_static_selectorELNS0_4arch9wavefront6targetE1EEEvT1_
    .private_segment_fixed_size: 0
    .sgpr_count:     6
    .sgpr_spill_count: 0
    .symbol:         _ZN7rocprim17ROCPRIM_400000_NS6detail17trampoline_kernelINS0_14default_configENS1_25partition_config_selectorILNS1_17partition_subalgoE8EfNS0_10empty_typeEbEEZZNS1_14partition_implILS5_8ELb0ES3_jPKfPS6_PKS6_NS0_5tupleIJPfS6_EEENSE_IJSB_SB_EEENS0_18inequality_wrapperIN6hipcub16HIPCUB_304000_NS8EqualityEEEPlJS6_EEE10hipError_tPvRmT3_T4_T5_T6_T7_T9_mT8_P12ihipStream_tbDpT10_ENKUlT_T0_E_clISt17integral_constantIbLb0EES16_IbLb1EEEEDaS12_S13_EUlS12_E_NS1_11comp_targetILNS1_3genE4ELNS1_11target_archE910ELNS1_3gpuE8ELNS1_3repE0EEENS1_30default_config_static_selectorELNS0_4arch9wavefront6targetE1EEEvT1_.kd
    .uniform_work_group_size: 1
    .uses_dynamic_stack: false
    .vgpr_count:     0
    .vgpr_spill_count: 0
    .wavefront_size: 64
  - .agpr_count:     0
    .args:
      - .offset:         0
        .size:           128
        .value_kind:     by_value
    .group_segment_fixed_size: 0
    .kernarg_segment_align: 8
    .kernarg_segment_size: 128
    .language:       OpenCL C
    .language_version:
      - 2
      - 0
    .max_flat_workgroup_size: 512
    .name:           _ZN7rocprim17ROCPRIM_400000_NS6detail17trampoline_kernelINS0_14default_configENS1_25partition_config_selectorILNS1_17partition_subalgoE8EfNS0_10empty_typeEbEEZZNS1_14partition_implILS5_8ELb0ES3_jPKfPS6_PKS6_NS0_5tupleIJPfS6_EEENSE_IJSB_SB_EEENS0_18inequality_wrapperIN6hipcub16HIPCUB_304000_NS8EqualityEEEPlJS6_EEE10hipError_tPvRmT3_T4_T5_T6_T7_T9_mT8_P12ihipStream_tbDpT10_ENKUlT_T0_E_clISt17integral_constantIbLb0EES16_IbLb1EEEEDaS12_S13_EUlS12_E_NS1_11comp_targetILNS1_3genE3ELNS1_11target_archE908ELNS1_3gpuE7ELNS1_3repE0EEENS1_30default_config_static_selectorELNS0_4arch9wavefront6targetE1EEEvT1_
    .private_segment_fixed_size: 0
    .sgpr_count:     6
    .sgpr_spill_count: 0
    .symbol:         _ZN7rocprim17ROCPRIM_400000_NS6detail17trampoline_kernelINS0_14default_configENS1_25partition_config_selectorILNS1_17partition_subalgoE8EfNS0_10empty_typeEbEEZZNS1_14partition_implILS5_8ELb0ES3_jPKfPS6_PKS6_NS0_5tupleIJPfS6_EEENSE_IJSB_SB_EEENS0_18inequality_wrapperIN6hipcub16HIPCUB_304000_NS8EqualityEEEPlJS6_EEE10hipError_tPvRmT3_T4_T5_T6_T7_T9_mT8_P12ihipStream_tbDpT10_ENKUlT_T0_E_clISt17integral_constantIbLb0EES16_IbLb1EEEEDaS12_S13_EUlS12_E_NS1_11comp_targetILNS1_3genE3ELNS1_11target_archE908ELNS1_3gpuE7ELNS1_3repE0EEENS1_30default_config_static_selectorELNS0_4arch9wavefront6targetE1EEEvT1_.kd
    .uniform_work_group_size: 1
    .uses_dynamic_stack: false
    .vgpr_count:     0
    .vgpr_spill_count: 0
    .wavefront_size: 64
  - .agpr_count:     0
    .args:
      - .offset:         0
        .size:           128
        .value_kind:     by_value
    .group_segment_fixed_size: 0
    .kernarg_segment_align: 8
    .kernarg_segment_size: 128
    .language:       OpenCL C
    .language_version:
      - 2
      - 0
    .max_flat_workgroup_size: 256
    .name:           _ZN7rocprim17ROCPRIM_400000_NS6detail17trampoline_kernelINS0_14default_configENS1_25partition_config_selectorILNS1_17partition_subalgoE8EfNS0_10empty_typeEbEEZZNS1_14partition_implILS5_8ELb0ES3_jPKfPS6_PKS6_NS0_5tupleIJPfS6_EEENSE_IJSB_SB_EEENS0_18inequality_wrapperIN6hipcub16HIPCUB_304000_NS8EqualityEEEPlJS6_EEE10hipError_tPvRmT3_T4_T5_T6_T7_T9_mT8_P12ihipStream_tbDpT10_ENKUlT_T0_E_clISt17integral_constantIbLb0EES16_IbLb1EEEEDaS12_S13_EUlS12_E_NS1_11comp_targetILNS1_3genE2ELNS1_11target_archE906ELNS1_3gpuE6ELNS1_3repE0EEENS1_30default_config_static_selectorELNS0_4arch9wavefront6targetE1EEEvT1_
    .private_segment_fixed_size: 0
    .sgpr_count:     6
    .sgpr_spill_count: 0
    .symbol:         _ZN7rocprim17ROCPRIM_400000_NS6detail17trampoline_kernelINS0_14default_configENS1_25partition_config_selectorILNS1_17partition_subalgoE8EfNS0_10empty_typeEbEEZZNS1_14partition_implILS5_8ELb0ES3_jPKfPS6_PKS6_NS0_5tupleIJPfS6_EEENSE_IJSB_SB_EEENS0_18inequality_wrapperIN6hipcub16HIPCUB_304000_NS8EqualityEEEPlJS6_EEE10hipError_tPvRmT3_T4_T5_T6_T7_T9_mT8_P12ihipStream_tbDpT10_ENKUlT_T0_E_clISt17integral_constantIbLb0EES16_IbLb1EEEEDaS12_S13_EUlS12_E_NS1_11comp_targetILNS1_3genE2ELNS1_11target_archE906ELNS1_3gpuE6ELNS1_3repE0EEENS1_30default_config_static_selectorELNS0_4arch9wavefront6targetE1EEEvT1_.kd
    .uniform_work_group_size: 1
    .uses_dynamic_stack: false
    .vgpr_count:     0
    .vgpr_spill_count: 0
    .wavefront_size: 64
  - .agpr_count:     0
    .args:
      - .offset:         0
        .size:           128
        .value_kind:     by_value
    .group_segment_fixed_size: 0
    .kernarg_segment_align: 8
    .kernarg_segment_size: 128
    .language:       OpenCL C
    .language_version:
      - 2
      - 0
    .max_flat_workgroup_size: 384
    .name:           _ZN7rocprim17ROCPRIM_400000_NS6detail17trampoline_kernelINS0_14default_configENS1_25partition_config_selectorILNS1_17partition_subalgoE8EfNS0_10empty_typeEbEEZZNS1_14partition_implILS5_8ELb0ES3_jPKfPS6_PKS6_NS0_5tupleIJPfS6_EEENSE_IJSB_SB_EEENS0_18inequality_wrapperIN6hipcub16HIPCUB_304000_NS8EqualityEEEPlJS6_EEE10hipError_tPvRmT3_T4_T5_T6_T7_T9_mT8_P12ihipStream_tbDpT10_ENKUlT_T0_E_clISt17integral_constantIbLb0EES16_IbLb1EEEEDaS12_S13_EUlS12_E_NS1_11comp_targetILNS1_3genE10ELNS1_11target_archE1200ELNS1_3gpuE4ELNS1_3repE0EEENS1_30default_config_static_selectorELNS0_4arch9wavefront6targetE1EEEvT1_
    .private_segment_fixed_size: 0
    .sgpr_count:     6
    .sgpr_spill_count: 0
    .symbol:         _ZN7rocprim17ROCPRIM_400000_NS6detail17trampoline_kernelINS0_14default_configENS1_25partition_config_selectorILNS1_17partition_subalgoE8EfNS0_10empty_typeEbEEZZNS1_14partition_implILS5_8ELb0ES3_jPKfPS6_PKS6_NS0_5tupleIJPfS6_EEENSE_IJSB_SB_EEENS0_18inequality_wrapperIN6hipcub16HIPCUB_304000_NS8EqualityEEEPlJS6_EEE10hipError_tPvRmT3_T4_T5_T6_T7_T9_mT8_P12ihipStream_tbDpT10_ENKUlT_T0_E_clISt17integral_constantIbLb0EES16_IbLb1EEEEDaS12_S13_EUlS12_E_NS1_11comp_targetILNS1_3genE10ELNS1_11target_archE1200ELNS1_3gpuE4ELNS1_3repE0EEENS1_30default_config_static_selectorELNS0_4arch9wavefront6targetE1EEEvT1_.kd
    .uniform_work_group_size: 1
    .uses_dynamic_stack: false
    .vgpr_count:     0
    .vgpr_spill_count: 0
    .wavefront_size: 64
  - .agpr_count:     0
    .args:
      - .offset:         0
        .size:           128
        .value_kind:     by_value
    .group_segment_fixed_size: 0
    .kernarg_segment_align: 8
    .kernarg_segment_size: 128
    .language:       OpenCL C
    .language_version:
      - 2
      - 0
    .max_flat_workgroup_size: 128
    .name:           _ZN7rocprim17ROCPRIM_400000_NS6detail17trampoline_kernelINS0_14default_configENS1_25partition_config_selectorILNS1_17partition_subalgoE8EfNS0_10empty_typeEbEEZZNS1_14partition_implILS5_8ELb0ES3_jPKfPS6_PKS6_NS0_5tupleIJPfS6_EEENSE_IJSB_SB_EEENS0_18inequality_wrapperIN6hipcub16HIPCUB_304000_NS8EqualityEEEPlJS6_EEE10hipError_tPvRmT3_T4_T5_T6_T7_T9_mT8_P12ihipStream_tbDpT10_ENKUlT_T0_E_clISt17integral_constantIbLb0EES16_IbLb1EEEEDaS12_S13_EUlS12_E_NS1_11comp_targetILNS1_3genE9ELNS1_11target_archE1100ELNS1_3gpuE3ELNS1_3repE0EEENS1_30default_config_static_selectorELNS0_4arch9wavefront6targetE1EEEvT1_
    .private_segment_fixed_size: 0
    .sgpr_count:     6
    .sgpr_spill_count: 0
    .symbol:         _ZN7rocprim17ROCPRIM_400000_NS6detail17trampoline_kernelINS0_14default_configENS1_25partition_config_selectorILNS1_17partition_subalgoE8EfNS0_10empty_typeEbEEZZNS1_14partition_implILS5_8ELb0ES3_jPKfPS6_PKS6_NS0_5tupleIJPfS6_EEENSE_IJSB_SB_EEENS0_18inequality_wrapperIN6hipcub16HIPCUB_304000_NS8EqualityEEEPlJS6_EEE10hipError_tPvRmT3_T4_T5_T6_T7_T9_mT8_P12ihipStream_tbDpT10_ENKUlT_T0_E_clISt17integral_constantIbLb0EES16_IbLb1EEEEDaS12_S13_EUlS12_E_NS1_11comp_targetILNS1_3genE9ELNS1_11target_archE1100ELNS1_3gpuE3ELNS1_3repE0EEENS1_30default_config_static_selectorELNS0_4arch9wavefront6targetE1EEEvT1_.kd
    .uniform_work_group_size: 1
    .uses_dynamic_stack: false
    .vgpr_count:     0
    .vgpr_spill_count: 0
    .wavefront_size: 64
  - .agpr_count:     0
    .args:
      - .offset:         0
        .size:           128
        .value_kind:     by_value
    .group_segment_fixed_size: 0
    .kernarg_segment_align: 8
    .kernarg_segment_size: 128
    .language:       OpenCL C
    .language_version:
      - 2
      - 0
    .max_flat_workgroup_size: 512
    .name:           _ZN7rocprim17ROCPRIM_400000_NS6detail17trampoline_kernelINS0_14default_configENS1_25partition_config_selectorILNS1_17partition_subalgoE8EfNS0_10empty_typeEbEEZZNS1_14partition_implILS5_8ELb0ES3_jPKfPS6_PKS6_NS0_5tupleIJPfS6_EEENSE_IJSB_SB_EEENS0_18inequality_wrapperIN6hipcub16HIPCUB_304000_NS8EqualityEEEPlJS6_EEE10hipError_tPvRmT3_T4_T5_T6_T7_T9_mT8_P12ihipStream_tbDpT10_ENKUlT_T0_E_clISt17integral_constantIbLb0EES16_IbLb1EEEEDaS12_S13_EUlS12_E_NS1_11comp_targetILNS1_3genE8ELNS1_11target_archE1030ELNS1_3gpuE2ELNS1_3repE0EEENS1_30default_config_static_selectorELNS0_4arch9wavefront6targetE1EEEvT1_
    .private_segment_fixed_size: 0
    .sgpr_count:     6
    .sgpr_spill_count: 0
    .symbol:         _ZN7rocprim17ROCPRIM_400000_NS6detail17trampoline_kernelINS0_14default_configENS1_25partition_config_selectorILNS1_17partition_subalgoE8EfNS0_10empty_typeEbEEZZNS1_14partition_implILS5_8ELb0ES3_jPKfPS6_PKS6_NS0_5tupleIJPfS6_EEENSE_IJSB_SB_EEENS0_18inequality_wrapperIN6hipcub16HIPCUB_304000_NS8EqualityEEEPlJS6_EEE10hipError_tPvRmT3_T4_T5_T6_T7_T9_mT8_P12ihipStream_tbDpT10_ENKUlT_T0_E_clISt17integral_constantIbLb0EES16_IbLb1EEEEDaS12_S13_EUlS12_E_NS1_11comp_targetILNS1_3genE8ELNS1_11target_archE1030ELNS1_3gpuE2ELNS1_3repE0EEENS1_30default_config_static_selectorELNS0_4arch9wavefront6targetE1EEEvT1_.kd
    .uniform_work_group_size: 1
    .uses_dynamic_stack: false
    .vgpr_count:     0
    .vgpr_spill_count: 0
    .wavefront_size: 64
  - .agpr_count:     0
    .args:
      - .offset:         0
        .size:           128
        .value_kind:     by_value
    .group_segment_fixed_size: 0
    .kernarg_segment_align: 8
    .kernarg_segment_size: 128
    .language:       OpenCL C
    .language_version:
      - 2
      - 0
    .max_flat_workgroup_size: 256
    .name:           _ZN7rocprim17ROCPRIM_400000_NS6detail17trampoline_kernelINS0_14default_configENS1_33run_length_encode_config_selectorIfjNS0_4plusIjEEEEZZNS1_33reduce_by_key_impl_wrapped_configILNS1_25lookback_scan_determinismE0ES3_S7_PKfNS0_17constant_iteratorIjlEEPfPlSF_S6_NS0_8equal_toIfEEEE10hipError_tPvRmT2_T3_mT4_T5_T6_T7_T8_P12ihipStream_tbENKUlT_T0_E_clISt17integral_constantIbLb0EESZ_EEDaSU_SV_EUlSU_E_NS1_11comp_targetILNS1_3genE0ELNS1_11target_archE4294967295ELNS1_3gpuE0ELNS1_3repE0EEENS1_30default_config_static_selectorELNS0_4arch9wavefront6targetE1EEEvT1_
    .private_segment_fixed_size: 0
    .sgpr_count:     6
    .sgpr_spill_count: 0
    .symbol:         _ZN7rocprim17ROCPRIM_400000_NS6detail17trampoline_kernelINS0_14default_configENS1_33run_length_encode_config_selectorIfjNS0_4plusIjEEEEZZNS1_33reduce_by_key_impl_wrapped_configILNS1_25lookback_scan_determinismE0ES3_S7_PKfNS0_17constant_iteratorIjlEEPfPlSF_S6_NS0_8equal_toIfEEEE10hipError_tPvRmT2_T3_mT4_T5_T6_T7_T8_P12ihipStream_tbENKUlT_T0_E_clISt17integral_constantIbLb0EESZ_EEDaSU_SV_EUlSU_E_NS1_11comp_targetILNS1_3genE0ELNS1_11target_archE4294967295ELNS1_3gpuE0ELNS1_3repE0EEENS1_30default_config_static_selectorELNS0_4arch9wavefront6targetE1EEEvT1_.kd
    .uniform_work_group_size: 1
    .uses_dynamic_stack: false
    .vgpr_count:     0
    .vgpr_spill_count: 0
    .wavefront_size: 64
  - .agpr_count:     0
    .args:
      - .offset:         0
        .size:           128
        .value_kind:     by_value
    .group_segment_fixed_size: 30720
    .kernarg_segment_align: 8
    .kernarg_segment_size: 128
    .language:       OpenCL C
    .language_version:
      - 2
      - 0
    .max_flat_workgroup_size: 512
    .name:           _ZN7rocprim17ROCPRIM_400000_NS6detail17trampoline_kernelINS0_14default_configENS1_33run_length_encode_config_selectorIfjNS0_4plusIjEEEEZZNS1_33reduce_by_key_impl_wrapped_configILNS1_25lookback_scan_determinismE0ES3_S7_PKfNS0_17constant_iteratorIjlEEPfPlSF_S6_NS0_8equal_toIfEEEE10hipError_tPvRmT2_T3_mT4_T5_T6_T7_T8_P12ihipStream_tbENKUlT_T0_E_clISt17integral_constantIbLb0EESZ_EEDaSU_SV_EUlSU_E_NS1_11comp_targetILNS1_3genE5ELNS1_11target_archE942ELNS1_3gpuE9ELNS1_3repE0EEENS1_30default_config_static_selectorELNS0_4arch9wavefront6targetE1EEEvT1_
    .private_segment_fixed_size: 0
    .sgpr_count:     70
    .sgpr_spill_count: 0
    .symbol:         _ZN7rocprim17ROCPRIM_400000_NS6detail17trampoline_kernelINS0_14default_configENS1_33run_length_encode_config_selectorIfjNS0_4plusIjEEEEZZNS1_33reduce_by_key_impl_wrapped_configILNS1_25lookback_scan_determinismE0ES3_S7_PKfNS0_17constant_iteratorIjlEEPfPlSF_S6_NS0_8equal_toIfEEEE10hipError_tPvRmT2_T3_mT4_T5_T6_T7_T8_P12ihipStream_tbENKUlT_T0_E_clISt17integral_constantIbLb0EESZ_EEDaSU_SV_EUlSU_E_NS1_11comp_targetILNS1_3genE5ELNS1_11target_archE942ELNS1_3gpuE9ELNS1_3repE0EEENS1_30default_config_static_selectorELNS0_4arch9wavefront6targetE1EEEvT1_.kd
    .uniform_work_group_size: 1
    .uses_dynamic_stack: false
    .vgpr_count:     104
    .vgpr_spill_count: 0
    .wavefront_size: 64
  - .agpr_count:     0
    .args:
      - .offset:         0
        .size:           128
        .value_kind:     by_value
    .group_segment_fixed_size: 0
    .kernarg_segment_align: 8
    .kernarg_segment_size: 128
    .language:       OpenCL C
    .language_version:
      - 2
      - 0
    .max_flat_workgroup_size: 256
    .name:           _ZN7rocprim17ROCPRIM_400000_NS6detail17trampoline_kernelINS0_14default_configENS1_33run_length_encode_config_selectorIfjNS0_4plusIjEEEEZZNS1_33reduce_by_key_impl_wrapped_configILNS1_25lookback_scan_determinismE0ES3_S7_PKfNS0_17constant_iteratorIjlEEPfPlSF_S6_NS0_8equal_toIfEEEE10hipError_tPvRmT2_T3_mT4_T5_T6_T7_T8_P12ihipStream_tbENKUlT_T0_E_clISt17integral_constantIbLb0EESZ_EEDaSU_SV_EUlSU_E_NS1_11comp_targetILNS1_3genE4ELNS1_11target_archE910ELNS1_3gpuE8ELNS1_3repE0EEENS1_30default_config_static_selectorELNS0_4arch9wavefront6targetE1EEEvT1_
    .private_segment_fixed_size: 0
    .sgpr_count:     6
    .sgpr_spill_count: 0
    .symbol:         _ZN7rocprim17ROCPRIM_400000_NS6detail17trampoline_kernelINS0_14default_configENS1_33run_length_encode_config_selectorIfjNS0_4plusIjEEEEZZNS1_33reduce_by_key_impl_wrapped_configILNS1_25lookback_scan_determinismE0ES3_S7_PKfNS0_17constant_iteratorIjlEEPfPlSF_S6_NS0_8equal_toIfEEEE10hipError_tPvRmT2_T3_mT4_T5_T6_T7_T8_P12ihipStream_tbENKUlT_T0_E_clISt17integral_constantIbLb0EESZ_EEDaSU_SV_EUlSU_E_NS1_11comp_targetILNS1_3genE4ELNS1_11target_archE910ELNS1_3gpuE8ELNS1_3repE0EEENS1_30default_config_static_selectorELNS0_4arch9wavefront6targetE1EEEvT1_.kd
    .uniform_work_group_size: 1
    .uses_dynamic_stack: false
    .vgpr_count:     0
    .vgpr_spill_count: 0
    .wavefront_size: 64
  - .agpr_count:     0
    .args:
      - .offset:         0
        .size:           128
        .value_kind:     by_value
    .group_segment_fixed_size: 0
    .kernarg_segment_align: 8
    .kernarg_segment_size: 128
    .language:       OpenCL C
    .language_version:
      - 2
      - 0
    .max_flat_workgroup_size: 256
    .name:           _ZN7rocprim17ROCPRIM_400000_NS6detail17trampoline_kernelINS0_14default_configENS1_33run_length_encode_config_selectorIfjNS0_4plusIjEEEEZZNS1_33reduce_by_key_impl_wrapped_configILNS1_25lookback_scan_determinismE0ES3_S7_PKfNS0_17constant_iteratorIjlEEPfPlSF_S6_NS0_8equal_toIfEEEE10hipError_tPvRmT2_T3_mT4_T5_T6_T7_T8_P12ihipStream_tbENKUlT_T0_E_clISt17integral_constantIbLb0EESZ_EEDaSU_SV_EUlSU_E_NS1_11comp_targetILNS1_3genE3ELNS1_11target_archE908ELNS1_3gpuE7ELNS1_3repE0EEENS1_30default_config_static_selectorELNS0_4arch9wavefront6targetE1EEEvT1_
    .private_segment_fixed_size: 0
    .sgpr_count:     6
    .sgpr_spill_count: 0
    .symbol:         _ZN7rocprim17ROCPRIM_400000_NS6detail17trampoline_kernelINS0_14default_configENS1_33run_length_encode_config_selectorIfjNS0_4plusIjEEEEZZNS1_33reduce_by_key_impl_wrapped_configILNS1_25lookback_scan_determinismE0ES3_S7_PKfNS0_17constant_iteratorIjlEEPfPlSF_S6_NS0_8equal_toIfEEEE10hipError_tPvRmT2_T3_mT4_T5_T6_T7_T8_P12ihipStream_tbENKUlT_T0_E_clISt17integral_constantIbLb0EESZ_EEDaSU_SV_EUlSU_E_NS1_11comp_targetILNS1_3genE3ELNS1_11target_archE908ELNS1_3gpuE7ELNS1_3repE0EEENS1_30default_config_static_selectorELNS0_4arch9wavefront6targetE1EEEvT1_.kd
    .uniform_work_group_size: 1
    .uses_dynamic_stack: false
    .vgpr_count:     0
    .vgpr_spill_count: 0
    .wavefront_size: 64
  - .agpr_count:     0
    .args:
      - .offset:         0
        .size:           128
        .value_kind:     by_value
    .group_segment_fixed_size: 0
    .kernarg_segment_align: 8
    .kernarg_segment_size: 128
    .language:       OpenCL C
    .language_version:
      - 2
      - 0
    .max_flat_workgroup_size: 256
    .name:           _ZN7rocprim17ROCPRIM_400000_NS6detail17trampoline_kernelINS0_14default_configENS1_33run_length_encode_config_selectorIfjNS0_4plusIjEEEEZZNS1_33reduce_by_key_impl_wrapped_configILNS1_25lookback_scan_determinismE0ES3_S7_PKfNS0_17constant_iteratorIjlEEPfPlSF_S6_NS0_8equal_toIfEEEE10hipError_tPvRmT2_T3_mT4_T5_T6_T7_T8_P12ihipStream_tbENKUlT_T0_E_clISt17integral_constantIbLb0EESZ_EEDaSU_SV_EUlSU_E_NS1_11comp_targetILNS1_3genE2ELNS1_11target_archE906ELNS1_3gpuE6ELNS1_3repE0EEENS1_30default_config_static_selectorELNS0_4arch9wavefront6targetE1EEEvT1_
    .private_segment_fixed_size: 0
    .sgpr_count:     6
    .sgpr_spill_count: 0
    .symbol:         _ZN7rocprim17ROCPRIM_400000_NS6detail17trampoline_kernelINS0_14default_configENS1_33run_length_encode_config_selectorIfjNS0_4plusIjEEEEZZNS1_33reduce_by_key_impl_wrapped_configILNS1_25lookback_scan_determinismE0ES3_S7_PKfNS0_17constant_iteratorIjlEEPfPlSF_S6_NS0_8equal_toIfEEEE10hipError_tPvRmT2_T3_mT4_T5_T6_T7_T8_P12ihipStream_tbENKUlT_T0_E_clISt17integral_constantIbLb0EESZ_EEDaSU_SV_EUlSU_E_NS1_11comp_targetILNS1_3genE2ELNS1_11target_archE906ELNS1_3gpuE6ELNS1_3repE0EEENS1_30default_config_static_selectorELNS0_4arch9wavefront6targetE1EEEvT1_.kd
    .uniform_work_group_size: 1
    .uses_dynamic_stack: false
    .vgpr_count:     0
    .vgpr_spill_count: 0
    .wavefront_size: 64
  - .agpr_count:     0
    .args:
      - .offset:         0
        .size:           128
        .value_kind:     by_value
    .group_segment_fixed_size: 0
    .kernarg_segment_align: 8
    .kernarg_segment_size: 128
    .language:       OpenCL C
    .language_version:
      - 2
      - 0
    .max_flat_workgroup_size: 384
    .name:           _ZN7rocprim17ROCPRIM_400000_NS6detail17trampoline_kernelINS0_14default_configENS1_33run_length_encode_config_selectorIfjNS0_4plusIjEEEEZZNS1_33reduce_by_key_impl_wrapped_configILNS1_25lookback_scan_determinismE0ES3_S7_PKfNS0_17constant_iteratorIjlEEPfPlSF_S6_NS0_8equal_toIfEEEE10hipError_tPvRmT2_T3_mT4_T5_T6_T7_T8_P12ihipStream_tbENKUlT_T0_E_clISt17integral_constantIbLb0EESZ_EEDaSU_SV_EUlSU_E_NS1_11comp_targetILNS1_3genE10ELNS1_11target_archE1201ELNS1_3gpuE5ELNS1_3repE0EEENS1_30default_config_static_selectorELNS0_4arch9wavefront6targetE1EEEvT1_
    .private_segment_fixed_size: 0
    .sgpr_count:     6
    .sgpr_spill_count: 0
    .symbol:         _ZN7rocprim17ROCPRIM_400000_NS6detail17trampoline_kernelINS0_14default_configENS1_33run_length_encode_config_selectorIfjNS0_4plusIjEEEEZZNS1_33reduce_by_key_impl_wrapped_configILNS1_25lookback_scan_determinismE0ES3_S7_PKfNS0_17constant_iteratorIjlEEPfPlSF_S6_NS0_8equal_toIfEEEE10hipError_tPvRmT2_T3_mT4_T5_T6_T7_T8_P12ihipStream_tbENKUlT_T0_E_clISt17integral_constantIbLb0EESZ_EEDaSU_SV_EUlSU_E_NS1_11comp_targetILNS1_3genE10ELNS1_11target_archE1201ELNS1_3gpuE5ELNS1_3repE0EEENS1_30default_config_static_selectorELNS0_4arch9wavefront6targetE1EEEvT1_.kd
    .uniform_work_group_size: 1
    .uses_dynamic_stack: false
    .vgpr_count:     0
    .vgpr_spill_count: 0
    .wavefront_size: 64
  - .agpr_count:     0
    .args:
      - .offset:         0
        .size:           128
        .value_kind:     by_value
    .group_segment_fixed_size: 0
    .kernarg_segment_align: 8
    .kernarg_segment_size: 128
    .language:       OpenCL C
    .language_version:
      - 2
      - 0
    .max_flat_workgroup_size: 256
    .name:           _ZN7rocprim17ROCPRIM_400000_NS6detail17trampoline_kernelINS0_14default_configENS1_33run_length_encode_config_selectorIfjNS0_4plusIjEEEEZZNS1_33reduce_by_key_impl_wrapped_configILNS1_25lookback_scan_determinismE0ES3_S7_PKfNS0_17constant_iteratorIjlEEPfPlSF_S6_NS0_8equal_toIfEEEE10hipError_tPvRmT2_T3_mT4_T5_T6_T7_T8_P12ihipStream_tbENKUlT_T0_E_clISt17integral_constantIbLb0EESZ_EEDaSU_SV_EUlSU_E_NS1_11comp_targetILNS1_3genE10ELNS1_11target_archE1200ELNS1_3gpuE4ELNS1_3repE0EEENS1_30default_config_static_selectorELNS0_4arch9wavefront6targetE1EEEvT1_
    .private_segment_fixed_size: 0
    .sgpr_count:     6
    .sgpr_spill_count: 0
    .symbol:         _ZN7rocprim17ROCPRIM_400000_NS6detail17trampoline_kernelINS0_14default_configENS1_33run_length_encode_config_selectorIfjNS0_4plusIjEEEEZZNS1_33reduce_by_key_impl_wrapped_configILNS1_25lookback_scan_determinismE0ES3_S7_PKfNS0_17constant_iteratorIjlEEPfPlSF_S6_NS0_8equal_toIfEEEE10hipError_tPvRmT2_T3_mT4_T5_T6_T7_T8_P12ihipStream_tbENKUlT_T0_E_clISt17integral_constantIbLb0EESZ_EEDaSU_SV_EUlSU_E_NS1_11comp_targetILNS1_3genE10ELNS1_11target_archE1200ELNS1_3gpuE4ELNS1_3repE0EEENS1_30default_config_static_selectorELNS0_4arch9wavefront6targetE1EEEvT1_.kd
    .uniform_work_group_size: 1
    .uses_dynamic_stack: false
    .vgpr_count:     0
    .vgpr_spill_count: 0
    .wavefront_size: 64
  - .agpr_count:     0
    .args:
      - .offset:         0
        .size:           128
        .value_kind:     by_value
    .group_segment_fixed_size: 0
    .kernarg_segment_align: 8
    .kernarg_segment_size: 128
    .language:       OpenCL C
    .language_version:
      - 2
      - 0
    .max_flat_workgroup_size: 512
    .name:           _ZN7rocprim17ROCPRIM_400000_NS6detail17trampoline_kernelINS0_14default_configENS1_33run_length_encode_config_selectorIfjNS0_4plusIjEEEEZZNS1_33reduce_by_key_impl_wrapped_configILNS1_25lookback_scan_determinismE0ES3_S7_PKfNS0_17constant_iteratorIjlEEPfPlSF_S6_NS0_8equal_toIfEEEE10hipError_tPvRmT2_T3_mT4_T5_T6_T7_T8_P12ihipStream_tbENKUlT_T0_E_clISt17integral_constantIbLb0EESZ_EEDaSU_SV_EUlSU_E_NS1_11comp_targetILNS1_3genE9ELNS1_11target_archE1100ELNS1_3gpuE3ELNS1_3repE0EEENS1_30default_config_static_selectorELNS0_4arch9wavefront6targetE1EEEvT1_
    .private_segment_fixed_size: 0
    .sgpr_count:     6
    .sgpr_spill_count: 0
    .symbol:         _ZN7rocprim17ROCPRIM_400000_NS6detail17trampoline_kernelINS0_14default_configENS1_33run_length_encode_config_selectorIfjNS0_4plusIjEEEEZZNS1_33reduce_by_key_impl_wrapped_configILNS1_25lookback_scan_determinismE0ES3_S7_PKfNS0_17constant_iteratorIjlEEPfPlSF_S6_NS0_8equal_toIfEEEE10hipError_tPvRmT2_T3_mT4_T5_T6_T7_T8_P12ihipStream_tbENKUlT_T0_E_clISt17integral_constantIbLb0EESZ_EEDaSU_SV_EUlSU_E_NS1_11comp_targetILNS1_3genE9ELNS1_11target_archE1100ELNS1_3gpuE3ELNS1_3repE0EEENS1_30default_config_static_selectorELNS0_4arch9wavefront6targetE1EEEvT1_.kd
    .uniform_work_group_size: 1
    .uses_dynamic_stack: false
    .vgpr_count:     0
    .vgpr_spill_count: 0
    .wavefront_size: 64
  - .agpr_count:     0
    .args:
      - .offset:         0
        .size:           128
        .value_kind:     by_value
    .group_segment_fixed_size: 0
    .kernarg_segment_align: 8
    .kernarg_segment_size: 128
    .language:       OpenCL C
    .language_version:
      - 2
      - 0
    .max_flat_workgroup_size: 192
    .name:           _ZN7rocprim17ROCPRIM_400000_NS6detail17trampoline_kernelINS0_14default_configENS1_33run_length_encode_config_selectorIfjNS0_4plusIjEEEEZZNS1_33reduce_by_key_impl_wrapped_configILNS1_25lookback_scan_determinismE0ES3_S7_PKfNS0_17constant_iteratorIjlEEPfPlSF_S6_NS0_8equal_toIfEEEE10hipError_tPvRmT2_T3_mT4_T5_T6_T7_T8_P12ihipStream_tbENKUlT_T0_E_clISt17integral_constantIbLb0EESZ_EEDaSU_SV_EUlSU_E_NS1_11comp_targetILNS1_3genE8ELNS1_11target_archE1030ELNS1_3gpuE2ELNS1_3repE0EEENS1_30default_config_static_selectorELNS0_4arch9wavefront6targetE1EEEvT1_
    .private_segment_fixed_size: 0
    .sgpr_count:     6
    .sgpr_spill_count: 0
    .symbol:         _ZN7rocprim17ROCPRIM_400000_NS6detail17trampoline_kernelINS0_14default_configENS1_33run_length_encode_config_selectorIfjNS0_4plusIjEEEEZZNS1_33reduce_by_key_impl_wrapped_configILNS1_25lookback_scan_determinismE0ES3_S7_PKfNS0_17constant_iteratorIjlEEPfPlSF_S6_NS0_8equal_toIfEEEE10hipError_tPvRmT2_T3_mT4_T5_T6_T7_T8_P12ihipStream_tbENKUlT_T0_E_clISt17integral_constantIbLb0EESZ_EEDaSU_SV_EUlSU_E_NS1_11comp_targetILNS1_3genE8ELNS1_11target_archE1030ELNS1_3gpuE2ELNS1_3repE0EEENS1_30default_config_static_selectorELNS0_4arch9wavefront6targetE1EEEvT1_.kd
    .uniform_work_group_size: 1
    .uses_dynamic_stack: false
    .vgpr_count:     0
    .vgpr_spill_count: 0
    .wavefront_size: 64
  - .agpr_count:     0
    .args:
      - .offset:         0
        .size:           128
        .value_kind:     by_value
    .group_segment_fixed_size: 0
    .kernarg_segment_align: 8
    .kernarg_segment_size: 128
    .language:       OpenCL C
    .language_version:
      - 2
      - 0
    .max_flat_workgroup_size: 256
    .name:           _ZN7rocprim17ROCPRIM_400000_NS6detail17trampoline_kernelINS0_14default_configENS1_33run_length_encode_config_selectorIfjNS0_4plusIjEEEEZZNS1_33reduce_by_key_impl_wrapped_configILNS1_25lookback_scan_determinismE0ES3_S7_PKfNS0_17constant_iteratorIjlEEPfPlSF_S6_NS0_8equal_toIfEEEE10hipError_tPvRmT2_T3_mT4_T5_T6_T7_T8_P12ihipStream_tbENKUlT_T0_E_clISt17integral_constantIbLb1EESZ_EEDaSU_SV_EUlSU_E_NS1_11comp_targetILNS1_3genE0ELNS1_11target_archE4294967295ELNS1_3gpuE0ELNS1_3repE0EEENS1_30default_config_static_selectorELNS0_4arch9wavefront6targetE1EEEvT1_
    .private_segment_fixed_size: 0
    .sgpr_count:     6
    .sgpr_spill_count: 0
    .symbol:         _ZN7rocprim17ROCPRIM_400000_NS6detail17trampoline_kernelINS0_14default_configENS1_33run_length_encode_config_selectorIfjNS0_4plusIjEEEEZZNS1_33reduce_by_key_impl_wrapped_configILNS1_25lookback_scan_determinismE0ES3_S7_PKfNS0_17constant_iteratorIjlEEPfPlSF_S6_NS0_8equal_toIfEEEE10hipError_tPvRmT2_T3_mT4_T5_T6_T7_T8_P12ihipStream_tbENKUlT_T0_E_clISt17integral_constantIbLb1EESZ_EEDaSU_SV_EUlSU_E_NS1_11comp_targetILNS1_3genE0ELNS1_11target_archE4294967295ELNS1_3gpuE0ELNS1_3repE0EEENS1_30default_config_static_selectorELNS0_4arch9wavefront6targetE1EEEvT1_.kd
    .uniform_work_group_size: 1
    .uses_dynamic_stack: false
    .vgpr_count:     0
    .vgpr_spill_count: 0
    .wavefront_size: 64
  - .agpr_count:     0
    .args:
      - .offset:         0
        .size:           128
        .value_kind:     by_value
    .group_segment_fixed_size: 30720
    .kernarg_segment_align: 8
    .kernarg_segment_size: 128
    .language:       OpenCL C
    .language_version:
      - 2
      - 0
    .max_flat_workgroup_size: 512
    .name:           _ZN7rocprim17ROCPRIM_400000_NS6detail17trampoline_kernelINS0_14default_configENS1_33run_length_encode_config_selectorIfjNS0_4plusIjEEEEZZNS1_33reduce_by_key_impl_wrapped_configILNS1_25lookback_scan_determinismE0ES3_S7_PKfNS0_17constant_iteratorIjlEEPfPlSF_S6_NS0_8equal_toIfEEEE10hipError_tPvRmT2_T3_mT4_T5_T6_T7_T8_P12ihipStream_tbENKUlT_T0_E_clISt17integral_constantIbLb1EESZ_EEDaSU_SV_EUlSU_E_NS1_11comp_targetILNS1_3genE5ELNS1_11target_archE942ELNS1_3gpuE9ELNS1_3repE0EEENS1_30default_config_static_selectorELNS0_4arch9wavefront6targetE1EEEvT1_
    .private_segment_fixed_size: 0
    .sgpr_count:     72
    .sgpr_spill_count: 0
    .symbol:         _ZN7rocprim17ROCPRIM_400000_NS6detail17trampoline_kernelINS0_14default_configENS1_33run_length_encode_config_selectorIfjNS0_4plusIjEEEEZZNS1_33reduce_by_key_impl_wrapped_configILNS1_25lookback_scan_determinismE0ES3_S7_PKfNS0_17constant_iteratorIjlEEPfPlSF_S6_NS0_8equal_toIfEEEE10hipError_tPvRmT2_T3_mT4_T5_T6_T7_T8_P12ihipStream_tbENKUlT_T0_E_clISt17integral_constantIbLb1EESZ_EEDaSU_SV_EUlSU_E_NS1_11comp_targetILNS1_3genE5ELNS1_11target_archE942ELNS1_3gpuE9ELNS1_3repE0EEENS1_30default_config_static_selectorELNS0_4arch9wavefront6targetE1EEEvT1_.kd
    .uniform_work_group_size: 1
    .uses_dynamic_stack: false
    .vgpr_count:     104
    .vgpr_spill_count: 0
    .wavefront_size: 64
  - .agpr_count:     0
    .args:
      - .offset:         0
        .size:           128
        .value_kind:     by_value
    .group_segment_fixed_size: 0
    .kernarg_segment_align: 8
    .kernarg_segment_size: 128
    .language:       OpenCL C
    .language_version:
      - 2
      - 0
    .max_flat_workgroup_size: 256
    .name:           _ZN7rocprim17ROCPRIM_400000_NS6detail17trampoline_kernelINS0_14default_configENS1_33run_length_encode_config_selectorIfjNS0_4plusIjEEEEZZNS1_33reduce_by_key_impl_wrapped_configILNS1_25lookback_scan_determinismE0ES3_S7_PKfNS0_17constant_iteratorIjlEEPfPlSF_S6_NS0_8equal_toIfEEEE10hipError_tPvRmT2_T3_mT4_T5_T6_T7_T8_P12ihipStream_tbENKUlT_T0_E_clISt17integral_constantIbLb1EESZ_EEDaSU_SV_EUlSU_E_NS1_11comp_targetILNS1_3genE4ELNS1_11target_archE910ELNS1_3gpuE8ELNS1_3repE0EEENS1_30default_config_static_selectorELNS0_4arch9wavefront6targetE1EEEvT1_
    .private_segment_fixed_size: 0
    .sgpr_count:     6
    .sgpr_spill_count: 0
    .symbol:         _ZN7rocprim17ROCPRIM_400000_NS6detail17trampoline_kernelINS0_14default_configENS1_33run_length_encode_config_selectorIfjNS0_4plusIjEEEEZZNS1_33reduce_by_key_impl_wrapped_configILNS1_25lookback_scan_determinismE0ES3_S7_PKfNS0_17constant_iteratorIjlEEPfPlSF_S6_NS0_8equal_toIfEEEE10hipError_tPvRmT2_T3_mT4_T5_T6_T7_T8_P12ihipStream_tbENKUlT_T0_E_clISt17integral_constantIbLb1EESZ_EEDaSU_SV_EUlSU_E_NS1_11comp_targetILNS1_3genE4ELNS1_11target_archE910ELNS1_3gpuE8ELNS1_3repE0EEENS1_30default_config_static_selectorELNS0_4arch9wavefront6targetE1EEEvT1_.kd
    .uniform_work_group_size: 1
    .uses_dynamic_stack: false
    .vgpr_count:     0
    .vgpr_spill_count: 0
    .wavefront_size: 64
  - .agpr_count:     0
    .args:
      - .offset:         0
        .size:           128
        .value_kind:     by_value
    .group_segment_fixed_size: 0
    .kernarg_segment_align: 8
    .kernarg_segment_size: 128
    .language:       OpenCL C
    .language_version:
      - 2
      - 0
    .max_flat_workgroup_size: 256
    .name:           _ZN7rocprim17ROCPRIM_400000_NS6detail17trampoline_kernelINS0_14default_configENS1_33run_length_encode_config_selectorIfjNS0_4plusIjEEEEZZNS1_33reduce_by_key_impl_wrapped_configILNS1_25lookback_scan_determinismE0ES3_S7_PKfNS0_17constant_iteratorIjlEEPfPlSF_S6_NS0_8equal_toIfEEEE10hipError_tPvRmT2_T3_mT4_T5_T6_T7_T8_P12ihipStream_tbENKUlT_T0_E_clISt17integral_constantIbLb1EESZ_EEDaSU_SV_EUlSU_E_NS1_11comp_targetILNS1_3genE3ELNS1_11target_archE908ELNS1_3gpuE7ELNS1_3repE0EEENS1_30default_config_static_selectorELNS0_4arch9wavefront6targetE1EEEvT1_
    .private_segment_fixed_size: 0
    .sgpr_count:     6
    .sgpr_spill_count: 0
    .symbol:         _ZN7rocprim17ROCPRIM_400000_NS6detail17trampoline_kernelINS0_14default_configENS1_33run_length_encode_config_selectorIfjNS0_4plusIjEEEEZZNS1_33reduce_by_key_impl_wrapped_configILNS1_25lookback_scan_determinismE0ES3_S7_PKfNS0_17constant_iteratorIjlEEPfPlSF_S6_NS0_8equal_toIfEEEE10hipError_tPvRmT2_T3_mT4_T5_T6_T7_T8_P12ihipStream_tbENKUlT_T0_E_clISt17integral_constantIbLb1EESZ_EEDaSU_SV_EUlSU_E_NS1_11comp_targetILNS1_3genE3ELNS1_11target_archE908ELNS1_3gpuE7ELNS1_3repE0EEENS1_30default_config_static_selectorELNS0_4arch9wavefront6targetE1EEEvT1_.kd
    .uniform_work_group_size: 1
    .uses_dynamic_stack: false
    .vgpr_count:     0
    .vgpr_spill_count: 0
    .wavefront_size: 64
  - .agpr_count:     0
    .args:
      - .offset:         0
        .size:           128
        .value_kind:     by_value
    .group_segment_fixed_size: 0
    .kernarg_segment_align: 8
    .kernarg_segment_size: 128
    .language:       OpenCL C
    .language_version:
      - 2
      - 0
    .max_flat_workgroup_size: 256
    .name:           _ZN7rocprim17ROCPRIM_400000_NS6detail17trampoline_kernelINS0_14default_configENS1_33run_length_encode_config_selectorIfjNS0_4plusIjEEEEZZNS1_33reduce_by_key_impl_wrapped_configILNS1_25lookback_scan_determinismE0ES3_S7_PKfNS0_17constant_iteratorIjlEEPfPlSF_S6_NS0_8equal_toIfEEEE10hipError_tPvRmT2_T3_mT4_T5_T6_T7_T8_P12ihipStream_tbENKUlT_T0_E_clISt17integral_constantIbLb1EESZ_EEDaSU_SV_EUlSU_E_NS1_11comp_targetILNS1_3genE2ELNS1_11target_archE906ELNS1_3gpuE6ELNS1_3repE0EEENS1_30default_config_static_selectorELNS0_4arch9wavefront6targetE1EEEvT1_
    .private_segment_fixed_size: 0
    .sgpr_count:     6
    .sgpr_spill_count: 0
    .symbol:         _ZN7rocprim17ROCPRIM_400000_NS6detail17trampoline_kernelINS0_14default_configENS1_33run_length_encode_config_selectorIfjNS0_4plusIjEEEEZZNS1_33reduce_by_key_impl_wrapped_configILNS1_25lookback_scan_determinismE0ES3_S7_PKfNS0_17constant_iteratorIjlEEPfPlSF_S6_NS0_8equal_toIfEEEE10hipError_tPvRmT2_T3_mT4_T5_T6_T7_T8_P12ihipStream_tbENKUlT_T0_E_clISt17integral_constantIbLb1EESZ_EEDaSU_SV_EUlSU_E_NS1_11comp_targetILNS1_3genE2ELNS1_11target_archE906ELNS1_3gpuE6ELNS1_3repE0EEENS1_30default_config_static_selectorELNS0_4arch9wavefront6targetE1EEEvT1_.kd
    .uniform_work_group_size: 1
    .uses_dynamic_stack: false
    .vgpr_count:     0
    .vgpr_spill_count: 0
    .wavefront_size: 64
  - .agpr_count:     0
    .args:
      - .offset:         0
        .size:           128
        .value_kind:     by_value
    .group_segment_fixed_size: 0
    .kernarg_segment_align: 8
    .kernarg_segment_size: 128
    .language:       OpenCL C
    .language_version:
      - 2
      - 0
    .max_flat_workgroup_size: 384
    .name:           _ZN7rocprim17ROCPRIM_400000_NS6detail17trampoline_kernelINS0_14default_configENS1_33run_length_encode_config_selectorIfjNS0_4plusIjEEEEZZNS1_33reduce_by_key_impl_wrapped_configILNS1_25lookback_scan_determinismE0ES3_S7_PKfNS0_17constant_iteratorIjlEEPfPlSF_S6_NS0_8equal_toIfEEEE10hipError_tPvRmT2_T3_mT4_T5_T6_T7_T8_P12ihipStream_tbENKUlT_T0_E_clISt17integral_constantIbLb1EESZ_EEDaSU_SV_EUlSU_E_NS1_11comp_targetILNS1_3genE10ELNS1_11target_archE1201ELNS1_3gpuE5ELNS1_3repE0EEENS1_30default_config_static_selectorELNS0_4arch9wavefront6targetE1EEEvT1_
    .private_segment_fixed_size: 0
    .sgpr_count:     6
    .sgpr_spill_count: 0
    .symbol:         _ZN7rocprim17ROCPRIM_400000_NS6detail17trampoline_kernelINS0_14default_configENS1_33run_length_encode_config_selectorIfjNS0_4plusIjEEEEZZNS1_33reduce_by_key_impl_wrapped_configILNS1_25lookback_scan_determinismE0ES3_S7_PKfNS0_17constant_iteratorIjlEEPfPlSF_S6_NS0_8equal_toIfEEEE10hipError_tPvRmT2_T3_mT4_T5_T6_T7_T8_P12ihipStream_tbENKUlT_T0_E_clISt17integral_constantIbLb1EESZ_EEDaSU_SV_EUlSU_E_NS1_11comp_targetILNS1_3genE10ELNS1_11target_archE1201ELNS1_3gpuE5ELNS1_3repE0EEENS1_30default_config_static_selectorELNS0_4arch9wavefront6targetE1EEEvT1_.kd
    .uniform_work_group_size: 1
    .uses_dynamic_stack: false
    .vgpr_count:     0
    .vgpr_spill_count: 0
    .wavefront_size: 64
  - .agpr_count:     0
    .args:
      - .offset:         0
        .size:           128
        .value_kind:     by_value
    .group_segment_fixed_size: 0
    .kernarg_segment_align: 8
    .kernarg_segment_size: 128
    .language:       OpenCL C
    .language_version:
      - 2
      - 0
    .max_flat_workgroup_size: 256
    .name:           _ZN7rocprim17ROCPRIM_400000_NS6detail17trampoline_kernelINS0_14default_configENS1_33run_length_encode_config_selectorIfjNS0_4plusIjEEEEZZNS1_33reduce_by_key_impl_wrapped_configILNS1_25lookback_scan_determinismE0ES3_S7_PKfNS0_17constant_iteratorIjlEEPfPlSF_S6_NS0_8equal_toIfEEEE10hipError_tPvRmT2_T3_mT4_T5_T6_T7_T8_P12ihipStream_tbENKUlT_T0_E_clISt17integral_constantIbLb1EESZ_EEDaSU_SV_EUlSU_E_NS1_11comp_targetILNS1_3genE10ELNS1_11target_archE1200ELNS1_3gpuE4ELNS1_3repE0EEENS1_30default_config_static_selectorELNS0_4arch9wavefront6targetE1EEEvT1_
    .private_segment_fixed_size: 0
    .sgpr_count:     6
    .sgpr_spill_count: 0
    .symbol:         _ZN7rocprim17ROCPRIM_400000_NS6detail17trampoline_kernelINS0_14default_configENS1_33run_length_encode_config_selectorIfjNS0_4plusIjEEEEZZNS1_33reduce_by_key_impl_wrapped_configILNS1_25lookback_scan_determinismE0ES3_S7_PKfNS0_17constant_iteratorIjlEEPfPlSF_S6_NS0_8equal_toIfEEEE10hipError_tPvRmT2_T3_mT4_T5_T6_T7_T8_P12ihipStream_tbENKUlT_T0_E_clISt17integral_constantIbLb1EESZ_EEDaSU_SV_EUlSU_E_NS1_11comp_targetILNS1_3genE10ELNS1_11target_archE1200ELNS1_3gpuE4ELNS1_3repE0EEENS1_30default_config_static_selectorELNS0_4arch9wavefront6targetE1EEEvT1_.kd
    .uniform_work_group_size: 1
    .uses_dynamic_stack: false
    .vgpr_count:     0
    .vgpr_spill_count: 0
    .wavefront_size: 64
  - .agpr_count:     0
    .args:
      - .offset:         0
        .size:           128
        .value_kind:     by_value
    .group_segment_fixed_size: 0
    .kernarg_segment_align: 8
    .kernarg_segment_size: 128
    .language:       OpenCL C
    .language_version:
      - 2
      - 0
    .max_flat_workgroup_size: 512
    .name:           _ZN7rocprim17ROCPRIM_400000_NS6detail17trampoline_kernelINS0_14default_configENS1_33run_length_encode_config_selectorIfjNS0_4plusIjEEEEZZNS1_33reduce_by_key_impl_wrapped_configILNS1_25lookback_scan_determinismE0ES3_S7_PKfNS0_17constant_iteratorIjlEEPfPlSF_S6_NS0_8equal_toIfEEEE10hipError_tPvRmT2_T3_mT4_T5_T6_T7_T8_P12ihipStream_tbENKUlT_T0_E_clISt17integral_constantIbLb1EESZ_EEDaSU_SV_EUlSU_E_NS1_11comp_targetILNS1_3genE9ELNS1_11target_archE1100ELNS1_3gpuE3ELNS1_3repE0EEENS1_30default_config_static_selectorELNS0_4arch9wavefront6targetE1EEEvT1_
    .private_segment_fixed_size: 0
    .sgpr_count:     6
    .sgpr_spill_count: 0
    .symbol:         _ZN7rocprim17ROCPRIM_400000_NS6detail17trampoline_kernelINS0_14default_configENS1_33run_length_encode_config_selectorIfjNS0_4plusIjEEEEZZNS1_33reduce_by_key_impl_wrapped_configILNS1_25lookback_scan_determinismE0ES3_S7_PKfNS0_17constant_iteratorIjlEEPfPlSF_S6_NS0_8equal_toIfEEEE10hipError_tPvRmT2_T3_mT4_T5_T6_T7_T8_P12ihipStream_tbENKUlT_T0_E_clISt17integral_constantIbLb1EESZ_EEDaSU_SV_EUlSU_E_NS1_11comp_targetILNS1_3genE9ELNS1_11target_archE1100ELNS1_3gpuE3ELNS1_3repE0EEENS1_30default_config_static_selectorELNS0_4arch9wavefront6targetE1EEEvT1_.kd
    .uniform_work_group_size: 1
    .uses_dynamic_stack: false
    .vgpr_count:     0
    .vgpr_spill_count: 0
    .wavefront_size: 64
  - .agpr_count:     0
    .args:
      - .offset:         0
        .size:           128
        .value_kind:     by_value
    .group_segment_fixed_size: 0
    .kernarg_segment_align: 8
    .kernarg_segment_size: 128
    .language:       OpenCL C
    .language_version:
      - 2
      - 0
    .max_flat_workgroup_size: 192
    .name:           _ZN7rocprim17ROCPRIM_400000_NS6detail17trampoline_kernelINS0_14default_configENS1_33run_length_encode_config_selectorIfjNS0_4plusIjEEEEZZNS1_33reduce_by_key_impl_wrapped_configILNS1_25lookback_scan_determinismE0ES3_S7_PKfNS0_17constant_iteratorIjlEEPfPlSF_S6_NS0_8equal_toIfEEEE10hipError_tPvRmT2_T3_mT4_T5_T6_T7_T8_P12ihipStream_tbENKUlT_T0_E_clISt17integral_constantIbLb1EESZ_EEDaSU_SV_EUlSU_E_NS1_11comp_targetILNS1_3genE8ELNS1_11target_archE1030ELNS1_3gpuE2ELNS1_3repE0EEENS1_30default_config_static_selectorELNS0_4arch9wavefront6targetE1EEEvT1_
    .private_segment_fixed_size: 0
    .sgpr_count:     6
    .sgpr_spill_count: 0
    .symbol:         _ZN7rocprim17ROCPRIM_400000_NS6detail17trampoline_kernelINS0_14default_configENS1_33run_length_encode_config_selectorIfjNS0_4plusIjEEEEZZNS1_33reduce_by_key_impl_wrapped_configILNS1_25lookback_scan_determinismE0ES3_S7_PKfNS0_17constant_iteratorIjlEEPfPlSF_S6_NS0_8equal_toIfEEEE10hipError_tPvRmT2_T3_mT4_T5_T6_T7_T8_P12ihipStream_tbENKUlT_T0_E_clISt17integral_constantIbLb1EESZ_EEDaSU_SV_EUlSU_E_NS1_11comp_targetILNS1_3genE8ELNS1_11target_archE1030ELNS1_3gpuE2ELNS1_3repE0EEENS1_30default_config_static_selectorELNS0_4arch9wavefront6targetE1EEEvT1_.kd
    .uniform_work_group_size: 1
    .uses_dynamic_stack: false
    .vgpr_count:     0
    .vgpr_spill_count: 0
    .wavefront_size: 64
  - .agpr_count:     0
    .args:
      - .offset:         0
        .size:           128
        .value_kind:     by_value
    .group_segment_fixed_size: 0
    .kernarg_segment_align: 8
    .kernarg_segment_size: 128
    .language:       OpenCL C
    .language_version:
      - 2
      - 0
    .max_flat_workgroup_size: 256
    .name:           _ZN7rocprim17ROCPRIM_400000_NS6detail17trampoline_kernelINS0_14default_configENS1_33run_length_encode_config_selectorIfjNS0_4plusIjEEEEZZNS1_33reduce_by_key_impl_wrapped_configILNS1_25lookback_scan_determinismE0ES3_S7_PKfNS0_17constant_iteratorIjlEEPfPlSF_S6_NS0_8equal_toIfEEEE10hipError_tPvRmT2_T3_mT4_T5_T6_T7_T8_P12ihipStream_tbENKUlT_T0_E_clISt17integral_constantIbLb1EESY_IbLb0EEEEDaSU_SV_EUlSU_E_NS1_11comp_targetILNS1_3genE0ELNS1_11target_archE4294967295ELNS1_3gpuE0ELNS1_3repE0EEENS1_30default_config_static_selectorELNS0_4arch9wavefront6targetE1EEEvT1_
    .private_segment_fixed_size: 0
    .sgpr_count:     6
    .sgpr_spill_count: 0
    .symbol:         _ZN7rocprim17ROCPRIM_400000_NS6detail17trampoline_kernelINS0_14default_configENS1_33run_length_encode_config_selectorIfjNS0_4plusIjEEEEZZNS1_33reduce_by_key_impl_wrapped_configILNS1_25lookback_scan_determinismE0ES3_S7_PKfNS0_17constant_iteratorIjlEEPfPlSF_S6_NS0_8equal_toIfEEEE10hipError_tPvRmT2_T3_mT4_T5_T6_T7_T8_P12ihipStream_tbENKUlT_T0_E_clISt17integral_constantIbLb1EESY_IbLb0EEEEDaSU_SV_EUlSU_E_NS1_11comp_targetILNS1_3genE0ELNS1_11target_archE4294967295ELNS1_3gpuE0ELNS1_3repE0EEENS1_30default_config_static_selectorELNS0_4arch9wavefront6targetE1EEEvT1_.kd
    .uniform_work_group_size: 1
    .uses_dynamic_stack: false
    .vgpr_count:     0
    .vgpr_spill_count: 0
    .wavefront_size: 64
  - .agpr_count:     0
    .args:
      - .offset:         0
        .size:           128
        .value_kind:     by_value
    .group_segment_fixed_size: 30720
    .kernarg_segment_align: 8
    .kernarg_segment_size: 128
    .language:       OpenCL C
    .language_version:
      - 2
      - 0
    .max_flat_workgroup_size: 512
    .name:           _ZN7rocprim17ROCPRIM_400000_NS6detail17trampoline_kernelINS0_14default_configENS1_33run_length_encode_config_selectorIfjNS0_4plusIjEEEEZZNS1_33reduce_by_key_impl_wrapped_configILNS1_25lookback_scan_determinismE0ES3_S7_PKfNS0_17constant_iteratorIjlEEPfPlSF_S6_NS0_8equal_toIfEEEE10hipError_tPvRmT2_T3_mT4_T5_T6_T7_T8_P12ihipStream_tbENKUlT_T0_E_clISt17integral_constantIbLb1EESY_IbLb0EEEEDaSU_SV_EUlSU_E_NS1_11comp_targetILNS1_3genE5ELNS1_11target_archE942ELNS1_3gpuE9ELNS1_3repE0EEENS1_30default_config_static_selectorELNS0_4arch9wavefront6targetE1EEEvT1_
    .private_segment_fixed_size: 0
    .sgpr_count:     70
    .sgpr_spill_count: 0
    .symbol:         _ZN7rocprim17ROCPRIM_400000_NS6detail17trampoline_kernelINS0_14default_configENS1_33run_length_encode_config_selectorIfjNS0_4plusIjEEEEZZNS1_33reduce_by_key_impl_wrapped_configILNS1_25lookback_scan_determinismE0ES3_S7_PKfNS0_17constant_iteratorIjlEEPfPlSF_S6_NS0_8equal_toIfEEEE10hipError_tPvRmT2_T3_mT4_T5_T6_T7_T8_P12ihipStream_tbENKUlT_T0_E_clISt17integral_constantIbLb1EESY_IbLb0EEEEDaSU_SV_EUlSU_E_NS1_11comp_targetILNS1_3genE5ELNS1_11target_archE942ELNS1_3gpuE9ELNS1_3repE0EEENS1_30default_config_static_selectorELNS0_4arch9wavefront6targetE1EEEvT1_.kd
    .uniform_work_group_size: 1
    .uses_dynamic_stack: false
    .vgpr_count:     104
    .vgpr_spill_count: 0
    .wavefront_size: 64
  - .agpr_count:     0
    .args:
      - .offset:         0
        .size:           128
        .value_kind:     by_value
    .group_segment_fixed_size: 0
    .kernarg_segment_align: 8
    .kernarg_segment_size: 128
    .language:       OpenCL C
    .language_version:
      - 2
      - 0
    .max_flat_workgroup_size: 256
    .name:           _ZN7rocprim17ROCPRIM_400000_NS6detail17trampoline_kernelINS0_14default_configENS1_33run_length_encode_config_selectorIfjNS0_4plusIjEEEEZZNS1_33reduce_by_key_impl_wrapped_configILNS1_25lookback_scan_determinismE0ES3_S7_PKfNS0_17constant_iteratorIjlEEPfPlSF_S6_NS0_8equal_toIfEEEE10hipError_tPvRmT2_T3_mT4_T5_T6_T7_T8_P12ihipStream_tbENKUlT_T0_E_clISt17integral_constantIbLb1EESY_IbLb0EEEEDaSU_SV_EUlSU_E_NS1_11comp_targetILNS1_3genE4ELNS1_11target_archE910ELNS1_3gpuE8ELNS1_3repE0EEENS1_30default_config_static_selectorELNS0_4arch9wavefront6targetE1EEEvT1_
    .private_segment_fixed_size: 0
    .sgpr_count:     6
    .sgpr_spill_count: 0
    .symbol:         _ZN7rocprim17ROCPRIM_400000_NS6detail17trampoline_kernelINS0_14default_configENS1_33run_length_encode_config_selectorIfjNS0_4plusIjEEEEZZNS1_33reduce_by_key_impl_wrapped_configILNS1_25lookback_scan_determinismE0ES3_S7_PKfNS0_17constant_iteratorIjlEEPfPlSF_S6_NS0_8equal_toIfEEEE10hipError_tPvRmT2_T3_mT4_T5_T6_T7_T8_P12ihipStream_tbENKUlT_T0_E_clISt17integral_constantIbLb1EESY_IbLb0EEEEDaSU_SV_EUlSU_E_NS1_11comp_targetILNS1_3genE4ELNS1_11target_archE910ELNS1_3gpuE8ELNS1_3repE0EEENS1_30default_config_static_selectorELNS0_4arch9wavefront6targetE1EEEvT1_.kd
    .uniform_work_group_size: 1
    .uses_dynamic_stack: false
    .vgpr_count:     0
    .vgpr_spill_count: 0
    .wavefront_size: 64
  - .agpr_count:     0
    .args:
      - .offset:         0
        .size:           128
        .value_kind:     by_value
    .group_segment_fixed_size: 0
    .kernarg_segment_align: 8
    .kernarg_segment_size: 128
    .language:       OpenCL C
    .language_version:
      - 2
      - 0
    .max_flat_workgroup_size: 256
    .name:           _ZN7rocprim17ROCPRIM_400000_NS6detail17trampoline_kernelINS0_14default_configENS1_33run_length_encode_config_selectorIfjNS0_4plusIjEEEEZZNS1_33reduce_by_key_impl_wrapped_configILNS1_25lookback_scan_determinismE0ES3_S7_PKfNS0_17constant_iteratorIjlEEPfPlSF_S6_NS0_8equal_toIfEEEE10hipError_tPvRmT2_T3_mT4_T5_T6_T7_T8_P12ihipStream_tbENKUlT_T0_E_clISt17integral_constantIbLb1EESY_IbLb0EEEEDaSU_SV_EUlSU_E_NS1_11comp_targetILNS1_3genE3ELNS1_11target_archE908ELNS1_3gpuE7ELNS1_3repE0EEENS1_30default_config_static_selectorELNS0_4arch9wavefront6targetE1EEEvT1_
    .private_segment_fixed_size: 0
    .sgpr_count:     6
    .sgpr_spill_count: 0
    .symbol:         _ZN7rocprim17ROCPRIM_400000_NS6detail17trampoline_kernelINS0_14default_configENS1_33run_length_encode_config_selectorIfjNS0_4plusIjEEEEZZNS1_33reduce_by_key_impl_wrapped_configILNS1_25lookback_scan_determinismE0ES3_S7_PKfNS0_17constant_iteratorIjlEEPfPlSF_S6_NS0_8equal_toIfEEEE10hipError_tPvRmT2_T3_mT4_T5_T6_T7_T8_P12ihipStream_tbENKUlT_T0_E_clISt17integral_constantIbLb1EESY_IbLb0EEEEDaSU_SV_EUlSU_E_NS1_11comp_targetILNS1_3genE3ELNS1_11target_archE908ELNS1_3gpuE7ELNS1_3repE0EEENS1_30default_config_static_selectorELNS0_4arch9wavefront6targetE1EEEvT1_.kd
    .uniform_work_group_size: 1
    .uses_dynamic_stack: false
    .vgpr_count:     0
    .vgpr_spill_count: 0
    .wavefront_size: 64
  - .agpr_count:     0
    .args:
      - .offset:         0
        .size:           128
        .value_kind:     by_value
    .group_segment_fixed_size: 0
    .kernarg_segment_align: 8
    .kernarg_segment_size: 128
    .language:       OpenCL C
    .language_version:
      - 2
      - 0
    .max_flat_workgroup_size: 256
    .name:           _ZN7rocprim17ROCPRIM_400000_NS6detail17trampoline_kernelINS0_14default_configENS1_33run_length_encode_config_selectorIfjNS0_4plusIjEEEEZZNS1_33reduce_by_key_impl_wrapped_configILNS1_25lookback_scan_determinismE0ES3_S7_PKfNS0_17constant_iteratorIjlEEPfPlSF_S6_NS0_8equal_toIfEEEE10hipError_tPvRmT2_T3_mT4_T5_T6_T7_T8_P12ihipStream_tbENKUlT_T0_E_clISt17integral_constantIbLb1EESY_IbLb0EEEEDaSU_SV_EUlSU_E_NS1_11comp_targetILNS1_3genE2ELNS1_11target_archE906ELNS1_3gpuE6ELNS1_3repE0EEENS1_30default_config_static_selectorELNS0_4arch9wavefront6targetE1EEEvT1_
    .private_segment_fixed_size: 0
    .sgpr_count:     6
    .sgpr_spill_count: 0
    .symbol:         _ZN7rocprim17ROCPRIM_400000_NS6detail17trampoline_kernelINS0_14default_configENS1_33run_length_encode_config_selectorIfjNS0_4plusIjEEEEZZNS1_33reduce_by_key_impl_wrapped_configILNS1_25lookback_scan_determinismE0ES3_S7_PKfNS0_17constant_iteratorIjlEEPfPlSF_S6_NS0_8equal_toIfEEEE10hipError_tPvRmT2_T3_mT4_T5_T6_T7_T8_P12ihipStream_tbENKUlT_T0_E_clISt17integral_constantIbLb1EESY_IbLb0EEEEDaSU_SV_EUlSU_E_NS1_11comp_targetILNS1_3genE2ELNS1_11target_archE906ELNS1_3gpuE6ELNS1_3repE0EEENS1_30default_config_static_selectorELNS0_4arch9wavefront6targetE1EEEvT1_.kd
    .uniform_work_group_size: 1
    .uses_dynamic_stack: false
    .vgpr_count:     0
    .vgpr_spill_count: 0
    .wavefront_size: 64
  - .agpr_count:     0
    .args:
      - .offset:         0
        .size:           128
        .value_kind:     by_value
    .group_segment_fixed_size: 0
    .kernarg_segment_align: 8
    .kernarg_segment_size: 128
    .language:       OpenCL C
    .language_version:
      - 2
      - 0
    .max_flat_workgroup_size: 384
    .name:           _ZN7rocprim17ROCPRIM_400000_NS6detail17trampoline_kernelINS0_14default_configENS1_33run_length_encode_config_selectorIfjNS0_4plusIjEEEEZZNS1_33reduce_by_key_impl_wrapped_configILNS1_25lookback_scan_determinismE0ES3_S7_PKfNS0_17constant_iteratorIjlEEPfPlSF_S6_NS0_8equal_toIfEEEE10hipError_tPvRmT2_T3_mT4_T5_T6_T7_T8_P12ihipStream_tbENKUlT_T0_E_clISt17integral_constantIbLb1EESY_IbLb0EEEEDaSU_SV_EUlSU_E_NS1_11comp_targetILNS1_3genE10ELNS1_11target_archE1201ELNS1_3gpuE5ELNS1_3repE0EEENS1_30default_config_static_selectorELNS0_4arch9wavefront6targetE1EEEvT1_
    .private_segment_fixed_size: 0
    .sgpr_count:     6
    .sgpr_spill_count: 0
    .symbol:         _ZN7rocprim17ROCPRIM_400000_NS6detail17trampoline_kernelINS0_14default_configENS1_33run_length_encode_config_selectorIfjNS0_4plusIjEEEEZZNS1_33reduce_by_key_impl_wrapped_configILNS1_25lookback_scan_determinismE0ES3_S7_PKfNS0_17constant_iteratorIjlEEPfPlSF_S6_NS0_8equal_toIfEEEE10hipError_tPvRmT2_T3_mT4_T5_T6_T7_T8_P12ihipStream_tbENKUlT_T0_E_clISt17integral_constantIbLb1EESY_IbLb0EEEEDaSU_SV_EUlSU_E_NS1_11comp_targetILNS1_3genE10ELNS1_11target_archE1201ELNS1_3gpuE5ELNS1_3repE0EEENS1_30default_config_static_selectorELNS0_4arch9wavefront6targetE1EEEvT1_.kd
    .uniform_work_group_size: 1
    .uses_dynamic_stack: false
    .vgpr_count:     0
    .vgpr_spill_count: 0
    .wavefront_size: 64
  - .agpr_count:     0
    .args:
      - .offset:         0
        .size:           128
        .value_kind:     by_value
    .group_segment_fixed_size: 0
    .kernarg_segment_align: 8
    .kernarg_segment_size: 128
    .language:       OpenCL C
    .language_version:
      - 2
      - 0
    .max_flat_workgroup_size: 256
    .name:           _ZN7rocprim17ROCPRIM_400000_NS6detail17trampoline_kernelINS0_14default_configENS1_33run_length_encode_config_selectorIfjNS0_4plusIjEEEEZZNS1_33reduce_by_key_impl_wrapped_configILNS1_25lookback_scan_determinismE0ES3_S7_PKfNS0_17constant_iteratorIjlEEPfPlSF_S6_NS0_8equal_toIfEEEE10hipError_tPvRmT2_T3_mT4_T5_T6_T7_T8_P12ihipStream_tbENKUlT_T0_E_clISt17integral_constantIbLb1EESY_IbLb0EEEEDaSU_SV_EUlSU_E_NS1_11comp_targetILNS1_3genE10ELNS1_11target_archE1200ELNS1_3gpuE4ELNS1_3repE0EEENS1_30default_config_static_selectorELNS0_4arch9wavefront6targetE1EEEvT1_
    .private_segment_fixed_size: 0
    .sgpr_count:     6
    .sgpr_spill_count: 0
    .symbol:         _ZN7rocprim17ROCPRIM_400000_NS6detail17trampoline_kernelINS0_14default_configENS1_33run_length_encode_config_selectorIfjNS0_4plusIjEEEEZZNS1_33reduce_by_key_impl_wrapped_configILNS1_25lookback_scan_determinismE0ES3_S7_PKfNS0_17constant_iteratorIjlEEPfPlSF_S6_NS0_8equal_toIfEEEE10hipError_tPvRmT2_T3_mT4_T5_T6_T7_T8_P12ihipStream_tbENKUlT_T0_E_clISt17integral_constantIbLb1EESY_IbLb0EEEEDaSU_SV_EUlSU_E_NS1_11comp_targetILNS1_3genE10ELNS1_11target_archE1200ELNS1_3gpuE4ELNS1_3repE0EEENS1_30default_config_static_selectorELNS0_4arch9wavefront6targetE1EEEvT1_.kd
    .uniform_work_group_size: 1
    .uses_dynamic_stack: false
    .vgpr_count:     0
    .vgpr_spill_count: 0
    .wavefront_size: 64
  - .agpr_count:     0
    .args:
      - .offset:         0
        .size:           128
        .value_kind:     by_value
    .group_segment_fixed_size: 0
    .kernarg_segment_align: 8
    .kernarg_segment_size: 128
    .language:       OpenCL C
    .language_version:
      - 2
      - 0
    .max_flat_workgroup_size: 512
    .name:           _ZN7rocprim17ROCPRIM_400000_NS6detail17trampoline_kernelINS0_14default_configENS1_33run_length_encode_config_selectorIfjNS0_4plusIjEEEEZZNS1_33reduce_by_key_impl_wrapped_configILNS1_25lookback_scan_determinismE0ES3_S7_PKfNS0_17constant_iteratorIjlEEPfPlSF_S6_NS0_8equal_toIfEEEE10hipError_tPvRmT2_T3_mT4_T5_T6_T7_T8_P12ihipStream_tbENKUlT_T0_E_clISt17integral_constantIbLb1EESY_IbLb0EEEEDaSU_SV_EUlSU_E_NS1_11comp_targetILNS1_3genE9ELNS1_11target_archE1100ELNS1_3gpuE3ELNS1_3repE0EEENS1_30default_config_static_selectorELNS0_4arch9wavefront6targetE1EEEvT1_
    .private_segment_fixed_size: 0
    .sgpr_count:     6
    .sgpr_spill_count: 0
    .symbol:         _ZN7rocprim17ROCPRIM_400000_NS6detail17trampoline_kernelINS0_14default_configENS1_33run_length_encode_config_selectorIfjNS0_4plusIjEEEEZZNS1_33reduce_by_key_impl_wrapped_configILNS1_25lookback_scan_determinismE0ES3_S7_PKfNS0_17constant_iteratorIjlEEPfPlSF_S6_NS0_8equal_toIfEEEE10hipError_tPvRmT2_T3_mT4_T5_T6_T7_T8_P12ihipStream_tbENKUlT_T0_E_clISt17integral_constantIbLb1EESY_IbLb0EEEEDaSU_SV_EUlSU_E_NS1_11comp_targetILNS1_3genE9ELNS1_11target_archE1100ELNS1_3gpuE3ELNS1_3repE0EEENS1_30default_config_static_selectorELNS0_4arch9wavefront6targetE1EEEvT1_.kd
    .uniform_work_group_size: 1
    .uses_dynamic_stack: false
    .vgpr_count:     0
    .vgpr_spill_count: 0
    .wavefront_size: 64
  - .agpr_count:     0
    .args:
      - .offset:         0
        .size:           128
        .value_kind:     by_value
    .group_segment_fixed_size: 0
    .kernarg_segment_align: 8
    .kernarg_segment_size: 128
    .language:       OpenCL C
    .language_version:
      - 2
      - 0
    .max_flat_workgroup_size: 192
    .name:           _ZN7rocprim17ROCPRIM_400000_NS6detail17trampoline_kernelINS0_14default_configENS1_33run_length_encode_config_selectorIfjNS0_4plusIjEEEEZZNS1_33reduce_by_key_impl_wrapped_configILNS1_25lookback_scan_determinismE0ES3_S7_PKfNS0_17constant_iteratorIjlEEPfPlSF_S6_NS0_8equal_toIfEEEE10hipError_tPvRmT2_T3_mT4_T5_T6_T7_T8_P12ihipStream_tbENKUlT_T0_E_clISt17integral_constantIbLb1EESY_IbLb0EEEEDaSU_SV_EUlSU_E_NS1_11comp_targetILNS1_3genE8ELNS1_11target_archE1030ELNS1_3gpuE2ELNS1_3repE0EEENS1_30default_config_static_selectorELNS0_4arch9wavefront6targetE1EEEvT1_
    .private_segment_fixed_size: 0
    .sgpr_count:     6
    .sgpr_spill_count: 0
    .symbol:         _ZN7rocprim17ROCPRIM_400000_NS6detail17trampoline_kernelINS0_14default_configENS1_33run_length_encode_config_selectorIfjNS0_4plusIjEEEEZZNS1_33reduce_by_key_impl_wrapped_configILNS1_25lookback_scan_determinismE0ES3_S7_PKfNS0_17constant_iteratorIjlEEPfPlSF_S6_NS0_8equal_toIfEEEE10hipError_tPvRmT2_T3_mT4_T5_T6_T7_T8_P12ihipStream_tbENKUlT_T0_E_clISt17integral_constantIbLb1EESY_IbLb0EEEEDaSU_SV_EUlSU_E_NS1_11comp_targetILNS1_3genE8ELNS1_11target_archE1030ELNS1_3gpuE2ELNS1_3repE0EEENS1_30default_config_static_selectorELNS0_4arch9wavefront6targetE1EEEvT1_.kd
    .uniform_work_group_size: 1
    .uses_dynamic_stack: false
    .vgpr_count:     0
    .vgpr_spill_count: 0
    .wavefront_size: 64
  - .agpr_count:     0
    .args:
      - .offset:         0
        .size:           128
        .value_kind:     by_value
    .group_segment_fixed_size: 0
    .kernarg_segment_align: 8
    .kernarg_segment_size: 128
    .language:       OpenCL C
    .language_version:
      - 2
      - 0
    .max_flat_workgroup_size: 256
    .name:           _ZN7rocprim17ROCPRIM_400000_NS6detail17trampoline_kernelINS0_14default_configENS1_33run_length_encode_config_selectorIfjNS0_4plusIjEEEEZZNS1_33reduce_by_key_impl_wrapped_configILNS1_25lookback_scan_determinismE0ES3_S7_PKfNS0_17constant_iteratorIjlEEPfPlSF_S6_NS0_8equal_toIfEEEE10hipError_tPvRmT2_T3_mT4_T5_T6_T7_T8_P12ihipStream_tbENKUlT_T0_E_clISt17integral_constantIbLb0EESY_IbLb1EEEEDaSU_SV_EUlSU_E_NS1_11comp_targetILNS1_3genE0ELNS1_11target_archE4294967295ELNS1_3gpuE0ELNS1_3repE0EEENS1_30default_config_static_selectorELNS0_4arch9wavefront6targetE1EEEvT1_
    .private_segment_fixed_size: 0
    .sgpr_count:     6
    .sgpr_spill_count: 0
    .symbol:         _ZN7rocprim17ROCPRIM_400000_NS6detail17trampoline_kernelINS0_14default_configENS1_33run_length_encode_config_selectorIfjNS0_4plusIjEEEEZZNS1_33reduce_by_key_impl_wrapped_configILNS1_25lookback_scan_determinismE0ES3_S7_PKfNS0_17constant_iteratorIjlEEPfPlSF_S6_NS0_8equal_toIfEEEE10hipError_tPvRmT2_T3_mT4_T5_T6_T7_T8_P12ihipStream_tbENKUlT_T0_E_clISt17integral_constantIbLb0EESY_IbLb1EEEEDaSU_SV_EUlSU_E_NS1_11comp_targetILNS1_3genE0ELNS1_11target_archE4294967295ELNS1_3gpuE0ELNS1_3repE0EEENS1_30default_config_static_selectorELNS0_4arch9wavefront6targetE1EEEvT1_.kd
    .uniform_work_group_size: 1
    .uses_dynamic_stack: false
    .vgpr_count:     0
    .vgpr_spill_count: 0
    .wavefront_size: 64
  - .agpr_count:     0
    .args:
      - .offset:         0
        .size:           128
        .value_kind:     by_value
    .group_segment_fixed_size: 30720
    .kernarg_segment_align: 8
    .kernarg_segment_size: 128
    .language:       OpenCL C
    .language_version:
      - 2
      - 0
    .max_flat_workgroup_size: 512
    .name:           _ZN7rocprim17ROCPRIM_400000_NS6detail17trampoline_kernelINS0_14default_configENS1_33run_length_encode_config_selectorIfjNS0_4plusIjEEEEZZNS1_33reduce_by_key_impl_wrapped_configILNS1_25lookback_scan_determinismE0ES3_S7_PKfNS0_17constant_iteratorIjlEEPfPlSF_S6_NS0_8equal_toIfEEEE10hipError_tPvRmT2_T3_mT4_T5_T6_T7_T8_P12ihipStream_tbENKUlT_T0_E_clISt17integral_constantIbLb0EESY_IbLb1EEEEDaSU_SV_EUlSU_E_NS1_11comp_targetILNS1_3genE5ELNS1_11target_archE942ELNS1_3gpuE9ELNS1_3repE0EEENS1_30default_config_static_selectorELNS0_4arch9wavefront6targetE1EEEvT1_
    .private_segment_fixed_size: 0
    .sgpr_count:     72
    .sgpr_spill_count: 0
    .symbol:         _ZN7rocprim17ROCPRIM_400000_NS6detail17trampoline_kernelINS0_14default_configENS1_33run_length_encode_config_selectorIfjNS0_4plusIjEEEEZZNS1_33reduce_by_key_impl_wrapped_configILNS1_25lookback_scan_determinismE0ES3_S7_PKfNS0_17constant_iteratorIjlEEPfPlSF_S6_NS0_8equal_toIfEEEE10hipError_tPvRmT2_T3_mT4_T5_T6_T7_T8_P12ihipStream_tbENKUlT_T0_E_clISt17integral_constantIbLb0EESY_IbLb1EEEEDaSU_SV_EUlSU_E_NS1_11comp_targetILNS1_3genE5ELNS1_11target_archE942ELNS1_3gpuE9ELNS1_3repE0EEENS1_30default_config_static_selectorELNS0_4arch9wavefront6targetE1EEEvT1_.kd
    .uniform_work_group_size: 1
    .uses_dynamic_stack: false
    .vgpr_count:     104
    .vgpr_spill_count: 0
    .wavefront_size: 64
  - .agpr_count:     0
    .args:
      - .offset:         0
        .size:           128
        .value_kind:     by_value
    .group_segment_fixed_size: 0
    .kernarg_segment_align: 8
    .kernarg_segment_size: 128
    .language:       OpenCL C
    .language_version:
      - 2
      - 0
    .max_flat_workgroup_size: 256
    .name:           _ZN7rocprim17ROCPRIM_400000_NS6detail17trampoline_kernelINS0_14default_configENS1_33run_length_encode_config_selectorIfjNS0_4plusIjEEEEZZNS1_33reduce_by_key_impl_wrapped_configILNS1_25lookback_scan_determinismE0ES3_S7_PKfNS0_17constant_iteratorIjlEEPfPlSF_S6_NS0_8equal_toIfEEEE10hipError_tPvRmT2_T3_mT4_T5_T6_T7_T8_P12ihipStream_tbENKUlT_T0_E_clISt17integral_constantIbLb0EESY_IbLb1EEEEDaSU_SV_EUlSU_E_NS1_11comp_targetILNS1_3genE4ELNS1_11target_archE910ELNS1_3gpuE8ELNS1_3repE0EEENS1_30default_config_static_selectorELNS0_4arch9wavefront6targetE1EEEvT1_
    .private_segment_fixed_size: 0
    .sgpr_count:     6
    .sgpr_spill_count: 0
    .symbol:         _ZN7rocprim17ROCPRIM_400000_NS6detail17trampoline_kernelINS0_14default_configENS1_33run_length_encode_config_selectorIfjNS0_4plusIjEEEEZZNS1_33reduce_by_key_impl_wrapped_configILNS1_25lookback_scan_determinismE0ES3_S7_PKfNS0_17constant_iteratorIjlEEPfPlSF_S6_NS0_8equal_toIfEEEE10hipError_tPvRmT2_T3_mT4_T5_T6_T7_T8_P12ihipStream_tbENKUlT_T0_E_clISt17integral_constantIbLb0EESY_IbLb1EEEEDaSU_SV_EUlSU_E_NS1_11comp_targetILNS1_3genE4ELNS1_11target_archE910ELNS1_3gpuE8ELNS1_3repE0EEENS1_30default_config_static_selectorELNS0_4arch9wavefront6targetE1EEEvT1_.kd
    .uniform_work_group_size: 1
    .uses_dynamic_stack: false
    .vgpr_count:     0
    .vgpr_spill_count: 0
    .wavefront_size: 64
  - .agpr_count:     0
    .args:
      - .offset:         0
        .size:           128
        .value_kind:     by_value
    .group_segment_fixed_size: 0
    .kernarg_segment_align: 8
    .kernarg_segment_size: 128
    .language:       OpenCL C
    .language_version:
      - 2
      - 0
    .max_flat_workgroup_size: 256
    .name:           _ZN7rocprim17ROCPRIM_400000_NS6detail17trampoline_kernelINS0_14default_configENS1_33run_length_encode_config_selectorIfjNS0_4plusIjEEEEZZNS1_33reduce_by_key_impl_wrapped_configILNS1_25lookback_scan_determinismE0ES3_S7_PKfNS0_17constant_iteratorIjlEEPfPlSF_S6_NS0_8equal_toIfEEEE10hipError_tPvRmT2_T3_mT4_T5_T6_T7_T8_P12ihipStream_tbENKUlT_T0_E_clISt17integral_constantIbLb0EESY_IbLb1EEEEDaSU_SV_EUlSU_E_NS1_11comp_targetILNS1_3genE3ELNS1_11target_archE908ELNS1_3gpuE7ELNS1_3repE0EEENS1_30default_config_static_selectorELNS0_4arch9wavefront6targetE1EEEvT1_
    .private_segment_fixed_size: 0
    .sgpr_count:     6
    .sgpr_spill_count: 0
    .symbol:         _ZN7rocprim17ROCPRIM_400000_NS6detail17trampoline_kernelINS0_14default_configENS1_33run_length_encode_config_selectorIfjNS0_4plusIjEEEEZZNS1_33reduce_by_key_impl_wrapped_configILNS1_25lookback_scan_determinismE0ES3_S7_PKfNS0_17constant_iteratorIjlEEPfPlSF_S6_NS0_8equal_toIfEEEE10hipError_tPvRmT2_T3_mT4_T5_T6_T7_T8_P12ihipStream_tbENKUlT_T0_E_clISt17integral_constantIbLb0EESY_IbLb1EEEEDaSU_SV_EUlSU_E_NS1_11comp_targetILNS1_3genE3ELNS1_11target_archE908ELNS1_3gpuE7ELNS1_3repE0EEENS1_30default_config_static_selectorELNS0_4arch9wavefront6targetE1EEEvT1_.kd
    .uniform_work_group_size: 1
    .uses_dynamic_stack: false
    .vgpr_count:     0
    .vgpr_spill_count: 0
    .wavefront_size: 64
  - .agpr_count:     0
    .args:
      - .offset:         0
        .size:           128
        .value_kind:     by_value
    .group_segment_fixed_size: 0
    .kernarg_segment_align: 8
    .kernarg_segment_size: 128
    .language:       OpenCL C
    .language_version:
      - 2
      - 0
    .max_flat_workgroup_size: 256
    .name:           _ZN7rocprim17ROCPRIM_400000_NS6detail17trampoline_kernelINS0_14default_configENS1_33run_length_encode_config_selectorIfjNS0_4plusIjEEEEZZNS1_33reduce_by_key_impl_wrapped_configILNS1_25lookback_scan_determinismE0ES3_S7_PKfNS0_17constant_iteratorIjlEEPfPlSF_S6_NS0_8equal_toIfEEEE10hipError_tPvRmT2_T3_mT4_T5_T6_T7_T8_P12ihipStream_tbENKUlT_T0_E_clISt17integral_constantIbLb0EESY_IbLb1EEEEDaSU_SV_EUlSU_E_NS1_11comp_targetILNS1_3genE2ELNS1_11target_archE906ELNS1_3gpuE6ELNS1_3repE0EEENS1_30default_config_static_selectorELNS0_4arch9wavefront6targetE1EEEvT1_
    .private_segment_fixed_size: 0
    .sgpr_count:     6
    .sgpr_spill_count: 0
    .symbol:         _ZN7rocprim17ROCPRIM_400000_NS6detail17trampoline_kernelINS0_14default_configENS1_33run_length_encode_config_selectorIfjNS0_4plusIjEEEEZZNS1_33reduce_by_key_impl_wrapped_configILNS1_25lookback_scan_determinismE0ES3_S7_PKfNS0_17constant_iteratorIjlEEPfPlSF_S6_NS0_8equal_toIfEEEE10hipError_tPvRmT2_T3_mT4_T5_T6_T7_T8_P12ihipStream_tbENKUlT_T0_E_clISt17integral_constantIbLb0EESY_IbLb1EEEEDaSU_SV_EUlSU_E_NS1_11comp_targetILNS1_3genE2ELNS1_11target_archE906ELNS1_3gpuE6ELNS1_3repE0EEENS1_30default_config_static_selectorELNS0_4arch9wavefront6targetE1EEEvT1_.kd
    .uniform_work_group_size: 1
    .uses_dynamic_stack: false
    .vgpr_count:     0
    .vgpr_spill_count: 0
    .wavefront_size: 64
  - .agpr_count:     0
    .args:
      - .offset:         0
        .size:           128
        .value_kind:     by_value
    .group_segment_fixed_size: 0
    .kernarg_segment_align: 8
    .kernarg_segment_size: 128
    .language:       OpenCL C
    .language_version:
      - 2
      - 0
    .max_flat_workgroup_size: 384
    .name:           _ZN7rocprim17ROCPRIM_400000_NS6detail17trampoline_kernelINS0_14default_configENS1_33run_length_encode_config_selectorIfjNS0_4plusIjEEEEZZNS1_33reduce_by_key_impl_wrapped_configILNS1_25lookback_scan_determinismE0ES3_S7_PKfNS0_17constant_iteratorIjlEEPfPlSF_S6_NS0_8equal_toIfEEEE10hipError_tPvRmT2_T3_mT4_T5_T6_T7_T8_P12ihipStream_tbENKUlT_T0_E_clISt17integral_constantIbLb0EESY_IbLb1EEEEDaSU_SV_EUlSU_E_NS1_11comp_targetILNS1_3genE10ELNS1_11target_archE1201ELNS1_3gpuE5ELNS1_3repE0EEENS1_30default_config_static_selectorELNS0_4arch9wavefront6targetE1EEEvT1_
    .private_segment_fixed_size: 0
    .sgpr_count:     6
    .sgpr_spill_count: 0
    .symbol:         _ZN7rocprim17ROCPRIM_400000_NS6detail17trampoline_kernelINS0_14default_configENS1_33run_length_encode_config_selectorIfjNS0_4plusIjEEEEZZNS1_33reduce_by_key_impl_wrapped_configILNS1_25lookback_scan_determinismE0ES3_S7_PKfNS0_17constant_iteratorIjlEEPfPlSF_S6_NS0_8equal_toIfEEEE10hipError_tPvRmT2_T3_mT4_T5_T6_T7_T8_P12ihipStream_tbENKUlT_T0_E_clISt17integral_constantIbLb0EESY_IbLb1EEEEDaSU_SV_EUlSU_E_NS1_11comp_targetILNS1_3genE10ELNS1_11target_archE1201ELNS1_3gpuE5ELNS1_3repE0EEENS1_30default_config_static_selectorELNS0_4arch9wavefront6targetE1EEEvT1_.kd
    .uniform_work_group_size: 1
    .uses_dynamic_stack: false
    .vgpr_count:     0
    .vgpr_spill_count: 0
    .wavefront_size: 64
  - .agpr_count:     0
    .args:
      - .offset:         0
        .size:           128
        .value_kind:     by_value
    .group_segment_fixed_size: 0
    .kernarg_segment_align: 8
    .kernarg_segment_size: 128
    .language:       OpenCL C
    .language_version:
      - 2
      - 0
    .max_flat_workgroup_size: 256
    .name:           _ZN7rocprim17ROCPRIM_400000_NS6detail17trampoline_kernelINS0_14default_configENS1_33run_length_encode_config_selectorIfjNS0_4plusIjEEEEZZNS1_33reduce_by_key_impl_wrapped_configILNS1_25lookback_scan_determinismE0ES3_S7_PKfNS0_17constant_iteratorIjlEEPfPlSF_S6_NS0_8equal_toIfEEEE10hipError_tPvRmT2_T3_mT4_T5_T6_T7_T8_P12ihipStream_tbENKUlT_T0_E_clISt17integral_constantIbLb0EESY_IbLb1EEEEDaSU_SV_EUlSU_E_NS1_11comp_targetILNS1_3genE10ELNS1_11target_archE1200ELNS1_3gpuE4ELNS1_3repE0EEENS1_30default_config_static_selectorELNS0_4arch9wavefront6targetE1EEEvT1_
    .private_segment_fixed_size: 0
    .sgpr_count:     6
    .sgpr_spill_count: 0
    .symbol:         _ZN7rocprim17ROCPRIM_400000_NS6detail17trampoline_kernelINS0_14default_configENS1_33run_length_encode_config_selectorIfjNS0_4plusIjEEEEZZNS1_33reduce_by_key_impl_wrapped_configILNS1_25lookback_scan_determinismE0ES3_S7_PKfNS0_17constant_iteratorIjlEEPfPlSF_S6_NS0_8equal_toIfEEEE10hipError_tPvRmT2_T3_mT4_T5_T6_T7_T8_P12ihipStream_tbENKUlT_T0_E_clISt17integral_constantIbLb0EESY_IbLb1EEEEDaSU_SV_EUlSU_E_NS1_11comp_targetILNS1_3genE10ELNS1_11target_archE1200ELNS1_3gpuE4ELNS1_3repE0EEENS1_30default_config_static_selectorELNS0_4arch9wavefront6targetE1EEEvT1_.kd
    .uniform_work_group_size: 1
    .uses_dynamic_stack: false
    .vgpr_count:     0
    .vgpr_spill_count: 0
    .wavefront_size: 64
  - .agpr_count:     0
    .args:
      - .offset:         0
        .size:           128
        .value_kind:     by_value
    .group_segment_fixed_size: 0
    .kernarg_segment_align: 8
    .kernarg_segment_size: 128
    .language:       OpenCL C
    .language_version:
      - 2
      - 0
    .max_flat_workgroup_size: 512
    .name:           _ZN7rocprim17ROCPRIM_400000_NS6detail17trampoline_kernelINS0_14default_configENS1_33run_length_encode_config_selectorIfjNS0_4plusIjEEEEZZNS1_33reduce_by_key_impl_wrapped_configILNS1_25lookback_scan_determinismE0ES3_S7_PKfNS0_17constant_iteratorIjlEEPfPlSF_S6_NS0_8equal_toIfEEEE10hipError_tPvRmT2_T3_mT4_T5_T6_T7_T8_P12ihipStream_tbENKUlT_T0_E_clISt17integral_constantIbLb0EESY_IbLb1EEEEDaSU_SV_EUlSU_E_NS1_11comp_targetILNS1_3genE9ELNS1_11target_archE1100ELNS1_3gpuE3ELNS1_3repE0EEENS1_30default_config_static_selectorELNS0_4arch9wavefront6targetE1EEEvT1_
    .private_segment_fixed_size: 0
    .sgpr_count:     6
    .sgpr_spill_count: 0
    .symbol:         _ZN7rocprim17ROCPRIM_400000_NS6detail17trampoline_kernelINS0_14default_configENS1_33run_length_encode_config_selectorIfjNS0_4plusIjEEEEZZNS1_33reduce_by_key_impl_wrapped_configILNS1_25lookback_scan_determinismE0ES3_S7_PKfNS0_17constant_iteratorIjlEEPfPlSF_S6_NS0_8equal_toIfEEEE10hipError_tPvRmT2_T3_mT4_T5_T6_T7_T8_P12ihipStream_tbENKUlT_T0_E_clISt17integral_constantIbLb0EESY_IbLb1EEEEDaSU_SV_EUlSU_E_NS1_11comp_targetILNS1_3genE9ELNS1_11target_archE1100ELNS1_3gpuE3ELNS1_3repE0EEENS1_30default_config_static_selectorELNS0_4arch9wavefront6targetE1EEEvT1_.kd
    .uniform_work_group_size: 1
    .uses_dynamic_stack: false
    .vgpr_count:     0
    .vgpr_spill_count: 0
    .wavefront_size: 64
  - .agpr_count:     0
    .args:
      - .offset:         0
        .size:           128
        .value_kind:     by_value
    .group_segment_fixed_size: 0
    .kernarg_segment_align: 8
    .kernarg_segment_size: 128
    .language:       OpenCL C
    .language_version:
      - 2
      - 0
    .max_flat_workgroup_size: 192
    .name:           _ZN7rocprim17ROCPRIM_400000_NS6detail17trampoline_kernelINS0_14default_configENS1_33run_length_encode_config_selectorIfjNS0_4plusIjEEEEZZNS1_33reduce_by_key_impl_wrapped_configILNS1_25lookback_scan_determinismE0ES3_S7_PKfNS0_17constant_iteratorIjlEEPfPlSF_S6_NS0_8equal_toIfEEEE10hipError_tPvRmT2_T3_mT4_T5_T6_T7_T8_P12ihipStream_tbENKUlT_T0_E_clISt17integral_constantIbLb0EESY_IbLb1EEEEDaSU_SV_EUlSU_E_NS1_11comp_targetILNS1_3genE8ELNS1_11target_archE1030ELNS1_3gpuE2ELNS1_3repE0EEENS1_30default_config_static_selectorELNS0_4arch9wavefront6targetE1EEEvT1_
    .private_segment_fixed_size: 0
    .sgpr_count:     6
    .sgpr_spill_count: 0
    .symbol:         _ZN7rocprim17ROCPRIM_400000_NS6detail17trampoline_kernelINS0_14default_configENS1_33run_length_encode_config_selectorIfjNS0_4plusIjEEEEZZNS1_33reduce_by_key_impl_wrapped_configILNS1_25lookback_scan_determinismE0ES3_S7_PKfNS0_17constant_iteratorIjlEEPfPlSF_S6_NS0_8equal_toIfEEEE10hipError_tPvRmT2_T3_mT4_T5_T6_T7_T8_P12ihipStream_tbENKUlT_T0_E_clISt17integral_constantIbLb0EESY_IbLb1EEEEDaSU_SV_EUlSU_E_NS1_11comp_targetILNS1_3genE8ELNS1_11target_archE1030ELNS1_3gpuE2ELNS1_3repE0EEENS1_30default_config_static_selectorELNS0_4arch9wavefront6targetE1EEEvT1_.kd
    .uniform_work_group_size: 1
    .uses_dynamic_stack: false
    .vgpr_count:     0
    .vgpr_spill_count: 0
    .wavefront_size: 64
  - .agpr_count:     0
    .args:
      - .offset:         0
        .size:           8
        .value_kind:     by_value
      - .address_space:  global
        .offset:         8
        .size:           8
        .value_kind:     global_buffer
      - .address_space:  global
        .offset:         16
        .size:           8
        .value_kind:     global_buffer
      - .offset:         24
        .size:           4
        .value_kind:     hidden_block_count_x
      - .offset:         28
        .size:           4
        .value_kind:     hidden_block_count_y
      - .offset:         32
        .size:           4
        .value_kind:     hidden_block_count_z
      - .offset:         36
        .size:           2
        .value_kind:     hidden_group_size_x
      - .offset:         38
        .size:           2
        .value_kind:     hidden_group_size_y
      - .offset:         40
        .size:           2
        .value_kind:     hidden_group_size_z
      - .offset:         42
        .size:           2
        .value_kind:     hidden_remainder_x
      - .offset:         44
        .size:           2
        .value_kind:     hidden_remainder_y
      - .offset:         46
        .size:           2
        .value_kind:     hidden_remainder_z
      - .offset:         64
        .size:           8
        .value_kind:     hidden_global_offset_x
      - .offset:         72
        .size:           8
        .value_kind:     hidden_global_offset_y
      - .offset:         80
        .size:           8
        .value_kind:     hidden_global_offset_z
      - .offset:         88
        .size:           2
        .value_kind:     hidden_grid_dims
    .group_segment_fixed_size: 0
    .kernarg_segment_align: 8
    .kernarg_segment_size: 280
    .language:       OpenCL C
    .language_version:
      - 2
      - 0
    .max_flat_workgroup_size: 1024
    .name:           _ZN2at6native8internal12_GLOBAL__N_126adjacent_difference_kernelIPKiEEvlT_Pi
    .private_segment_fixed_size: 0
    .sgpr_count:     22
    .sgpr_spill_count: 0
    .symbol:         _ZN2at6native8internal12_GLOBAL__N_126adjacent_difference_kernelIPKiEEvlT_Pi.kd
    .uniform_work_group_size: 1
    .uses_dynamic_stack: false
    .vgpr_count:     11
    .vgpr_spill_count: 0
    .wavefront_size: 64
  - .agpr_count:     0
    .args:
      - .offset:         0
        .size:           112
        .value_kind:     by_value
    .group_segment_fixed_size: 0
    .kernarg_segment_align: 8
    .kernarg_segment_size: 112
    .language:       OpenCL C
    .language_version:
      - 2
      - 0
    .max_flat_workgroup_size: 512
    .name:           _ZN7rocprim17ROCPRIM_400000_NS6detail17trampoline_kernelINS0_14default_configENS1_25partition_config_selectorILNS1_17partition_subalgoE8EiNS0_10empty_typeEbEEZZNS1_14partition_implILS5_8ELb0ES3_jPKiPS6_PKS6_NS0_5tupleIJPiS6_EEENSE_IJSB_SB_EEENS0_18inequality_wrapperIN6hipcub16HIPCUB_304000_NS8EqualityEEEPlJS6_EEE10hipError_tPvRmT3_T4_T5_T6_T7_T9_mT8_P12ihipStream_tbDpT10_ENKUlT_T0_E_clISt17integral_constantIbLb0EES17_EEDaS12_S13_EUlS12_E_NS1_11comp_targetILNS1_3genE0ELNS1_11target_archE4294967295ELNS1_3gpuE0ELNS1_3repE0EEENS1_30default_config_static_selectorELNS0_4arch9wavefront6targetE1EEEvT1_
    .private_segment_fixed_size: 0
    .sgpr_count:     6
    .sgpr_spill_count: 0
    .symbol:         _ZN7rocprim17ROCPRIM_400000_NS6detail17trampoline_kernelINS0_14default_configENS1_25partition_config_selectorILNS1_17partition_subalgoE8EiNS0_10empty_typeEbEEZZNS1_14partition_implILS5_8ELb0ES3_jPKiPS6_PKS6_NS0_5tupleIJPiS6_EEENSE_IJSB_SB_EEENS0_18inequality_wrapperIN6hipcub16HIPCUB_304000_NS8EqualityEEEPlJS6_EEE10hipError_tPvRmT3_T4_T5_T6_T7_T9_mT8_P12ihipStream_tbDpT10_ENKUlT_T0_E_clISt17integral_constantIbLb0EES17_EEDaS12_S13_EUlS12_E_NS1_11comp_targetILNS1_3genE0ELNS1_11target_archE4294967295ELNS1_3gpuE0ELNS1_3repE0EEENS1_30default_config_static_selectorELNS0_4arch9wavefront6targetE1EEEvT1_.kd
    .uniform_work_group_size: 1
    .uses_dynamic_stack: false
    .vgpr_count:     0
    .vgpr_spill_count: 0
    .wavefront_size: 64
  - .agpr_count:     0
    .args:
      - .offset:         0
        .size:           112
        .value_kind:     by_value
    .group_segment_fixed_size: 30728
    .kernarg_segment_align: 8
    .kernarg_segment_size: 112
    .language:       OpenCL C
    .language_version:
      - 2
      - 0
    .max_flat_workgroup_size: 512
    .name:           _ZN7rocprim17ROCPRIM_400000_NS6detail17trampoline_kernelINS0_14default_configENS1_25partition_config_selectorILNS1_17partition_subalgoE8EiNS0_10empty_typeEbEEZZNS1_14partition_implILS5_8ELb0ES3_jPKiPS6_PKS6_NS0_5tupleIJPiS6_EEENSE_IJSB_SB_EEENS0_18inequality_wrapperIN6hipcub16HIPCUB_304000_NS8EqualityEEEPlJS6_EEE10hipError_tPvRmT3_T4_T5_T6_T7_T9_mT8_P12ihipStream_tbDpT10_ENKUlT_T0_E_clISt17integral_constantIbLb0EES17_EEDaS12_S13_EUlS12_E_NS1_11comp_targetILNS1_3genE5ELNS1_11target_archE942ELNS1_3gpuE9ELNS1_3repE0EEENS1_30default_config_static_selectorELNS0_4arch9wavefront6targetE1EEEvT1_
    .private_segment_fixed_size: 0
    .sgpr_count:     54
    .sgpr_spill_count: 0
    .symbol:         _ZN7rocprim17ROCPRIM_400000_NS6detail17trampoline_kernelINS0_14default_configENS1_25partition_config_selectorILNS1_17partition_subalgoE8EiNS0_10empty_typeEbEEZZNS1_14partition_implILS5_8ELb0ES3_jPKiPS6_PKS6_NS0_5tupleIJPiS6_EEENSE_IJSB_SB_EEENS0_18inequality_wrapperIN6hipcub16HIPCUB_304000_NS8EqualityEEEPlJS6_EEE10hipError_tPvRmT3_T4_T5_T6_T7_T9_mT8_P12ihipStream_tbDpT10_ENKUlT_T0_E_clISt17integral_constantIbLb0EES17_EEDaS12_S13_EUlS12_E_NS1_11comp_targetILNS1_3genE5ELNS1_11target_archE942ELNS1_3gpuE9ELNS1_3repE0EEENS1_30default_config_static_selectorELNS0_4arch9wavefront6targetE1EEEvT1_.kd
    .uniform_work_group_size: 1
    .uses_dynamic_stack: false
    .vgpr_count:     74
    .vgpr_spill_count: 0
    .wavefront_size: 64
  - .agpr_count:     0
    .args:
      - .offset:         0
        .size:           112
        .value_kind:     by_value
    .group_segment_fixed_size: 0
    .kernarg_segment_align: 8
    .kernarg_segment_size: 112
    .language:       OpenCL C
    .language_version:
      - 2
      - 0
    .max_flat_workgroup_size: 256
    .name:           _ZN7rocprim17ROCPRIM_400000_NS6detail17trampoline_kernelINS0_14default_configENS1_25partition_config_selectorILNS1_17partition_subalgoE8EiNS0_10empty_typeEbEEZZNS1_14partition_implILS5_8ELb0ES3_jPKiPS6_PKS6_NS0_5tupleIJPiS6_EEENSE_IJSB_SB_EEENS0_18inequality_wrapperIN6hipcub16HIPCUB_304000_NS8EqualityEEEPlJS6_EEE10hipError_tPvRmT3_T4_T5_T6_T7_T9_mT8_P12ihipStream_tbDpT10_ENKUlT_T0_E_clISt17integral_constantIbLb0EES17_EEDaS12_S13_EUlS12_E_NS1_11comp_targetILNS1_3genE4ELNS1_11target_archE910ELNS1_3gpuE8ELNS1_3repE0EEENS1_30default_config_static_selectorELNS0_4arch9wavefront6targetE1EEEvT1_
    .private_segment_fixed_size: 0
    .sgpr_count:     6
    .sgpr_spill_count: 0
    .symbol:         _ZN7rocprim17ROCPRIM_400000_NS6detail17trampoline_kernelINS0_14default_configENS1_25partition_config_selectorILNS1_17partition_subalgoE8EiNS0_10empty_typeEbEEZZNS1_14partition_implILS5_8ELb0ES3_jPKiPS6_PKS6_NS0_5tupleIJPiS6_EEENSE_IJSB_SB_EEENS0_18inequality_wrapperIN6hipcub16HIPCUB_304000_NS8EqualityEEEPlJS6_EEE10hipError_tPvRmT3_T4_T5_T6_T7_T9_mT8_P12ihipStream_tbDpT10_ENKUlT_T0_E_clISt17integral_constantIbLb0EES17_EEDaS12_S13_EUlS12_E_NS1_11comp_targetILNS1_3genE4ELNS1_11target_archE910ELNS1_3gpuE8ELNS1_3repE0EEENS1_30default_config_static_selectorELNS0_4arch9wavefront6targetE1EEEvT1_.kd
    .uniform_work_group_size: 1
    .uses_dynamic_stack: false
    .vgpr_count:     0
    .vgpr_spill_count: 0
    .wavefront_size: 64
  - .agpr_count:     0
    .args:
      - .offset:         0
        .size:           112
        .value_kind:     by_value
    .group_segment_fixed_size: 0
    .kernarg_segment_align: 8
    .kernarg_segment_size: 112
    .language:       OpenCL C
    .language_version:
      - 2
      - 0
    .max_flat_workgroup_size: 512
    .name:           _ZN7rocprim17ROCPRIM_400000_NS6detail17trampoline_kernelINS0_14default_configENS1_25partition_config_selectorILNS1_17partition_subalgoE8EiNS0_10empty_typeEbEEZZNS1_14partition_implILS5_8ELb0ES3_jPKiPS6_PKS6_NS0_5tupleIJPiS6_EEENSE_IJSB_SB_EEENS0_18inequality_wrapperIN6hipcub16HIPCUB_304000_NS8EqualityEEEPlJS6_EEE10hipError_tPvRmT3_T4_T5_T6_T7_T9_mT8_P12ihipStream_tbDpT10_ENKUlT_T0_E_clISt17integral_constantIbLb0EES17_EEDaS12_S13_EUlS12_E_NS1_11comp_targetILNS1_3genE3ELNS1_11target_archE908ELNS1_3gpuE7ELNS1_3repE0EEENS1_30default_config_static_selectorELNS0_4arch9wavefront6targetE1EEEvT1_
    .private_segment_fixed_size: 0
    .sgpr_count:     6
    .sgpr_spill_count: 0
    .symbol:         _ZN7rocprim17ROCPRIM_400000_NS6detail17trampoline_kernelINS0_14default_configENS1_25partition_config_selectorILNS1_17partition_subalgoE8EiNS0_10empty_typeEbEEZZNS1_14partition_implILS5_8ELb0ES3_jPKiPS6_PKS6_NS0_5tupleIJPiS6_EEENSE_IJSB_SB_EEENS0_18inequality_wrapperIN6hipcub16HIPCUB_304000_NS8EqualityEEEPlJS6_EEE10hipError_tPvRmT3_T4_T5_T6_T7_T9_mT8_P12ihipStream_tbDpT10_ENKUlT_T0_E_clISt17integral_constantIbLb0EES17_EEDaS12_S13_EUlS12_E_NS1_11comp_targetILNS1_3genE3ELNS1_11target_archE908ELNS1_3gpuE7ELNS1_3repE0EEENS1_30default_config_static_selectorELNS0_4arch9wavefront6targetE1EEEvT1_.kd
    .uniform_work_group_size: 1
    .uses_dynamic_stack: false
    .vgpr_count:     0
    .vgpr_spill_count: 0
    .wavefront_size: 64
  - .agpr_count:     0
    .args:
      - .offset:         0
        .size:           112
        .value_kind:     by_value
    .group_segment_fixed_size: 0
    .kernarg_segment_align: 8
    .kernarg_segment_size: 112
    .language:       OpenCL C
    .language_version:
      - 2
      - 0
    .max_flat_workgroup_size: 256
    .name:           _ZN7rocprim17ROCPRIM_400000_NS6detail17trampoline_kernelINS0_14default_configENS1_25partition_config_selectorILNS1_17partition_subalgoE8EiNS0_10empty_typeEbEEZZNS1_14partition_implILS5_8ELb0ES3_jPKiPS6_PKS6_NS0_5tupleIJPiS6_EEENSE_IJSB_SB_EEENS0_18inequality_wrapperIN6hipcub16HIPCUB_304000_NS8EqualityEEEPlJS6_EEE10hipError_tPvRmT3_T4_T5_T6_T7_T9_mT8_P12ihipStream_tbDpT10_ENKUlT_T0_E_clISt17integral_constantIbLb0EES17_EEDaS12_S13_EUlS12_E_NS1_11comp_targetILNS1_3genE2ELNS1_11target_archE906ELNS1_3gpuE6ELNS1_3repE0EEENS1_30default_config_static_selectorELNS0_4arch9wavefront6targetE1EEEvT1_
    .private_segment_fixed_size: 0
    .sgpr_count:     6
    .sgpr_spill_count: 0
    .symbol:         _ZN7rocprim17ROCPRIM_400000_NS6detail17trampoline_kernelINS0_14default_configENS1_25partition_config_selectorILNS1_17partition_subalgoE8EiNS0_10empty_typeEbEEZZNS1_14partition_implILS5_8ELb0ES3_jPKiPS6_PKS6_NS0_5tupleIJPiS6_EEENSE_IJSB_SB_EEENS0_18inequality_wrapperIN6hipcub16HIPCUB_304000_NS8EqualityEEEPlJS6_EEE10hipError_tPvRmT3_T4_T5_T6_T7_T9_mT8_P12ihipStream_tbDpT10_ENKUlT_T0_E_clISt17integral_constantIbLb0EES17_EEDaS12_S13_EUlS12_E_NS1_11comp_targetILNS1_3genE2ELNS1_11target_archE906ELNS1_3gpuE6ELNS1_3repE0EEENS1_30default_config_static_selectorELNS0_4arch9wavefront6targetE1EEEvT1_.kd
    .uniform_work_group_size: 1
    .uses_dynamic_stack: false
    .vgpr_count:     0
    .vgpr_spill_count: 0
    .wavefront_size: 64
  - .agpr_count:     0
    .args:
      - .offset:         0
        .size:           112
        .value_kind:     by_value
    .group_segment_fixed_size: 0
    .kernarg_segment_align: 8
    .kernarg_segment_size: 112
    .language:       OpenCL C
    .language_version:
      - 2
      - 0
    .max_flat_workgroup_size: 384
    .name:           _ZN7rocprim17ROCPRIM_400000_NS6detail17trampoline_kernelINS0_14default_configENS1_25partition_config_selectorILNS1_17partition_subalgoE8EiNS0_10empty_typeEbEEZZNS1_14partition_implILS5_8ELb0ES3_jPKiPS6_PKS6_NS0_5tupleIJPiS6_EEENSE_IJSB_SB_EEENS0_18inequality_wrapperIN6hipcub16HIPCUB_304000_NS8EqualityEEEPlJS6_EEE10hipError_tPvRmT3_T4_T5_T6_T7_T9_mT8_P12ihipStream_tbDpT10_ENKUlT_T0_E_clISt17integral_constantIbLb0EES17_EEDaS12_S13_EUlS12_E_NS1_11comp_targetILNS1_3genE10ELNS1_11target_archE1200ELNS1_3gpuE4ELNS1_3repE0EEENS1_30default_config_static_selectorELNS0_4arch9wavefront6targetE1EEEvT1_
    .private_segment_fixed_size: 0
    .sgpr_count:     6
    .sgpr_spill_count: 0
    .symbol:         _ZN7rocprim17ROCPRIM_400000_NS6detail17trampoline_kernelINS0_14default_configENS1_25partition_config_selectorILNS1_17partition_subalgoE8EiNS0_10empty_typeEbEEZZNS1_14partition_implILS5_8ELb0ES3_jPKiPS6_PKS6_NS0_5tupleIJPiS6_EEENSE_IJSB_SB_EEENS0_18inequality_wrapperIN6hipcub16HIPCUB_304000_NS8EqualityEEEPlJS6_EEE10hipError_tPvRmT3_T4_T5_T6_T7_T9_mT8_P12ihipStream_tbDpT10_ENKUlT_T0_E_clISt17integral_constantIbLb0EES17_EEDaS12_S13_EUlS12_E_NS1_11comp_targetILNS1_3genE10ELNS1_11target_archE1200ELNS1_3gpuE4ELNS1_3repE0EEENS1_30default_config_static_selectorELNS0_4arch9wavefront6targetE1EEEvT1_.kd
    .uniform_work_group_size: 1
    .uses_dynamic_stack: false
    .vgpr_count:     0
    .vgpr_spill_count: 0
    .wavefront_size: 64
  - .agpr_count:     0
    .args:
      - .offset:         0
        .size:           112
        .value_kind:     by_value
    .group_segment_fixed_size: 0
    .kernarg_segment_align: 8
    .kernarg_segment_size: 112
    .language:       OpenCL C
    .language_version:
      - 2
      - 0
    .max_flat_workgroup_size: 384
    .name:           _ZN7rocprim17ROCPRIM_400000_NS6detail17trampoline_kernelINS0_14default_configENS1_25partition_config_selectorILNS1_17partition_subalgoE8EiNS0_10empty_typeEbEEZZNS1_14partition_implILS5_8ELb0ES3_jPKiPS6_PKS6_NS0_5tupleIJPiS6_EEENSE_IJSB_SB_EEENS0_18inequality_wrapperIN6hipcub16HIPCUB_304000_NS8EqualityEEEPlJS6_EEE10hipError_tPvRmT3_T4_T5_T6_T7_T9_mT8_P12ihipStream_tbDpT10_ENKUlT_T0_E_clISt17integral_constantIbLb0EES17_EEDaS12_S13_EUlS12_E_NS1_11comp_targetILNS1_3genE9ELNS1_11target_archE1100ELNS1_3gpuE3ELNS1_3repE0EEENS1_30default_config_static_selectorELNS0_4arch9wavefront6targetE1EEEvT1_
    .private_segment_fixed_size: 0
    .sgpr_count:     6
    .sgpr_spill_count: 0
    .symbol:         _ZN7rocprim17ROCPRIM_400000_NS6detail17trampoline_kernelINS0_14default_configENS1_25partition_config_selectorILNS1_17partition_subalgoE8EiNS0_10empty_typeEbEEZZNS1_14partition_implILS5_8ELb0ES3_jPKiPS6_PKS6_NS0_5tupleIJPiS6_EEENSE_IJSB_SB_EEENS0_18inequality_wrapperIN6hipcub16HIPCUB_304000_NS8EqualityEEEPlJS6_EEE10hipError_tPvRmT3_T4_T5_T6_T7_T9_mT8_P12ihipStream_tbDpT10_ENKUlT_T0_E_clISt17integral_constantIbLb0EES17_EEDaS12_S13_EUlS12_E_NS1_11comp_targetILNS1_3genE9ELNS1_11target_archE1100ELNS1_3gpuE3ELNS1_3repE0EEENS1_30default_config_static_selectorELNS0_4arch9wavefront6targetE1EEEvT1_.kd
    .uniform_work_group_size: 1
    .uses_dynamic_stack: false
    .vgpr_count:     0
    .vgpr_spill_count: 0
    .wavefront_size: 64
  - .agpr_count:     0
    .args:
      - .offset:         0
        .size:           112
        .value_kind:     by_value
    .group_segment_fixed_size: 0
    .kernarg_segment_align: 8
    .kernarg_segment_size: 112
    .language:       OpenCL C
    .language_version:
      - 2
      - 0
    .max_flat_workgroup_size: 512
    .name:           _ZN7rocprim17ROCPRIM_400000_NS6detail17trampoline_kernelINS0_14default_configENS1_25partition_config_selectorILNS1_17partition_subalgoE8EiNS0_10empty_typeEbEEZZNS1_14partition_implILS5_8ELb0ES3_jPKiPS6_PKS6_NS0_5tupleIJPiS6_EEENSE_IJSB_SB_EEENS0_18inequality_wrapperIN6hipcub16HIPCUB_304000_NS8EqualityEEEPlJS6_EEE10hipError_tPvRmT3_T4_T5_T6_T7_T9_mT8_P12ihipStream_tbDpT10_ENKUlT_T0_E_clISt17integral_constantIbLb0EES17_EEDaS12_S13_EUlS12_E_NS1_11comp_targetILNS1_3genE8ELNS1_11target_archE1030ELNS1_3gpuE2ELNS1_3repE0EEENS1_30default_config_static_selectorELNS0_4arch9wavefront6targetE1EEEvT1_
    .private_segment_fixed_size: 0
    .sgpr_count:     6
    .sgpr_spill_count: 0
    .symbol:         _ZN7rocprim17ROCPRIM_400000_NS6detail17trampoline_kernelINS0_14default_configENS1_25partition_config_selectorILNS1_17partition_subalgoE8EiNS0_10empty_typeEbEEZZNS1_14partition_implILS5_8ELb0ES3_jPKiPS6_PKS6_NS0_5tupleIJPiS6_EEENSE_IJSB_SB_EEENS0_18inequality_wrapperIN6hipcub16HIPCUB_304000_NS8EqualityEEEPlJS6_EEE10hipError_tPvRmT3_T4_T5_T6_T7_T9_mT8_P12ihipStream_tbDpT10_ENKUlT_T0_E_clISt17integral_constantIbLb0EES17_EEDaS12_S13_EUlS12_E_NS1_11comp_targetILNS1_3genE8ELNS1_11target_archE1030ELNS1_3gpuE2ELNS1_3repE0EEENS1_30default_config_static_selectorELNS0_4arch9wavefront6targetE1EEEvT1_.kd
    .uniform_work_group_size: 1
    .uses_dynamic_stack: false
    .vgpr_count:     0
    .vgpr_spill_count: 0
    .wavefront_size: 64
  - .agpr_count:     0
    .args:
      - .offset:         0
        .size:           128
        .value_kind:     by_value
    .group_segment_fixed_size: 0
    .kernarg_segment_align: 8
    .kernarg_segment_size: 128
    .language:       OpenCL C
    .language_version:
      - 2
      - 0
    .max_flat_workgroup_size: 512
    .name:           _ZN7rocprim17ROCPRIM_400000_NS6detail17trampoline_kernelINS0_14default_configENS1_25partition_config_selectorILNS1_17partition_subalgoE8EiNS0_10empty_typeEbEEZZNS1_14partition_implILS5_8ELb0ES3_jPKiPS6_PKS6_NS0_5tupleIJPiS6_EEENSE_IJSB_SB_EEENS0_18inequality_wrapperIN6hipcub16HIPCUB_304000_NS8EqualityEEEPlJS6_EEE10hipError_tPvRmT3_T4_T5_T6_T7_T9_mT8_P12ihipStream_tbDpT10_ENKUlT_T0_E_clISt17integral_constantIbLb1EES17_EEDaS12_S13_EUlS12_E_NS1_11comp_targetILNS1_3genE0ELNS1_11target_archE4294967295ELNS1_3gpuE0ELNS1_3repE0EEENS1_30default_config_static_selectorELNS0_4arch9wavefront6targetE1EEEvT1_
    .private_segment_fixed_size: 0
    .sgpr_count:     6
    .sgpr_spill_count: 0
    .symbol:         _ZN7rocprim17ROCPRIM_400000_NS6detail17trampoline_kernelINS0_14default_configENS1_25partition_config_selectorILNS1_17partition_subalgoE8EiNS0_10empty_typeEbEEZZNS1_14partition_implILS5_8ELb0ES3_jPKiPS6_PKS6_NS0_5tupleIJPiS6_EEENSE_IJSB_SB_EEENS0_18inequality_wrapperIN6hipcub16HIPCUB_304000_NS8EqualityEEEPlJS6_EEE10hipError_tPvRmT3_T4_T5_T6_T7_T9_mT8_P12ihipStream_tbDpT10_ENKUlT_T0_E_clISt17integral_constantIbLb1EES17_EEDaS12_S13_EUlS12_E_NS1_11comp_targetILNS1_3genE0ELNS1_11target_archE4294967295ELNS1_3gpuE0ELNS1_3repE0EEENS1_30default_config_static_selectorELNS0_4arch9wavefront6targetE1EEEvT1_.kd
    .uniform_work_group_size: 1
    .uses_dynamic_stack: false
    .vgpr_count:     0
    .vgpr_spill_count: 0
    .wavefront_size: 64
  - .agpr_count:     0
    .args:
      - .offset:         0
        .size:           128
        .value_kind:     by_value
    .group_segment_fixed_size: 30728
    .kernarg_segment_align: 8
    .kernarg_segment_size: 128
    .language:       OpenCL C
    .language_version:
      - 2
      - 0
    .max_flat_workgroup_size: 512
    .name:           _ZN7rocprim17ROCPRIM_400000_NS6detail17trampoline_kernelINS0_14default_configENS1_25partition_config_selectorILNS1_17partition_subalgoE8EiNS0_10empty_typeEbEEZZNS1_14partition_implILS5_8ELb0ES3_jPKiPS6_PKS6_NS0_5tupleIJPiS6_EEENSE_IJSB_SB_EEENS0_18inequality_wrapperIN6hipcub16HIPCUB_304000_NS8EqualityEEEPlJS6_EEE10hipError_tPvRmT3_T4_T5_T6_T7_T9_mT8_P12ihipStream_tbDpT10_ENKUlT_T0_E_clISt17integral_constantIbLb1EES17_EEDaS12_S13_EUlS12_E_NS1_11comp_targetILNS1_3genE5ELNS1_11target_archE942ELNS1_3gpuE9ELNS1_3repE0EEENS1_30default_config_static_selectorELNS0_4arch9wavefront6targetE1EEEvT1_
    .private_segment_fixed_size: 0
    .sgpr_count:     57
    .sgpr_spill_count: 0
    .symbol:         _ZN7rocprim17ROCPRIM_400000_NS6detail17trampoline_kernelINS0_14default_configENS1_25partition_config_selectorILNS1_17partition_subalgoE8EiNS0_10empty_typeEbEEZZNS1_14partition_implILS5_8ELb0ES3_jPKiPS6_PKS6_NS0_5tupleIJPiS6_EEENSE_IJSB_SB_EEENS0_18inequality_wrapperIN6hipcub16HIPCUB_304000_NS8EqualityEEEPlJS6_EEE10hipError_tPvRmT3_T4_T5_T6_T7_T9_mT8_P12ihipStream_tbDpT10_ENKUlT_T0_E_clISt17integral_constantIbLb1EES17_EEDaS12_S13_EUlS12_E_NS1_11comp_targetILNS1_3genE5ELNS1_11target_archE942ELNS1_3gpuE9ELNS1_3repE0EEENS1_30default_config_static_selectorELNS0_4arch9wavefront6targetE1EEEvT1_.kd
    .uniform_work_group_size: 1
    .uses_dynamic_stack: false
    .vgpr_count:     76
    .vgpr_spill_count: 0
    .wavefront_size: 64
  - .agpr_count:     0
    .args:
      - .offset:         0
        .size:           128
        .value_kind:     by_value
    .group_segment_fixed_size: 0
    .kernarg_segment_align: 8
    .kernarg_segment_size: 128
    .language:       OpenCL C
    .language_version:
      - 2
      - 0
    .max_flat_workgroup_size: 256
    .name:           _ZN7rocprim17ROCPRIM_400000_NS6detail17trampoline_kernelINS0_14default_configENS1_25partition_config_selectorILNS1_17partition_subalgoE8EiNS0_10empty_typeEbEEZZNS1_14partition_implILS5_8ELb0ES3_jPKiPS6_PKS6_NS0_5tupleIJPiS6_EEENSE_IJSB_SB_EEENS0_18inequality_wrapperIN6hipcub16HIPCUB_304000_NS8EqualityEEEPlJS6_EEE10hipError_tPvRmT3_T4_T5_T6_T7_T9_mT8_P12ihipStream_tbDpT10_ENKUlT_T0_E_clISt17integral_constantIbLb1EES17_EEDaS12_S13_EUlS12_E_NS1_11comp_targetILNS1_3genE4ELNS1_11target_archE910ELNS1_3gpuE8ELNS1_3repE0EEENS1_30default_config_static_selectorELNS0_4arch9wavefront6targetE1EEEvT1_
    .private_segment_fixed_size: 0
    .sgpr_count:     6
    .sgpr_spill_count: 0
    .symbol:         _ZN7rocprim17ROCPRIM_400000_NS6detail17trampoline_kernelINS0_14default_configENS1_25partition_config_selectorILNS1_17partition_subalgoE8EiNS0_10empty_typeEbEEZZNS1_14partition_implILS5_8ELb0ES3_jPKiPS6_PKS6_NS0_5tupleIJPiS6_EEENSE_IJSB_SB_EEENS0_18inequality_wrapperIN6hipcub16HIPCUB_304000_NS8EqualityEEEPlJS6_EEE10hipError_tPvRmT3_T4_T5_T6_T7_T9_mT8_P12ihipStream_tbDpT10_ENKUlT_T0_E_clISt17integral_constantIbLb1EES17_EEDaS12_S13_EUlS12_E_NS1_11comp_targetILNS1_3genE4ELNS1_11target_archE910ELNS1_3gpuE8ELNS1_3repE0EEENS1_30default_config_static_selectorELNS0_4arch9wavefront6targetE1EEEvT1_.kd
    .uniform_work_group_size: 1
    .uses_dynamic_stack: false
    .vgpr_count:     0
    .vgpr_spill_count: 0
    .wavefront_size: 64
  - .agpr_count:     0
    .args:
      - .offset:         0
        .size:           128
        .value_kind:     by_value
    .group_segment_fixed_size: 0
    .kernarg_segment_align: 8
    .kernarg_segment_size: 128
    .language:       OpenCL C
    .language_version:
      - 2
      - 0
    .max_flat_workgroup_size: 512
    .name:           _ZN7rocprim17ROCPRIM_400000_NS6detail17trampoline_kernelINS0_14default_configENS1_25partition_config_selectorILNS1_17partition_subalgoE8EiNS0_10empty_typeEbEEZZNS1_14partition_implILS5_8ELb0ES3_jPKiPS6_PKS6_NS0_5tupleIJPiS6_EEENSE_IJSB_SB_EEENS0_18inequality_wrapperIN6hipcub16HIPCUB_304000_NS8EqualityEEEPlJS6_EEE10hipError_tPvRmT3_T4_T5_T6_T7_T9_mT8_P12ihipStream_tbDpT10_ENKUlT_T0_E_clISt17integral_constantIbLb1EES17_EEDaS12_S13_EUlS12_E_NS1_11comp_targetILNS1_3genE3ELNS1_11target_archE908ELNS1_3gpuE7ELNS1_3repE0EEENS1_30default_config_static_selectorELNS0_4arch9wavefront6targetE1EEEvT1_
    .private_segment_fixed_size: 0
    .sgpr_count:     6
    .sgpr_spill_count: 0
    .symbol:         _ZN7rocprim17ROCPRIM_400000_NS6detail17trampoline_kernelINS0_14default_configENS1_25partition_config_selectorILNS1_17partition_subalgoE8EiNS0_10empty_typeEbEEZZNS1_14partition_implILS5_8ELb0ES3_jPKiPS6_PKS6_NS0_5tupleIJPiS6_EEENSE_IJSB_SB_EEENS0_18inequality_wrapperIN6hipcub16HIPCUB_304000_NS8EqualityEEEPlJS6_EEE10hipError_tPvRmT3_T4_T5_T6_T7_T9_mT8_P12ihipStream_tbDpT10_ENKUlT_T0_E_clISt17integral_constantIbLb1EES17_EEDaS12_S13_EUlS12_E_NS1_11comp_targetILNS1_3genE3ELNS1_11target_archE908ELNS1_3gpuE7ELNS1_3repE0EEENS1_30default_config_static_selectorELNS0_4arch9wavefront6targetE1EEEvT1_.kd
    .uniform_work_group_size: 1
    .uses_dynamic_stack: false
    .vgpr_count:     0
    .vgpr_spill_count: 0
    .wavefront_size: 64
  - .agpr_count:     0
    .args:
      - .offset:         0
        .size:           128
        .value_kind:     by_value
    .group_segment_fixed_size: 0
    .kernarg_segment_align: 8
    .kernarg_segment_size: 128
    .language:       OpenCL C
    .language_version:
      - 2
      - 0
    .max_flat_workgroup_size: 256
    .name:           _ZN7rocprim17ROCPRIM_400000_NS6detail17trampoline_kernelINS0_14default_configENS1_25partition_config_selectorILNS1_17partition_subalgoE8EiNS0_10empty_typeEbEEZZNS1_14partition_implILS5_8ELb0ES3_jPKiPS6_PKS6_NS0_5tupleIJPiS6_EEENSE_IJSB_SB_EEENS0_18inequality_wrapperIN6hipcub16HIPCUB_304000_NS8EqualityEEEPlJS6_EEE10hipError_tPvRmT3_T4_T5_T6_T7_T9_mT8_P12ihipStream_tbDpT10_ENKUlT_T0_E_clISt17integral_constantIbLb1EES17_EEDaS12_S13_EUlS12_E_NS1_11comp_targetILNS1_3genE2ELNS1_11target_archE906ELNS1_3gpuE6ELNS1_3repE0EEENS1_30default_config_static_selectorELNS0_4arch9wavefront6targetE1EEEvT1_
    .private_segment_fixed_size: 0
    .sgpr_count:     6
    .sgpr_spill_count: 0
    .symbol:         _ZN7rocprim17ROCPRIM_400000_NS6detail17trampoline_kernelINS0_14default_configENS1_25partition_config_selectorILNS1_17partition_subalgoE8EiNS0_10empty_typeEbEEZZNS1_14partition_implILS5_8ELb0ES3_jPKiPS6_PKS6_NS0_5tupleIJPiS6_EEENSE_IJSB_SB_EEENS0_18inequality_wrapperIN6hipcub16HIPCUB_304000_NS8EqualityEEEPlJS6_EEE10hipError_tPvRmT3_T4_T5_T6_T7_T9_mT8_P12ihipStream_tbDpT10_ENKUlT_T0_E_clISt17integral_constantIbLb1EES17_EEDaS12_S13_EUlS12_E_NS1_11comp_targetILNS1_3genE2ELNS1_11target_archE906ELNS1_3gpuE6ELNS1_3repE0EEENS1_30default_config_static_selectorELNS0_4arch9wavefront6targetE1EEEvT1_.kd
    .uniform_work_group_size: 1
    .uses_dynamic_stack: false
    .vgpr_count:     0
    .vgpr_spill_count: 0
    .wavefront_size: 64
  - .agpr_count:     0
    .args:
      - .offset:         0
        .size:           128
        .value_kind:     by_value
    .group_segment_fixed_size: 0
    .kernarg_segment_align: 8
    .kernarg_segment_size: 128
    .language:       OpenCL C
    .language_version:
      - 2
      - 0
    .max_flat_workgroup_size: 384
    .name:           _ZN7rocprim17ROCPRIM_400000_NS6detail17trampoline_kernelINS0_14default_configENS1_25partition_config_selectorILNS1_17partition_subalgoE8EiNS0_10empty_typeEbEEZZNS1_14partition_implILS5_8ELb0ES3_jPKiPS6_PKS6_NS0_5tupleIJPiS6_EEENSE_IJSB_SB_EEENS0_18inequality_wrapperIN6hipcub16HIPCUB_304000_NS8EqualityEEEPlJS6_EEE10hipError_tPvRmT3_T4_T5_T6_T7_T9_mT8_P12ihipStream_tbDpT10_ENKUlT_T0_E_clISt17integral_constantIbLb1EES17_EEDaS12_S13_EUlS12_E_NS1_11comp_targetILNS1_3genE10ELNS1_11target_archE1200ELNS1_3gpuE4ELNS1_3repE0EEENS1_30default_config_static_selectorELNS0_4arch9wavefront6targetE1EEEvT1_
    .private_segment_fixed_size: 0
    .sgpr_count:     6
    .sgpr_spill_count: 0
    .symbol:         _ZN7rocprim17ROCPRIM_400000_NS6detail17trampoline_kernelINS0_14default_configENS1_25partition_config_selectorILNS1_17partition_subalgoE8EiNS0_10empty_typeEbEEZZNS1_14partition_implILS5_8ELb0ES3_jPKiPS6_PKS6_NS0_5tupleIJPiS6_EEENSE_IJSB_SB_EEENS0_18inequality_wrapperIN6hipcub16HIPCUB_304000_NS8EqualityEEEPlJS6_EEE10hipError_tPvRmT3_T4_T5_T6_T7_T9_mT8_P12ihipStream_tbDpT10_ENKUlT_T0_E_clISt17integral_constantIbLb1EES17_EEDaS12_S13_EUlS12_E_NS1_11comp_targetILNS1_3genE10ELNS1_11target_archE1200ELNS1_3gpuE4ELNS1_3repE0EEENS1_30default_config_static_selectorELNS0_4arch9wavefront6targetE1EEEvT1_.kd
    .uniform_work_group_size: 1
    .uses_dynamic_stack: false
    .vgpr_count:     0
    .vgpr_spill_count: 0
    .wavefront_size: 64
  - .agpr_count:     0
    .args:
      - .offset:         0
        .size:           128
        .value_kind:     by_value
    .group_segment_fixed_size: 0
    .kernarg_segment_align: 8
    .kernarg_segment_size: 128
    .language:       OpenCL C
    .language_version:
      - 2
      - 0
    .max_flat_workgroup_size: 384
    .name:           _ZN7rocprim17ROCPRIM_400000_NS6detail17trampoline_kernelINS0_14default_configENS1_25partition_config_selectorILNS1_17partition_subalgoE8EiNS0_10empty_typeEbEEZZNS1_14partition_implILS5_8ELb0ES3_jPKiPS6_PKS6_NS0_5tupleIJPiS6_EEENSE_IJSB_SB_EEENS0_18inequality_wrapperIN6hipcub16HIPCUB_304000_NS8EqualityEEEPlJS6_EEE10hipError_tPvRmT3_T4_T5_T6_T7_T9_mT8_P12ihipStream_tbDpT10_ENKUlT_T0_E_clISt17integral_constantIbLb1EES17_EEDaS12_S13_EUlS12_E_NS1_11comp_targetILNS1_3genE9ELNS1_11target_archE1100ELNS1_3gpuE3ELNS1_3repE0EEENS1_30default_config_static_selectorELNS0_4arch9wavefront6targetE1EEEvT1_
    .private_segment_fixed_size: 0
    .sgpr_count:     6
    .sgpr_spill_count: 0
    .symbol:         _ZN7rocprim17ROCPRIM_400000_NS6detail17trampoline_kernelINS0_14default_configENS1_25partition_config_selectorILNS1_17partition_subalgoE8EiNS0_10empty_typeEbEEZZNS1_14partition_implILS5_8ELb0ES3_jPKiPS6_PKS6_NS0_5tupleIJPiS6_EEENSE_IJSB_SB_EEENS0_18inequality_wrapperIN6hipcub16HIPCUB_304000_NS8EqualityEEEPlJS6_EEE10hipError_tPvRmT3_T4_T5_T6_T7_T9_mT8_P12ihipStream_tbDpT10_ENKUlT_T0_E_clISt17integral_constantIbLb1EES17_EEDaS12_S13_EUlS12_E_NS1_11comp_targetILNS1_3genE9ELNS1_11target_archE1100ELNS1_3gpuE3ELNS1_3repE0EEENS1_30default_config_static_selectorELNS0_4arch9wavefront6targetE1EEEvT1_.kd
    .uniform_work_group_size: 1
    .uses_dynamic_stack: false
    .vgpr_count:     0
    .vgpr_spill_count: 0
    .wavefront_size: 64
  - .agpr_count:     0
    .args:
      - .offset:         0
        .size:           128
        .value_kind:     by_value
    .group_segment_fixed_size: 0
    .kernarg_segment_align: 8
    .kernarg_segment_size: 128
    .language:       OpenCL C
    .language_version:
      - 2
      - 0
    .max_flat_workgroup_size: 512
    .name:           _ZN7rocprim17ROCPRIM_400000_NS6detail17trampoline_kernelINS0_14default_configENS1_25partition_config_selectorILNS1_17partition_subalgoE8EiNS0_10empty_typeEbEEZZNS1_14partition_implILS5_8ELb0ES3_jPKiPS6_PKS6_NS0_5tupleIJPiS6_EEENSE_IJSB_SB_EEENS0_18inequality_wrapperIN6hipcub16HIPCUB_304000_NS8EqualityEEEPlJS6_EEE10hipError_tPvRmT3_T4_T5_T6_T7_T9_mT8_P12ihipStream_tbDpT10_ENKUlT_T0_E_clISt17integral_constantIbLb1EES17_EEDaS12_S13_EUlS12_E_NS1_11comp_targetILNS1_3genE8ELNS1_11target_archE1030ELNS1_3gpuE2ELNS1_3repE0EEENS1_30default_config_static_selectorELNS0_4arch9wavefront6targetE1EEEvT1_
    .private_segment_fixed_size: 0
    .sgpr_count:     6
    .sgpr_spill_count: 0
    .symbol:         _ZN7rocprim17ROCPRIM_400000_NS6detail17trampoline_kernelINS0_14default_configENS1_25partition_config_selectorILNS1_17partition_subalgoE8EiNS0_10empty_typeEbEEZZNS1_14partition_implILS5_8ELb0ES3_jPKiPS6_PKS6_NS0_5tupleIJPiS6_EEENSE_IJSB_SB_EEENS0_18inequality_wrapperIN6hipcub16HIPCUB_304000_NS8EqualityEEEPlJS6_EEE10hipError_tPvRmT3_T4_T5_T6_T7_T9_mT8_P12ihipStream_tbDpT10_ENKUlT_T0_E_clISt17integral_constantIbLb1EES17_EEDaS12_S13_EUlS12_E_NS1_11comp_targetILNS1_3genE8ELNS1_11target_archE1030ELNS1_3gpuE2ELNS1_3repE0EEENS1_30default_config_static_selectorELNS0_4arch9wavefront6targetE1EEEvT1_.kd
    .uniform_work_group_size: 1
    .uses_dynamic_stack: false
    .vgpr_count:     0
    .vgpr_spill_count: 0
    .wavefront_size: 64
  - .agpr_count:     0
    .args:
      - .offset:         0
        .size:           112
        .value_kind:     by_value
    .group_segment_fixed_size: 0
    .kernarg_segment_align: 8
    .kernarg_segment_size: 112
    .language:       OpenCL C
    .language_version:
      - 2
      - 0
    .max_flat_workgroup_size: 512
    .name:           _ZN7rocprim17ROCPRIM_400000_NS6detail17trampoline_kernelINS0_14default_configENS1_25partition_config_selectorILNS1_17partition_subalgoE8EiNS0_10empty_typeEbEEZZNS1_14partition_implILS5_8ELb0ES3_jPKiPS6_PKS6_NS0_5tupleIJPiS6_EEENSE_IJSB_SB_EEENS0_18inequality_wrapperIN6hipcub16HIPCUB_304000_NS8EqualityEEEPlJS6_EEE10hipError_tPvRmT3_T4_T5_T6_T7_T9_mT8_P12ihipStream_tbDpT10_ENKUlT_T0_E_clISt17integral_constantIbLb1EES16_IbLb0EEEEDaS12_S13_EUlS12_E_NS1_11comp_targetILNS1_3genE0ELNS1_11target_archE4294967295ELNS1_3gpuE0ELNS1_3repE0EEENS1_30default_config_static_selectorELNS0_4arch9wavefront6targetE1EEEvT1_
    .private_segment_fixed_size: 0
    .sgpr_count:     6
    .sgpr_spill_count: 0
    .symbol:         _ZN7rocprim17ROCPRIM_400000_NS6detail17trampoline_kernelINS0_14default_configENS1_25partition_config_selectorILNS1_17partition_subalgoE8EiNS0_10empty_typeEbEEZZNS1_14partition_implILS5_8ELb0ES3_jPKiPS6_PKS6_NS0_5tupleIJPiS6_EEENSE_IJSB_SB_EEENS0_18inequality_wrapperIN6hipcub16HIPCUB_304000_NS8EqualityEEEPlJS6_EEE10hipError_tPvRmT3_T4_T5_T6_T7_T9_mT8_P12ihipStream_tbDpT10_ENKUlT_T0_E_clISt17integral_constantIbLb1EES16_IbLb0EEEEDaS12_S13_EUlS12_E_NS1_11comp_targetILNS1_3genE0ELNS1_11target_archE4294967295ELNS1_3gpuE0ELNS1_3repE0EEENS1_30default_config_static_selectorELNS0_4arch9wavefront6targetE1EEEvT1_.kd
    .uniform_work_group_size: 1
    .uses_dynamic_stack: false
    .vgpr_count:     0
    .vgpr_spill_count: 0
    .wavefront_size: 64
  - .agpr_count:     0
    .args:
      - .offset:         0
        .size:           112
        .value_kind:     by_value
    .group_segment_fixed_size: 30728
    .kernarg_segment_align: 8
    .kernarg_segment_size: 112
    .language:       OpenCL C
    .language_version:
      - 2
      - 0
    .max_flat_workgroup_size: 512
    .name:           _ZN7rocprim17ROCPRIM_400000_NS6detail17trampoline_kernelINS0_14default_configENS1_25partition_config_selectorILNS1_17partition_subalgoE8EiNS0_10empty_typeEbEEZZNS1_14partition_implILS5_8ELb0ES3_jPKiPS6_PKS6_NS0_5tupleIJPiS6_EEENSE_IJSB_SB_EEENS0_18inequality_wrapperIN6hipcub16HIPCUB_304000_NS8EqualityEEEPlJS6_EEE10hipError_tPvRmT3_T4_T5_T6_T7_T9_mT8_P12ihipStream_tbDpT10_ENKUlT_T0_E_clISt17integral_constantIbLb1EES16_IbLb0EEEEDaS12_S13_EUlS12_E_NS1_11comp_targetILNS1_3genE5ELNS1_11target_archE942ELNS1_3gpuE9ELNS1_3repE0EEENS1_30default_config_static_selectorELNS0_4arch9wavefront6targetE1EEEvT1_
    .private_segment_fixed_size: 0
    .sgpr_count:     54
    .sgpr_spill_count: 0
    .symbol:         _ZN7rocprim17ROCPRIM_400000_NS6detail17trampoline_kernelINS0_14default_configENS1_25partition_config_selectorILNS1_17partition_subalgoE8EiNS0_10empty_typeEbEEZZNS1_14partition_implILS5_8ELb0ES3_jPKiPS6_PKS6_NS0_5tupleIJPiS6_EEENSE_IJSB_SB_EEENS0_18inequality_wrapperIN6hipcub16HIPCUB_304000_NS8EqualityEEEPlJS6_EEE10hipError_tPvRmT3_T4_T5_T6_T7_T9_mT8_P12ihipStream_tbDpT10_ENKUlT_T0_E_clISt17integral_constantIbLb1EES16_IbLb0EEEEDaS12_S13_EUlS12_E_NS1_11comp_targetILNS1_3genE5ELNS1_11target_archE942ELNS1_3gpuE9ELNS1_3repE0EEENS1_30default_config_static_selectorELNS0_4arch9wavefront6targetE1EEEvT1_.kd
    .uniform_work_group_size: 1
    .uses_dynamic_stack: false
    .vgpr_count:     74
    .vgpr_spill_count: 0
    .wavefront_size: 64
  - .agpr_count:     0
    .args:
      - .offset:         0
        .size:           112
        .value_kind:     by_value
    .group_segment_fixed_size: 0
    .kernarg_segment_align: 8
    .kernarg_segment_size: 112
    .language:       OpenCL C
    .language_version:
      - 2
      - 0
    .max_flat_workgroup_size: 256
    .name:           _ZN7rocprim17ROCPRIM_400000_NS6detail17trampoline_kernelINS0_14default_configENS1_25partition_config_selectorILNS1_17partition_subalgoE8EiNS0_10empty_typeEbEEZZNS1_14partition_implILS5_8ELb0ES3_jPKiPS6_PKS6_NS0_5tupleIJPiS6_EEENSE_IJSB_SB_EEENS0_18inequality_wrapperIN6hipcub16HIPCUB_304000_NS8EqualityEEEPlJS6_EEE10hipError_tPvRmT3_T4_T5_T6_T7_T9_mT8_P12ihipStream_tbDpT10_ENKUlT_T0_E_clISt17integral_constantIbLb1EES16_IbLb0EEEEDaS12_S13_EUlS12_E_NS1_11comp_targetILNS1_3genE4ELNS1_11target_archE910ELNS1_3gpuE8ELNS1_3repE0EEENS1_30default_config_static_selectorELNS0_4arch9wavefront6targetE1EEEvT1_
    .private_segment_fixed_size: 0
    .sgpr_count:     6
    .sgpr_spill_count: 0
    .symbol:         _ZN7rocprim17ROCPRIM_400000_NS6detail17trampoline_kernelINS0_14default_configENS1_25partition_config_selectorILNS1_17partition_subalgoE8EiNS0_10empty_typeEbEEZZNS1_14partition_implILS5_8ELb0ES3_jPKiPS6_PKS6_NS0_5tupleIJPiS6_EEENSE_IJSB_SB_EEENS0_18inequality_wrapperIN6hipcub16HIPCUB_304000_NS8EqualityEEEPlJS6_EEE10hipError_tPvRmT3_T4_T5_T6_T7_T9_mT8_P12ihipStream_tbDpT10_ENKUlT_T0_E_clISt17integral_constantIbLb1EES16_IbLb0EEEEDaS12_S13_EUlS12_E_NS1_11comp_targetILNS1_3genE4ELNS1_11target_archE910ELNS1_3gpuE8ELNS1_3repE0EEENS1_30default_config_static_selectorELNS0_4arch9wavefront6targetE1EEEvT1_.kd
    .uniform_work_group_size: 1
    .uses_dynamic_stack: false
    .vgpr_count:     0
    .vgpr_spill_count: 0
    .wavefront_size: 64
  - .agpr_count:     0
    .args:
      - .offset:         0
        .size:           112
        .value_kind:     by_value
    .group_segment_fixed_size: 0
    .kernarg_segment_align: 8
    .kernarg_segment_size: 112
    .language:       OpenCL C
    .language_version:
      - 2
      - 0
    .max_flat_workgroup_size: 512
    .name:           _ZN7rocprim17ROCPRIM_400000_NS6detail17trampoline_kernelINS0_14default_configENS1_25partition_config_selectorILNS1_17partition_subalgoE8EiNS0_10empty_typeEbEEZZNS1_14partition_implILS5_8ELb0ES3_jPKiPS6_PKS6_NS0_5tupleIJPiS6_EEENSE_IJSB_SB_EEENS0_18inequality_wrapperIN6hipcub16HIPCUB_304000_NS8EqualityEEEPlJS6_EEE10hipError_tPvRmT3_T4_T5_T6_T7_T9_mT8_P12ihipStream_tbDpT10_ENKUlT_T0_E_clISt17integral_constantIbLb1EES16_IbLb0EEEEDaS12_S13_EUlS12_E_NS1_11comp_targetILNS1_3genE3ELNS1_11target_archE908ELNS1_3gpuE7ELNS1_3repE0EEENS1_30default_config_static_selectorELNS0_4arch9wavefront6targetE1EEEvT1_
    .private_segment_fixed_size: 0
    .sgpr_count:     6
    .sgpr_spill_count: 0
    .symbol:         _ZN7rocprim17ROCPRIM_400000_NS6detail17trampoline_kernelINS0_14default_configENS1_25partition_config_selectorILNS1_17partition_subalgoE8EiNS0_10empty_typeEbEEZZNS1_14partition_implILS5_8ELb0ES3_jPKiPS6_PKS6_NS0_5tupleIJPiS6_EEENSE_IJSB_SB_EEENS0_18inequality_wrapperIN6hipcub16HIPCUB_304000_NS8EqualityEEEPlJS6_EEE10hipError_tPvRmT3_T4_T5_T6_T7_T9_mT8_P12ihipStream_tbDpT10_ENKUlT_T0_E_clISt17integral_constantIbLb1EES16_IbLb0EEEEDaS12_S13_EUlS12_E_NS1_11comp_targetILNS1_3genE3ELNS1_11target_archE908ELNS1_3gpuE7ELNS1_3repE0EEENS1_30default_config_static_selectorELNS0_4arch9wavefront6targetE1EEEvT1_.kd
    .uniform_work_group_size: 1
    .uses_dynamic_stack: false
    .vgpr_count:     0
    .vgpr_spill_count: 0
    .wavefront_size: 64
  - .agpr_count:     0
    .args:
      - .offset:         0
        .size:           112
        .value_kind:     by_value
    .group_segment_fixed_size: 0
    .kernarg_segment_align: 8
    .kernarg_segment_size: 112
    .language:       OpenCL C
    .language_version:
      - 2
      - 0
    .max_flat_workgroup_size: 256
    .name:           _ZN7rocprim17ROCPRIM_400000_NS6detail17trampoline_kernelINS0_14default_configENS1_25partition_config_selectorILNS1_17partition_subalgoE8EiNS0_10empty_typeEbEEZZNS1_14partition_implILS5_8ELb0ES3_jPKiPS6_PKS6_NS0_5tupleIJPiS6_EEENSE_IJSB_SB_EEENS0_18inequality_wrapperIN6hipcub16HIPCUB_304000_NS8EqualityEEEPlJS6_EEE10hipError_tPvRmT3_T4_T5_T6_T7_T9_mT8_P12ihipStream_tbDpT10_ENKUlT_T0_E_clISt17integral_constantIbLb1EES16_IbLb0EEEEDaS12_S13_EUlS12_E_NS1_11comp_targetILNS1_3genE2ELNS1_11target_archE906ELNS1_3gpuE6ELNS1_3repE0EEENS1_30default_config_static_selectorELNS0_4arch9wavefront6targetE1EEEvT1_
    .private_segment_fixed_size: 0
    .sgpr_count:     6
    .sgpr_spill_count: 0
    .symbol:         _ZN7rocprim17ROCPRIM_400000_NS6detail17trampoline_kernelINS0_14default_configENS1_25partition_config_selectorILNS1_17partition_subalgoE8EiNS0_10empty_typeEbEEZZNS1_14partition_implILS5_8ELb0ES3_jPKiPS6_PKS6_NS0_5tupleIJPiS6_EEENSE_IJSB_SB_EEENS0_18inequality_wrapperIN6hipcub16HIPCUB_304000_NS8EqualityEEEPlJS6_EEE10hipError_tPvRmT3_T4_T5_T6_T7_T9_mT8_P12ihipStream_tbDpT10_ENKUlT_T0_E_clISt17integral_constantIbLb1EES16_IbLb0EEEEDaS12_S13_EUlS12_E_NS1_11comp_targetILNS1_3genE2ELNS1_11target_archE906ELNS1_3gpuE6ELNS1_3repE0EEENS1_30default_config_static_selectorELNS0_4arch9wavefront6targetE1EEEvT1_.kd
    .uniform_work_group_size: 1
    .uses_dynamic_stack: false
    .vgpr_count:     0
    .vgpr_spill_count: 0
    .wavefront_size: 64
  - .agpr_count:     0
    .args:
      - .offset:         0
        .size:           112
        .value_kind:     by_value
    .group_segment_fixed_size: 0
    .kernarg_segment_align: 8
    .kernarg_segment_size: 112
    .language:       OpenCL C
    .language_version:
      - 2
      - 0
    .max_flat_workgroup_size: 384
    .name:           _ZN7rocprim17ROCPRIM_400000_NS6detail17trampoline_kernelINS0_14default_configENS1_25partition_config_selectorILNS1_17partition_subalgoE8EiNS0_10empty_typeEbEEZZNS1_14partition_implILS5_8ELb0ES3_jPKiPS6_PKS6_NS0_5tupleIJPiS6_EEENSE_IJSB_SB_EEENS0_18inequality_wrapperIN6hipcub16HIPCUB_304000_NS8EqualityEEEPlJS6_EEE10hipError_tPvRmT3_T4_T5_T6_T7_T9_mT8_P12ihipStream_tbDpT10_ENKUlT_T0_E_clISt17integral_constantIbLb1EES16_IbLb0EEEEDaS12_S13_EUlS12_E_NS1_11comp_targetILNS1_3genE10ELNS1_11target_archE1200ELNS1_3gpuE4ELNS1_3repE0EEENS1_30default_config_static_selectorELNS0_4arch9wavefront6targetE1EEEvT1_
    .private_segment_fixed_size: 0
    .sgpr_count:     6
    .sgpr_spill_count: 0
    .symbol:         _ZN7rocprim17ROCPRIM_400000_NS6detail17trampoline_kernelINS0_14default_configENS1_25partition_config_selectorILNS1_17partition_subalgoE8EiNS0_10empty_typeEbEEZZNS1_14partition_implILS5_8ELb0ES3_jPKiPS6_PKS6_NS0_5tupleIJPiS6_EEENSE_IJSB_SB_EEENS0_18inequality_wrapperIN6hipcub16HIPCUB_304000_NS8EqualityEEEPlJS6_EEE10hipError_tPvRmT3_T4_T5_T6_T7_T9_mT8_P12ihipStream_tbDpT10_ENKUlT_T0_E_clISt17integral_constantIbLb1EES16_IbLb0EEEEDaS12_S13_EUlS12_E_NS1_11comp_targetILNS1_3genE10ELNS1_11target_archE1200ELNS1_3gpuE4ELNS1_3repE0EEENS1_30default_config_static_selectorELNS0_4arch9wavefront6targetE1EEEvT1_.kd
    .uniform_work_group_size: 1
    .uses_dynamic_stack: false
    .vgpr_count:     0
    .vgpr_spill_count: 0
    .wavefront_size: 64
  - .agpr_count:     0
    .args:
      - .offset:         0
        .size:           112
        .value_kind:     by_value
    .group_segment_fixed_size: 0
    .kernarg_segment_align: 8
    .kernarg_segment_size: 112
    .language:       OpenCL C
    .language_version:
      - 2
      - 0
    .max_flat_workgroup_size: 384
    .name:           _ZN7rocprim17ROCPRIM_400000_NS6detail17trampoline_kernelINS0_14default_configENS1_25partition_config_selectorILNS1_17partition_subalgoE8EiNS0_10empty_typeEbEEZZNS1_14partition_implILS5_8ELb0ES3_jPKiPS6_PKS6_NS0_5tupleIJPiS6_EEENSE_IJSB_SB_EEENS0_18inequality_wrapperIN6hipcub16HIPCUB_304000_NS8EqualityEEEPlJS6_EEE10hipError_tPvRmT3_T4_T5_T6_T7_T9_mT8_P12ihipStream_tbDpT10_ENKUlT_T0_E_clISt17integral_constantIbLb1EES16_IbLb0EEEEDaS12_S13_EUlS12_E_NS1_11comp_targetILNS1_3genE9ELNS1_11target_archE1100ELNS1_3gpuE3ELNS1_3repE0EEENS1_30default_config_static_selectorELNS0_4arch9wavefront6targetE1EEEvT1_
    .private_segment_fixed_size: 0
    .sgpr_count:     6
    .sgpr_spill_count: 0
    .symbol:         _ZN7rocprim17ROCPRIM_400000_NS6detail17trampoline_kernelINS0_14default_configENS1_25partition_config_selectorILNS1_17partition_subalgoE8EiNS0_10empty_typeEbEEZZNS1_14partition_implILS5_8ELb0ES3_jPKiPS6_PKS6_NS0_5tupleIJPiS6_EEENSE_IJSB_SB_EEENS0_18inequality_wrapperIN6hipcub16HIPCUB_304000_NS8EqualityEEEPlJS6_EEE10hipError_tPvRmT3_T4_T5_T6_T7_T9_mT8_P12ihipStream_tbDpT10_ENKUlT_T0_E_clISt17integral_constantIbLb1EES16_IbLb0EEEEDaS12_S13_EUlS12_E_NS1_11comp_targetILNS1_3genE9ELNS1_11target_archE1100ELNS1_3gpuE3ELNS1_3repE0EEENS1_30default_config_static_selectorELNS0_4arch9wavefront6targetE1EEEvT1_.kd
    .uniform_work_group_size: 1
    .uses_dynamic_stack: false
    .vgpr_count:     0
    .vgpr_spill_count: 0
    .wavefront_size: 64
  - .agpr_count:     0
    .args:
      - .offset:         0
        .size:           112
        .value_kind:     by_value
    .group_segment_fixed_size: 0
    .kernarg_segment_align: 8
    .kernarg_segment_size: 112
    .language:       OpenCL C
    .language_version:
      - 2
      - 0
    .max_flat_workgroup_size: 512
    .name:           _ZN7rocprim17ROCPRIM_400000_NS6detail17trampoline_kernelINS0_14default_configENS1_25partition_config_selectorILNS1_17partition_subalgoE8EiNS0_10empty_typeEbEEZZNS1_14partition_implILS5_8ELb0ES3_jPKiPS6_PKS6_NS0_5tupleIJPiS6_EEENSE_IJSB_SB_EEENS0_18inequality_wrapperIN6hipcub16HIPCUB_304000_NS8EqualityEEEPlJS6_EEE10hipError_tPvRmT3_T4_T5_T6_T7_T9_mT8_P12ihipStream_tbDpT10_ENKUlT_T0_E_clISt17integral_constantIbLb1EES16_IbLb0EEEEDaS12_S13_EUlS12_E_NS1_11comp_targetILNS1_3genE8ELNS1_11target_archE1030ELNS1_3gpuE2ELNS1_3repE0EEENS1_30default_config_static_selectorELNS0_4arch9wavefront6targetE1EEEvT1_
    .private_segment_fixed_size: 0
    .sgpr_count:     6
    .sgpr_spill_count: 0
    .symbol:         _ZN7rocprim17ROCPRIM_400000_NS6detail17trampoline_kernelINS0_14default_configENS1_25partition_config_selectorILNS1_17partition_subalgoE8EiNS0_10empty_typeEbEEZZNS1_14partition_implILS5_8ELb0ES3_jPKiPS6_PKS6_NS0_5tupleIJPiS6_EEENSE_IJSB_SB_EEENS0_18inequality_wrapperIN6hipcub16HIPCUB_304000_NS8EqualityEEEPlJS6_EEE10hipError_tPvRmT3_T4_T5_T6_T7_T9_mT8_P12ihipStream_tbDpT10_ENKUlT_T0_E_clISt17integral_constantIbLb1EES16_IbLb0EEEEDaS12_S13_EUlS12_E_NS1_11comp_targetILNS1_3genE8ELNS1_11target_archE1030ELNS1_3gpuE2ELNS1_3repE0EEENS1_30default_config_static_selectorELNS0_4arch9wavefront6targetE1EEEvT1_.kd
    .uniform_work_group_size: 1
    .uses_dynamic_stack: false
    .vgpr_count:     0
    .vgpr_spill_count: 0
    .wavefront_size: 64
  - .agpr_count:     0
    .args:
      - .offset:         0
        .size:           128
        .value_kind:     by_value
    .group_segment_fixed_size: 0
    .kernarg_segment_align: 8
    .kernarg_segment_size: 128
    .language:       OpenCL C
    .language_version:
      - 2
      - 0
    .max_flat_workgroup_size: 512
    .name:           _ZN7rocprim17ROCPRIM_400000_NS6detail17trampoline_kernelINS0_14default_configENS1_25partition_config_selectorILNS1_17partition_subalgoE8EiNS0_10empty_typeEbEEZZNS1_14partition_implILS5_8ELb0ES3_jPKiPS6_PKS6_NS0_5tupleIJPiS6_EEENSE_IJSB_SB_EEENS0_18inequality_wrapperIN6hipcub16HIPCUB_304000_NS8EqualityEEEPlJS6_EEE10hipError_tPvRmT3_T4_T5_T6_T7_T9_mT8_P12ihipStream_tbDpT10_ENKUlT_T0_E_clISt17integral_constantIbLb0EES16_IbLb1EEEEDaS12_S13_EUlS12_E_NS1_11comp_targetILNS1_3genE0ELNS1_11target_archE4294967295ELNS1_3gpuE0ELNS1_3repE0EEENS1_30default_config_static_selectorELNS0_4arch9wavefront6targetE1EEEvT1_
    .private_segment_fixed_size: 0
    .sgpr_count:     6
    .sgpr_spill_count: 0
    .symbol:         _ZN7rocprim17ROCPRIM_400000_NS6detail17trampoline_kernelINS0_14default_configENS1_25partition_config_selectorILNS1_17partition_subalgoE8EiNS0_10empty_typeEbEEZZNS1_14partition_implILS5_8ELb0ES3_jPKiPS6_PKS6_NS0_5tupleIJPiS6_EEENSE_IJSB_SB_EEENS0_18inequality_wrapperIN6hipcub16HIPCUB_304000_NS8EqualityEEEPlJS6_EEE10hipError_tPvRmT3_T4_T5_T6_T7_T9_mT8_P12ihipStream_tbDpT10_ENKUlT_T0_E_clISt17integral_constantIbLb0EES16_IbLb1EEEEDaS12_S13_EUlS12_E_NS1_11comp_targetILNS1_3genE0ELNS1_11target_archE4294967295ELNS1_3gpuE0ELNS1_3repE0EEENS1_30default_config_static_selectorELNS0_4arch9wavefront6targetE1EEEvT1_.kd
    .uniform_work_group_size: 1
    .uses_dynamic_stack: false
    .vgpr_count:     0
    .vgpr_spill_count: 0
    .wavefront_size: 64
  - .agpr_count:     0
    .args:
      - .offset:         0
        .size:           128
        .value_kind:     by_value
    .group_segment_fixed_size: 30728
    .kernarg_segment_align: 8
    .kernarg_segment_size: 128
    .language:       OpenCL C
    .language_version:
      - 2
      - 0
    .max_flat_workgroup_size: 512
    .name:           _ZN7rocprim17ROCPRIM_400000_NS6detail17trampoline_kernelINS0_14default_configENS1_25partition_config_selectorILNS1_17partition_subalgoE8EiNS0_10empty_typeEbEEZZNS1_14partition_implILS5_8ELb0ES3_jPKiPS6_PKS6_NS0_5tupleIJPiS6_EEENSE_IJSB_SB_EEENS0_18inequality_wrapperIN6hipcub16HIPCUB_304000_NS8EqualityEEEPlJS6_EEE10hipError_tPvRmT3_T4_T5_T6_T7_T9_mT8_P12ihipStream_tbDpT10_ENKUlT_T0_E_clISt17integral_constantIbLb0EES16_IbLb1EEEEDaS12_S13_EUlS12_E_NS1_11comp_targetILNS1_3genE5ELNS1_11target_archE942ELNS1_3gpuE9ELNS1_3repE0EEENS1_30default_config_static_selectorELNS0_4arch9wavefront6targetE1EEEvT1_
    .private_segment_fixed_size: 0
    .sgpr_count:     57
    .sgpr_spill_count: 0
    .symbol:         _ZN7rocprim17ROCPRIM_400000_NS6detail17trampoline_kernelINS0_14default_configENS1_25partition_config_selectorILNS1_17partition_subalgoE8EiNS0_10empty_typeEbEEZZNS1_14partition_implILS5_8ELb0ES3_jPKiPS6_PKS6_NS0_5tupleIJPiS6_EEENSE_IJSB_SB_EEENS0_18inequality_wrapperIN6hipcub16HIPCUB_304000_NS8EqualityEEEPlJS6_EEE10hipError_tPvRmT3_T4_T5_T6_T7_T9_mT8_P12ihipStream_tbDpT10_ENKUlT_T0_E_clISt17integral_constantIbLb0EES16_IbLb1EEEEDaS12_S13_EUlS12_E_NS1_11comp_targetILNS1_3genE5ELNS1_11target_archE942ELNS1_3gpuE9ELNS1_3repE0EEENS1_30default_config_static_selectorELNS0_4arch9wavefront6targetE1EEEvT1_.kd
    .uniform_work_group_size: 1
    .uses_dynamic_stack: false
    .vgpr_count:     76
    .vgpr_spill_count: 0
    .wavefront_size: 64
  - .agpr_count:     0
    .args:
      - .offset:         0
        .size:           128
        .value_kind:     by_value
    .group_segment_fixed_size: 0
    .kernarg_segment_align: 8
    .kernarg_segment_size: 128
    .language:       OpenCL C
    .language_version:
      - 2
      - 0
    .max_flat_workgroup_size: 256
    .name:           _ZN7rocprim17ROCPRIM_400000_NS6detail17trampoline_kernelINS0_14default_configENS1_25partition_config_selectorILNS1_17partition_subalgoE8EiNS0_10empty_typeEbEEZZNS1_14partition_implILS5_8ELb0ES3_jPKiPS6_PKS6_NS0_5tupleIJPiS6_EEENSE_IJSB_SB_EEENS0_18inequality_wrapperIN6hipcub16HIPCUB_304000_NS8EqualityEEEPlJS6_EEE10hipError_tPvRmT3_T4_T5_T6_T7_T9_mT8_P12ihipStream_tbDpT10_ENKUlT_T0_E_clISt17integral_constantIbLb0EES16_IbLb1EEEEDaS12_S13_EUlS12_E_NS1_11comp_targetILNS1_3genE4ELNS1_11target_archE910ELNS1_3gpuE8ELNS1_3repE0EEENS1_30default_config_static_selectorELNS0_4arch9wavefront6targetE1EEEvT1_
    .private_segment_fixed_size: 0
    .sgpr_count:     6
    .sgpr_spill_count: 0
    .symbol:         _ZN7rocprim17ROCPRIM_400000_NS6detail17trampoline_kernelINS0_14default_configENS1_25partition_config_selectorILNS1_17partition_subalgoE8EiNS0_10empty_typeEbEEZZNS1_14partition_implILS5_8ELb0ES3_jPKiPS6_PKS6_NS0_5tupleIJPiS6_EEENSE_IJSB_SB_EEENS0_18inequality_wrapperIN6hipcub16HIPCUB_304000_NS8EqualityEEEPlJS6_EEE10hipError_tPvRmT3_T4_T5_T6_T7_T9_mT8_P12ihipStream_tbDpT10_ENKUlT_T0_E_clISt17integral_constantIbLb0EES16_IbLb1EEEEDaS12_S13_EUlS12_E_NS1_11comp_targetILNS1_3genE4ELNS1_11target_archE910ELNS1_3gpuE8ELNS1_3repE0EEENS1_30default_config_static_selectorELNS0_4arch9wavefront6targetE1EEEvT1_.kd
    .uniform_work_group_size: 1
    .uses_dynamic_stack: false
    .vgpr_count:     0
    .vgpr_spill_count: 0
    .wavefront_size: 64
  - .agpr_count:     0
    .args:
      - .offset:         0
        .size:           128
        .value_kind:     by_value
    .group_segment_fixed_size: 0
    .kernarg_segment_align: 8
    .kernarg_segment_size: 128
    .language:       OpenCL C
    .language_version:
      - 2
      - 0
    .max_flat_workgroup_size: 512
    .name:           _ZN7rocprim17ROCPRIM_400000_NS6detail17trampoline_kernelINS0_14default_configENS1_25partition_config_selectorILNS1_17partition_subalgoE8EiNS0_10empty_typeEbEEZZNS1_14partition_implILS5_8ELb0ES3_jPKiPS6_PKS6_NS0_5tupleIJPiS6_EEENSE_IJSB_SB_EEENS0_18inequality_wrapperIN6hipcub16HIPCUB_304000_NS8EqualityEEEPlJS6_EEE10hipError_tPvRmT3_T4_T5_T6_T7_T9_mT8_P12ihipStream_tbDpT10_ENKUlT_T0_E_clISt17integral_constantIbLb0EES16_IbLb1EEEEDaS12_S13_EUlS12_E_NS1_11comp_targetILNS1_3genE3ELNS1_11target_archE908ELNS1_3gpuE7ELNS1_3repE0EEENS1_30default_config_static_selectorELNS0_4arch9wavefront6targetE1EEEvT1_
    .private_segment_fixed_size: 0
    .sgpr_count:     6
    .sgpr_spill_count: 0
    .symbol:         _ZN7rocprim17ROCPRIM_400000_NS6detail17trampoline_kernelINS0_14default_configENS1_25partition_config_selectorILNS1_17partition_subalgoE8EiNS0_10empty_typeEbEEZZNS1_14partition_implILS5_8ELb0ES3_jPKiPS6_PKS6_NS0_5tupleIJPiS6_EEENSE_IJSB_SB_EEENS0_18inequality_wrapperIN6hipcub16HIPCUB_304000_NS8EqualityEEEPlJS6_EEE10hipError_tPvRmT3_T4_T5_T6_T7_T9_mT8_P12ihipStream_tbDpT10_ENKUlT_T0_E_clISt17integral_constantIbLb0EES16_IbLb1EEEEDaS12_S13_EUlS12_E_NS1_11comp_targetILNS1_3genE3ELNS1_11target_archE908ELNS1_3gpuE7ELNS1_3repE0EEENS1_30default_config_static_selectorELNS0_4arch9wavefront6targetE1EEEvT1_.kd
    .uniform_work_group_size: 1
    .uses_dynamic_stack: false
    .vgpr_count:     0
    .vgpr_spill_count: 0
    .wavefront_size: 64
  - .agpr_count:     0
    .args:
      - .offset:         0
        .size:           128
        .value_kind:     by_value
    .group_segment_fixed_size: 0
    .kernarg_segment_align: 8
    .kernarg_segment_size: 128
    .language:       OpenCL C
    .language_version:
      - 2
      - 0
    .max_flat_workgroup_size: 256
    .name:           _ZN7rocprim17ROCPRIM_400000_NS6detail17trampoline_kernelINS0_14default_configENS1_25partition_config_selectorILNS1_17partition_subalgoE8EiNS0_10empty_typeEbEEZZNS1_14partition_implILS5_8ELb0ES3_jPKiPS6_PKS6_NS0_5tupleIJPiS6_EEENSE_IJSB_SB_EEENS0_18inequality_wrapperIN6hipcub16HIPCUB_304000_NS8EqualityEEEPlJS6_EEE10hipError_tPvRmT3_T4_T5_T6_T7_T9_mT8_P12ihipStream_tbDpT10_ENKUlT_T0_E_clISt17integral_constantIbLb0EES16_IbLb1EEEEDaS12_S13_EUlS12_E_NS1_11comp_targetILNS1_3genE2ELNS1_11target_archE906ELNS1_3gpuE6ELNS1_3repE0EEENS1_30default_config_static_selectorELNS0_4arch9wavefront6targetE1EEEvT1_
    .private_segment_fixed_size: 0
    .sgpr_count:     6
    .sgpr_spill_count: 0
    .symbol:         _ZN7rocprim17ROCPRIM_400000_NS6detail17trampoline_kernelINS0_14default_configENS1_25partition_config_selectorILNS1_17partition_subalgoE8EiNS0_10empty_typeEbEEZZNS1_14partition_implILS5_8ELb0ES3_jPKiPS6_PKS6_NS0_5tupleIJPiS6_EEENSE_IJSB_SB_EEENS0_18inequality_wrapperIN6hipcub16HIPCUB_304000_NS8EqualityEEEPlJS6_EEE10hipError_tPvRmT3_T4_T5_T6_T7_T9_mT8_P12ihipStream_tbDpT10_ENKUlT_T0_E_clISt17integral_constantIbLb0EES16_IbLb1EEEEDaS12_S13_EUlS12_E_NS1_11comp_targetILNS1_3genE2ELNS1_11target_archE906ELNS1_3gpuE6ELNS1_3repE0EEENS1_30default_config_static_selectorELNS0_4arch9wavefront6targetE1EEEvT1_.kd
    .uniform_work_group_size: 1
    .uses_dynamic_stack: false
    .vgpr_count:     0
    .vgpr_spill_count: 0
    .wavefront_size: 64
  - .agpr_count:     0
    .args:
      - .offset:         0
        .size:           128
        .value_kind:     by_value
    .group_segment_fixed_size: 0
    .kernarg_segment_align: 8
    .kernarg_segment_size: 128
    .language:       OpenCL C
    .language_version:
      - 2
      - 0
    .max_flat_workgroup_size: 384
    .name:           _ZN7rocprim17ROCPRIM_400000_NS6detail17trampoline_kernelINS0_14default_configENS1_25partition_config_selectorILNS1_17partition_subalgoE8EiNS0_10empty_typeEbEEZZNS1_14partition_implILS5_8ELb0ES3_jPKiPS6_PKS6_NS0_5tupleIJPiS6_EEENSE_IJSB_SB_EEENS0_18inequality_wrapperIN6hipcub16HIPCUB_304000_NS8EqualityEEEPlJS6_EEE10hipError_tPvRmT3_T4_T5_T6_T7_T9_mT8_P12ihipStream_tbDpT10_ENKUlT_T0_E_clISt17integral_constantIbLb0EES16_IbLb1EEEEDaS12_S13_EUlS12_E_NS1_11comp_targetILNS1_3genE10ELNS1_11target_archE1200ELNS1_3gpuE4ELNS1_3repE0EEENS1_30default_config_static_selectorELNS0_4arch9wavefront6targetE1EEEvT1_
    .private_segment_fixed_size: 0
    .sgpr_count:     6
    .sgpr_spill_count: 0
    .symbol:         _ZN7rocprim17ROCPRIM_400000_NS6detail17trampoline_kernelINS0_14default_configENS1_25partition_config_selectorILNS1_17partition_subalgoE8EiNS0_10empty_typeEbEEZZNS1_14partition_implILS5_8ELb0ES3_jPKiPS6_PKS6_NS0_5tupleIJPiS6_EEENSE_IJSB_SB_EEENS0_18inequality_wrapperIN6hipcub16HIPCUB_304000_NS8EqualityEEEPlJS6_EEE10hipError_tPvRmT3_T4_T5_T6_T7_T9_mT8_P12ihipStream_tbDpT10_ENKUlT_T0_E_clISt17integral_constantIbLb0EES16_IbLb1EEEEDaS12_S13_EUlS12_E_NS1_11comp_targetILNS1_3genE10ELNS1_11target_archE1200ELNS1_3gpuE4ELNS1_3repE0EEENS1_30default_config_static_selectorELNS0_4arch9wavefront6targetE1EEEvT1_.kd
    .uniform_work_group_size: 1
    .uses_dynamic_stack: false
    .vgpr_count:     0
    .vgpr_spill_count: 0
    .wavefront_size: 64
  - .agpr_count:     0
    .args:
      - .offset:         0
        .size:           128
        .value_kind:     by_value
    .group_segment_fixed_size: 0
    .kernarg_segment_align: 8
    .kernarg_segment_size: 128
    .language:       OpenCL C
    .language_version:
      - 2
      - 0
    .max_flat_workgroup_size: 384
    .name:           _ZN7rocprim17ROCPRIM_400000_NS6detail17trampoline_kernelINS0_14default_configENS1_25partition_config_selectorILNS1_17partition_subalgoE8EiNS0_10empty_typeEbEEZZNS1_14partition_implILS5_8ELb0ES3_jPKiPS6_PKS6_NS0_5tupleIJPiS6_EEENSE_IJSB_SB_EEENS0_18inequality_wrapperIN6hipcub16HIPCUB_304000_NS8EqualityEEEPlJS6_EEE10hipError_tPvRmT3_T4_T5_T6_T7_T9_mT8_P12ihipStream_tbDpT10_ENKUlT_T0_E_clISt17integral_constantIbLb0EES16_IbLb1EEEEDaS12_S13_EUlS12_E_NS1_11comp_targetILNS1_3genE9ELNS1_11target_archE1100ELNS1_3gpuE3ELNS1_3repE0EEENS1_30default_config_static_selectorELNS0_4arch9wavefront6targetE1EEEvT1_
    .private_segment_fixed_size: 0
    .sgpr_count:     6
    .sgpr_spill_count: 0
    .symbol:         _ZN7rocprim17ROCPRIM_400000_NS6detail17trampoline_kernelINS0_14default_configENS1_25partition_config_selectorILNS1_17partition_subalgoE8EiNS0_10empty_typeEbEEZZNS1_14partition_implILS5_8ELb0ES3_jPKiPS6_PKS6_NS0_5tupleIJPiS6_EEENSE_IJSB_SB_EEENS0_18inequality_wrapperIN6hipcub16HIPCUB_304000_NS8EqualityEEEPlJS6_EEE10hipError_tPvRmT3_T4_T5_T6_T7_T9_mT8_P12ihipStream_tbDpT10_ENKUlT_T0_E_clISt17integral_constantIbLb0EES16_IbLb1EEEEDaS12_S13_EUlS12_E_NS1_11comp_targetILNS1_3genE9ELNS1_11target_archE1100ELNS1_3gpuE3ELNS1_3repE0EEENS1_30default_config_static_selectorELNS0_4arch9wavefront6targetE1EEEvT1_.kd
    .uniform_work_group_size: 1
    .uses_dynamic_stack: false
    .vgpr_count:     0
    .vgpr_spill_count: 0
    .wavefront_size: 64
  - .agpr_count:     0
    .args:
      - .offset:         0
        .size:           128
        .value_kind:     by_value
    .group_segment_fixed_size: 0
    .kernarg_segment_align: 8
    .kernarg_segment_size: 128
    .language:       OpenCL C
    .language_version:
      - 2
      - 0
    .max_flat_workgroup_size: 512
    .name:           _ZN7rocprim17ROCPRIM_400000_NS6detail17trampoline_kernelINS0_14default_configENS1_25partition_config_selectorILNS1_17partition_subalgoE8EiNS0_10empty_typeEbEEZZNS1_14partition_implILS5_8ELb0ES3_jPKiPS6_PKS6_NS0_5tupleIJPiS6_EEENSE_IJSB_SB_EEENS0_18inequality_wrapperIN6hipcub16HIPCUB_304000_NS8EqualityEEEPlJS6_EEE10hipError_tPvRmT3_T4_T5_T6_T7_T9_mT8_P12ihipStream_tbDpT10_ENKUlT_T0_E_clISt17integral_constantIbLb0EES16_IbLb1EEEEDaS12_S13_EUlS12_E_NS1_11comp_targetILNS1_3genE8ELNS1_11target_archE1030ELNS1_3gpuE2ELNS1_3repE0EEENS1_30default_config_static_selectorELNS0_4arch9wavefront6targetE1EEEvT1_
    .private_segment_fixed_size: 0
    .sgpr_count:     6
    .sgpr_spill_count: 0
    .symbol:         _ZN7rocprim17ROCPRIM_400000_NS6detail17trampoline_kernelINS0_14default_configENS1_25partition_config_selectorILNS1_17partition_subalgoE8EiNS0_10empty_typeEbEEZZNS1_14partition_implILS5_8ELb0ES3_jPKiPS6_PKS6_NS0_5tupleIJPiS6_EEENSE_IJSB_SB_EEENS0_18inequality_wrapperIN6hipcub16HIPCUB_304000_NS8EqualityEEEPlJS6_EEE10hipError_tPvRmT3_T4_T5_T6_T7_T9_mT8_P12ihipStream_tbDpT10_ENKUlT_T0_E_clISt17integral_constantIbLb0EES16_IbLb1EEEEDaS12_S13_EUlS12_E_NS1_11comp_targetILNS1_3genE8ELNS1_11target_archE1030ELNS1_3gpuE2ELNS1_3repE0EEENS1_30default_config_static_selectorELNS0_4arch9wavefront6targetE1EEEvT1_.kd
    .uniform_work_group_size: 1
    .uses_dynamic_stack: false
    .vgpr_count:     0
    .vgpr_spill_count: 0
    .wavefront_size: 64
  - .agpr_count:     0
    .args:
      - .offset:         0
        .size:           128
        .value_kind:     by_value
    .group_segment_fixed_size: 0
    .kernarg_segment_align: 8
    .kernarg_segment_size: 128
    .language:       OpenCL C
    .language_version:
      - 2
      - 0
    .max_flat_workgroup_size: 256
    .name:           _ZN7rocprim17ROCPRIM_400000_NS6detail17trampoline_kernelINS0_14default_configENS1_33run_length_encode_config_selectorIijNS0_4plusIjEEEEZZNS1_33reduce_by_key_impl_wrapped_configILNS1_25lookback_scan_determinismE0ES3_S7_PKiNS0_17constant_iteratorIjlEEPiPlSF_S6_NS0_8equal_toIiEEEE10hipError_tPvRmT2_T3_mT4_T5_T6_T7_T8_P12ihipStream_tbENKUlT_T0_E_clISt17integral_constantIbLb0EESZ_EEDaSU_SV_EUlSU_E_NS1_11comp_targetILNS1_3genE0ELNS1_11target_archE4294967295ELNS1_3gpuE0ELNS1_3repE0EEENS1_30default_config_static_selectorELNS0_4arch9wavefront6targetE1EEEvT1_
    .private_segment_fixed_size: 0
    .sgpr_count:     6
    .sgpr_spill_count: 0
    .symbol:         _ZN7rocprim17ROCPRIM_400000_NS6detail17trampoline_kernelINS0_14default_configENS1_33run_length_encode_config_selectorIijNS0_4plusIjEEEEZZNS1_33reduce_by_key_impl_wrapped_configILNS1_25lookback_scan_determinismE0ES3_S7_PKiNS0_17constant_iteratorIjlEEPiPlSF_S6_NS0_8equal_toIiEEEE10hipError_tPvRmT2_T3_mT4_T5_T6_T7_T8_P12ihipStream_tbENKUlT_T0_E_clISt17integral_constantIbLb0EESZ_EEDaSU_SV_EUlSU_E_NS1_11comp_targetILNS1_3genE0ELNS1_11target_archE4294967295ELNS1_3gpuE0ELNS1_3repE0EEENS1_30default_config_static_selectorELNS0_4arch9wavefront6targetE1EEEvT1_.kd
    .uniform_work_group_size: 1
    .uses_dynamic_stack: false
    .vgpr_count:     0
    .vgpr_spill_count: 0
    .wavefront_size: 64
  - .agpr_count:     0
    .args:
      - .offset:         0
        .size:           128
        .value_kind:     by_value
    .group_segment_fixed_size: 30720
    .kernarg_segment_align: 8
    .kernarg_segment_size: 128
    .language:       OpenCL C
    .language_version:
      - 2
      - 0
    .max_flat_workgroup_size: 512
    .name:           _ZN7rocprim17ROCPRIM_400000_NS6detail17trampoline_kernelINS0_14default_configENS1_33run_length_encode_config_selectorIijNS0_4plusIjEEEEZZNS1_33reduce_by_key_impl_wrapped_configILNS1_25lookback_scan_determinismE0ES3_S7_PKiNS0_17constant_iteratorIjlEEPiPlSF_S6_NS0_8equal_toIiEEEE10hipError_tPvRmT2_T3_mT4_T5_T6_T7_T8_P12ihipStream_tbENKUlT_T0_E_clISt17integral_constantIbLb0EESZ_EEDaSU_SV_EUlSU_E_NS1_11comp_targetILNS1_3genE5ELNS1_11target_archE942ELNS1_3gpuE9ELNS1_3repE0EEENS1_30default_config_static_selectorELNS0_4arch9wavefront6targetE1EEEvT1_
    .private_segment_fixed_size: 0
    .sgpr_count:     70
    .sgpr_spill_count: 0
    .symbol:         _ZN7rocprim17ROCPRIM_400000_NS6detail17trampoline_kernelINS0_14default_configENS1_33run_length_encode_config_selectorIijNS0_4plusIjEEEEZZNS1_33reduce_by_key_impl_wrapped_configILNS1_25lookback_scan_determinismE0ES3_S7_PKiNS0_17constant_iteratorIjlEEPiPlSF_S6_NS0_8equal_toIiEEEE10hipError_tPvRmT2_T3_mT4_T5_T6_T7_T8_P12ihipStream_tbENKUlT_T0_E_clISt17integral_constantIbLb0EESZ_EEDaSU_SV_EUlSU_E_NS1_11comp_targetILNS1_3genE5ELNS1_11target_archE942ELNS1_3gpuE9ELNS1_3repE0EEENS1_30default_config_static_selectorELNS0_4arch9wavefront6targetE1EEEvT1_.kd
    .uniform_work_group_size: 1
    .uses_dynamic_stack: false
    .vgpr_count:     104
    .vgpr_spill_count: 0
    .wavefront_size: 64
  - .agpr_count:     0
    .args:
      - .offset:         0
        .size:           128
        .value_kind:     by_value
    .group_segment_fixed_size: 0
    .kernarg_segment_align: 8
    .kernarg_segment_size: 128
    .language:       OpenCL C
    .language_version:
      - 2
      - 0
    .max_flat_workgroup_size: 256
    .name:           _ZN7rocprim17ROCPRIM_400000_NS6detail17trampoline_kernelINS0_14default_configENS1_33run_length_encode_config_selectorIijNS0_4plusIjEEEEZZNS1_33reduce_by_key_impl_wrapped_configILNS1_25lookback_scan_determinismE0ES3_S7_PKiNS0_17constant_iteratorIjlEEPiPlSF_S6_NS0_8equal_toIiEEEE10hipError_tPvRmT2_T3_mT4_T5_T6_T7_T8_P12ihipStream_tbENKUlT_T0_E_clISt17integral_constantIbLb0EESZ_EEDaSU_SV_EUlSU_E_NS1_11comp_targetILNS1_3genE4ELNS1_11target_archE910ELNS1_3gpuE8ELNS1_3repE0EEENS1_30default_config_static_selectorELNS0_4arch9wavefront6targetE1EEEvT1_
    .private_segment_fixed_size: 0
    .sgpr_count:     6
    .sgpr_spill_count: 0
    .symbol:         _ZN7rocprim17ROCPRIM_400000_NS6detail17trampoline_kernelINS0_14default_configENS1_33run_length_encode_config_selectorIijNS0_4plusIjEEEEZZNS1_33reduce_by_key_impl_wrapped_configILNS1_25lookback_scan_determinismE0ES3_S7_PKiNS0_17constant_iteratorIjlEEPiPlSF_S6_NS0_8equal_toIiEEEE10hipError_tPvRmT2_T3_mT4_T5_T6_T7_T8_P12ihipStream_tbENKUlT_T0_E_clISt17integral_constantIbLb0EESZ_EEDaSU_SV_EUlSU_E_NS1_11comp_targetILNS1_3genE4ELNS1_11target_archE910ELNS1_3gpuE8ELNS1_3repE0EEENS1_30default_config_static_selectorELNS0_4arch9wavefront6targetE1EEEvT1_.kd
    .uniform_work_group_size: 1
    .uses_dynamic_stack: false
    .vgpr_count:     0
    .vgpr_spill_count: 0
    .wavefront_size: 64
  - .agpr_count:     0
    .args:
      - .offset:         0
        .size:           128
        .value_kind:     by_value
    .group_segment_fixed_size: 0
    .kernarg_segment_align: 8
    .kernarg_segment_size: 128
    .language:       OpenCL C
    .language_version:
      - 2
      - 0
    .max_flat_workgroup_size: 256
    .name:           _ZN7rocprim17ROCPRIM_400000_NS6detail17trampoline_kernelINS0_14default_configENS1_33run_length_encode_config_selectorIijNS0_4plusIjEEEEZZNS1_33reduce_by_key_impl_wrapped_configILNS1_25lookback_scan_determinismE0ES3_S7_PKiNS0_17constant_iteratorIjlEEPiPlSF_S6_NS0_8equal_toIiEEEE10hipError_tPvRmT2_T3_mT4_T5_T6_T7_T8_P12ihipStream_tbENKUlT_T0_E_clISt17integral_constantIbLb0EESZ_EEDaSU_SV_EUlSU_E_NS1_11comp_targetILNS1_3genE3ELNS1_11target_archE908ELNS1_3gpuE7ELNS1_3repE0EEENS1_30default_config_static_selectorELNS0_4arch9wavefront6targetE1EEEvT1_
    .private_segment_fixed_size: 0
    .sgpr_count:     6
    .sgpr_spill_count: 0
    .symbol:         _ZN7rocprim17ROCPRIM_400000_NS6detail17trampoline_kernelINS0_14default_configENS1_33run_length_encode_config_selectorIijNS0_4plusIjEEEEZZNS1_33reduce_by_key_impl_wrapped_configILNS1_25lookback_scan_determinismE0ES3_S7_PKiNS0_17constant_iteratorIjlEEPiPlSF_S6_NS0_8equal_toIiEEEE10hipError_tPvRmT2_T3_mT4_T5_T6_T7_T8_P12ihipStream_tbENKUlT_T0_E_clISt17integral_constantIbLb0EESZ_EEDaSU_SV_EUlSU_E_NS1_11comp_targetILNS1_3genE3ELNS1_11target_archE908ELNS1_3gpuE7ELNS1_3repE0EEENS1_30default_config_static_selectorELNS0_4arch9wavefront6targetE1EEEvT1_.kd
    .uniform_work_group_size: 1
    .uses_dynamic_stack: false
    .vgpr_count:     0
    .vgpr_spill_count: 0
    .wavefront_size: 64
  - .agpr_count:     0
    .args:
      - .offset:         0
        .size:           128
        .value_kind:     by_value
    .group_segment_fixed_size: 0
    .kernarg_segment_align: 8
    .kernarg_segment_size: 128
    .language:       OpenCL C
    .language_version:
      - 2
      - 0
    .max_flat_workgroup_size: 256
    .name:           _ZN7rocprim17ROCPRIM_400000_NS6detail17trampoline_kernelINS0_14default_configENS1_33run_length_encode_config_selectorIijNS0_4plusIjEEEEZZNS1_33reduce_by_key_impl_wrapped_configILNS1_25lookback_scan_determinismE0ES3_S7_PKiNS0_17constant_iteratorIjlEEPiPlSF_S6_NS0_8equal_toIiEEEE10hipError_tPvRmT2_T3_mT4_T5_T6_T7_T8_P12ihipStream_tbENKUlT_T0_E_clISt17integral_constantIbLb0EESZ_EEDaSU_SV_EUlSU_E_NS1_11comp_targetILNS1_3genE2ELNS1_11target_archE906ELNS1_3gpuE6ELNS1_3repE0EEENS1_30default_config_static_selectorELNS0_4arch9wavefront6targetE1EEEvT1_
    .private_segment_fixed_size: 0
    .sgpr_count:     6
    .sgpr_spill_count: 0
    .symbol:         _ZN7rocprim17ROCPRIM_400000_NS6detail17trampoline_kernelINS0_14default_configENS1_33run_length_encode_config_selectorIijNS0_4plusIjEEEEZZNS1_33reduce_by_key_impl_wrapped_configILNS1_25lookback_scan_determinismE0ES3_S7_PKiNS0_17constant_iteratorIjlEEPiPlSF_S6_NS0_8equal_toIiEEEE10hipError_tPvRmT2_T3_mT4_T5_T6_T7_T8_P12ihipStream_tbENKUlT_T0_E_clISt17integral_constantIbLb0EESZ_EEDaSU_SV_EUlSU_E_NS1_11comp_targetILNS1_3genE2ELNS1_11target_archE906ELNS1_3gpuE6ELNS1_3repE0EEENS1_30default_config_static_selectorELNS0_4arch9wavefront6targetE1EEEvT1_.kd
    .uniform_work_group_size: 1
    .uses_dynamic_stack: false
    .vgpr_count:     0
    .vgpr_spill_count: 0
    .wavefront_size: 64
  - .agpr_count:     0
    .args:
      - .offset:         0
        .size:           128
        .value_kind:     by_value
    .group_segment_fixed_size: 0
    .kernarg_segment_align: 8
    .kernarg_segment_size: 128
    .language:       OpenCL C
    .language_version:
      - 2
      - 0
    .max_flat_workgroup_size: 384
    .name:           _ZN7rocprim17ROCPRIM_400000_NS6detail17trampoline_kernelINS0_14default_configENS1_33run_length_encode_config_selectorIijNS0_4plusIjEEEEZZNS1_33reduce_by_key_impl_wrapped_configILNS1_25lookback_scan_determinismE0ES3_S7_PKiNS0_17constant_iteratorIjlEEPiPlSF_S6_NS0_8equal_toIiEEEE10hipError_tPvRmT2_T3_mT4_T5_T6_T7_T8_P12ihipStream_tbENKUlT_T0_E_clISt17integral_constantIbLb0EESZ_EEDaSU_SV_EUlSU_E_NS1_11comp_targetILNS1_3genE10ELNS1_11target_archE1201ELNS1_3gpuE5ELNS1_3repE0EEENS1_30default_config_static_selectorELNS0_4arch9wavefront6targetE1EEEvT1_
    .private_segment_fixed_size: 0
    .sgpr_count:     6
    .sgpr_spill_count: 0
    .symbol:         _ZN7rocprim17ROCPRIM_400000_NS6detail17trampoline_kernelINS0_14default_configENS1_33run_length_encode_config_selectorIijNS0_4plusIjEEEEZZNS1_33reduce_by_key_impl_wrapped_configILNS1_25lookback_scan_determinismE0ES3_S7_PKiNS0_17constant_iteratorIjlEEPiPlSF_S6_NS0_8equal_toIiEEEE10hipError_tPvRmT2_T3_mT4_T5_T6_T7_T8_P12ihipStream_tbENKUlT_T0_E_clISt17integral_constantIbLb0EESZ_EEDaSU_SV_EUlSU_E_NS1_11comp_targetILNS1_3genE10ELNS1_11target_archE1201ELNS1_3gpuE5ELNS1_3repE0EEENS1_30default_config_static_selectorELNS0_4arch9wavefront6targetE1EEEvT1_.kd
    .uniform_work_group_size: 1
    .uses_dynamic_stack: false
    .vgpr_count:     0
    .vgpr_spill_count: 0
    .wavefront_size: 64
  - .agpr_count:     0
    .args:
      - .offset:         0
        .size:           128
        .value_kind:     by_value
    .group_segment_fixed_size: 0
    .kernarg_segment_align: 8
    .kernarg_segment_size: 128
    .language:       OpenCL C
    .language_version:
      - 2
      - 0
    .max_flat_workgroup_size: 256
    .name:           _ZN7rocprim17ROCPRIM_400000_NS6detail17trampoline_kernelINS0_14default_configENS1_33run_length_encode_config_selectorIijNS0_4plusIjEEEEZZNS1_33reduce_by_key_impl_wrapped_configILNS1_25lookback_scan_determinismE0ES3_S7_PKiNS0_17constant_iteratorIjlEEPiPlSF_S6_NS0_8equal_toIiEEEE10hipError_tPvRmT2_T3_mT4_T5_T6_T7_T8_P12ihipStream_tbENKUlT_T0_E_clISt17integral_constantIbLb0EESZ_EEDaSU_SV_EUlSU_E_NS1_11comp_targetILNS1_3genE10ELNS1_11target_archE1200ELNS1_3gpuE4ELNS1_3repE0EEENS1_30default_config_static_selectorELNS0_4arch9wavefront6targetE1EEEvT1_
    .private_segment_fixed_size: 0
    .sgpr_count:     6
    .sgpr_spill_count: 0
    .symbol:         _ZN7rocprim17ROCPRIM_400000_NS6detail17trampoline_kernelINS0_14default_configENS1_33run_length_encode_config_selectorIijNS0_4plusIjEEEEZZNS1_33reduce_by_key_impl_wrapped_configILNS1_25lookback_scan_determinismE0ES3_S7_PKiNS0_17constant_iteratorIjlEEPiPlSF_S6_NS0_8equal_toIiEEEE10hipError_tPvRmT2_T3_mT4_T5_T6_T7_T8_P12ihipStream_tbENKUlT_T0_E_clISt17integral_constantIbLb0EESZ_EEDaSU_SV_EUlSU_E_NS1_11comp_targetILNS1_3genE10ELNS1_11target_archE1200ELNS1_3gpuE4ELNS1_3repE0EEENS1_30default_config_static_selectorELNS0_4arch9wavefront6targetE1EEEvT1_.kd
    .uniform_work_group_size: 1
    .uses_dynamic_stack: false
    .vgpr_count:     0
    .vgpr_spill_count: 0
    .wavefront_size: 64
  - .agpr_count:     0
    .args:
      - .offset:         0
        .size:           128
        .value_kind:     by_value
    .group_segment_fixed_size: 0
    .kernarg_segment_align: 8
    .kernarg_segment_size: 128
    .language:       OpenCL C
    .language_version:
      - 2
      - 0
    .max_flat_workgroup_size: 512
    .name:           _ZN7rocprim17ROCPRIM_400000_NS6detail17trampoline_kernelINS0_14default_configENS1_33run_length_encode_config_selectorIijNS0_4plusIjEEEEZZNS1_33reduce_by_key_impl_wrapped_configILNS1_25lookback_scan_determinismE0ES3_S7_PKiNS0_17constant_iteratorIjlEEPiPlSF_S6_NS0_8equal_toIiEEEE10hipError_tPvRmT2_T3_mT4_T5_T6_T7_T8_P12ihipStream_tbENKUlT_T0_E_clISt17integral_constantIbLb0EESZ_EEDaSU_SV_EUlSU_E_NS1_11comp_targetILNS1_3genE9ELNS1_11target_archE1100ELNS1_3gpuE3ELNS1_3repE0EEENS1_30default_config_static_selectorELNS0_4arch9wavefront6targetE1EEEvT1_
    .private_segment_fixed_size: 0
    .sgpr_count:     6
    .sgpr_spill_count: 0
    .symbol:         _ZN7rocprim17ROCPRIM_400000_NS6detail17trampoline_kernelINS0_14default_configENS1_33run_length_encode_config_selectorIijNS0_4plusIjEEEEZZNS1_33reduce_by_key_impl_wrapped_configILNS1_25lookback_scan_determinismE0ES3_S7_PKiNS0_17constant_iteratorIjlEEPiPlSF_S6_NS0_8equal_toIiEEEE10hipError_tPvRmT2_T3_mT4_T5_T6_T7_T8_P12ihipStream_tbENKUlT_T0_E_clISt17integral_constantIbLb0EESZ_EEDaSU_SV_EUlSU_E_NS1_11comp_targetILNS1_3genE9ELNS1_11target_archE1100ELNS1_3gpuE3ELNS1_3repE0EEENS1_30default_config_static_selectorELNS0_4arch9wavefront6targetE1EEEvT1_.kd
    .uniform_work_group_size: 1
    .uses_dynamic_stack: false
    .vgpr_count:     0
    .vgpr_spill_count: 0
    .wavefront_size: 64
  - .agpr_count:     0
    .args:
      - .offset:         0
        .size:           128
        .value_kind:     by_value
    .group_segment_fixed_size: 0
    .kernarg_segment_align: 8
    .kernarg_segment_size: 128
    .language:       OpenCL C
    .language_version:
      - 2
      - 0
    .max_flat_workgroup_size: 192
    .name:           _ZN7rocprim17ROCPRIM_400000_NS6detail17trampoline_kernelINS0_14default_configENS1_33run_length_encode_config_selectorIijNS0_4plusIjEEEEZZNS1_33reduce_by_key_impl_wrapped_configILNS1_25lookback_scan_determinismE0ES3_S7_PKiNS0_17constant_iteratorIjlEEPiPlSF_S6_NS0_8equal_toIiEEEE10hipError_tPvRmT2_T3_mT4_T5_T6_T7_T8_P12ihipStream_tbENKUlT_T0_E_clISt17integral_constantIbLb0EESZ_EEDaSU_SV_EUlSU_E_NS1_11comp_targetILNS1_3genE8ELNS1_11target_archE1030ELNS1_3gpuE2ELNS1_3repE0EEENS1_30default_config_static_selectorELNS0_4arch9wavefront6targetE1EEEvT1_
    .private_segment_fixed_size: 0
    .sgpr_count:     6
    .sgpr_spill_count: 0
    .symbol:         _ZN7rocprim17ROCPRIM_400000_NS6detail17trampoline_kernelINS0_14default_configENS1_33run_length_encode_config_selectorIijNS0_4plusIjEEEEZZNS1_33reduce_by_key_impl_wrapped_configILNS1_25lookback_scan_determinismE0ES3_S7_PKiNS0_17constant_iteratorIjlEEPiPlSF_S6_NS0_8equal_toIiEEEE10hipError_tPvRmT2_T3_mT4_T5_T6_T7_T8_P12ihipStream_tbENKUlT_T0_E_clISt17integral_constantIbLb0EESZ_EEDaSU_SV_EUlSU_E_NS1_11comp_targetILNS1_3genE8ELNS1_11target_archE1030ELNS1_3gpuE2ELNS1_3repE0EEENS1_30default_config_static_selectorELNS0_4arch9wavefront6targetE1EEEvT1_.kd
    .uniform_work_group_size: 1
    .uses_dynamic_stack: false
    .vgpr_count:     0
    .vgpr_spill_count: 0
    .wavefront_size: 64
  - .agpr_count:     0
    .args:
      - .offset:         0
        .size:           128
        .value_kind:     by_value
    .group_segment_fixed_size: 0
    .kernarg_segment_align: 8
    .kernarg_segment_size: 128
    .language:       OpenCL C
    .language_version:
      - 2
      - 0
    .max_flat_workgroup_size: 256
    .name:           _ZN7rocprim17ROCPRIM_400000_NS6detail17trampoline_kernelINS0_14default_configENS1_33run_length_encode_config_selectorIijNS0_4plusIjEEEEZZNS1_33reduce_by_key_impl_wrapped_configILNS1_25lookback_scan_determinismE0ES3_S7_PKiNS0_17constant_iteratorIjlEEPiPlSF_S6_NS0_8equal_toIiEEEE10hipError_tPvRmT2_T3_mT4_T5_T6_T7_T8_P12ihipStream_tbENKUlT_T0_E_clISt17integral_constantIbLb1EESZ_EEDaSU_SV_EUlSU_E_NS1_11comp_targetILNS1_3genE0ELNS1_11target_archE4294967295ELNS1_3gpuE0ELNS1_3repE0EEENS1_30default_config_static_selectorELNS0_4arch9wavefront6targetE1EEEvT1_
    .private_segment_fixed_size: 0
    .sgpr_count:     6
    .sgpr_spill_count: 0
    .symbol:         _ZN7rocprim17ROCPRIM_400000_NS6detail17trampoline_kernelINS0_14default_configENS1_33run_length_encode_config_selectorIijNS0_4plusIjEEEEZZNS1_33reduce_by_key_impl_wrapped_configILNS1_25lookback_scan_determinismE0ES3_S7_PKiNS0_17constant_iteratorIjlEEPiPlSF_S6_NS0_8equal_toIiEEEE10hipError_tPvRmT2_T3_mT4_T5_T6_T7_T8_P12ihipStream_tbENKUlT_T0_E_clISt17integral_constantIbLb1EESZ_EEDaSU_SV_EUlSU_E_NS1_11comp_targetILNS1_3genE0ELNS1_11target_archE4294967295ELNS1_3gpuE0ELNS1_3repE0EEENS1_30default_config_static_selectorELNS0_4arch9wavefront6targetE1EEEvT1_.kd
    .uniform_work_group_size: 1
    .uses_dynamic_stack: false
    .vgpr_count:     0
    .vgpr_spill_count: 0
    .wavefront_size: 64
  - .agpr_count:     0
    .args:
      - .offset:         0
        .size:           128
        .value_kind:     by_value
    .group_segment_fixed_size: 30720
    .kernarg_segment_align: 8
    .kernarg_segment_size: 128
    .language:       OpenCL C
    .language_version:
      - 2
      - 0
    .max_flat_workgroup_size: 512
    .name:           _ZN7rocprim17ROCPRIM_400000_NS6detail17trampoline_kernelINS0_14default_configENS1_33run_length_encode_config_selectorIijNS0_4plusIjEEEEZZNS1_33reduce_by_key_impl_wrapped_configILNS1_25lookback_scan_determinismE0ES3_S7_PKiNS0_17constant_iteratorIjlEEPiPlSF_S6_NS0_8equal_toIiEEEE10hipError_tPvRmT2_T3_mT4_T5_T6_T7_T8_P12ihipStream_tbENKUlT_T0_E_clISt17integral_constantIbLb1EESZ_EEDaSU_SV_EUlSU_E_NS1_11comp_targetILNS1_3genE5ELNS1_11target_archE942ELNS1_3gpuE9ELNS1_3repE0EEENS1_30default_config_static_selectorELNS0_4arch9wavefront6targetE1EEEvT1_
    .private_segment_fixed_size: 0
    .sgpr_count:     72
    .sgpr_spill_count: 0
    .symbol:         _ZN7rocprim17ROCPRIM_400000_NS6detail17trampoline_kernelINS0_14default_configENS1_33run_length_encode_config_selectorIijNS0_4plusIjEEEEZZNS1_33reduce_by_key_impl_wrapped_configILNS1_25lookback_scan_determinismE0ES3_S7_PKiNS0_17constant_iteratorIjlEEPiPlSF_S6_NS0_8equal_toIiEEEE10hipError_tPvRmT2_T3_mT4_T5_T6_T7_T8_P12ihipStream_tbENKUlT_T0_E_clISt17integral_constantIbLb1EESZ_EEDaSU_SV_EUlSU_E_NS1_11comp_targetILNS1_3genE5ELNS1_11target_archE942ELNS1_3gpuE9ELNS1_3repE0EEENS1_30default_config_static_selectorELNS0_4arch9wavefront6targetE1EEEvT1_.kd
    .uniform_work_group_size: 1
    .uses_dynamic_stack: false
    .vgpr_count:     104
    .vgpr_spill_count: 0
    .wavefront_size: 64
  - .agpr_count:     0
    .args:
      - .offset:         0
        .size:           128
        .value_kind:     by_value
    .group_segment_fixed_size: 0
    .kernarg_segment_align: 8
    .kernarg_segment_size: 128
    .language:       OpenCL C
    .language_version:
      - 2
      - 0
    .max_flat_workgroup_size: 256
    .name:           _ZN7rocprim17ROCPRIM_400000_NS6detail17trampoline_kernelINS0_14default_configENS1_33run_length_encode_config_selectorIijNS0_4plusIjEEEEZZNS1_33reduce_by_key_impl_wrapped_configILNS1_25lookback_scan_determinismE0ES3_S7_PKiNS0_17constant_iteratorIjlEEPiPlSF_S6_NS0_8equal_toIiEEEE10hipError_tPvRmT2_T3_mT4_T5_T6_T7_T8_P12ihipStream_tbENKUlT_T0_E_clISt17integral_constantIbLb1EESZ_EEDaSU_SV_EUlSU_E_NS1_11comp_targetILNS1_3genE4ELNS1_11target_archE910ELNS1_3gpuE8ELNS1_3repE0EEENS1_30default_config_static_selectorELNS0_4arch9wavefront6targetE1EEEvT1_
    .private_segment_fixed_size: 0
    .sgpr_count:     6
    .sgpr_spill_count: 0
    .symbol:         _ZN7rocprim17ROCPRIM_400000_NS6detail17trampoline_kernelINS0_14default_configENS1_33run_length_encode_config_selectorIijNS0_4plusIjEEEEZZNS1_33reduce_by_key_impl_wrapped_configILNS1_25lookback_scan_determinismE0ES3_S7_PKiNS0_17constant_iteratorIjlEEPiPlSF_S6_NS0_8equal_toIiEEEE10hipError_tPvRmT2_T3_mT4_T5_T6_T7_T8_P12ihipStream_tbENKUlT_T0_E_clISt17integral_constantIbLb1EESZ_EEDaSU_SV_EUlSU_E_NS1_11comp_targetILNS1_3genE4ELNS1_11target_archE910ELNS1_3gpuE8ELNS1_3repE0EEENS1_30default_config_static_selectorELNS0_4arch9wavefront6targetE1EEEvT1_.kd
    .uniform_work_group_size: 1
    .uses_dynamic_stack: false
    .vgpr_count:     0
    .vgpr_spill_count: 0
    .wavefront_size: 64
  - .agpr_count:     0
    .args:
      - .offset:         0
        .size:           128
        .value_kind:     by_value
    .group_segment_fixed_size: 0
    .kernarg_segment_align: 8
    .kernarg_segment_size: 128
    .language:       OpenCL C
    .language_version:
      - 2
      - 0
    .max_flat_workgroup_size: 256
    .name:           _ZN7rocprim17ROCPRIM_400000_NS6detail17trampoline_kernelINS0_14default_configENS1_33run_length_encode_config_selectorIijNS0_4plusIjEEEEZZNS1_33reduce_by_key_impl_wrapped_configILNS1_25lookback_scan_determinismE0ES3_S7_PKiNS0_17constant_iteratorIjlEEPiPlSF_S6_NS0_8equal_toIiEEEE10hipError_tPvRmT2_T3_mT4_T5_T6_T7_T8_P12ihipStream_tbENKUlT_T0_E_clISt17integral_constantIbLb1EESZ_EEDaSU_SV_EUlSU_E_NS1_11comp_targetILNS1_3genE3ELNS1_11target_archE908ELNS1_3gpuE7ELNS1_3repE0EEENS1_30default_config_static_selectorELNS0_4arch9wavefront6targetE1EEEvT1_
    .private_segment_fixed_size: 0
    .sgpr_count:     6
    .sgpr_spill_count: 0
    .symbol:         _ZN7rocprim17ROCPRIM_400000_NS6detail17trampoline_kernelINS0_14default_configENS1_33run_length_encode_config_selectorIijNS0_4plusIjEEEEZZNS1_33reduce_by_key_impl_wrapped_configILNS1_25lookback_scan_determinismE0ES3_S7_PKiNS0_17constant_iteratorIjlEEPiPlSF_S6_NS0_8equal_toIiEEEE10hipError_tPvRmT2_T3_mT4_T5_T6_T7_T8_P12ihipStream_tbENKUlT_T0_E_clISt17integral_constantIbLb1EESZ_EEDaSU_SV_EUlSU_E_NS1_11comp_targetILNS1_3genE3ELNS1_11target_archE908ELNS1_3gpuE7ELNS1_3repE0EEENS1_30default_config_static_selectorELNS0_4arch9wavefront6targetE1EEEvT1_.kd
    .uniform_work_group_size: 1
    .uses_dynamic_stack: false
    .vgpr_count:     0
    .vgpr_spill_count: 0
    .wavefront_size: 64
  - .agpr_count:     0
    .args:
      - .offset:         0
        .size:           128
        .value_kind:     by_value
    .group_segment_fixed_size: 0
    .kernarg_segment_align: 8
    .kernarg_segment_size: 128
    .language:       OpenCL C
    .language_version:
      - 2
      - 0
    .max_flat_workgroup_size: 256
    .name:           _ZN7rocprim17ROCPRIM_400000_NS6detail17trampoline_kernelINS0_14default_configENS1_33run_length_encode_config_selectorIijNS0_4plusIjEEEEZZNS1_33reduce_by_key_impl_wrapped_configILNS1_25lookback_scan_determinismE0ES3_S7_PKiNS0_17constant_iteratorIjlEEPiPlSF_S6_NS0_8equal_toIiEEEE10hipError_tPvRmT2_T3_mT4_T5_T6_T7_T8_P12ihipStream_tbENKUlT_T0_E_clISt17integral_constantIbLb1EESZ_EEDaSU_SV_EUlSU_E_NS1_11comp_targetILNS1_3genE2ELNS1_11target_archE906ELNS1_3gpuE6ELNS1_3repE0EEENS1_30default_config_static_selectorELNS0_4arch9wavefront6targetE1EEEvT1_
    .private_segment_fixed_size: 0
    .sgpr_count:     6
    .sgpr_spill_count: 0
    .symbol:         _ZN7rocprim17ROCPRIM_400000_NS6detail17trampoline_kernelINS0_14default_configENS1_33run_length_encode_config_selectorIijNS0_4plusIjEEEEZZNS1_33reduce_by_key_impl_wrapped_configILNS1_25lookback_scan_determinismE0ES3_S7_PKiNS0_17constant_iteratorIjlEEPiPlSF_S6_NS0_8equal_toIiEEEE10hipError_tPvRmT2_T3_mT4_T5_T6_T7_T8_P12ihipStream_tbENKUlT_T0_E_clISt17integral_constantIbLb1EESZ_EEDaSU_SV_EUlSU_E_NS1_11comp_targetILNS1_3genE2ELNS1_11target_archE906ELNS1_3gpuE6ELNS1_3repE0EEENS1_30default_config_static_selectorELNS0_4arch9wavefront6targetE1EEEvT1_.kd
    .uniform_work_group_size: 1
    .uses_dynamic_stack: false
    .vgpr_count:     0
    .vgpr_spill_count: 0
    .wavefront_size: 64
  - .agpr_count:     0
    .args:
      - .offset:         0
        .size:           128
        .value_kind:     by_value
    .group_segment_fixed_size: 0
    .kernarg_segment_align: 8
    .kernarg_segment_size: 128
    .language:       OpenCL C
    .language_version:
      - 2
      - 0
    .max_flat_workgroup_size: 384
    .name:           _ZN7rocprim17ROCPRIM_400000_NS6detail17trampoline_kernelINS0_14default_configENS1_33run_length_encode_config_selectorIijNS0_4plusIjEEEEZZNS1_33reduce_by_key_impl_wrapped_configILNS1_25lookback_scan_determinismE0ES3_S7_PKiNS0_17constant_iteratorIjlEEPiPlSF_S6_NS0_8equal_toIiEEEE10hipError_tPvRmT2_T3_mT4_T5_T6_T7_T8_P12ihipStream_tbENKUlT_T0_E_clISt17integral_constantIbLb1EESZ_EEDaSU_SV_EUlSU_E_NS1_11comp_targetILNS1_3genE10ELNS1_11target_archE1201ELNS1_3gpuE5ELNS1_3repE0EEENS1_30default_config_static_selectorELNS0_4arch9wavefront6targetE1EEEvT1_
    .private_segment_fixed_size: 0
    .sgpr_count:     6
    .sgpr_spill_count: 0
    .symbol:         _ZN7rocprim17ROCPRIM_400000_NS6detail17trampoline_kernelINS0_14default_configENS1_33run_length_encode_config_selectorIijNS0_4plusIjEEEEZZNS1_33reduce_by_key_impl_wrapped_configILNS1_25lookback_scan_determinismE0ES3_S7_PKiNS0_17constant_iteratorIjlEEPiPlSF_S6_NS0_8equal_toIiEEEE10hipError_tPvRmT2_T3_mT4_T5_T6_T7_T8_P12ihipStream_tbENKUlT_T0_E_clISt17integral_constantIbLb1EESZ_EEDaSU_SV_EUlSU_E_NS1_11comp_targetILNS1_3genE10ELNS1_11target_archE1201ELNS1_3gpuE5ELNS1_3repE0EEENS1_30default_config_static_selectorELNS0_4arch9wavefront6targetE1EEEvT1_.kd
    .uniform_work_group_size: 1
    .uses_dynamic_stack: false
    .vgpr_count:     0
    .vgpr_spill_count: 0
    .wavefront_size: 64
  - .agpr_count:     0
    .args:
      - .offset:         0
        .size:           128
        .value_kind:     by_value
    .group_segment_fixed_size: 0
    .kernarg_segment_align: 8
    .kernarg_segment_size: 128
    .language:       OpenCL C
    .language_version:
      - 2
      - 0
    .max_flat_workgroup_size: 256
    .name:           _ZN7rocprim17ROCPRIM_400000_NS6detail17trampoline_kernelINS0_14default_configENS1_33run_length_encode_config_selectorIijNS0_4plusIjEEEEZZNS1_33reduce_by_key_impl_wrapped_configILNS1_25lookback_scan_determinismE0ES3_S7_PKiNS0_17constant_iteratorIjlEEPiPlSF_S6_NS0_8equal_toIiEEEE10hipError_tPvRmT2_T3_mT4_T5_T6_T7_T8_P12ihipStream_tbENKUlT_T0_E_clISt17integral_constantIbLb1EESZ_EEDaSU_SV_EUlSU_E_NS1_11comp_targetILNS1_3genE10ELNS1_11target_archE1200ELNS1_3gpuE4ELNS1_3repE0EEENS1_30default_config_static_selectorELNS0_4arch9wavefront6targetE1EEEvT1_
    .private_segment_fixed_size: 0
    .sgpr_count:     6
    .sgpr_spill_count: 0
    .symbol:         _ZN7rocprim17ROCPRIM_400000_NS6detail17trampoline_kernelINS0_14default_configENS1_33run_length_encode_config_selectorIijNS0_4plusIjEEEEZZNS1_33reduce_by_key_impl_wrapped_configILNS1_25lookback_scan_determinismE0ES3_S7_PKiNS0_17constant_iteratorIjlEEPiPlSF_S6_NS0_8equal_toIiEEEE10hipError_tPvRmT2_T3_mT4_T5_T6_T7_T8_P12ihipStream_tbENKUlT_T0_E_clISt17integral_constantIbLb1EESZ_EEDaSU_SV_EUlSU_E_NS1_11comp_targetILNS1_3genE10ELNS1_11target_archE1200ELNS1_3gpuE4ELNS1_3repE0EEENS1_30default_config_static_selectorELNS0_4arch9wavefront6targetE1EEEvT1_.kd
    .uniform_work_group_size: 1
    .uses_dynamic_stack: false
    .vgpr_count:     0
    .vgpr_spill_count: 0
    .wavefront_size: 64
  - .agpr_count:     0
    .args:
      - .offset:         0
        .size:           128
        .value_kind:     by_value
    .group_segment_fixed_size: 0
    .kernarg_segment_align: 8
    .kernarg_segment_size: 128
    .language:       OpenCL C
    .language_version:
      - 2
      - 0
    .max_flat_workgroup_size: 512
    .name:           _ZN7rocprim17ROCPRIM_400000_NS6detail17trampoline_kernelINS0_14default_configENS1_33run_length_encode_config_selectorIijNS0_4plusIjEEEEZZNS1_33reduce_by_key_impl_wrapped_configILNS1_25lookback_scan_determinismE0ES3_S7_PKiNS0_17constant_iteratorIjlEEPiPlSF_S6_NS0_8equal_toIiEEEE10hipError_tPvRmT2_T3_mT4_T5_T6_T7_T8_P12ihipStream_tbENKUlT_T0_E_clISt17integral_constantIbLb1EESZ_EEDaSU_SV_EUlSU_E_NS1_11comp_targetILNS1_3genE9ELNS1_11target_archE1100ELNS1_3gpuE3ELNS1_3repE0EEENS1_30default_config_static_selectorELNS0_4arch9wavefront6targetE1EEEvT1_
    .private_segment_fixed_size: 0
    .sgpr_count:     6
    .sgpr_spill_count: 0
    .symbol:         _ZN7rocprim17ROCPRIM_400000_NS6detail17trampoline_kernelINS0_14default_configENS1_33run_length_encode_config_selectorIijNS0_4plusIjEEEEZZNS1_33reduce_by_key_impl_wrapped_configILNS1_25lookback_scan_determinismE0ES3_S7_PKiNS0_17constant_iteratorIjlEEPiPlSF_S6_NS0_8equal_toIiEEEE10hipError_tPvRmT2_T3_mT4_T5_T6_T7_T8_P12ihipStream_tbENKUlT_T0_E_clISt17integral_constantIbLb1EESZ_EEDaSU_SV_EUlSU_E_NS1_11comp_targetILNS1_3genE9ELNS1_11target_archE1100ELNS1_3gpuE3ELNS1_3repE0EEENS1_30default_config_static_selectorELNS0_4arch9wavefront6targetE1EEEvT1_.kd
    .uniform_work_group_size: 1
    .uses_dynamic_stack: false
    .vgpr_count:     0
    .vgpr_spill_count: 0
    .wavefront_size: 64
  - .agpr_count:     0
    .args:
      - .offset:         0
        .size:           128
        .value_kind:     by_value
    .group_segment_fixed_size: 0
    .kernarg_segment_align: 8
    .kernarg_segment_size: 128
    .language:       OpenCL C
    .language_version:
      - 2
      - 0
    .max_flat_workgroup_size: 192
    .name:           _ZN7rocprim17ROCPRIM_400000_NS6detail17trampoline_kernelINS0_14default_configENS1_33run_length_encode_config_selectorIijNS0_4plusIjEEEEZZNS1_33reduce_by_key_impl_wrapped_configILNS1_25lookback_scan_determinismE0ES3_S7_PKiNS0_17constant_iteratorIjlEEPiPlSF_S6_NS0_8equal_toIiEEEE10hipError_tPvRmT2_T3_mT4_T5_T6_T7_T8_P12ihipStream_tbENKUlT_T0_E_clISt17integral_constantIbLb1EESZ_EEDaSU_SV_EUlSU_E_NS1_11comp_targetILNS1_3genE8ELNS1_11target_archE1030ELNS1_3gpuE2ELNS1_3repE0EEENS1_30default_config_static_selectorELNS0_4arch9wavefront6targetE1EEEvT1_
    .private_segment_fixed_size: 0
    .sgpr_count:     6
    .sgpr_spill_count: 0
    .symbol:         _ZN7rocprim17ROCPRIM_400000_NS6detail17trampoline_kernelINS0_14default_configENS1_33run_length_encode_config_selectorIijNS0_4plusIjEEEEZZNS1_33reduce_by_key_impl_wrapped_configILNS1_25lookback_scan_determinismE0ES3_S7_PKiNS0_17constant_iteratorIjlEEPiPlSF_S6_NS0_8equal_toIiEEEE10hipError_tPvRmT2_T3_mT4_T5_T6_T7_T8_P12ihipStream_tbENKUlT_T0_E_clISt17integral_constantIbLb1EESZ_EEDaSU_SV_EUlSU_E_NS1_11comp_targetILNS1_3genE8ELNS1_11target_archE1030ELNS1_3gpuE2ELNS1_3repE0EEENS1_30default_config_static_selectorELNS0_4arch9wavefront6targetE1EEEvT1_.kd
    .uniform_work_group_size: 1
    .uses_dynamic_stack: false
    .vgpr_count:     0
    .vgpr_spill_count: 0
    .wavefront_size: 64
  - .agpr_count:     0
    .args:
      - .offset:         0
        .size:           128
        .value_kind:     by_value
    .group_segment_fixed_size: 0
    .kernarg_segment_align: 8
    .kernarg_segment_size: 128
    .language:       OpenCL C
    .language_version:
      - 2
      - 0
    .max_flat_workgroup_size: 256
    .name:           _ZN7rocprim17ROCPRIM_400000_NS6detail17trampoline_kernelINS0_14default_configENS1_33run_length_encode_config_selectorIijNS0_4plusIjEEEEZZNS1_33reduce_by_key_impl_wrapped_configILNS1_25lookback_scan_determinismE0ES3_S7_PKiNS0_17constant_iteratorIjlEEPiPlSF_S6_NS0_8equal_toIiEEEE10hipError_tPvRmT2_T3_mT4_T5_T6_T7_T8_P12ihipStream_tbENKUlT_T0_E_clISt17integral_constantIbLb1EESY_IbLb0EEEEDaSU_SV_EUlSU_E_NS1_11comp_targetILNS1_3genE0ELNS1_11target_archE4294967295ELNS1_3gpuE0ELNS1_3repE0EEENS1_30default_config_static_selectorELNS0_4arch9wavefront6targetE1EEEvT1_
    .private_segment_fixed_size: 0
    .sgpr_count:     6
    .sgpr_spill_count: 0
    .symbol:         _ZN7rocprim17ROCPRIM_400000_NS6detail17trampoline_kernelINS0_14default_configENS1_33run_length_encode_config_selectorIijNS0_4plusIjEEEEZZNS1_33reduce_by_key_impl_wrapped_configILNS1_25lookback_scan_determinismE0ES3_S7_PKiNS0_17constant_iteratorIjlEEPiPlSF_S6_NS0_8equal_toIiEEEE10hipError_tPvRmT2_T3_mT4_T5_T6_T7_T8_P12ihipStream_tbENKUlT_T0_E_clISt17integral_constantIbLb1EESY_IbLb0EEEEDaSU_SV_EUlSU_E_NS1_11comp_targetILNS1_3genE0ELNS1_11target_archE4294967295ELNS1_3gpuE0ELNS1_3repE0EEENS1_30default_config_static_selectorELNS0_4arch9wavefront6targetE1EEEvT1_.kd
    .uniform_work_group_size: 1
    .uses_dynamic_stack: false
    .vgpr_count:     0
    .vgpr_spill_count: 0
    .wavefront_size: 64
  - .agpr_count:     0
    .args:
      - .offset:         0
        .size:           128
        .value_kind:     by_value
    .group_segment_fixed_size: 30720
    .kernarg_segment_align: 8
    .kernarg_segment_size: 128
    .language:       OpenCL C
    .language_version:
      - 2
      - 0
    .max_flat_workgroup_size: 512
    .name:           _ZN7rocprim17ROCPRIM_400000_NS6detail17trampoline_kernelINS0_14default_configENS1_33run_length_encode_config_selectorIijNS0_4plusIjEEEEZZNS1_33reduce_by_key_impl_wrapped_configILNS1_25lookback_scan_determinismE0ES3_S7_PKiNS0_17constant_iteratorIjlEEPiPlSF_S6_NS0_8equal_toIiEEEE10hipError_tPvRmT2_T3_mT4_T5_T6_T7_T8_P12ihipStream_tbENKUlT_T0_E_clISt17integral_constantIbLb1EESY_IbLb0EEEEDaSU_SV_EUlSU_E_NS1_11comp_targetILNS1_3genE5ELNS1_11target_archE942ELNS1_3gpuE9ELNS1_3repE0EEENS1_30default_config_static_selectorELNS0_4arch9wavefront6targetE1EEEvT1_
    .private_segment_fixed_size: 0
    .sgpr_count:     70
    .sgpr_spill_count: 0
    .symbol:         _ZN7rocprim17ROCPRIM_400000_NS6detail17trampoline_kernelINS0_14default_configENS1_33run_length_encode_config_selectorIijNS0_4plusIjEEEEZZNS1_33reduce_by_key_impl_wrapped_configILNS1_25lookback_scan_determinismE0ES3_S7_PKiNS0_17constant_iteratorIjlEEPiPlSF_S6_NS0_8equal_toIiEEEE10hipError_tPvRmT2_T3_mT4_T5_T6_T7_T8_P12ihipStream_tbENKUlT_T0_E_clISt17integral_constantIbLb1EESY_IbLb0EEEEDaSU_SV_EUlSU_E_NS1_11comp_targetILNS1_3genE5ELNS1_11target_archE942ELNS1_3gpuE9ELNS1_3repE0EEENS1_30default_config_static_selectorELNS0_4arch9wavefront6targetE1EEEvT1_.kd
    .uniform_work_group_size: 1
    .uses_dynamic_stack: false
    .vgpr_count:     104
    .vgpr_spill_count: 0
    .wavefront_size: 64
  - .agpr_count:     0
    .args:
      - .offset:         0
        .size:           128
        .value_kind:     by_value
    .group_segment_fixed_size: 0
    .kernarg_segment_align: 8
    .kernarg_segment_size: 128
    .language:       OpenCL C
    .language_version:
      - 2
      - 0
    .max_flat_workgroup_size: 256
    .name:           _ZN7rocprim17ROCPRIM_400000_NS6detail17trampoline_kernelINS0_14default_configENS1_33run_length_encode_config_selectorIijNS0_4plusIjEEEEZZNS1_33reduce_by_key_impl_wrapped_configILNS1_25lookback_scan_determinismE0ES3_S7_PKiNS0_17constant_iteratorIjlEEPiPlSF_S6_NS0_8equal_toIiEEEE10hipError_tPvRmT2_T3_mT4_T5_T6_T7_T8_P12ihipStream_tbENKUlT_T0_E_clISt17integral_constantIbLb1EESY_IbLb0EEEEDaSU_SV_EUlSU_E_NS1_11comp_targetILNS1_3genE4ELNS1_11target_archE910ELNS1_3gpuE8ELNS1_3repE0EEENS1_30default_config_static_selectorELNS0_4arch9wavefront6targetE1EEEvT1_
    .private_segment_fixed_size: 0
    .sgpr_count:     6
    .sgpr_spill_count: 0
    .symbol:         _ZN7rocprim17ROCPRIM_400000_NS6detail17trampoline_kernelINS0_14default_configENS1_33run_length_encode_config_selectorIijNS0_4plusIjEEEEZZNS1_33reduce_by_key_impl_wrapped_configILNS1_25lookback_scan_determinismE0ES3_S7_PKiNS0_17constant_iteratorIjlEEPiPlSF_S6_NS0_8equal_toIiEEEE10hipError_tPvRmT2_T3_mT4_T5_T6_T7_T8_P12ihipStream_tbENKUlT_T0_E_clISt17integral_constantIbLb1EESY_IbLb0EEEEDaSU_SV_EUlSU_E_NS1_11comp_targetILNS1_3genE4ELNS1_11target_archE910ELNS1_3gpuE8ELNS1_3repE0EEENS1_30default_config_static_selectorELNS0_4arch9wavefront6targetE1EEEvT1_.kd
    .uniform_work_group_size: 1
    .uses_dynamic_stack: false
    .vgpr_count:     0
    .vgpr_spill_count: 0
    .wavefront_size: 64
  - .agpr_count:     0
    .args:
      - .offset:         0
        .size:           128
        .value_kind:     by_value
    .group_segment_fixed_size: 0
    .kernarg_segment_align: 8
    .kernarg_segment_size: 128
    .language:       OpenCL C
    .language_version:
      - 2
      - 0
    .max_flat_workgroup_size: 256
    .name:           _ZN7rocprim17ROCPRIM_400000_NS6detail17trampoline_kernelINS0_14default_configENS1_33run_length_encode_config_selectorIijNS0_4plusIjEEEEZZNS1_33reduce_by_key_impl_wrapped_configILNS1_25lookback_scan_determinismE0ES3_S7_PKiNS0_17constant_iteratorIjlEEPiPlSF_S6_NS0_8equal_toIiEEEE10hipError_tPvRmT2_T3_mT4_T5_T6_T7_T8_P12ihipStream_tbENKUlT_T0_E_clISt17integral_constantIbLb1EESY_IbLb0EEEEDaSU_SV_EUlSU_E_NS1_11comp_targetILNS1_3genE3ELNS1_11target_archE908ELNS1_3gpuE7ELNS1_3repE0EEENS1_30default_config_static_selectorELNS0_4arch9wavefront6targetE1EEEvT1_
    .private_segment_fixed_size: 0
    .sgpr_count:     6
    .sgpr_spill_count: 0
    .symbol:         _ZN7rocprim17ROCPRIM_400000_NS6detail17trampoline_kernelINS0_14default_configENS1_33run_length_encode_config_selectorIijNS0_4plusIjEEEEZZNS1_33reduce_by_key_impl_wrapped_configILNS1_25lookback_scan_determinismE0ES3_S7_PKiNS0_17constant_iteratorIjlEEPiPlSF_S6_NS0_8equal_toIiEEEE10hipError_tPvRmT2_T3_mT4_T5_T6_T7_T8_P12ihipStream_tbENKUlT_T0_E_clISt17integral_constantIbLb1EESY_IbLb0EEEEDaSU_SV_EUlSU_E_NS1_11comp_targetILNS1_3genE3ELNS1_11target_archE908ELNS1_3gpuE7ELNS1_3repE0EEENS1_30default_config_static_selectorELNS0_4arch9wavefront6targetE1EEEvT1_.kd
    .uniform_work_group_size: 1
    .uses_dynamic_stack: false
    .vgpr_count:     0
    .vgpr_spill_count: 0
    .wavefront_size: 64
  - .agpr_count:     0
    .args:
      - .offset:         0
        .size:           128
        .value_kind:     by_value
    .group_segment_fixed_size: 0
    .kernarg_segment_align: 8
    .kernarg_segment_size: 128
    .language:       OpenCL C
    .language_version:
      - 2
      - 0
    .max_flat_workgroup_size: 256
    .name:           _ZN7rocprim17ROCPRIM_400000_NS6detail17trampoline_kernelINS0_14default_configENS1_33run_length_encode_config_selectorIijNS0_4plusIjEEEEZZNS1_33reduce_by_key_impl_wrapped_configILNS1_25lookback_scan_determinismE0ES3_S7_PKiNS0_17constant_iteratorIjlEEPiPlSF_S6_NS0_8equal_toIiEEEE10hipError_tPvRmT2_T3_mT4_T5_T6_T7_T8_P12ihipStream_tbENKUlT_T0_E_clISt17integral_constantIbLb1EESY_IbLb0EEEEDaSU_SV_EUlSU_E_NS1_11comp_targetILNS1_3genE2ELNS1_11target_archE906ELNS1_3gpuE6ELNS1_3repE0EEENS1_30default_config_static_selectorELNS0_4arch9wavefront6targetE1EEEvT1_
    .private_segment_fixed_size: 0
    .sgpr_count:     6
    .sgpr_spill_count: 0
    .symbol:         _ZN7rocprim17ROCPRIM_400000_NS6detail17trampoline_kernelINS0_14default_configENS1_33run_length_encode_config_selectorIijNS0_4plusIjEEEEZZNS1_33reduce_by_key_impl_wrapped_configILNS1_25lookback_scan_determinismE0ES3_S7_PKiNS0_17constant_iteratorIjlEEPiPlSF_S6_NS0_8equal_toIiEEEE10hipError_tPvRmT2_T3_mT4_T5_T6_T7_T8_P12ihipStream_tbENKUlT_T0_E_clISt17integral_constantIbLb1EESY_IbLb0EEEEDaSU_SV_EUlSU_E_NS1_11comp_targetILNS1_3genE2ELNS1_11target_archE906ELNS1_3gpuE6ELNS1_3repE0EEENS1_30default_config_static_selectorELNS0_4arch9wavefront6targetE1EEEvT1_.kd
    .uniform_work_group_size: 1
    .uses_dynamic_stack: false
    .vgpr_count:     0
    .vgpr_spill_count: 0
    .wavefront_size: 64
  - .agpr_count:     0
    .args:
      - .offset:         0
        .size:           128
        .value_kind:     by_value
    .group_segment_fixed_size: 0
    .kernarg_segment_align: 8
    .kernarg_segment_size: 128
    .language:       OpenCL C
    .language_version:
      - 2
      - 0
    .max_flat_workgroup_size: 384
    .name:           _ZN7rocprim17ROCPRIM_400000_NS6detail17trampoline_kernelINS0_14default_configENS1_33run_length_encode_config_selectorIijNS0_4plusIjEEEEZZNS1_33reduce_by_key_impl_wrapped_configILNS1_25lookback_scan_determinismE0ES3_S7_PKiNS0_17constant_iteratorIjlEEPiPlSF_S6_NS0_8equal_toIiEEEE10hipError_tPvRmT2_T3_mT4_T5_T6_T7_T8_P12ihipStream_tbENKUlT_T0_E_clISt17integral_constantIbLb1EESY_IbLb0EEEEDaSU_SV_EUlSU_E_NS1_11comp_targetILNS1_3genE10ELNS1_11target_archE1201ELNS1_3gpuE5ELNS1_3repE0EEENS1_30default_config_static_selectorELNS0_4arch9wavefront6targetE1EEEvT1_
    .private_segment_fixed_size: 0
    .sgpr_count:     6
    .sgpr_spill_count: 0
    .symbol:         _ZN7rocprim17ROCPRIM_400000_NS6detail17trampoline_kernelINS0_14default_configENS1_33run_length_encode_config_selectorIijNS0_4plusIjEEEEZZNS1_33reduce_by_key_impl_wrapped_configILNS1_25lookback_scan_determinismE0ES3_S7_PKiNS0_17constant_iteratorIjlEEPiPlSF_S6_NS0_8equal_toIiEEEE10hipError_tPvRmT2_T3_mT4_T5_T6_T7_T8_P12ihipStream_tbENKUlT_T0_E_clISt17integral_constantIbLb1EESY_IbLb0EEEEDaSU_SV_EUlSU_E_NS1_11comp_targetILNS1_3genE10ELNS1_11target_archE1201ELNS1_3gpuE5ELNS1_3repE0EEENS1_30default_config_static_selectorELNS0_4arch9wavefront6targetE1EEEvT1_.kd
    .uniform_work_group_size: 1
    .uses_dynamic_stack: false
    .vgpr_count:     0
    .vgpr_spill_count: 0
    .wavefront_size: 64
  - .agpr_count:     0
    .args:
      - .offset:         0
        .size:           128
        .value_kind:     by_value
    .group_segment_fixed_size: 0
    .kernarg_segment_align: 8
    .kernarg_segment_size: 128
    .language:       OpenCL C
    .language_version:
      - 2
      - 0
    .max_flat_workgroup_size: 256
    .name:           _ZN7rocprim17ROCPRIM_400000_NS6detail17trampoline_kernelINS0_14default_configENS1_33run_length_encode_config_selectorIijNS0_4plusIjEEEEZZNS1_33reduce_by_key_impl_wrapped_configILNS1_25lookback_scan_determinismE0ES3_S7_PKiNS0_17constant_iteratorIjlEEPiPlSF_S6_NS0_8equal_toIiEEEE10hipError_tPvRmT2_T3_mT4_T5_T6_T7_T8_P12ihipStream_tbENKUlT_T0_E_clISt17integral_constantIbLb1EESY_IbLb0EEEEDaSU_SV_EUlSU_E_NS1_11comp_targetILNS1_3genE10ELNS1_11target_archE1200ELNS1_3gpuE4ELNS1_3repE0EEENS1_30default_config_static_selectorELNS0_4arch9wavefront6targetE1EEEvT1_
    .private_segment_fixed_size: 0
    .sgpr_count:     6
    .sgpr_spill_count: 0
    .symbol:         _ZN7rocprim17ROCPRIM_400000_NS6detail17trampoline_kernelINS0_14default_configENS1_33run_length_encode_config_selectorIijNS0_4plusIjEEEEZZNS1_33reduce_by_key_impl_wrapped_configILNS1_25lookback_scan_determinismE0ES3_S7_PKiNS0_17constant_iteratorIjlEEPiPlSF_S6_NS0_8equal_toIiEEEE10hipError_tPvRmT2_T3_mT4_T5_T6_T7_T8_P12ihipStream_tbENKUlT_T0_E_clISt17integral_constantIbLb1EESY_IbLb0EEEEDaSU_SV_EUlSU_E_NS1_11comp_targetILNS1_3genE10ELNS1_11target_archE1200ELNS1_3gpuE4ELNS1_3repE0EEENS1_30default_config_static_selectorELNS0_4arch9wavefront6targetE1EEEvT1_.kd
    .uniform_work_group_size: 1
    .uses_dynamic_stack: false
    .vgpr_count:     0
    .vgpr_spill_count: 0
    .wavefront_size: 64
  - .agpr_count:     0
    .args:
      - .offset:         0
        .size:           128
        .value_kind:     by_value
    .group_segment_fixed_size: 0
    .kernarg_segment_align: 8
    .kernarg_segment_size: 128
    .language:       OpenCL C
    .language_version:
      - 2
      - 0
    .max_flat_workgroup_size: 512
    .name:           _ZN7rocprim17ROCPRIM_400000_NS6detail17trampoline_kernelINS0_14default_configENS1_33run_length_encode_config_selectorIijNS0_4plusIjEEEEZZNS1_33reduce_by_key_impl_wrapped_configILNS1_25lookback_scan_determinismE0ES3_S7_PKiNS0_17constant_iteratorIjlEEPiPlSF_S6_NS0_8equal_toIiEEEE10hipError_tPvRmT2_T3_mT4_T5_T6_T7_T8_P12ihipStream_tbENKUlT_T0_E_clISt17integral_constantIbLb1EESY_IbLb0EEEEDaSU_SV_EUlSU_E_NS1_11comp_targetILNS1_3genE9ELNS1_11target_archE1100ELNS1_3gpuE3ELNS1_3repE0EEENS1_30default_config_static_selectorELNS0_4arch9wavefront6targetE1EEEvT1_
    .private_segment_fixed_size: 0
    .sgpr_count:     6
    .sgpr_spill_count: 0
    .symbol:         _ZN7rocprim17ROCPRIM_400000_NS6detail17trampoline_kernelINS0_14default_configENS1_33run_length_encode_config_selectorIijNS0_4plusIjEEEEZZNS1_33reduce_by_key_impl_wrapped_configILNS1_25lookback_scan_determinismE0ES3_S7_PKiNS0_17constant_iteratorIjlEEPiPlSF_S6_NS0_8equal_toIiEEEE10hipError_tPvRmT2_T3_mT4_T5_T6_T7_T8_P12ihipStream_tbENKUlT_T0_E_clISt17integral_constantIbLb1EESY_IbLb0EEEEDaSU_SV_EUlSU_E_NS1_11comp_targetILNS1_3genE9ELNS1_11target_archE1100ELNS1_3gpuE3ELNS1_3repE0EEENS1_30default_config_static_selectorELNS0_4arch9wavefront6targetE1EEEvT1_.kd
    .uniform_work_group_size: 1
    .uses_dynamic_stack: false
    .vgpr_count:     0
    .vgpr_spill_count: 0
    .wavefront_size: 64
  - .agpr_count:     0
    .args:
      - .offset:         0
        .size:           128
        .value_kind:     by_value
    .group_segment_fixed_size: 0
    .kernarg_segment_align: 8
    .kernarg_segment_size: 128
    .language:       OpenCL C
    .language_version:
      - 2
      - 0
    .max_flat_workgroup_size: 192
    .name:           _ZN7rocprim17ROCPRIM_400000_NS6detail17trampoline_kernelINS0_14default_configENS1_33run_length_encode_config_selectorIijNS0_4plusIjEEEEZZNS1_33reduce_by_key_impl_wrapped_configILNS1_25lookback_scan_determinismE0ES3_S7_PKiNS0_17constant_iteratorIjlEEPiPlSF_S6_NS0_8equal_toIiEEEE10hipError_tPvRmT2_T3_mT4_T5_T6_T7_T8_P12ihipStream_tbENKUlT_T0_E_clISt17integral_constantIbLb1EESY_IbLb0EEEEDaSU_SV_EUlSU_E_NS1_11comp_targetILNS1_3genE8ELNS1_11target_archE1030ELNS1_3gpuE2ELNS1_3repE0EEENS1_30default_config_static_selectorELNS0_4arch9wavefront6targetE1EEEvT1_
    .private_segment_fixed_size: 0
    .sgpr_count:     6
    .sgpr_spill_count: 0
    .symbol:         _ZN7rocprim17ROCPRIM_400000_NS6detail17trampoline_kernelINS0_14default_configENS1_33run_length_encode_config_selectorIijNS0_4plusIjEEEEZZNS1_33reduce_by_key_impl_wrapped_configILNS1_25lookback_scan_determinismE0ES3_S7_PKiNS0_17constant_iteratorIjlEEPiPlSF_S6_NS0_8equal_toIiEEEE10hipError_tPvRmT2_T3_mT4_T5_T6_T7_T8_P12ihipStream_tbENKUlT_T0_E_clISt17integral_constantIbLb1EESY_IbLb0EEEEDaSU_SV_EUlSU_E_NS1_11comp_targetILNS1_3genE8ELNS1_11target_archE1030ELNS1_3gpuE2ELNS1_3repE0EEENS1_30default_config_static_selectorELNS0_4arch9wavefront6targetE1EEEvT1_.kd
    .uniform_work_group_size: 1
    .uses_dynamic_stack: false
    .vgpr_count:     0
    .vgpr_spill_count: 0
    .wavefront_size: 64
  - .agpr_count:     0
    .args:
      - .offset:         0
        .size:           128
        .value_kind:     by_value
    .group_segment_fixed_size: 0
    .kernarg_segment_align: 8
    .kernarg_segment_size: 128
    .language:       OpenCL C
    .language_version:
      - 2
      - 0
    .max_flat_workgroup_size: 256
    .name:           _ZN7rocprim17ROCPRIM_400000_NS6detail17trampoline_kernelINS0_14default_configENS1_33run_length_encode_config_selectorIijNS0_4plusIjEEEEZZNS1_33reduce_by_key_impl_wrapped_configILNS1_25lookback_scan_determinismE0ES3_S7_PKiNS0_17constant_iteratorIjlEEPiPlSF_S6_NS0_8equal_toIiEEEE10hipError_tPvRmT2_T3_mT4_T5_T6_T7_T8_P12ihipStream_tbENKUlT_T0_E_clISt17integral_constantIbLb0EESY_IbLb1EEEEDaSU_SV_EUlSU_E_NS1_11comp_targetILNS1_3genE0ELNS1_11target_archE4294967295ELNS1_3gpuE0ELNS1_3repE0EEENS1_30default_config_static_selectorELNS0_4arch9wavefront6targetE1EEEvT1_
    .private_segment_fixed_size: 0
    .sgpr_count:     6
    .sgpr_spill_count: 0
    .symbol:         _ZN7rocprim17ROCPRIM_400000_NS6detail17trampoline_kernelINS0_14default_configENS1_33run_length_encode_config_selectorIijNS0_4plusIjEEEEZZNS1_33reduce_by_key_impl_wrapped_configILNS1_25lookback_scan_determinismE0ES3_S7_PKiNS0_17constant_iteratorIjlEEPiPlSF_S6_NS0_8equal_toIiEEEE10hipError_tPvRmT2_T3_mT4_T5_T6_T7_T8_P12ihipStream_tbENKUlT_T0_E_clISt17integral_constantIbLb0EESY_IbLb1EEEEDaSU_SV_EUlSU_E_NS1_11comp_targetILNS1_3genE0ELNS1_11target_archE4294967295ELNS1_3gpuE0ELNS1_3repE0EEENS1_30default_config_static_selectorELNS0_4arch9wavefront6targetE1EEEvT1_.kd
    .uniform_work_group_size: 1
    .uses_dynamic_stack: false
    .vgpr_count:     0
    .vgpr_spill_count: 0
    .wavefront_size: 64
  - .agpr_count:     0
    .args:
      - .offset:         0
        .size:           128
        .value_kind:     by_value
    .group_segment_fixed_size: 30720
    .kernarg_segment_align: 8
    .kernarg_segment_size: 128
    .language:       OpenCL C
    .language_version:
      - 2
      - 0
    .max_flat_workgroup_size: 512
    .name:           _ZN7rocprim17ROCPRIM_400000_NS6detail17trampoline_kernelINS0_14default_configENS1_33run_length_encode_config_selectorIijNS0_4plusIjEEEEZZNS1_33reduce_by_key_impl_wrapped_configILNS1_25lookback_scan_determinismE0ES3_S7_PKiNS0_17constant_iteratorIjlEEPiPlSF_S6_NS0_8equal_toIiEEEE10hipError_tPvRmT2_T3_mT4_T5_T6_T7_T8_P12ihipStream_tbENKUlT_T0_E_clISt17integral_constantIbLb0EESY_IbLb1EEEEDaSU_SV_EUlSU_E_NS1_11comp_targetILNS1_3genE5ELNS1_11target_archE942ELNS1_3gpuE9ELNS1_3repE0EEENS1_30default_config_static_selectorELNS0_4arch9wavefront6targetE1EEEvT1_
    .private_segment_fixed_size: 0
    .sgpr_count:     72
    .sgpr_spill_count: 0
    .symbol:         _ZN7rocprim17ROCPRIM_400000_NS6detail17trampoline_kernelINS0_14default_configENS1_33run_length_encode_config_selectorIijNS0_4plusIjEEEEZZNS1_33reduce_by_key_impl_wrapped_configILNS1_25lookback_scan_determinismE0ES3_S7_PKiNS0_17constant_iteratorIjlEEPiPlSF_S6_NS0_8equal_toIiEEEE10hipError_tPvRmT2_T3_mT4_T5_T6_T7_T8_P12ihipStream_tbENKUlT_T0_E_clISt17integral_constantIbLb0EESY_IbLb1EEEEDaSU_SV_EUlSU_E_NS1_11comp_targetILNS1_3genE5ELNS1_11target_archE942ELNS1_3gpuE9ELNS1_3repE0EEENS1_30default_config_static_selectorELNS0_4arch9wavefront6targetE1EEEvT1_.kd
    .uniform_work_group_size: 1
    .uses_dynamic_stack: false
    .vgpr_count:     104
    .vgpr_spill_count: 0
    .wavefront_size: 64
  - .agpr_count:     0
    .args:
      - .offset:         0
        .size:           128
        .value_kind:     by_value
    .group_segment_fixed_size: 0
    .kernarg_segment_align: 8
    .kernarg_segment_size: 128
    .language:       OpenCL C
    .language_version:
      - 2
      - 0
    .max_flat_workgroup_size: 256
    .name:           _ZN7rocprim17ROCPRIM_400000_NS6detail17trampoline_kernelINS0_14default_configENS1_33run_length_encode_config_selectorIijNS0_4plusIjEEEEZZNS1_33reduce_by_key_impl_wrapped_configILNS1_25lookback_scan_determinismE0ES3_S7_PKiNS0_17constant_iteratorIjlEEPiPlSF_S6_NS0_8equal_toIiEEEE10hipError_tPvRmT2_T3_mT4_T5_T6_T7_T8_P12ihipStream_tbENKUlT_T0_E_clISt17integral_constantIbLb0EESY_IbLb1EEEEDaSU_SV_EUlSU_E_NS1_11comp_targetILNS1_3genE4ELNS1_11target_archE910ELNS1_3gpuE8ELNS1_3repE0EEENS1_30default_config_static_selectorELNS0_4arch9wavefront6targetE1EEEvT1_
    .private_segment_fixed_size: 0
    .sgpr_count:     6
    .sgpr_spill_count: 0
    .symbol:         _ZN7rocprim17ROCPRIM_400000_NS6detail17trampoline_kernelINS0_14default_configENS1_33run_length_encode_config_selectorIijNS0_4plusIjEEEEZZNS1_33reduce_by_key_impl_wrapped_configILNS1_25lookback_scan_determinismE0ES3_S7_PKiNS0_17constant_iteratorIjlEEPiPlSF_S6_NS0_8equal_toIiEEEE10hipError_tPvRmT2_T3_mT4_T5_T6_T7_T8_P12ihipStream_tbENKUlT_T0_E_clISt17integral_constantIbLb0EESY_IbLb1EEEEDaSU_SV_EUlSU_E_NS1_11comp_targetILNS1_3genE4ELNS1_11target_archE910ELNS1_3gpuE8ELNS1_3repE0EEENS1_30default_config_static_selectorELNS0_4arch9wavefront6targetE1EEEvT1_.kd
    .uniform_work_group_size: 1
    .uses_dynamic_stack: false
    .vgpr_count:     0
    .vgpr_spill_count: 0
    .wavefront_size: 64
  - .agpr_count:     0
    .args:
      - .offset:         0
        .size:           128
        .value_kind:     by_value
    .group_segment_fixed_size: 0
    .kernarg_segment_align: 8
    .kernarg_segment_size: 128
    .language:       OpenCL C
    .language_version:
      - 2
      - 0
    .max_flat_workgroup_size: 256
    .name:           _ZN7rocprim17ROCPRIM_400000_NS6detail17trampoline_kernelINS0_14default_configENS1_33run_length_encode_config_selectorIijNS0_4plusIjEEEEZZNS1_33reduce_by_key_impl_wrapped_configILNS1_25lookback_scan_determinismE0ES3_S7_PKiNS0_17constant_iteratorIjlEEPiPlSF_S6_NS0_8equal_toIiEEEE10hipError_tPvRmT2_T3_mT4_T5_T6_T7_T8_P12ihipStream_tbENKUlT_T0_E_clISt17integral_constantIbLb0EESY_IbLb1EEEEDaSU_SV_EUlSU_E_NS1_11comp_targetILNS1_3genE3ELNS1_11target_archE908ELNS1_3gpuE7ELNS1_3repE0EEENS1_30default_config_static_selectorELNS0_4arch9wavefront6targetE1EEEvT1_
    .private_segment_fixed_size: 0
    .sgpr_count:     6
    .sgpr_spill_count: 0
    .symbol:         _ZN7rocprim17ROCPRIM_400000_NS6detail17trampoline_kernelINS0_14default_configENS1_33run_length_encode_config_selectorIijNS0_4plusIjEEEEZZNS1_33reduce_by_key_impl_wrapped_configILNS1_25lookback_scan_determinismE0ES3_S7_PKiNS0_17constant_iteratorIjlEEPiPlSF_S6_NS0_8equal_toIiEEEE10hipError_tPvRmT2_T3_mT4_T5_T6_T7_T8_P12ihipStream_tbENKUlT_T0_E_clISt17integral_constantIbLb0EESY_IbLb1EEEEDaSU_SV_EUlSU_E_NS1_11comp_targetILNS1_3genE3ELNS1_11target_archE908ELNS1_3gpuE7ELNS1_3repE0EEENS1_30default_config_static_selectorELNS0_4arch9wavefront6targetE1EEEvT1_.kd
    .uniform_work_group_size: 1
    .uses_dynamic_stack: false
    .vgpr_count:     0
    .vgpr_spill_count: 0
    .wavefront_size: 64
  - .agpr_count:     0
    .args:
      - .offset:         0
        .size:           128
        .value_kind:     by_value
    .group_segment_fixed_size: 0
    .kernarg_segment_align: 8
    .kernarg_segment_size: 128
    .language:       OpenCL C
    .language_version:
      - 2
      - 0
    .max_flat_workgroup_size: 256
    .name:           _ZN7rocprim17ROCPRIM_400000_NS6detail17trampoline_kernelINS0_14default_configENS1_33run_length_encode_config_selectorIijNS0_4plusIjEEEEZZNS1_33reduce_by_key_impl_wrapped_configILNS1_25lookback_scan_determinismE0ES3_S7_PKiNS0_17constant_iteratorIjlEEPiPlSF_S6_NS0_8equal_toIiEEEE10hipError_tPvRmT2_T3_mT4_T5_T6_T7_T8_P12ihipStream_tbENKUlT_T0_E_clISt17integral_constantIbLb0EESY_IbLb1EEEEDaSU_SV_EUlSU_E_NS1_11comp_targetILNS1_3genE2ELNS1_11target_archE906ELNS1_3gpuE6ELNS1_3repE0EEENS1_30default_config_static_selectorELNS0_4arch9wavefront6targetE1EEEvT1_
    .private_segment_fixed_size: 0
    .sgpr_count:     6
    .sgpr_spill_count: 0
    .symbol:         _ZN7rocprim17ROCPRIM_400000_NS6detail17trampoline_kernelINS0_14default_configENS1_33run_length_encode_config_selectorIijNS0_4plusIjEEEEZZNS1_33reduce_by_key_impl_wrapped_configILNS1_25lookback_scan_determinismE0ES3_S7_PKiNS0_17constant_iteratorIjlEEPiPlSF_S6_NS0_8equal_toIiEEEE10hipError_tPvRmT2_T3_mT4_T5_T6_T7_T8_P12ihipStream_tbENKUlT_T0_E_clISt17integral_constantIbLb0EESY_IbLb1EEEEDaSU_SV_EUlSU_E_NS1_11comp_targetILNS1_3genE2ELNS1_11target_archE906ELNS1_3gpuE6ELNS1_3repE0EEENS1_30default_config_static_selectorELNS0_4arch9wavefront6targetE1EEEvT1_.kd
    .uniform_work_group_size: 1
    .uses_dynamic_stack: false
    .vgpr_count:     0
    .vgpr_spill_count: 0
    .wavefront_size: 64
  - .agpr_count:     0
    .args:
      - .offset:         0
        .size:           128
        .value_kind:     by_value
    .group_segment_fixed_size: 0
    .kernarg_segment_align: 8
    .kernarg_segment_size: 128
    .language:       OpenCL C
    .language_version:
      - 2
      - 0
    .max_flat_workgroup_size: 384
    .name:           _ZN7rocprim17ROCPRIM_400000_NS6detail17trampoline_kernelINS0_14default_configENS1_33run_length_encode_config_selectorIijNS0_4plusIjEEEEZZNS1_33reduce_by_key_impl_wrapped_configILNS1_25lookback_scan_determinismE0ES3_S7_PKiNS0_17constant_iteratorIjlEEPiPlSF_S6_NS0_8equal_toIiEEEE10hipError_tPvRmT2_T3_mT4_T5_T6_T7_T8_P12ihipStream_tbENKUlT_T0_E_clISt17integral_constantIbLb0EESY_IbLb1EEEEDaSU_SV_EUlSU_E_NS1_11comp_targetILNS1_3genE10ELNS1_11target_archE1201ELNS1_3gpuE5ELNS1_3repE0EEENS1_30default_config_static_selectorELNS0_4arch9wavefront6targetE1EEEvT1_
    .private_segment_fixed_size: 0
    .sgpr_count:     6
    .sgpr_spill_count: 0
    .symbol:         _ZN7rocprim17ROCPRIM_400000_NS6detail17trampoline_kernelINS0_14default_configENS1_33run_length_encode_config_selectorIijNS0_4plusIjEEEEZZNS1_33reduce_by_key_impl_wrapped_configILNS1_25lookback_scan_determinismE0ES3_S7_PKiNS0_17constant_iteratorIjlEEPiPlSF_S6_NS0_8equal_toIiEEEE10hipError_tPvRmT2_T3_mT4_T5_T6_T7_T8_P12ihipStream_tbENKUlT_T0_E_clISt17integral_constantIbLb0EESY_IbLb1EEEEDaSU_SV_EUlSU_E_NS1_11comp_targetILNS1_3genE10ELNS1_11target_archE1201ELNS1_3gpuE5ELNS1_3repE0EEENS1_30default_config_static_selectorELNS0_4arch9wavefront6targetE1EEEvT1_.kd
    .uniform_work_group_size: 1
    .uses_dynamic_stack: false
    .vgpr_count:     0
    .vgpr_spill_count: 0
    .wavefront_size: 64
  - .agpr_count:     0
    .args:
      - .offset:         0
        .size:           128
        .value_kind:     by_value
    .group_segment_fixed_size: 0
    .kernarg_segment_align: 8
    .kernarg_segment_size: 128
    .language:       OpenCL C
    .language_version:
      - 2
      - 0
    .max_flat_workgroup_size: 256
    .name:           _ZN7rocprim17ROCPRIM_400000_NS6detail17trampoline_kernelINS0_14default_configENS1_33run_length_encode_config_selectorIijNS0_4plusIjEEEEZZNS1_33reduce_by_key_impl_wrapped_configILNS1_25lookback_scan_determinismE0ES3_S7_PKiNS0_17constant_iteratorIjlEEPiPlSF_S6_NS0_8equal_toIiEEEE10hipError_tPvRmT2_T3_mT4_T5_T6_T7_T8_P12ihipStream_tbENKUlT_T0_E_clISt17integral_constantIbLb0EESY_IbLb1EEEEDaSU_SV_EUlSU_E_NS1_11comp_targetILNS1_3genE10ELNS1_11target_archE1200ELNS1_3gpuE4ELNS1_3repE0EEENS1_30default_config_static_selectorELNS0_4arch9wavefront6targetE1EEEvT1_
    .private_segment_fixed_size: 0
    .sgpr_count:     6
    .sgpr_spill_count: 0
    .symbol:         _ZN7rocprim17ROCPRIM_400000_NS6detail17trampoline_kernelINS0_14default_configENS1_33run_length_encode_config_selectorIijNS0_4plusIjEEEEZZNS1_33reduce_by_key_impl_wrapped_configILNS1_25lookback_scan_determinismE0ES3_S7_PKiNS0_17constant_iteratorIjlEEPiPlSF_S6_NS0_8equal_toIiEEEE10hipError_tPvRmT2_T3_mT4_T5_T6_T7_T8_P12ihipStream_tbENKUlT_T0_E_clISt17integral_constantIbLb0EESY_IbLb1EEEEDaSU_SV_EUlSU_E_NS1_11comp_targetILNS1_3genE10ELNS1_11target_archE1200ELNS1_3gpuE4ELNS1_3repE0EEENS1_30default_config_static_selectorELNS0_4arch9wavefront6targetE1EEEvT1_.kd
    .uniform_work_group_size: 1
    .uses_dynamic_stack: false
    .vgpr_count:     0
    .vgpr_spill_count: 0
    .wavefront_size: 64
  - .agpr_count:     0
    .args:
      - .offset:         0
        .size:           128
        .value_kind:     by_value
    .group_segment_fixed_size: 0
    .kernarg_segment_align: 8
    .kernarg_segment_size: 128
    .language:       OpenCL C
    .language_version:
      - 2
      - 0
    .max_flat_workgroup_size: 512
    .name:           _ZN7rocprim17ROCPRIM_400000_NS6detail17trampoline_kernelINS0_14default_configENS1_33run_length_encode_config_selectorIijNS0_4plusIjEEEEZZNS1_33reduce_by_key_impl_wrapped_configILNS1_25lookback_scan_determinismE0ES3_S7_PKiNS0_17constant_iteratorIjlEEPiPlSF_S6_NS0_8equal_toIiEEEE10hipError_tPvRmT2_T3_mT4_T5_T6_T7_T8_P12ihipStream_tbENKUlT_T0_E_clISt17integral_constantIbLb0EESY_IbLb1EEEEDaSU_SV_EUlSU_E_NS1_11comp_targetILNS1_3genE9ELNS1_11target_archE1100ELNS1_3gpuE3ELNS1_3repE0EEENS1_30default_config_static_selectorELNS0_4arch9wavefront6targetE1EEEvT1_
    .private_segment_fixed_size: 0
    .sgpr_count:     6
    .sgpr_spill_count: 0
    .symbol:         _ZN7rocprim17ROCPRIM_400000_NS6detail17trampoline_kernelINS0_14default_configENS1_33run_length_encode_config_selectorIijNS0_4plusIjEEEEZZNS1_33reduce_by_key_impl_wrapped_configILNS1_25lookback_scan_determinismE0ES3_S7_PKiNS0_17constant_iteratorIjlEEPiPlSF_S6_NS0_8equal_toIiEEEE10hipError_tPvRmT2_T3_mT4_T5_T6_T7_T8_P12ihipStream_tbENKUlT_T0_E_clISt17integral_constantIbLb0EESY_IbLb1EEEEDaSU_SV_EUlSU_E_NS1_11comp_targetILNS1_3genE9ELNS1_11target_archE1100ELNS1_3gpuE3ELNS1_3repE0EEENS1_30default_config_static_selectorELNS0_4arch9wavefront6targetE1EEEvT1_.kd
    .uniform_work_group_size: 1
    .uses_dynamic_stack: false
    .vgpr_count:     0
    .vgpr_spill_count: 0
    .wavefront_size: 64
  - .agpr_count:     0
    .args:
      - .offset:         0
        .size:           128
        .value_kind:     by_value
    .group_segment_fixed_size: 0
    .kernarg_segment_align: 8
    .kernarg_segment_size: 128
    .language:       OpenCL C
    .language_version:
      - 2
      - 0
    .max_flat_workgroup_size: 192
    .name:           _ZN7rocprim17ROCPRIM_400000_NS6detail17trampoline_kernelINS0_14default_configENS1_33run_length_encode_config_selectorIijNS0_4plusIjEEEEZZNS1_33reduce_by_key_impl_wrapped_configILNS1_25lookback_scan_determinismE0ES3_S7_PKiNS0_17constant_iteratorIjlEEPiPlSF_S6_NS0_8equal_toIiEEEE10hipError_tPvRmT2_T3_mT4_T5_T6_T7_T8_P12ihipStream_tbENKUlT_T0_E_clISt17integral_constantIbLb0EESY_IbLb1EEEEDaSU_SV_EUlSU_E_NS1_11comp_targetILNS1_3genE8ELNS1_11target_archE1030ELNS1_3gpuE2ELNS1_3repE0EEENS1_30default_config_static_selectorELNS0_4arch9wavefront6targetE1EEEvT1_
    .private_segment_fixed_size: 0
    .sgpr_count:     6
    .sgpr_spill_count: 0
    .symbol:         _ZN7rocprim17ROCPRIM_400000_NS6detail17trampoline_kernelINS0_14default_configENS1_33run_length_encode_config_selectorIijNS0_4plusIjEEEEZZNS1_33reduce_by_key_impl_wrapped_configILNS1_25lookback_scan_determinismE0ES3_S7_PKiNS0_17constant_iteratorIjlEEPiPlSF_S6_NS0_8equal_toIiEEEE10hipError_tPvRmT2_T3_mT4_T5_T6_T7_T8_P12ihipStream_tbENKUlT_T0_E_clISt17integral_constantIbLb0EESY_IbLb1EEEEDaSU_SV_EUlSU_E_NS1_11comp_targetILNS1_3genE8ELNS1_11target_archE1030ELNS1_3gpuE2ELNS1_3repE0EEENS1_30default_config_static_selectorELNS0_4arch9wavefront6targetE1EEEvT1_.kd
    .uniform_work_group_size: 1
    .uses_dynamic_stack: false
    .vgpr_count:     0
    .vgpr_spill_count: 0
    .wavefront_size: 64
  - .agpr_count:     0
    .args:
      - .offset:         0
        .size:           8
        .value_kind:     by_value
      - .address_space:  global
        .offset:         8
        .size:           8
        .value_kind:     global_buffer
      - .address_space:  global
        .offset:         16
        .size:           8
        .value_kind:     global_buffer
      - .offset:         24
        .size:           4
        .value_kind:     hidden_block_count_x
      - .offset:         28
        .size:           4
        .value_kind:     hidden_block_count_y
      - .offset:         32
        .size:           4
        .value_kind:     hidden_block_count_z
      - .offset:         36
        .size:           2
        .value_kind:     hidden_group_size_x
      - .offset:         38
        .size:           2
        .value_kind:     hidden_group_size_y
      - .offset:         40
        .size:           2
        .value_kind:     hidden_group_size_z
      - .offset:         42
        .size:           2
        .value_kind:     hidden_remainder_x
      - .offset:         44
        .size:           2
        .value_kind:     hidden_remainder_y
      - .offset:         46
        .size:           2
        .value_kind:     hidden_remainder_z
      - .offset:         64
        .size:           8
        .value_kind:     hidden_global_offset_x
      - .offset:         72
        .size:           8
        .value_kind:     hidden_global_offset_y
      - .offset:         80
        .size:           8
        .value_kind:     hidden_global_offset_z
      - .offset:         88
        .size:           2
        .value_kind:     hidden_grid_dims
    .group_segment_fixed_size: 0
    .kernarg_segment_align: 8
    .kernarg_segment_size: 280
    .language:       OpenCL C
    .language_version:
      - 2
      - 0
    .max_flat_workgroup_size: 1024
    .name:           _ZN2at6native8internal12_GLOBAL__N_126adjacent_difference_kernelIPKlEEvlT_Pi
    .private_segment_fixed_size: 0
    .sgpr_count:     22
    .sgpr_spill_count: 0
    .symbol:         _ZN2at6native8internal12_GLOBAL__N_126adjacent_difference_kernelIPKlEEvlT_Pi.kd
    .uniform_work_group_size: 1
    .uses_dynamic_stack: false
    .vgpr_count:     14
    .vgpr_spill_count: 0
    .wavefront_size: 64
  - .agpr_count:     0
    .args:
      - .offset:         0
        .size:           112
        .value_kind:     by_value
    .group_segment_fixed_size: 0
    .kernarg_segment_align: 8
    .kernarg_segment_size: 112
    .language:       OpenCL C
    .language_version:
      - 2
      - 0
    .max_flat_workgroup_size: 512
    .name:           _ZN7rocprim17ROCPRIM_400000_NS6detail17trampoline_kernelINS0_14default_configENS1_25partition_config_selectorILNS1_17partition_subalgoE8ElNS0_10empty_typeEbEEZZNS1_14partition_implILS5_8ELb0ES3_jPKlPS6_PKS6_NS0_5tupleIJPlS6_EEENSE_IJSB_SB_EEENS0_18inequality_wrapperIN6hipcub16HIPCUB_304000_NS8EqualityEEESF_JS6_EEE10hipError_tPvRmT3_T4_T5_T6_T7_T9_mT8_P12ihipStream_tbDpT10_ENKUlT_T0_E_clISt17integral_constantIbLb0EES16_EEDaS11_S12_EUlS11_E_NS1_11comp_targetILNS1_3genE0ELNS1_11target_archE4294967295ELNS1_3gpuE0ELNS1_3repE0EEENS1_30default_config_static_selectorELNS0_4arch9wavefront6targetE1EEEvT1_
    .private_segment_fixed_size: 0
    .sgpr_count:     6
    .sgpr_spill_count: 0
    .symbol:         _ZN7rocprim17ROCPRIM_400000_NS6detail17trampoline_kernelINS0_14default_configENS1_25partition_config_selectorILNS1_17partition_subalgoE8ElNS0_10empty_typeEbEEZZNS1_14partition_implILS5_8ELb0ES3_jPKlPS6_PKS6_NS0_5tupleIJPlS6_EEENSE_IJSB_SB_EEENS0_18inequality_wrapperIN6hipcub16HIPCUB_304000_NS8EqualityEEESF_JS6_EEE10hipError_tPvRmT3_T4_T5_T6_T7_T9_mT8_P12ihipStream_tbDpT10_ENKUlT_T0_E_clISt17integral_constantIbLb0EES16_EEDaS11_S12_EUlS11_E_NS1_11comp_targetILNS1_3genE0ELNS1_11target_archE4294967295ELNS1_3gpuE0ELNS1_3repE0EEENS1_30default_config_static_selectorELNS0_4arch9wavefront6targetE1EEEvT1_.kd
    .uniform_work_group_size: 1
    .uses_dynamic_stack: false
    .vgpr_count:     0
    .vgpr_spill_count: 0
    .wavefront_size: 64
  - .agpr_count:     0
    .args:
      - .offset:         0
        .size:           112
        .value_kind:     by_value
    .group_segment_fixed_size: 28680
    .kernarg_segment_align: 8
    .kernarg_segment_size: 112
    .language:       OpenCL C
    .language_version:
      - 2
      - 0
    .max_flat_workgroup_size: 512
    .name:           _ZN7rocprim17ROCPRIM_400000_NS6detail17trampoline_kernelINS0_14default_configENS1_25partition_config_selectorILNS1_17partition_subalgoE8ElNS0_10empty_typeEbEEZZNS1_14partition_implILS5_8ELb0ES3_jPKlPS6_PKS6_NS0_5tupleIJPlS6_EEENSE_IJSB_SB_EEENS0_18inequality_wrapperIN6hipcub16HIPCUB_304000_NS8EqualityEEESF_JS6_EEE10hipError_tPvRmT3_T4_T5_T6_T7_T9_mT8_P12ihipStream_tbDpT10_ENKUlT_T0_E_clISt17integral_constantIbLb0EES16_EEDaS11_S12_EUlS11_E_NS1_11comp_targetILNS1_3genE5ELNS1_11target_archE942ELNS1_3gpuE9ELNS1_3repE0EEENS1_30default_config_static_selectorELNS0_4arch9wavefront6targetE1EEEvT1_
    .private_segment_fixed_size: 0
    .sgpr_count:     46
    .sgpr_spill_count: 0
    .symbol:         _ZN7rocprim17ROCPRIM_400000_NS6detail17trampoline_kernelINS0_14default_configENS1_25partition_config_selectorILNS1_17partition_subalgoE8ElNS0_10empty_typeEbEEZZNS1_14partition_implILS5_8ELb0ES3_jPKlPS6_PKS6_NS0_5tupleIJPlS6_EEENSE_IJSB_SB_EEENS0_18inequality_wrapperIN6hipcub16HIPCUB_304000_NS8EqualityEEESF_JS6_EEE10hipError_tPvRmT3_T4_T5_T6_T7_T9_mT8_P12ihipStream_tbDpT10_ENKUlT_T0_E_clISt17integral_constantIbLb0EES16_EEDaS11_S12_EUlS11_E_NS1_11comp_targetILNS1_3genE5ELNS1_11target_archE942ELNS1_3gpuE9ELNS1_3repE0EEENS1_30default_config_static_selectorELNS0_4arch9wavefront6targetE1EEEvT1_.kd
    .uniform_work_group_size: 1
    .uses_dynamic_stack: false
    .vgpr_count:     53
    .vgpr_spill_count: 0
    .wavefront_size: 64
  - .agpr_count:     0
    .args:
      - .offset:         0
        .size:           112
        .value_kind:     by_value
    .group_segment_fixed_size: 0
    .kernarg_segment_align: 8
    .kernarg_segment_size: 112
    .language:       OpenCL C
    .language_version:
      - 2
      - 0
    .max_flat_workgroup_size: 256
    .name:           _ZN7rocprim17ROCPRIM_400000_NS6detail17trampoline_kernelINS0_14default_configENS1_25partition_config_selectorILNS1_17partition_subalgoE8ElNS0_10empty_typeEbEEZZNS1_14partition_implILS5_8ELb0ES3_jPKlPS6_PKS6_NS0_5tupleIJPlS6_EEENSE_IJSB_SB_EEENS0_18inequality_wrapperIN6hipcub16HIPCUB_304000_NS8EqualityEEESF_JS6_EEE10hipError_tPvRmT3_T4_T5_T6_T7_T9_mT8_P12ihipStream_tbDpT10_ENKUlT_T0_E_clISt17integral_constantIbLb0EES16_EEDaS11_S12_EUlS11_E_NS1_11comp_targetILNS1_3genE4ELNS1_11target_archE910ELNS1_3gpuE8ELNS1_3repE0EEENS1_30default_config_static_selectorELNS0_4arch9wavefront6targetE1EEEvT1_
    .private_segment_fixed_size: 0
    .sgpr_count:     6
    .sgpr_spill_count: 0
    .symbol:         _ZN7rocprim17ROCPRIM_400000_NS6detail17trampoline_kernelINS0_14default_configENS1_25partition_config_selectorILNS1_17partition_subalgoE8ElNS0_10empty_typeEbEEZZNS1_14partition_implILS5_8ELb0ES3_jPKlPS6_PKS6_NS0_5tupleIJPlS6_EEENSE_IJSB_SB_EEENS0_18inequality_wrapperIN6hipcub16HIPCUB_304000_NS8EqualityEEESF_JS6_EEE10hipError_tPvRmT3_T4_T5_T6_T7_T9_mT8_P12ihipStream_tbDpT10_ENKUlT_T0_E_clISt17integral_constantIbLb0EES16_EEDaS11_S12_EUlS11_E_NS1_11comp_targetILNS1_3genE4ELNS1_11target_archE910ELNS1_3gpuE8ELNS1_3repE0EEENS1_30default_config_static_selectorELNS0_4arch9wavefront6targetE1EEEvT1_.kd
    .uniform_work_group_size: 1
    .uses_dynamic_stack: false
    .vgpr_count:     0
    .vgpr_spill_count: 0
    .wavefront_size: 64
  - .agpr_count:     0
    .args:
      - .offset:         0
        .size:           112
        .value_kind:     by_value
    .group_segment_fixed_size: 0
    .kernarg_segment_align: 8
    .kernarg_segment_size: 112
    .language:       OpenCL C
    .language_version:
      - 2
      - 0
    .max_flat_workgroup_size: 512
    .name:           _ZN7rocprim17ROCPRIM_400000_NS6detail17trampoline_kernelINS0_14default_configENS1_25partition_config_selectorILNS1_17partition_subalgoE8ElNS0_10empty_typeEbEEZZNS1_14partition_implILS5_8ELb0ES3_jPKlPS6_PKS6_NS0_5tupleIJPlS6_EEENSE_IJSB_SB_EEENS0_18inequality_wrapperIN6hipcub16HIPCUB_304000_NS8EqualityEEESF_JS6_EEE10hipError_tPvRmT3_T4_T5_T6_T7_T9_mT8_P12ihipStream_tbDpT10_ENKUlT_T0_E_clISt17integral_constantIbLb0EES16_EEDaS11_S12_EUlS11_E_NS1_11comp_targetILNS1_3genE3ELNS1_11target_archE908ELNS1_3gpuE7ELNS1_3repE0EEENS1_30default_config_static_selectorELNS0_4arch9wavefront6targetE1EEEvT1_
    .private_segment_fixed_size: 0
    .sgpr_count:     6
    .sgpr_spill_count: 0
    .symbol:         _ZN7rocprim17ROCPRIM_400000_NS6detail17trampoline_kernelINS0_14default_configENS1_25partition_config_selectorILNS1_17partition_subalgoE8ElNS0_10empty_typeEbEEZZNS1_14partition_implILS5_8ELb0ES3_jPKlPS6_PKS6_NS0_5tupleIJPlS6_EEENSE_IJSB_SB_EEENS0_18inequality_wrapperIN6hipcub16HIPCUB_304000_NS8EqualityEEESF_JS6_EEE10hipError_tPvRmT3_T4_T5_T6_T7_T9_mT8_P12ihipStream_tbDpT10_ENKUlT_T0_E_clISt17integral_constantIbLb0EES16_EEDaS11_S12_EUlS11_E_NS1_11comp_targetILNS1_3genE3ELNS1_11target_archE908ELNS1_3gpuE7ELNS1_3repE0EEENS1_30default_config_static_selectorELNS0_4arch9wavefront6targetE1EEEvT1_.kd
    .uniform_work_group_size: 1
    .uses_dynamic_stack: false
    .vgpr_count:     0
    .vgpr_spill_count: 0
    .wavefront_size: 64
  - .agpr_count:     0
    .args:
      - .offset:         0
        .size:           112
        .value_kind:     by_value
    .group_segment_fixed_size: 0
    .kernarg_segment_align: 8
    .kernarg_segment_size: 112
    .language:       OpenCL C
    .language_version:
      - 2
      - 0
    .max_flat_workgroup_size: 256
    .name:           _ZN7rocprim17ROCPRIM_400000_NS6detail17trampoline_kernelINS0_14default_configENS1_25partition_config_selectorILNS1_17partition_subalgoE8ElNS0_10empty_typeEbEEZZNS1_14partition_implILS5_8ELb0ES3_jPKlPS6_PKS6_NS0_5tupleIJPlS6_EEENSE_IJSB_SB_EEENS0_18inequality_wrapperIN6hipcub16HIPCUB_304000_NS8EqualityEEESF_JS6_EEE10hipError_tPvRmT3_T4_T5_T6_T7_T9_mT8_P12ihipStream_tbDpT10_ENKUlT_T0_E_clISt17integral_constantIbLb0EES16_EEDaS11_S12_EUlS11_E_NS1_11comp_targetILNS1_3genE2ELNS1_11target_archE906ELNS1_3gpuE6ELNS1_3repE0EEENS1_30default_config_static_selectorELNS0_4arch9wavefront6targetE1EEEvT1_
    .private_segment_fixed_size: 0
    .sgpr_count:     6
    .sgpr_spill_count: 0
    .symbol:         _ZN7rocprim17ROCPRIM_400000_NS6detail17trampoline_kernelINS0_14default_configENS1_25partition_config_selectorILNS1_17partition_subalgoE8ElNS0_10empty_typeEbEEZZNS1_14partition_implILS5_8ELb0ES3_jPKlPS6_PKS6_NS0_5tupleIJPlS6_EEENSE_IJSB_SB_EEENS0_18inequality_wrapperIN6hipcub16HIPCUB_304000_NS8EqualityEEESF_JS6_EEE10hipError_tPvRmT3_T4_T5_T6_T7_T9_mT8_P12ihipStream_tbDpT10_ENKUlT_T0_E_clISt17integral_constantIbLb0EES16_EEDaS11_S12_EUlS11_E_NS1_11comp_targetILNS1_3genE2ELNS1_11target_archE906ELNS1_3gpuE6ELNS1_3repE0EEENS1_30default_config_static_selectorELNS0_4arch9wavefront6targetE1EEEvT1_.kd
    .uniform_work_group_size: 1
    .uses_dynamic_stack: false
    .vgpr_count:     0
    .vgpr_spill_count: 0
    .wavefront_size: 64
  - .agpr_count:     0
    .args:
      - .offset:         0
        .size:           112
        .value_kind:     by_value
    .group_segment_fixed_size: 0
    .kernarg_segment_align: 8
    .kernarg_segment_size: 112
    .language:       OpenCL C
    .language_version:
      - 2
      - 0
    .max_flat_workgroup_size: 384
    .name:           _ZN7rocprim17ROCPRIM_400000_NS6detail17trampoline_kernelINS0_14default_configENS1_25partition_config_selectorILNS1_17partition_subalgoE8ElNS0_10empty_typeEbEEZZNS1_14partition_implILS5_8ELb0ES3_jPKlPS6_PKS6_NS0_5tupleIJPlS6_EEENSE_IJSB_SB_EEENS0_18inequality_wrapperIN6hipcub16HIPCUB_304000_NS8EqualityEEESF_JS6_EEE10hipError_tPvRmT3_T4_T5_T6_T7_T9_mT8_P12ihipStream_tbDpT10_ENKUlT_T0_E_clISt17integral_constantIbLb0EES16_EEDaS11_S12_EUlS11_E_NS1_11comp_targetILNS1_3genE10ELNS1_11target_archE1200ELNS1_3gpuE4ELNS1_3repE0EEENS1_30default_config_static_selectorELNS0_4arch9wavefront6targetE1EEEvT1_
    .private_segment_fixed_size: 0
    .sgpr_count:     6
    .sgpr_spill_count: 0
    .symbol:         _ZN7rocprim17ROCPRIM_400000_NS6detail17trampoline_kernelINS0_14default_configENS1_25partition_config_selectorILNS1_17partition_subalgoE8ElNS0_10empty_typeEbEEZZNS1_14partition_implILS5_8ELb0ES3_jPKlPS6_PKS6_NS0_5tupleIJPlS6_EEENSE_IJSB_SB_EEENS0_18inequality_wrapperIN6hipcub16HIPCUB_304000_NS8EqualityEEESF_JS6_EEE10hipError_tPvRmT3_T4_T5_T6_T7_T9_mT8_P12ihipStream_tbDpT10_ENKUlT_T0_E_clISt17integral_constantIbLb0EES16_EEDaS11_S12_EUlS11_E_NS1_11comp_targetILNS1_3genE10ELNS1_11target_archE1200ELNS1_3gpuE4ELNS1_3repE0EEENS1_30default_config_static_selectorELNS0_4arch9wavefront6targetE1EEEvT1_.kd
    .uniform_work_group_size: 1
    .uses_dynamic_stack: false
    .vgpr_count:     0
    .vgpr_spill_count: 0
    .wavefront_size: 64
  - .agpr_count:     0
    .args:
      - .offset:         0
        .size:           112
        .value_kind:     by_value
    .group_segment_fixed_size: 0
    .kernarg_segment_align: 8
    .kernarg_segment_size: 112
    .language:       OpenCL C
    .language_version:
      - 2
      - 0
    .max_flat_workgroup_size: 512
    .name:           _ZN7rocprim17ROCPRIM_400000_NS6detail17trampoline_kernelINS0_14default_configENS1_25partition_config_selectorILNS1_17partition_subalgoE8ElNS0_10empty_typeEbEEZZNS1_14partition_implILS5_8ELb0ES3_jPKlPS6_PKS6_NS0_5tupleIJPlS6_EEENSE_IJSB_SB_EEENS0_18inequality_wrapperIN6hipcub16HIPCUB_304000_NS8EqualityEEESF_JS6_EEE10hipError_tPvRmT3_T4_T5_T6_T7_T9_mT8_P12ihipStream_tbDpT10_ENKUlT_T0_E_clISt17integral_constantIbLb0EES16_EEDaS11_S12_EUlS11_E_NS1_11comp_targetILNS1_3genE9ELNS1_11target_archE1100ELNS1_3gpuE3ELNS1_3repE0EEENS1_30default_config_static_selectorELNS0_4arch9wavefront6targetE1EEEvT1_
    .private_segment_fixed_size: 0
    .sgpr_count:     6
    .sgpr_spill_count: 0
    .symbol:         _ZN7rocprim17ROCPRIM_400000_NS6detail17trampoline_kernelINS0_14default_configENS1_25partition_config_selectorILNS1_17partition_subalgoE8ElNS0_10empty_typeEbEEZZNS1_14partition_implILS5_8ELb0ES3_jPKlPS6_PKS6_NS0_5tupleIJPlS6_EEENSE_IJSB_SB_EEENS0_18inequality_wrapperIN6hipcub16HIPCUB_304000_NS8EqualityEEESF_JS6_EEE10hipError_tPvRmT3_T4_T5_T6_T7_T9_mT8_P12ihipStream_tbDpT10_ENKUlT_T0_E_clISt17integral_constantIbLb0EES16_EEDaS11_S12_EUlS11_E_NS1_11comp_targetILNS1_3genE9ELNS1_11target_archE1100ELNS1_3gpuE3ELNS1_3repE0EEENS1_30default_config_static_selectorELNS0_4arch9wavefront6targetE1EEEvT1_.kd
    .uniform_work_group_size: 1
    .uses_dynamic_stack: false
    .vgpr_count:     0
    .vgpr_spill_count: 0
    .wavefront_size: 64
  - .agpr_count:     0
    .args:
      - .offset:         0
        .size:           112
        .value_kind:     by_value
    .group_segment_fixed_size: 0
    .kernarg_segment_align: 8
    .kernarg_segment_size: 112
    .language:       OpenCL C
    .language_version:
      - 2
      - 0
    .max_flat_workgroup_size: 512
    .name:           _ZN7rocprim17ROCPRIM_400000_NS6detail17trampoline_kernelINS0_14default_configENS1_25partition_config_selectorILNS1_17partition_subalgoE8ElNS0_10empty_typeEbEEZZNS1_14partition_implILS5_8ELb0ES3_jPKlPS6_PKS6_NS0_5tupleIJPlS6_EEENSE_IJSB_SB_EEENS0_18inequality_wrapperIN6hipcub16HIPCUB_304000_NS8EqualityEEESF_JS6_EEE10hipError_tPvRmT3_T4_T5_T6_T7_T9_mT8_P12ihipStream_tbDpT10_ENKUlT_T0_E_clISt17integral_constantIbLb0EES16_EEDaS11_S12_EUlS11_E_NS1_11comp_targetILNS1_3genE8ELNS1_11target_archE1030ELNS1_3gpuE2ELNS1_3repE0EEENS1_30default_config_static_selectorELNS0_4arch9wavefront6targetE1EEEvT1_
    .private_segment_fixed_size: 0
    .sgpr_count:     6
    .sgpr_spill_count: 0
    .symbol:         _ZN7rocprim17ROCPRIM_400000_NS6detail17trampoline_kernelINS0_14default_configENS1_25partition_config_selectorILNS1_17partition_subalgoE8ElNS0_10empty_typeEbEEZZNS1_14partition_implILS5_8ELb0ES3_jPKlPS6_PKS6_NS0_5tupleIJPlS6_EEENSE_IJSB_SB_EEENS0_18inequality_wrapperIN6hipcub16HIPCUB_304000_NS8EqualityEEESF_JS6_EEE10hipError_tPvRmT3_T4_T5_T6_T7_T9_mT8_P12ihipStream_tbDpT10_ENKUlT_T0_E_clISt17integral_constantIbLb0EES16_EEDaS11_S12_EUlS11_E_NS1_11comp_targetILNS1_3genE8ELNS1_11target_archE1030ELNS1_3gpuE2ELNS1_3repE0EEENS1_30default_config_static_selectorELNS0_4arch9wavefront6targetE1EEEvT1_.kd
    .uniform_work_group_size: 1
    .uses_dynamic_stack: false
    .vgpr_count:     0
    .vgpr_spill_count: 0
    .wavefront_size: 64
  - .agpr_count:     0
    .args:
      - .offset:         0
        .size:           128
        .value_kind:     by_value
    .group_segment_fixed_size: 0
    .kernarg_segment_align: 8
    .kernarg_segment_size: 128
    .language:       OpenCL C
    .language_version:
      - 2
      - 0
    .max_flat_workgroup_size: 512
    .name:           _ZN7rocprim17ROCPRIM_400000_NS6detail17trampoline_kernelINS0_14default_configENS1_25partition_config_selectorILNS1_17partition_subalgoE8ElNS0_10empty_typeEbEEZZNS1_14partition_implILS5_8ELb0ES3_jPKlPS6_PKS6_NS0_5tupleIJPlS6_EEENSE_IJSB_SB_EEENS0_18inequality_wrapperIN6hipcub16HIPCUB_304000_NS8EqualityEEESF_JS6_EEE10hipError_tPvRmT3_T4_T5_T6_T7_T9_mT8_P12ihipStream_tbDpT10_ENKUlT_T0_E_clISt17integral_constantIbLb1EES16_EEDaS11_S12_EUlS11_E_NS1_11comp_targetILNS1_3genE0ELNS1_11target_archE4294967295ELNS1_3gpuE0ELNS1_3repE0EEENS1_30default_config_static_selectorELNS0_4arch9wavefront6targetE1EEEvT1_
    .private_segment_fixed_size: 0
    .sgpr_count:     6
    .sgpr_spill_count: 0
    .symbol:         _ZN7rocprim17ROCPRIM_400000_NS6detail17trampoline_kernelINS0_14default_configENS1_25partition_config_selectorILNS1_17partition_subalgoE8ElNS0_10empty_typeEbEEZZNS1_14partition_implILS5_8ELb0ES3_jPKlPS6_PKS6_NS0_5tupleIJPlS6_EEENSE_IJSB_SB_EEENS0_18inequality_wrapperIN6hipcub16HIPCUB_304000_NS8EqualityEEESF_JS6_EEE10hipError_tPvRmT3_T4_T5_T6_T7_T9_mT8_P12ihipStream_tbDpT10_ENKUlT_T0_E_clISt17integral_constantIbLb1EES16_EEDaS11_S12_EUlS11_E_NS1_11comp_targetILNS1_3genE0ELNS1_11target_archE4294967295ELNS1_3gpuE0ELNS1_3repE0EEENS1_30default_config_static_selectorELNS0_4arch9wavefront6targetE1EEEvT1_.kd
    .uniform_work_group_size: 1
    .uses_dynamic_stack: false
    .vgpr_count:     0
    .vgpr_spill_count: 0
    .wavefront_size: 64
  - .agpr_count:     0
    .args:
      - .offset:         0
        .size:           128
        .value_kind:     by_value
    .group_segment_fixed_size: 28680
    .kernarg_segment_align: 8
    .kernarg_segment_size: 128
    .language:       OpenCL C
    .language_version:
      - 2
      - 0
    .max_flat_workgroup_size: 512
    .name:           _ZN7rocprim17ROCPRIM_400000_NS6detail17trampoline_kernelINS0_14default_configENS1_25partition_config_selectorILNS1_17partition_subalgoE8ElNS0_10empty_typeEbEEZZNS1_14partition_implILS5_8ELb0ES3_jPKlPS6_PKS6_NS0_5tupleIJPlS6_EEENSE_IJSB_SB_EEENS0_18inequality_wrapperIN6hipcub16HIPCUB_304000_NS8EqualityEEESF_JS6_EEE10hipError_tPvRmT3_T4_T5_T6_T7_T9_mT8_P12ihipStream_tbDpT10_ENKUlT_T0_E_clISt17integral_constantIbLb1EES16_EEDaS11_S12_EUlS11_E_NS1_11comp_targetILNS1_3genE5ELNS1_11target_archE942ELNS1_3gpuE9ELNS1_3repE0EEENS1_30default_config_static_selectorELNS0_4arch9wavefront6targetE1EEEvT1_
    .private_segment_fixed_size: 0
    .sgpr_count:     48
    .sgpr_spill_count: 0
    .symbol:         _ZN7rocprim17ROCPRIM_400000_NS6detail17trampoline_kernelINS0_14default_configENS1_25partition_config_selectorILNS1_17partition_subalgoE8ElNS0_10empty_typeEbEEZZNS1_14partition_implILS5_8ELb0ES3_jPKlPS6_PKS6_NS0_5tupleIJPlS6_EEENSE_IJSB_SB_EEENS0_18inequality_wrapperIN6hipcub16HIPCUB_304000_NS8EqualityEEESF_JS6_EEE10hipError_tPvRmT3_T4_T5_T6_T7_T9_mT8_P12ihipStream_tbDpT10_ENKUlT_T0_E_clISt17integral_constantIbLb1EES16_EEDaS11_S12_EUlS11_E_NS1_11comp_targetILNS1_3genE5ELNS1_11target_archE942ELNS1_3gpuE9ELNS1_3repE0EEENS1_30default_config_static_selectorELNS0_4arch9wavefront6targetE1EEEvT1_.kd
    .uniform_work_group_size: 1
    .uses_dynamic_stack: false
    .vgpr_count:     53
    .vgpr_spill_count: 0
    .wavefront_size: 64
  - .agpr_count:     0
    .args:
      - .offset:         0
        .size:           128
        .value_kind:     by_value
    .group_segment_fixed_size: 0
    .kernarg_segment_align: 8
    .kernarg_segment_size: 128
    .language:       OpenCL C
    .language_version:
      - 2
      - 0
    .max_flat_workgroup_size: 256
    .name:           _ZN7rocprim17ROCPRIM_400000_NS6detail17trampoline_kernelINS0_14default_configENS1_25partition_config_selectorILNS1_17partition_subalgoE8ElNS0_10empty_typeEbEEZZNS1_14partition_implILS5_8ELb0ES3_jPKlPS6_PKS6_NS0_5tupleIJPlS6_EEENSE_IJSB_SB_EEENS0_18inequality_wrapperIN6hipcub16HIPCUB_304000_NS8EqualityEEESF_JS6_EEE10hipError_tPvRmT3_T4_T5_T6_T7_T9_mT8_P12ihipStream_tbDpT10_ENKUlT_T0_E_clISt17integral_constantIbLb1EES16_EEDaS11_S12_EUlS11_E_NS1_11comp_targetILNS1_3genE4ELNS1_11target_archE910ELNS1_3gpuE8ELNS1_3repE0EEENS1_30default_config_static_selectorELNS0_4arch9wavefront6targetE1EEEvT1_
    .private_segment_fixed_size: 0
    .sgpr_count:     6
    .sgpr_spill_count: 0
    .symbol:         _ZN7rocprim17ROCPRIM_400000_NS6detail17trampoline_kernelINS0_14default_configENS1_25partition_config_selectorILNS1_17partition_subalgoE8ElNS0_10empty_typeEbEEZZNS1_14partition_implILS5_8ELb0ES3_jPKlPS6_PKS6_NS0_5tupleIJPlS6_EEENSE_IJSB_SB_EEENS0_18inequality_wrapperIN6hipcub16HIPCUB_304000_NS8EqualityEEESF_JS6_EEE10hipError_tPvRmT3_T4_T5_T6_T7_T9_mT8_P12ihipStream_tbDpT10_ENKUlT_T0_E_clISt17integral_constantIbLb1EES16_EEDaS11_S12_EUlS11_E_NS1_11comp_targetILNS1_3genE4ELNS1_11target_archE910ELNS1_3gpuE8ELNS1_3repE0EEENS1_30default_config_static_selectorELNS0_4arch9wavefront6targetE1EEEvT1_.kd
    .uniform_work_group_size: 1
    .uses_dynamic_stack: false
    .vgpr_count:     0
    .vgpr_spill_count: 0
    .wavefront_size: 64
  - .agpr_count:     0
    .args:
      - .offset:         0
        .size:           128
        .value_kind:     by_value
    .group_segment_fixed_size: 0
    .kernarg_segment_align: 8
    .kernarg_segment_size: 128
    .language:       OpenCL C
    .language_version:
      - 2
      - 0
    .max_flat_workgroup_size: 512
    .name:           _ZN7rocprim17ROCPRIM_400000_NS6detail17trampoline_kernelINS0_14default_configENS1_25partition_config_selectorILNS1_17partition_subalgoE8ElNS0_10empty_typeEbEEZZNS1_14partition_implILS5_8ELb0ES3_jPKlPS6_PKS6_NS0_5tupleIJPlS6_EEENSE_IJSB_SB_EEENS0_18inequality_wrapperIN6hipcub16HIPCUB_304000_NS8EqualityEEESF_JS6_EEE10hipError_tPvRmT3_T4_T5_T6_T7_T9_mT8_P12ihipStream_tbDpT10_ENKUlT_T0_E_clISt17integral_constantIbLb1EES16_EEDaS11_S12_EUlS11_E_NS1_11comp_targetILNS1_3genE3ELNS1_11target_archE908ELNS1_3gpuE7ELNS1_3repE0EEENS1_30default_config_static_selectorELNS0_4arch9wavefront6targetE1EEEvT1_
    .private_segment_fixed_size: 0
    .sgpr_count:     6
    .sgpr_spill_count: 0
    .symbol:         _ZN7rocprim17ROCPRIM_400000_NS6detail17trampoline_kernelINS0_14default_configENS1_25partition_config_selectorILNS1_17partition_subalgoE8ElNS0_10empty_typeEbEEZZNS1_14partition_implILS5_8ELb0ES3_jPKlPS6_PKS6_NS0_5tupleIJPlS6_EEENSE_IJSB_SB_EEENS0_18inequality_wrapperIN6hipcub16HIPCUB_304000_NS8EqualityEEESF_JS6_EEE10hipError_tPvRmT3_T4_T5_T6_T7_T9_mT8_P12ihipStream_tbDpT10_ENKUlT_T0_E_clISt17integral_constantIbLb1EES16_EEDaS11_S12_EUlS11_E_NS1_11comp_targetILNS1_3genE3ELNS1_11target_archE908ELNS1_3gpuE7ELNS1_3repE0EEENS1_30default_config_static_selectorELNS0_4arch9wavefront6targetE1EEEvT1_.kd
    .uniform_work_group_size: 1
    .uses_dynamic_stack: false
    .vgpr_count:     0
    .vgpr_spill_count: 0
    .wavefront_size: 64
  - .agpr_count:     0
    .args:
      - .offset:         0
        .size:           128
        .value_kind:     by_value
    .group_segment_fixed_size: 0
    .kernarg_segment_align: 8
    .kernarg_segment_size: 128
    .language:       OpenCL C
    .language_version:
      - 2
      - 0
    .max_flat_workgroup_size: 256
    .name:           _ZN7rocprim17ROCPRIM_400000_NS6detail17trampoline_kernelINS0_14default_configENS1_25partition_config_selectorILNS1_17partition_subalgoE8ElNS0_10empty_typeEbEEZZNS1_14partition_implILS5_8ELb0ES3_jPKlPS6_PKS6_NS0_5tupleIJPlS6_EEENSE_IJSB_SB_EEENS0_18inequality_wrapperIN6hipcub16HIPCUB_304000_NS8EqualityEEESF_JS6_EEE10hipError_tPvRmT3_T4_T5_T6_T7_T9_mT8_P12ihipStream_tbDpT10_ENKUlT_T0_E_clISt17integral_constantIbLb1EES16_EEDaS11_S12_EUlS11_E_NS1_11comp_targetILNS1_3genE2ELNS1_11target_archE906ELNS1_3gpuE6ELNS1_3repE0EEENS1_30default_config_static_selectorELNS0_4arch9wavefront6targetE1EEEvT1_
    .private_segment_fixed_size: 0
    .sgpr_count:     6
    .sgpr_spill_count: 0
    .symbol:         _ZN7rocprim17ROCPRIM_400000_NS6detail17trampoline_kernelINS0_14default_configENS1_25partition_config_selectorILNS1_17partition_subalgoE8ElNS0_10empty_typeEbEEZZNS1_14partition_implILS5_8ELb0ES3_jPKlPS6_PKS6_NS0_5tupleIJPlS6_EEENSE_IJSB_SB_EEENS0_18inequality_wrapperIN6hipcub16HIPCUB_304000_NS8EqualityEEESF_JS6_EEE10hipError_tPvRmT3_T4_T5_T6_T7_T9_mT8_P12ihipStream_tbDpT10_ENKUlT_T0_E_clISt17integral_constantIbLb1EES16_EEDaS11_S12_EUlS11_E_NS1_11comp_targetILNS1_3genE2ELNS1_11target_archE906ELNS1_3gpuE6ELNS1_3repE0EEENS1_30default_config_static_selectorELNS0_4arch9wavefront6targetE1EEEvT1_.kd
    .uniform_work_group_size: 1
    .uses_dynamic_stack: false
    .vgpr_count:     0
    .vgpr_spill_count: 0
    .wavefront_size: 64
  - .agpr_count:     0
    .args:
      - .offset:         0
        .size:           128
        .value_kind:     by_value
    .group_segment_fixed_size: 0
    .kernarg_segment_align: 8
    .kernarg_segment_size: 128
    .language:       OpenCL C
    .language_version:
      - 2
      - 0
    .max_flat_workgroup_size: 384
    .name:           _ZN7rocprim17ROCPRIM_400000_NS6detail17trampoline_kernelINS0_14default_configENS1_25partition_config_selectorILNS1_17partition_subalgoE8ElNS0_10empty_typeEbEEZZNS1_14partition_implILS5_8ELb0ES3_jPKlPS6_PKS6_NS0_5tupleIJPlS6_EEENSE_IJSB_SB_EEENS0_18inequality_wrapperIN6hipcub16HIPCUB_304000_NS8EqualityEEESF_JS6_EEE10hipError_tPvRmT3_T4_T5_T6_T7_T9_mT8_P12ihipStream_tbDpT10_ENKUlT_T0_E_clISt17integral_constantIbLb1EES16_EEDaS11_S12_EUlS11_E_NS1_11comp_targetILNS1_3genE10ELNS1_11target_archE1200ELNS1_3gpuE4ELNS1_3repE0EEENS1_30default_config_static_selectorELNS0_4arch9wavefront6targetE1EEEvT1_
    .private_segment_fixed_size: 0
    .sgpr_count:     6
    .sgpr_spill_count: 0
    .symbol:         _ZN7rocprim17ROCPRIM_400000_NS6detail17trampoline_kernelINS0_14default_configENS1_25partition_config_selectorILNS1_17partition_subalgoE8ElNS0_10empty_typeEbEEZZNS1_14partition_implILS5_8ELb0ES3_jPKlPS6_PKS6_NS0_5tupleIJPlS6_EEENSE_IJSB_SB_EEENS0_18inequality_wrapperIN6hipcub16HIPCUB_304000_NS8EqualityEEESF_JS6_EEE10hipError_tPvRmT3_T4_T5_T6_T7_T9_mT8_P12ihipStream_tbDpT10_ENKUlT_T0_E_clISt17integral_constantIbLb1EES16_EEDaS11_S12_EUlS11_E_NS1_11comp_targetILNS1_3genE10ELNS1_11target_archE1200ELNS1_3gpuE4ELNS1_3repE0EEENS1_30default_config_static_selectorELNS0_4arch9wavefront6targetE1EEEvT1_.kd
    .uniform_work_group_size: 1
    .uses_dynamic_stack: false
    .vgpr_count:     0
    .vgpr_spill_count: 0
    .wavefront_size: 64
  - .agpr_count:     0
    .args:
      - .offset:         0
        .size:           128
        .value_kind:     by_value
    .group_segment_fixed_size: 0
    .kernarg_segment_align: 8
    .kernarg_segment_size: 128
    .language:       OpenCL C
    .language_version:
      - 2
      - 0
    .max_flat_workgroup_size: 512
    .name:           _ZN7rocprim17ROCPRIM_400000_NS6detail17trampoline_kernelINS0_14default_configENS1_25partition_config_selectorILNS1_17partition_subalgoE8ElNS0_10empty_typeEbEEZZNS1_14partition_implILS5_8ELb0ES3_jPKlPS6_PKS6_NS0_5tupleIJPlS6_EEENSE_IJSB_SB_EEENS0_18inequality_wrapperIN6hipcub16HIPCUB_304000_NS8EqualityEEESF_JS6_EEE10hipError_tPvRmT3_T4_T5_T6_T7_T9_mT8_P12ihipStream_tbDpT10_ENKUlT_T0_E_clISt17integral_constantIbLb1EES16_EEDaS11_S12_EUlS11_E_NS1_11comp_targetILNS1_3genE9ELNS1_11target_archE1100ELNS1_3gpuE3ELNS1_3repE0EEENS1_30default_config_static_selectorELNS0_4arch9wavefront6targetE1EEEvT1_
    .private_segment_fixed_size: 0
    .sgpr_count:     6
    .sgpr_spill_count: 0
    .symbol:         _ZN7rocprim17ROCPRIM_400000_NS6detail17trampoline_kernelINS0_14default_configENS1_25partition_config_selectorILNS1_17partition_subalgoE8ElNS0_10empty_typeEbEEZZNS1_14partition_implILS5_8ELb0ES3_jPKlPS6_PKS6_NS0_5tupleIJPlS6_EEENSE_IJSB_SB_EEENS0_18inequality_wrapperIN6hipcub16HIPCUB_304000_NS8EqualityEEESF_JS6_EEE10hipError_tPvRmT3_T4_T5_T6_T7_T9_mT8_P12ihipStream_tbDpT10_ENKUlT_T0_E_clISt17integral_constantIbLb1EES16_EEDaS11_S12_EUlS11_E_NS1_11comp_targetILNS1_3genE9ELNS1_11target_archE1100ELNS1_3gpuE3ELNS1_3repE0EEENS1_30default_config_static_selectorELNS0_4arch9wavefront6targetE1EEEvT1_.kd
    .uniform_work_group_size: 1
    .uses_dynamic_stack: false
    .vgpr_count:     0
    .vgpr_spill_count: 0
    .wavefront_size: 64
  - .agpr_count:     0
    .args:
      - .offset:         0
        .size:           128
        .value_kind:     by_value
    .group_segment_fixed_size: 0
    .kernarg_segment_align: 8
    .kernarg_segment_size: 128
    .language:       OpenCL C
    .language_version:
      - 2
      - 0
    .max_flat_workgroup_size: 512
    .name:           _ZN7rocprim17ROCPRIM_400000_NS6detail17trampoline_kernelINS0_14default_configENS1_25partition_config_selectorILNS1_17partition_subalgoE8ElNS0_10empty_typeEbEEZZNS1_14partition_implILS5_8ELb0ES3_jPKlPS6_PKS6_NS0_5tupleIJPlS6_EEENSE_IJSB_SB_EEENS0_18inequality_wrapperIN6hipcub16HIPCUB_304000_NS8EqualityEEESF_JS6_EEE10hipError_tPvRmT3_T4_T5_T6_T7_T9_mT8_P12ihipStream_tbDpT10_ENKUlT_T0_E_clISt17integral_constantIbLb1EES16_EEDaS11_S12_EUlS11_E_NS1_11comp_targetILNS1_3genE8ELNS1_11target_archE1030ELNS1_3gpuE2ELNS1_3repE0EEENS1_30default_config_static_selectorELNS0_4arch9wavefront6targetE1EEEvT1_
    .private_segment_fixed_size: 0
    .sgpr_count:     6
    .sgpr_spill_count: 0
    .symbol:         _ZN7rocprim17ROCPRIM_400000_NS6detail17trampoline_kernelINS0_14default_configENS1_25partition_config_selectorILNS1_17partition_subalgoE8ElNS0_10empty_typeEbEEZZNS1_14partition_implILS5_8ELb0ES3_jPKlPS6_PKS6_NS0_5tupleIJPlS6_EEENSE_IJSB_SB_EEENS0_18inequality_wrapperIN6hipcub16HIPCUB_304000_NS8EqualityEEESF_JS6_EEE10hipError_tPvRmT3_T4_T5_T6_T7_T9_mT8_P12ihipStream_tbDpT10_ENKUlT_T0_E_clISt17integral_constantIbLb1EES16_EEDaS11_S12_EUlS11_E_NS1_11comp_targetILNS1_3genE8ELNS1_11target_archE1030ELNS1_3gpuE2ELNS1_3repE0EEENS1_30default_config_static_selectorELNS0_4arch9wavefront6targetE1EEEvT1_.kd
    .uniform_work_group_size: 1
    .uses_dynamic_stack: false
    .vgpr_count:     0
    .vgpr_spill_count: 0
    .wavefront_size: 64
  - .agpr_count:     0
    .args:
      - .offset:         0
        .size:           112
        .value_kind:     by_value
    .group_segment_fixed_size: 0
    .kernarg_segment_align: 8
    .kernarg_segment_size: 112
    .language:       OpenCL C
    .language_version:
      - 2
      - 0
    .max_flat_workgroup_size: 512
    .name:           _ZN7rocprim17ROCPRIM_400000_NS6detail17trampoline_kernelINS0_14default_configENS1_25partition_config_selectorILNS1_17partition_subalgoE8ElNS0_10empty_typeEbEEZZNS1_14partition_implILS5_8ELb0ES3_jPKlPS6_PKS6_NS0_5tupleIJPlS6_EEENSE_IJSB_SB_EEENS0_18inequality_wrapperIN6hipcub16HIPCUB_304000_NS8EqualityEEESF_JS6_EEE10hipError_tPvRmT3_T4_T5_T6_T7_T9_mT8_P12ihipStream_tbDpT10_ENKUlT_T0_E_clISt17integral_constantIbLb1EES15_IbLb0EEEEDaS11_S12_EUlS11_E_NS1_11comp_targetILNS1_3genE0ELNS1_11target_archE4294967295ELNS1_3gpuE0ELNS1_3repE0EEENS1_30default_config_static_selectorELNS0_4arch9wavefront6targetE1EEEvT1_
    .private_segment_fixed_size: 0
    .sgpr_count:     6
    .sgpr_spill_count: 0
    .symbol:         _ZN7rocprim17ROCPRIM_400000_NS6detail17trampoline_kernelINS0_14default_configENS1_25partition_config_selectorILNS1_17partition_subalgoE8ElNS0_10empty_typeEbEEZZNS1_14partition_implILS5_8ELb0ES3_jPKlPS6_PKS6_NS0_5tupleIJPlS6_EEENSE_IJSB_SB_EEENS0_18inequality_wrapperIN6hipcub16HIPCUB_304000_NS8EqualityEEESF_JS6_EEE10hipError_tPvRmT3_T4_T5_T6_T7_T9_mT8_P12ihipStream_tbDpT10_ENKUlT_T0_E_clISt17integral_constantIbLb1EES15_IbLb0EEEEDaS11_S12_EUlS11_E_NS1_11comp_targetILNS1_3genE0ELNS1_11target_archE4294967295ELNS1_3gpuE0ELNS1_3repE0EEENS1_30default_config_static_selectorELNS0_4arch9wavefront6targetE1EEEvT1_.kd
    .uniform_work_group_size: 1
    .uses_dynamic_stack: false
    .vgpr_count:     0
    .vgpr_spill_count: 0
    .wavefront_size: 64
  - .agpr_count:     0
    .args:
      - .offset:         0
        .size:           112
        .value_kind:     by_value
    .group_segment_fixed_size: 28680
    .kernarg_segment_align: 8
    .kernarg_segment_size: 112
    .language:       OpenCL C
    .language_version:
      - 2
      - 0
    .max_flat_workgroup_size: 512
    .name:           _ZN7rocprim17ROCPRIM_400000_NS6detail17trampoline_kernelINS0_14default_configENS1_25partition_config_selectorILNS1_17partition_subalgoE8ElNS0_10empty_typeEbEEZZNS1_14partition_implILS5_8ELb0ES3_jPKlPS6_PKS6_NS0_5tupleIJPlS6_EEENSE_IJSB_SB_EEENS0_18inequality_wrapperIN6hipcub16HIPCUB_304000_NS8EqualityEEESF_JS6_EEE10hipError_tPvRmT3_T4_T5_T6_T7_T9_mT8_P12ihipStream_tbDpT10_ENKUlT_T0_E_clISt17integral_constantIbLb1EES15_IbLb0EEEEDaS11_S12_EUlS11_E_NS1_11comp_targetILNS1_3genE5ELNS1_11target_archE942ELNS1_3gpuE9ELNS1_3repE0EEENS1_30default_config_static_selectorELNS0_4arch9wavefront6targetE1EEEvT1_
    .private_segment_fixed_size: 0
    .sgpr_count:     46
    .sgpr_spill_count: 0
    .symbol:         _ZN7rocprim17ROCPRIM_400000_NS6detail17trampoline_kernelINS0_14default_configENS1_25partition_config_selectorILNS1_17partition_subalgoE8ElNS0_10empty_typeEbEEZZNS1_14partition_implILS5_8ELb0ES3_jPKlPS6_PKS6_NS0_5tupleIJPlS6_EEENSE_IJSB_SB_EEENS0_18inequality_wrapperIN6hipcub16HIPCUB_304000_NS8EqualityEEESF_JS6_EEE10hipError_tPvRmT3_T4_T5_T6_T7_T9_mT8_P12ihipStream_tbDpT10_ENKUlT_T0_E_clISt17integral_constantIbLb1EES15_IbLb0EEEEDaS11_S12_EUlS11_E_NS1_11comp_targetILNS1_3genE5ELNS1_11target_archE942ELNS1_3gpuE9ELNS1_3repE0EEENS1_30default_config_static_selectorELNS0_4arch9wavefront6targetE1EEEvT1_.kd
    .uniform_work_group_size: 1
    .uses_dynamic_stack: false
    .vgpr_count:     53
    .vgpr_spill_count: 0
    .wavefront_size: 64
  - .agpr_count:     0
    .args:
      - .offset:         0
        .size:           112
        .value_kind:     by_value
    .group_segment_fixed_size: 0
    .kernarg_segment_align: 8
    .kernarg_segment_size: 112
    .language:       OpenCL C
    .language_version:
      - 2
      - 0
    .max_flat_workgroup_size: 256
    .name:           _ZN7rocprim17ROCPRIM_400000_NS6detail17trampoline_kernelINS0_14default_configENS1_25partition_config_selectorILNS1_17partition_subalgoE8ElNS0_10empty_typeEbEEZZNS1_14partition_implILS5_8ELb0ES3_jPKlPS6_PKS6_NS0_5tupleIJPlS6_EEENSE_IJSB_SB_EEENS0_18inequality_wrapperIN6hipcub16HIPCUB_304000_NS8EqualityEEESF_JS6_EEE10hipError_tPvRmT3_T4_T5_T6_T7_T9_mT8_P12ihipStream_tbDpT10_ENKUlT_T0_E_clISt17integral_constantIbLb1EES15_IbLb0EEEEDaS11_S12_EUlS11_E_NS1_11comp_targetILNS1_3genE4ELNS1_11target_archE910ELNS1_3gpuE8ELNS1_3repE0EEENS1_30default_config_static_selectorELNS0_4arch9wavefront6targetE1EEEvT1_
    .private_segment_fixed_size: 0
    .sgpr_count:     6
    .sgpr_spill_count: 0
    .symbol:         _ZN7rocprim17ROCPRIM_400000_NS6detail17trampoline_kernelINS0_14default_configENS1_25partition_config_selectorILNS1_17partition_subalgoE8ElNS0_10empty_typeEbEEZZNS1_14partition_implILS5_8ELb0ES3_jPKlPS6_PKS6_NS0_5tupleIJPlS6_EEENSE_IJSB_SB_EEENS0_18inequality_wrapperIN6hipcub16HIPCUB_304000_NS8EqualityEEESF_JS6_EEE10hipError_tPvRmT3_T4_T5_T6_T7_T9_mT8_P12ihipStream_tbDpT10_ENKUlT_T0_E_clISt17integral_constantIbLb1EES15_IbLb0EEEEDaS11_S12_EUlS11_E_NS1_11comp_targetILNS1_3genE4ELNS1_11target_archE910ELNS1_3gpuE8ELNS1_3repE0EEENS1_30default_config_static_selectorELNS0_4arch9wavefront6targetE1EEEvT1_.kd
    .uniform_work_group_size: 1
    .uses_dynamic_stack: false
    .vgpr_count:     0
    .vgpr_spill_count: 0
    .wavefront_size: 64
  - .agpr_count:     0
    .args:
      - .offset:         0
        .size:           112
        .value_kind:     by_value
    .group_segment_fixed_size: 0
    .kernarg_segment_align: 8
    .kernarg_segment_size: 112
    .language:       OpenCL C
    .language_version:
      - 2
      - 0
    .max_flat_workgroup_size: 512
    .name:           _ZN7rocprim17ROCPRIM_400000_NS6detail17trampoline_kernelINS0_14default_configENS1_25partition_config_selectorILNS1_17partition_subalgoE8ElNS0_10empty_typeEbEEZZNS1_14partition_implILS5_8ELb0ES3_jPKlPS6_PKS6_NS0_5tupleIJPlS6_EEENSE_IJSB_SB_EEENS0_18inequality_wrapperIN6hipcub16HIPCUB_304000_NS8EqualityEEESF_JS6_EEE10hipError_tPvRmT3_T4_T5_T6_T7_T9_mT8_P12ihipStream_tbDpT10_ENKUlT_T0_E_clISt17integral_constantIbLb1EES15_IbLb0EEEEDaS11_S12_EUlS11_E_NS1_11comp_targetILNS1_3genE3ELNS1_11target_archE908ELNS1_3gpuE7ELNS1_3repE0EEENS1_30default_config_static_selectorELNS0_4arch9wavefront6targetE1EEEvT1_
    .private_segment_fixed_size: 0
    .sgpr_count:     6
    .sgpr_spill_count: 0
    .symbol:         _ZN7rocprim17ROCPRIM_400000_NS6detail17trampoline_kernelINS0_14default_configENS1_25partition_config_selectorILNS1_17partition_subalgoE8ElNS0_10empty_typeEbEEZZNS1_14partition_implILS5_8ELb0ES3_jPKlPS6_PKS6_NS0_5tupleIJPlS6_EEENSE_IJSB_SB_EEENS0_18inequality_wrapperIN6hipcub16HIPCUB_304000_NS8EqualityEEESF_JS6_EEE10hipError_tPvRmT3_T4_T5_T6_T7_T9_mT8_P12ihipStream_tbDpT10_ENKUlT_T0_E_clISt17integral_constantIbLb1EES15_IbLb0EEEEDaS11_S12_EUlS11_E_NS1_11comp_targetILNS1_3genE3ELNS1_11target_archE908ELNS1_3gpuE7ELNS1_3repE0EEENS1_30default_config_static_selectorELNS0_4arch9wavefront6targetE1EEEvT1_.kd
    .uniform_work_group_size: 1
    .uses_dynamic_stack: false
    .vgpr_count:     0
    .vgpr_spill_count: 0
    .wavefront_size: 64
  - .agpr_count:     0
    .args:
      - .offset:         0
        .size:           112
        .value_kind:     by_value
    .group_segment_fixed_size: 0
    .kernarg_segment_align: 8
    .kernarg_segment_size: 112
    .language:       OpenCL C
    .language_version:
      - 2
      - 0
    .max_flat_workgroup_size: 256
    .name:           _ZN7rocprim17ROCPRIM_400000_NS6detail17trampoline_kernelINS0_14default_configENS1_25partition_config_selectorILNS1_17partition_subalgoE8ElNS0_10empty_typeEbEEZZNS1_14partition_implILS5_8ELb0ES3_jPKlPS6_PKS6_NS0_5tupleIJPlS6_EEENSE_IJSB_SB_EEENS0_18inequality_wrapperIN6hipcub16HIPCUB_304000_NS8EqualityEEESF_JS6_EEE10hipError_tPvRmT3_T4_T5_T6_T7_T9_mT8_P12ihipStream_tbDpT10_ENKUlT_T0_E_clISt17integral_constantIbLb1EES15_IbLb0EEEEDaS11_S12_EUlS11_E_NS1_11comp_targetILNS1_3genE2ELNS1_11target_archE906ELNS1_3gpuE6ELNS1_3repE0EEENS1_30default_config_static_selectorELNS0_4arch9wavefront6targetE1EEEvT1_
    .private_segment_fixed_size: 0
    .sgpr_count:     6
    .sgpr_spill_count: 0
    .symbol:         _ZN7rocprim17ROCPRIM_400000_NS6detail17trampoline_kernelINS0_14default_configENS1_25partition_config_selectorILNS1_17partition_subalgoE8ElNS0_10empty_typeEbEEZZNS1_14partition_implILS5_8ELb0ES3_jPKlPS6_PKS6_NS0_5tupleIJPlS6_EEENSE_IJSB_SB_EEENS0_18inequality_wrapperIN6hipcub16HIPCUB_304000_NS8EqualityEEESF_JS6_EEE10hipError_tPvRmT3_T4_T5_T6_T7_T9_mT8_P12ihipStream_tbDpT10_ENKUlT_T0_E_clISt17integral_constantIbLb1EES15_IbLb0EEEEDaS11_S12_EUlS11_E_NS1_11comp_targetILNS1_3genE2ELNS1_11target_archE906ELNS1_3gpuE6ELNS1_3repE0EEENS1_30default_config_static_selectorELNS0_4arch9wavefront6targetE1EEEvT1_.kd
    .uniform_work_group_size: 1
    .uses_dynamic_stack: false
    .vgpr_count:     0
    .vgpr_spill_count: 0
    .wavefront_size: 64
  - .agpr_count:     0
    .args:
      - .offset:         0
        .size:           112
        .value_kind:     by_value
    .group_segment_fixed_size: 0
    .kernarg_segment_align: 8
    .kernarg_segment_size: 112
    .language:       OpenCL C
    .language_version:
      - 2
      - 0
    .max_flat_workgroup_size: 384
    .name:           _ZN7rocprim17ROCPRIM_400000_NS6detail17trampoline_kernelINS0_14default_configENS1_25partition_config_selectorILNS1_17partition_subalgoE8ElNS0_10empty_typeEbEEZZNS1_14partition_implILS5_8ELb0ES3_jPKlPS6_PKS6_NS0_5tupleIJPlS6_EEENSE_IJSB_SB_EEENS0_18inequality_wrapperIN6hipcub16HIPCUB_304000_NS8EqualityEEESF_JS6_EEE10hipError_tPvRmT3_T4_T5_T6_T7_T9_mT8_P12ihipStream_tbDpT10_ENKUlT_T0_E_clISt17integral_constantIbLb1EES15_IbLb0EEEEDaS11_S12_EUlS11_E_NS1_11comp_targetILNS1_3genE10ELNS1_11target_archE1200ELNS1_3gpuE4ELNS1_3repE0EEENS1_30default_config_static_selectorELNS0_4arch9wavefront6targetE1EEEvT1_
    .private_segment_fixed_size: 0
    .sgpr_count:     6
    .sgpr_spill_count: 0
    .symbol:         _ZN7rocprim17ROCPRIM_400000_NS6detail17trampoline_kernelINS0_14default_configENS1_25partition_config_selectorILNS1_17partition_subalgoE8ElNS0_10empty_typeEbEEZZNS1_14partition_implILS5_8ELb0ES3_jPKlPS6_PKS6_NS0_5tupleIJPlS6_EEENSE_IJSB_SB_EEENS0_18inequality_wrapperIN6hipcub16HIPCUB_304000_NS8EqualityEEESF_JS6_EEE10hipError_tPvRmT3_T4_T5_T6_T7_T9_mT8_P12ihipStream_tbDpT10_ENKUlT_T0_E_clISt17integral_constantIbLb1EES15_IbLb0EEEEDaS11_S12_EUlS11_E_NS1_11comp_targetILNS1_3genE10ELNS1_11target_archE1200ELNS1_3gpuE4ELNS1_3repE0EEENS1_30default_config_static_selectorELNS0_4arch9wavefront6targetE1EEEvT1_.kd
    .uniform_work_group_size: 1
    .uses_dynamic_stack: false
    .vgpr_count:     0
    .vgpr_spill_count: 0
    .wavefront_size: 64
  - .agpr_count:     0
    .args:
      - .offset:         0
        .size:           112
        .value_kind:     by_value
    .group_segment_fixed_size: 0
    .kernarg_segment_align: 8
    .kernarg_segment_size: 112
    .language:       OpenCL C
    .language_version:
      - 2
      - 0
    .max_flat_workgroup_size: 512
    .name:           _ZN7rocprim17ROCPRIM_400000_NS6detail17trampoline_kernelINS0_14default_configENS1_25partition_config_selectorILNS1_17partition_subalgoE8ElNS0_10empty_typeEbEEZZNS1_14partition_implILS5_8ELb0ES3_jPKlPS6_PKS6_NS0_5tupleIJPlS6_EEENSE_IJSB_SB_EEENS0_18inequality_wrapperIN6hipcub16HIPCUB_304000_NS8EqualityEEESF_JS6_EEE10hipError_tPvRmT3_T4_T5_T6_T7_T9_mT8_P12ihipStream_tbDpT10_ENKUlT_T0_E_clISt17integral_constantIbLb1EES15_IbLb0EEEEDaS11_S12_EUlS11_E_NS1_11comp_targetILNS1_3genE9ELNS1_11target_archE1100ELNS1_3gpuE3ELNS1_3repE0EEENS1_30default_config_static_selectorELNS0_4arch9wavefront6targetE1EEEvT1_
    .private_segment_fixed_size: 0
    .sgpr_count:     6
    .sgpr_spill_count: 0
    .symbol:         _ZN7rocprim17ROCPRIM_400000_NS6detail17trampoline_kernelINS0_14default_configENS1_25partition_config_selectorILNS1_17partition_subalgoE8ElNS0_10empty_typeEbEEZZNS1_14partition_implILS5_8ELb0ES3_jPKlPS6_PKS6_NS0_5tupleIJPlS6_EEENSE_IJSB_SB_EEENS0_18inequality_wrapperIN6hipcub16HIPCUB_304000_NS8EqualityEEESF_JS6_EEE10hipError_tPvRmT3_T4_T5_T6_T7_T9_mT8_P12ihipStream_tbDpT10_ENKUlT_T0_E_clISt17integral_constantIbLb1EES15_IbLb0EEEEDaS11_S12_EUlS11_E_NS1_11comp_targetILNS1_3genE9ELNS1_11target_archE1100ELNS1_3gpuE3ELNS1_3repE0EEENS1_30default_config_static_selectorELNS0_4arch9wavefront6targetE1EEEvT1_.kd
    .uniform_work_group_size: 1
    .uses_dynamic_stack: false
    .vgpr_count:     0
    .vgpr_spill_count: 0
    .wavefront_size: 64
  - .agpr_count:     0
    .args:
      - .offset:         0
        .size:           112
        .value_kind:     by_value
    .group_segment_fixed_size: 0
    .kernarg_segment_align: 8
    .kernarg_segment_size: 112
    .language:       OpenCL C
    .language_version:
      - 2
      - 0
    .max_flat_workgroup_size: 512
    .name:           _ZN7rocprim17ROCPRIM_400000_NS6detail17trampoline_kernelINS0_14default_configENS1_25partition_config_selectorILNS1_17partition_subalgoE8ElNS0_10empty_typeEbEEZZNS1_14partition_implILS5_8ELb0ES3_jPKlPS6_PKS6_NS0_5tupleIJPlS6_EEENSE_IJSB_SB_EEENS0_18inequality_wrapperIN6hipcub16HIPCUB_304000_NS8EqualityEEESF_JS6_EEE10hipError_tPvRmT3_T4_T5_T6_T7_T9_mT8_P12ihipStream_tbDpT10_ENKUlT_T0_E_clISt17integral_constantIbLb1EES15_IbLb0EEEEDaS11_S12_EUlS11_E_NS1_11comp_targetILNS1_3genE8ELNS1_11target_archE1030ELNS1_3gpuE2ELNS1_3repE0EEENS1_30default_config_static_selectorELNS0_4arch9wavefront6targetE1EEEvT1_
    .private_segment_fixed_size: 0
    .sgpr_count:     6
    .sgpr_spill_count: 0
    .symbol:         _ZN7rocprim17ROCPRIM_400000_NS6detail17trampoline_kernelINS0_14default_configENS1_25partition_config_selectorILNS1_17partition_subalgoE8ElNS0_10empty_typeEbEEZZNS1_14partition_implILS5_8ELb0ES3_jPKlPS6_PKS6_NS0_5tupleIJPlS6_EEENSE_IJSB_SB_EEENS0_18inequality_wrapperIN6hipcub16HIPCUB_304000_NS8EqualityEEESF_JS6_EEE10hipError_tPvRmT3_T4_T5_T6_T7_T9_mT8_P12ihipStream_tbDpT10_ENKUlT_T0_E_clISt17integral_constantIbLb1EES15_IbLb0EEEEDaS11_S12_EUlS11_E_NS1_11comp_targetILNS1_3genE8ELNS1_11target_archE1030ELNS1_3gpuE2ELNS1_3repE0EEENS1_30default_config_static_selectorELNS0_4arch9wavefront6targetE1EEEvT1_.kd
    .uniform_work_group_size: 1
    .uses_dynamic_stack: false
    .vgpr_count:     0
    .vgpr_spill_count: 0
    .wavefront_size: 64
  - .agpr_count:     0
    .args:
      - .offset:         0
        .size:           128
        .value_kind:     by_value
    .group_segment_fixed_size: 0
    .kernarg_segment_align: 8
    .kernarg_segment_size: 128
    .language:       OpenCL C
    .language_version:
      - 2
      - 0
    .max_flat_workgroup_size: 512
    .name:           _ZN7rocprim17ROCPRIM_400000_NS6detail17trampoline_kernelINS0_14default_configENS1_25partition_config_selectorILNS1_17partition_subalgoE8ElNS0_10empty_typeEbEEZZNS1_14partition_implILS5_8ELb0ES3_jPKlPS6_PKS6_NS0_5tupleIJPlS6_EEENSE_IJSB_SB_EEENS0_18inequality_wrapperIN6hipcub16HIPCUB_304000_NS8EqualityEEESF_JS6_EEE10hipError_tPvRmT3_T4_T5_T6_T7_T9_mT8_P12ihipStream_tbDpT10_ENKUlT_T0_E_clISt17integral_constantIbLb0EES15_IbLb1EEEEDaS11_S12_EUlS11_E_NS1_11comp_targetILNS1_3genE0ELNS1_11target_archE4294967295ELNS1_3gpuE0ELNS1_3repE0EEENS1_30default_config_static_selectorELNS0_4arch9wavefront6targetE1EEEvT1_
    .private_segment_fixed_size: 0
    .sgpr_count:     6
    .sgpr_spill_count: 0
    .symbol:         _ZN7rocprim17ROCPRIM_400000_NS6detail17trampoline_kernelINS0_14default_configENS1_25partition_config_selectorILNS1_17partition_subalgoE8ElNS0_10empty_typeEbEEZZNS1_14partition_implILS5_8ELb0ES3_jPKlPS6_PKS6_NS0_5tupleIJPlS6_EEENSE_IJSB_SB_EEENS0_18inequality_wrapperIN6hipcub16HIPCUB_304000_NS8EqualityEEESF_JS6_EEE10hipError_tPvRmT3_T4_T5_T6_T7_T9_mT8_P12ihipStream_tbDpT10_ENKUlT_T0_E_clISt17integral_constantIbLb0EES15_IbLb1EEEEDaS11_S12_EUlS11_E_NS1_11comp_targetILNS1_3genE0ELNS1_11target_archE4294967295ELNS1_3gpuE0ELNS1_3repE0EEENS1_30default_config_static_selectorELNS0_4arch9wavefront6targetE1EEEvT1_.kd
    .uniform_work_group_size: 1
    .uses_dynamic_stack: false
    .vgpr_count:     0
    .vgpr_spill_count: 0
    .wavefront_size: 64
  - .agpr_count:     0
    .args:
      - .offset:         0
        .size:           128
        .value_kind:     by_value
    .group_segment_fixed_size: 28680
    .kernarg_segment_align: 8
    .kernarg_segment_size: 128
    .language:       OpenCL C
    .language_version:
      - 2
      - 0
    .max_flat_workgroup_size: 512
    .name:           _ZN7rocprim17ROCPRIM_400000_NS6detail17trampoline_kernelINS0_14default_configENS1_25partition_config_selectorILNS1_17partition_subalgoE8ElNS0_10empty_typeEbEEZZNS1_14partition_implILS5_8ELb0ES3_jPKlPS6_PKS6_NS0_5tupleIJPlS6_EEENSE_IJSB_SB_EEENS0_18inequality_wrapperIN6hipcub16HIPCUB_304000_NS8EqualityEEESF_JS6_EEE10hipError_tPvRmT3_T4_T5_T6_T7_T9_mT8_P12ihipStream_tbDpT10_ENKUlT_T0_E_clISt17integral_constantIbLb0EES15_IbLb1EEEEDaS11_S12_EUlS11_E_NS1_11comp_targetILNS1_3genE5ELNS1_11target_archE942ELNS1_3gpuE9ELNS1_3repE0EEENS1_30default_config_static_selectorELNS0_4arch9wavefront6targetE1EEEvT1_
    .private_segment_fixed_size: 0
    .sgpr_count:     46
    .sgpr_spill_count: 0
    .symbol:         _ZN7rocprim17ROCPRIM_400000_NS6detail17trampoline_kernelINS0_14default_configENS1_25partition_config_selectorILNS1_17partition_subalgoE8ElNS0_10empty_typeEbEEZZNS1_14partition_implILS5_8ELb0ES3_jPKlPS6_PKS6_NS0_5tupleIJPlS6_EEENSE_IJSB_SB_EEENS0_18inequality_wrapperIN6hipcub16HIPCUB_304000_NS8EqualityEEESF_JS6_EEE10hipError_tPvRmT3_T4_T5_T6_T7_T9_mT8_P12ihipStream_tbDpT10_ENKUlT_T0_E_clISt17integral_constantIbLb0EES15_IbLb1EEEEDaS11_S12_EUlS11_E_NS1_11comp_targetILNS1_3genE5ELNS1_11target_archE942ELNS1_3gpuE9ELNS1_3repE0EEENS1_30default_config_static_selectorELNS0_4arch9wavefront6targetE1EEEvT1_.kd
    .uniform_work_group_size: 1
    .uses_dynamic_stack: false
    .vgpr_count:     53
    .vgpr_spill_count: 0
    .wavefront_size: 64
  - .agpr_count:     0
    .args:
      - .offset:         0
        .size:           128
        .value_kind:     by_value
    .group_segment_fixed_size: 0
    .kernarg_segment_align: 8
    .kernarg_segment_size: 128
    .language:       OpenCL C
    .language_version:
      - 2
      - 0
    .max_flat_workgroup_size: 256
    .name:           _ZN7rocprim17ROCPRIM_400000_NS6detail17trampoline_kernelINS0_14default_configENS1_25partition_config_selectorILNS1_17partition_subalgoE8ElNS0_10empty_typeEbEEZZNS1_14partition_implILS5_8ELb0ES3_jPKlPS6_PKS6_NS0_5tupleIJPlS6_EEENSE_IJSB_SB_EEENS0_18inequality_wrapperIN6hipcub16HIPCUB_304000_NS8EqualityEEESF_JS6_EEE10hipError_tPvRmT3_T4_T5_T6_T7_T9_mT8_P12ihipStream_tbDpT10_ENKUlT_T0_E_clISt17integral_constantIbLb0EES15_IbLb1EEEEDaS11_S12_EUlS11_E_NS1_11comp_targetILNS1_3genE4ELNS1_11target_archE910ELNS1_3gpuE8ELNS1_3repE0EEENS1_30default_config_static_selectorELNS0_4arch9wavefront6targetE1EEEvT1_
    .private_segment_fixed_size: 0
    .sgpr_count:     6
    .sgpr_spill_count: 0
    .symbol:         _ZN7rocprim17ROCPRIM_400000_NS6detail17trampoline_kernelINS0_14default_configENS1_25partition_config_selectorILNS1_17partition_subalgoE8ElNS0_10empty_typeEbEEZZNS1_14partition_implILS5_8ELb0ES3_jPKlPS6_PKS6_NS0_5tupleIJPlS6_EEENSE_IJSB_SB_EEENS0_18inequality_wrapperIN6hipcub16HIPCUB_304000_NS8EqualityEEESF_JS6_EEE10hipError_tPvRmT3_T4_T5_T6_T7_T9_mT8_P12ihipStream_tbDpT10_ENKUlT_T0_E_clISt17integral_constantIbLb0EES15_IbLb1EEEEDaS11_S12_EUlS11_E_NS1_11comp_targetILNS1_3genE4ELNS1_11target_archE910ELNS1_3gpuE8ELNS1_3repE0EEENS1_30default_config_static_selectorELNS0_4arch9wavefront6targetE1EEEvT1_.kd
    .uniform_work_group_size: 1
    .uses_dynamic_stack: false
    .vgpr_count:     0
    .vgpr_spill_count: 0
    .wavefront_size: 64
  - .agpr_count:     0
    .args:
      - .offset:         0
        .size:           128
        .value_kind:     by_value
    .group_segment_fixed_size: 0
    .kernarg_segment_align: 8
    .kernarg_segment_size: 128
    .language:       OpenCL C
    .language_version:
      - 2
      - 0
    .max_flat_workgroup_size: 512
    .name:           _ZN7rocprim17ROCPRIM_400000_NS6detail17trampoline_kernelINS0_14default_configENS1_25partition_config_selectorILNS1_17partition_subalgoE8ElNS0_10empty_typeEbEEZZNS1_14partition_implILS5_8ELb0ES3_jPKlPS6_PKS6_NS0_5tupleIJPlS6_EEENSE_IJSB_SB_EEENS0_18inequality_wrapperIN6hipcub16HIPCUB_304000_NS8EqualityEEESF_JS6_EEE10hipError_tPvRmT3_T4_T5_T6_T7_T9_mT8_P12ihipStream_tbDpT10_ENKUlT_T0_E_clISt17integral_constantIbLb0EES15_IbLb1EEEEDaS11_S12_EUlS11_E_NS1_11comp_targetILNS1_3genE3ELNS1_11target_archE908ELNS1_3gpuE7ELNS1_3repE0EEENS1_30default_config_static_selectorELNS0_4arch9wavefront6targetE1EEEvT1_
    .private_segment_fixed_size: 0
    .sgpr_count:     6
    .sgpr_spill_count: 0
    .symbol:         _ZN7rocprim17ROCPRIM_400000_NS6detail17trampoline_kernelINS0_14default_configENS1_25partition_config_selectorILNS1_17partition_subalgoE8ElNS0_10empty_typeEbEEZZNS1_14partition_implILS5_8ELb0ES3_jPKlPS6_PKS6_NS0_5tupleIJPlS6_EEENSE_IJSB_SB_EEENS0_18inequality_wrapperIN6hipcub16HIPCUB_304000_NS8EqualityEEESF_JS6_EEE10hipError_tPvRmT3_T4_T5_T6_T7_T9_mT8_P12ihipStream_tbDpT10_ENKUlT_T0_E_clISt17integral_constantIbLb0EES15_IbLb1EEEEDaS11_S12_EUlS11_E_NS1_11comp_targetILNS1_3genE3ELNS1_11target_archE908ELNS1_3gpuE7ELNS1_3repE0EEENS1_30default_config_static_selectorELNS0_4arch9wavefront6targetE1EEEvT1_.kd
    .uniform_work_group_size: 1
    .uses_dynamic_stack: false
    .vgpr_count:     0
    .vgpr_spill_count: 0
    .wavefront_size: 64
  - .agpr_count:     0
    .args:
      - .offset:         0
        .size:           128
        .value_kind:     by_value
    .group_segment_fixed_size: 0
    .kernarg_segment_align: 8
    .kernarg_segment_size: 128
    .language:       OpenCL C
    .language_version:
      - 2
      - 0
    .max_flat_workgroup_size: 256
    .name:           _ZN7rocprim17ROCPRIM_400000_NS6detail17trampoline_kernelINS0_14default_configENS1_25partition_config_selectorILNS1_17partition_subalgoE8ElNS0_10empty_typeEbEEZZNS1_14partition_implILS5_8ELb0ES3_jPKlPS6_PKS6_NS0_5tupleIJPlS6_EEENSE_IJSB_SB_EEENS0_18inequality_wrapperIN6hipcub16HIPCUB_304000_NS8EqualityEEESF_JS6_EEE10hipError_tPvRmT3_T4_T5_T6_T7_T9_mT8_P12ihipStream_tbDpT10_ENKUlT_T0_E_clISt17integral_constantIbLb0EES15_IbLb1EEEEDaS11_S12_EUlS11_E_NS1_11comp_targetILNS1_3genE2ELNS1_11target_archE906ELNS1_3gpuE6ELNS1_3repE0EEENS1_30default_config_static_selectorELNS0_4arch9wavefront6targetE1EEEvT1_
    .private_segment_fixed_size: 0
    .sgpr_count:     6
    .sgpr_spill_count: 0
    .symbol:         _ZN7rocprim17ROCPRIM_400000_NS6detail17trampoline_kernelINS0_14default_configENS1_25partition_config_selectorILNS1_17partition_subalgoE8ElNS0_10empty_typeEbEEZZNS1_14partition_implILS5_8ELb0ES3_jPKlPS6_PKS6_NS0_5tupleIJPlS6_EEENSE_IJSB_SB_EEENS0_18inequality_wrapperIN6hipcub16HIPCUB_304000_NS8EqualityEEESF_JS6_EEE10hipError_tPvRmT3_T4_T5_T6_T7_T9_mT8_P12ihipStream_tbDpT10_ENKUlT_T0_E_clISt17integral_constantIbLb0EES15_IbLb1EEEEDaS11_S12_EUlS11_E_NS1_11comp_targetILNS1_3genE2ELNS1_11target_archE906ELNS1_3gpuE6ELNS1_3repE0EEENS1_30default_config_static_selectorELNS0_4arch9wavefront6targetE1EEEvT1_.kd
    .uniform_work_group_size: 1
    .uses_dynamic_stack: false
    .vgpr_count:     0
    .vgpr_spill_count: 0
    .wavefront_size: 64
  - .agpr_count:     0
    .args:
      - .offset:         0
        .size:           128
        .value_kind:     by_value
    .group_segment_fixed_size: 0
    .kernarg_segment_align: 8
    .kernarg_segment_size: 128
    .language:       OpenCL C
    .language_version:
      - 2
      - 0
    .max_flat_workgroup_size: 384
    .name:           _ZN7rocprim17ROCPRIM_400000_NS6detail17trampoline_kernelINS0_14default_configENS1_25partition_config_selectorILNS1_17partition_subalgoE8ElNS0_10empty_typeEbEEZZNS1_14partition_implILS5_8ELb0ES3_jPKlPS6_PKS6_NS0_5tupleIJPlS6_EEENSE_IJSB_SB_EEENS0_18inequality_wrapperIN6hipcub16HIPCUB_304000_NS8EqualityEEESF_JS6_EEE10hipError_tPvRmT3_T4_T5_T6_T7_T9_mT8_P12ihipStream_tbDpT10_ENKUlT_T0_E_clISt17integral_constantIbLb0EES15_IbLb1EEEEDaS11_S12_EUlS11_E_NS1_11comp_targetILNS1_3genE10ELNS1_11target_archE1200ELNS1_3gpuE4ELNS1_3repE0EEENS1_30default_config_static_selectorELNS0_4arch9wavefront6targetE1EEEvT1_
    .private_segment_fixed_size: 0
    .sgpr_count:     6
    .sgpr_spill_count: 0
    .symbol:         _ZN7rocprim17ROCPRIM_400000_NS6detail17trampoline_kernelINS0_14default_configENS1_25partition_config_selectorILNS1_17partition_subalgoE8ElNS0_10empty_typeEbEEZZNS1_14partition_implILS5_8ELb0ES3_jPKlPS6_PKS6_NS0_5tupleIJPlS6_EEENSE_IJSB_SB_EEENS0_18inequality_wrapperIN6hipcub16HIPCUB_304000_NS8EqualityEEESF_JS6_EEE10hipError_tPvRmT3_T4_T5_T6_T7_T9_mT8_P12ihipStream_tbDpT10_ENKUlT_T0_E_clISt17integral_constantIbLb0EES15_IbLb1EEEEDaS11_S12_EUlS11_E_NS1_11comp_targetILNS1_3genE10ELNS1_11target_archE1200ELNS1_3gpuE4ELNS1_3repE0EEENS1_30default_config_static_selectorELNS0_4arch9wavefront6targetE1EEEvT1_.kd
    .uniform_work_group_size: 1
    .uses_dynamic_stack: false
    .vgpr_count:     0
    .vgpr_spill_count: 0
    .wavefront_size: 64
  - .agpr_count:     0
    .args:
      - .offset:         0
        .size:           128
        .value_kind:     by_value
    .group_segment_fixed_size: 0
    .kernarg_segment_align: 8
    .kernarg_segment_size: 128
    .language:       OpenCL C
    .language_version:
      - 2
      - 0
    .max_flat_workgroup_size: 512
    .name:           _ZN7rocprim17ROCPRIM_400000_NS6detail17trampoline_kernelINS0_14default_configENS1_25partition_config_selectorILNS1_17partition_subalgoE8ElNS0_10empty_typeEbEEZZNS1_14partition_implILS5_8ELb0ES3_jPKlPS6_PKS6_NS0_5tupleIJPlS6_EEENSE_IJSB_SB_EEENS0_18inequality_wrapperIN6hipcub16HIPCUB_304000_NS8EqualityEEESF_JS6_EEE10hipError_tPvRmT3_T4_T5_T6_T7_T9_mT8_P12ihipStream_tbDpT10_ENKUlT_T0_E_clISt17integral_constantIbLb0EES15_IbLb1EEEEDaS11_S12_EUlS11_E_NS1_11comp_targetILNS1_3genE9ELNS1_11target_archE1100ELNS1_3gpuE3ELNS1_3repE0EEENS1_30default_config_static_selectorELNS0_4arch9wavefront6targetE1EEEvT1_
    .private_segment_fixed_size: 0
    .sgpr_count:     6
    .sgpr_spill_count: 0
    .symbol:         _ZN7rocprim17ROCPRIM_400000_NS6detail17trampoline_kernelINS0_14default_configENS1_25partition_config_selectorILNS1_17partition_subalgoE8ElNS0_10empty_typeEbEEZZNS1_14partition_implILS5_8ELb0ES3_jPKlPS6_PKS6_NS0_5tupleIJPlS6_EEENSE_IJSB_SB_EEENS0_18inequality_wrapperIN6hipcub16HIPCUB_304000_NS8EqualityEEESF_JS6_EEE10hipError_tPvRmT3_T4_T5_T6_T7_T9_mT8_P12ihipStream_tbDpT10_ENKUlT_T0_E_clISt17integral_constantIbLb0EES15_IbLb1EEEEDaS11_S12_EUlS11_E_NS1_11comp_targetILNS1_3genE9ELNS1_11target_archE1100ELNS1_3gpuE3ELNS1_3repE0EEENS1_30default_config_static_selectorELNS0_4arch9wavefront6targetE1EEEvT1_.kd
    .uniform_work_group_size: 1
    .uses_dynamic_stack: false
    .vgpr_count:     0
    .vgpr_spill_count: 0
    .wavefront_size: 64
  - .agpr_count:     0
    .args:
      - .offset:         0
        .size:           128
        .value_kind:     by_value
    .group_segment_fixed_size: 0
    .kernarg_segment_align: 8
    .kernarg_segment_size: 128
    .language:       OpenCL C
    .language_version:
      - 2
      - 0
    .max_flat_workgroup_size: 512
    .name:           _ZN7rocprim17ROCPRIM_400000_NS6detail17trampoline_kernelINS0_14default_configENS1_25partition_config_selectorILNS1_17partition_subalgoE8ElNS0_10empty_typeEbEEZZNS1_14partition_implILS5_8ELb0ES3_jPKlPS6_PKS6_NS0_5tupleIJPlS6_EEENSE_IJSB_SB_EEENS0_18inequality_wrapperIN6hipcub16HIPCUB_304000_NS8EqualityEEESF_JS6_EEE10hipError_tPvRmT3_T4_T5_T6_T7_T9_mT8_P12ihipStream_tbDpT10_ENKUlT_T0_E_clISt17integral_constantIbLb0EES15_IbLb1EEEEDaS11_S12_EUlS11_E_NS1_11comp_targetILNS1_3genE8ELNS1_11target_archE1030ELNS1_3gpuE2ELNS1_3repE0EEENS1_30default_config_static_selectorELNS0_4arch9wavefront6targetE1EEEvT1_
    .private_segment_fixed_size: 0
    .sgpr_count:     6
    .sgpr_spill_count: 0
    .symbol:         _ZN7rocprim17ROCPRIM_400000_NS6detail17trampoline_kernelINS0_14default_configENS1_25partition_config_selectorILNS1_17partition_subalgoE8ElNS0_10empty_typeEbEEZZNS1_14partition_implILS5_8ELb0ES3_jPKlPS6_PKS6_NS0_5tupleIJPlS6_EEENSE_IJSB_SB_EEENS0_18inequality_wrapperIN6hipcub16HIPCUB_304000_NS8EqualityEEESF_JS6_EEE10hipError_tPvRmT3_T4_T5_T6_T7_T9_mT8_P12ihipStream_tbDpT10_ENKUlT_T0_E_clISt17integral_constantIbLb0EES15_IbLb1EEEEDaS11_S12_EUlS11_E_NS1_11comp_targetILNS1_3genE8ELNS1_11target_archE1030ELNS1_3gpuE2ELNS1_3repE0EEENS1_30default_config_static_selectorELNS0_4arch9wavefront6targetE1EEEvT1_.kd
    .uniform_work_group_size: 1
    .uses_dynamic_stack: false
    .vgpr_count:     0
    .vgpr_spill_count: 0
    .wavefront_size: 64
  - .agpr_count:     0
    .args:
      - .offset:         0
        .size:           128
        .value_kind:     by_value
    .group_segment_fixed_size: 0
    .kernarg_segment_align: 8
    .kernarg_segment_size: 128
    .language:       OpenCL C
    .language_version:
      - 2
      - 0
    .max_flat_workgroup_size: 256
    .name:           _ZN7rocprim17ROCPRIM_400000_NS6detail17trampoline_kernelINS0_14default_configENS1_33run_length_encode_config_selectorIljNS0_4plusIjEEEEZZNS1_33reduce_by_key_impl_wrapped_configILNS1_25lookback_scan_determinismE0ES3_S7_PKlNS0_17constant_iteratorIjlEEPlSE_SE_S6_NS0_8equal_toIlEEEE10hipError_tPvRmT2_T3_mT4_T5_T6_T7_T8_P12ihipStream_tbENKUlT_T0_E_clISt17integral_constantIbLb0EESY_EEDaST_SU_EUlST_E_NS1_11comp_targetILNS1_3genE0ELNS1_11target_archE4294967295ELNS1_3gpuE0ELNS1_3repE0EEENS1_30default_config_static_selectorELNS0_4arch9wavefront6targetE1EEEvT1_
    .private_segment_fixed_size: 0
    .sgpr_count:     6
    .sgpr_spill_count: 0
    .symbol:         _ZN7rocprim17ROCPRIM_400000_NS6detail17trampoline_kernelINS0_14default_configENS1_33run_length_encode_config_selectorIljNS0_4plusIjEEEEZZNS1_33reduce_by_key_impl_wrapped_configILNS1_25lookback_scan_determinismE0ES3_S7_PKlNS0_17constant_iteratorIjlEEPlSE_SE_S6_NS0_8equal_toIlEEEE10hipError_tPvRmT2_T3_mT4_T5_T6_T7_T8_P12ihipStream_tbENKUlT_T0_E_clISt17integral_constantIbLb0EESY_EEDaST_SU_EUlST_E_NS1_11comp_targetILNS1_3genE0ELNS1_11target_archE4294967295ELNS1_3gpuE0ELNS1_3repE0EEENS1_30default_config_static_selectorELNS0_4arch9wavefront6targetE1EEEvT1_.kd
    .uniform_work_group_size: 1
    .uses_dynamic_stack: false
    .vgpr_count:     0
    .vgpr_spill_count: 0
    .wavefront_size: 64
  - .agpr_count:     0
    .args:
      - .offset:         0
        .size:           128
        .value_kind:     by_value
    .group_segment_fixed_size: 61440
    .kernarg_segment_align: 8
    .kernarg_segment_size: 128
    .language:       OpenCL C
    .language_version:
      - 2
      - 0
    .max_flat_workgroup_size: 512
    .name:           _ZN7rocprim17ROCPRIM_400000_NS6detail17trampoline_kernelINS0_14default_configENS1_33run_length_encode_config_selectorIljNS0_4plusIjEEEEZZNS1_33reduce_by_key_impl_wrapped_configILNS1_25lookback_scan_determinismE0ES3_S7_PKlNS0_17constant_iteratorIjlEEPlSE_SE_S6_NS0_8equal_toIlEEEE10hipError_tPvRmT2_T3_mT4_T5_T6_T7_T8_P12ihipStream_tbENKUlT_T0_E_clISt17integral_constantIbLb0EESY_EEDaST_SU_EUlST_E_NS1_11comp_targetILNS1_3genE5ELNS1_11target_archE942ELNS1_3gpuE9ELNS1_3repE0EEENS1_30default_config_static_selectorELNS0_4arch9wavefront6targetE1EEEvT1_
    .private_segment_fixed_size: 0
    .sgpr_count:     70
    .sgpr_spill_count: 0
    .symbol:         _ZN7rocprim17ROCPRIM_400000_NS6detail17trampoline_kernelINS0_14default_configENS1_33run_length_encode_config_selectorIljNS0_4plusIjEEEEZZNS1_33reduce_by_key_impl_wrapped_configILNS1_25lookback_scan_determinismE0ES3_S7_PKlNS0_17constant_iteratorIjlEEPlSE_SE_S6_NS0_8equal_toIlEEEE10hipError_tPvRmT2_T3_mT4_T5_T6_T7_T8_P12ihipStream_tbENKUlT_T0_E_clISt17integral_constantIbLb0EESY_EEDaST_SU_EUlST_E_NS1_11comp_targetILNS1_3genE5ELNS1_11target_archE942ELNS1_3gpuE9ELNS1_3repE0EEENS1_30default_config_static_selectorELNS0_4arch9wavefront6targetE1EEEvT1_.kd
    .uniform_work_group_size: 1
    .uses_dynamic_stack: false
    .vgpr_count:     90
    .vgpr_spill_count: 0
    .wavefront_size: 64
  - .agpr_count:     0
    .args:
      - .offset:         0
        .size:           128
        .value_kind:     by_value
    .group_segment_fixed_size: 0
    .kernarg_segment_align: 8
    .kernarg_segment_size: 128
    .language:       OpenCL C
    .language_version:
      - 2
      - 0
    .max_flat_workgroup_size: 256
    .name:           _ZN7rocprim17ROCPRIM_400000_NS6detail17trampoline_kernelINS0_14default_configENS1_33run_length_encode_config_selectorIljNS0_4plusIjEEEEZZNS1_33reduce_by_key_impl_wrapped_configILNS1_25lookback_scan_determinismE0ES3_S7_PKlNS0_17constant_iteratorIjlEEPlSE_SE_S6_NS0_8equal_toIlEEEE10hipError_tPvRmT2_T3_mT4_T5_T6_T7_T8_P12ihipStream_tbENKUlT_T0_E_clISt17integral_constantIbLb0EESY_EEDaST_SU_EUlST_E_NS1_11comp_targetILNS1_3genE4ELNS1_11target_archE910ELNS1_3gpuE8ELNS1_3repE0EEENS1_30default_config_static_selectorELNS0_4arch9wavefront6targetE1EEEvT1_
    .private_segment_fixed_size: 0
    .sgpr_count:     6
    .sgpr_spill_count: 0
    .symbol:         _ZN7rocprim17ROCPRIM_400000_NS6detail17trampoline_kernelINS0_14default_configENS1_33run_length_encode_config_selectorIljNS0_4plusIjEEEEZZNS1_33reduce_by_key_impl_wrapped_configILNS1_25lookback_scan_determinismE0ES3_S7_PKlNS0_17constant_iteratorIjlEEPlSE_SE_S6_NS0_8equal_toIlEEEE10hipError_tPvRmT2_T3_mT4_T5_T6_T7_T8_P12ihipStream_tbENKUlT_T0_E_clISt17integral_constantIbLb0EESY_EEDaST_SU_EUlST_E_NS1_11comp_targetILNS1_3genE4ELNS1_11target_archE910ELNS1_3gpuE8ELNS1_3repE0EEENS1_30default_config_static_selectorELNS0_4arch9wavefront6targetE1EEEvT1_.kd
    .uniform_work_group_size: 1
    .uses_dynamic_stack: false
    .vgpr_count:     0
    .vgpr_spill_count: 0
    .wavefront_size: 64
  - .agpr_count:     0
    .args:
      - .offset:         0
        .size:           128
        .value_kind:     by_value
    .group_segment_fixed_size: 0
    .kernarg_segment_align: 8
    .kernarg_segment_size: 128
    .language:       OpenCL C
    .language_version:
      - 2
      - 0
    .max_flat_workgroup_size: 256
    .name:           _ZN7rocprim17ROCPRIM_400000_NS6detail17trampoline_kernelINS0_14default_configENS1_33run_length_encode_config_selectorIljNS0_4plusIjEEEEZZNS1_33reduce_by_key_impl_wrapped_configILNS1_25lookback_scan_determinismE0ES3_S7_PKlNS0_17constant_iteratorIjlEEPlSE_SE_S6_NS0_8equal_toIlEEEE10hipError_tPvRmT2_T3_mT4_T5_T6_T7_T8_P12ihipStream_tbENKUlT_T0_E_clISt17integral_constantIbLb0EESY_EEDaST_SU_EUlST_E_NS1_11comp_targetILNS1_3genE3ELNS1_11target_archE908ELNS1_3gpuE7ELNS1_3repE0EEENS1_30default_config_static_selectorELNS0_4arch9wavefront6targetE1EEEvT1_
    .private_segment_fixed_size: 0
    .sgpr_count:     6
    .sgpr_spill_count: 0
    .symbol:         _ZN7rocprim17ROCPRIM_400000_NS6detail17trampoline_kernelINS0_14default_configENS1_33run_length_encode_config_selectorIljNS0_4plusIjEEEEZZNS1_33reduce_by_key_impl_wrapped_configILNS1_25lookback_scan_determinismE0ES3_S7_PKlNS0_17constant_iteratorIjlEEPlSE_SE_S6_NS0_8equal_toIlEEEE10hipError_tPvRmT2_T3_mT4_T5_T6_T7_T8_P12ihipStream_tbENKUlT_T0_E_clISt17integral_constantIbLb0EESY_EEDaST_SU_EUlST_E_NS1_11comp_targetILNS1_3genE3ELNS1_11target_archE908ELNS1_3gpuE7ELNS1_3repE0EEENS1_30default_config_static_selectorELNS0_4arch9wavefront6targetE1EEEvT1_.kd
    .uniform_work_group_size: 1
    .uses_dynamic_stack: false
    .vgpr_count:     0
    .vgpr_spill_count: 0
    .wavefront_size: 64
  - .agpr_count:     0
    .args:
      - .offset:         0
        .size:           128
        .value_kind:     by_value
    .group_segment_fixed_size: 0
    .kernarg_segment_align: 8
    .kernarg_segment_size: 128
    .language:       OpenCL C
    .language_version:
      - 2
      - 0
    .max_flat_workgroup_size: 256
    .name:           _ZN7rocprim17ROCPRIM_400000_NS6detail17trampoline_kernelINS0_14default_configENS1_33run_length_encode_config_selectorIljNS0_4plusIjEEEEZZNS1_33reduce_by_key_impl_wrapped_configILNS1_25lookback_scan_determinismE0ES3_S7_PKlNS0_17constant_iteratorIjlEEPlSE_SE_S6_NS0_8equal_toIlEEEE10hipError_tPvRmT2_T3_mT4_T5_T6_T7_T8_P12ihipStream_tbENKUlT_T0_E_clISt17integral_constantIbLb0EESY_EEDaST_SU_EUlST_E_NS1_11comp_targetILNS1_3genE2ELNS1_11target_archE906ELNS1_3gpuE6ELNS1_3repE0EEENS1_30default_config_static_selectorELNS0_4arch9wavefront6targetE1EEEvT1_
    .private_segment_fixed_size: 0
    .sgpr_count:     6
    .sgpr_spill_count: 0
    .symbol:         _ZN7rocprim17ROCPRIM_400000_NS6detail17trampoline_kernelINS0_14default_configENS1_33run_length_encode_config_selectorIljNS0_4plusIjEEEEZZNS1_33reduce_by_key_impl_wrapped_configILNS1_25lookback_scan_determinismE0ES3_S7_PKlNS0_17constant_iteratorIjlEEPlSE_SE_S6_NS0_8equal_toIlEEEE10hipError_tPvRmT2_T3_mT4_T5_T6_T7_T8_P12ihipStream_tbENKUlT_T0_E_clISt17integral_constantIbLb0EESY_EEDaST_SU_EUlST_E_NS1_11comp_targetILNS1_3genE2ELNS1_11target_archE906ELNS1_3gpuE6ELNS1_3repE0EEENS1_30default_config_static_selectorELNS0_4arch9wavefront6targetE1EEEvT1_.kd
    .uniform_work_group_size: 1
    .uses_dynamic_stack: false
    .vgpr_count:     0
    .vgpr_spill_count: 0
    .wavefront_size: 64
  - .agpr_count:     0
    .args:
      - .offset:         0
        .size:           128
        .value_kind:     by_value
    .group_segment_fixed_size: 0
    .kernarg_segment_align: 8
    .kernarg_segment_size: 128
    .language:       OpenCL C
    .language_version:
      - 2
      - 0
    .max_flat_workgroup_size: 512
    .name:           _ZN7rocprim17ROCPRIM_400000_NS6detail17trampoline_kernelINS0_14default_configENS1_33run_length_encode_config_selectorIljNS0_4plusIjEEEEZZNS1_33reduce_by_key_impl_wrapped_configILNS1_25lookback_scan_determinismE0ES3_S7_PKlNS0_17constant_iteratorIjlEEPlSE_SE_S6_NS0_8equal_toIlEEEE10hipError_tPvRmT2_T3_mT4_T5_T6_T7_T8_P12ihipStream_tbENKUlT_T0_E_clISt17integral_constantIbLb0EESY_EEDaST_SU_EUlST_E_NS1_11comp_targetILNS1_3genE10ELNS1_11target_archE1201ELNS1_3gpuE5ELNS1_3repE0EEENS1_30default_config_static_selectorELNS0_4arch9wavefront6targetE1EEEvT1_
    .private_segment_fixed_size: 0
    .sgpr_count:     6
    .sgpr_spill_count: 0
    .symbol:         _ZN7rocprim17ROCPRIM_400000_NS6detail17trampoline_kernelINS0_14default_configENS1_33run_length_encode_config_selectorIljNS0_4plusIjEEEEZZNS1_33reduce_by_key_impl_wrapped_configILNS1_25lookback_scan_determinismE0ES3_S7_PKlNS0_17constant_iteratorIjlEEPlSE_SE_S6_NS0_8equal_toIlEEEE10hipError_tPvRmT2_T3_mT4_T5_T6_T7_T8_P12ihipStream_tbENKUlT_T0_E_clISt17integral_constantIbLb0EESY_EEDaST_SU_EUlST_E_NS1_11comp_targetILNS1_3genE10ELNS1_11target_archE1201ELNS1_3gpuE5ELNS1_3repE0EEENS1_30default_config_static_selectorELNS0_4arch9wavefront6targetE1EEEvT1_.kd
    .uniform_work_group_size: 1
    .uses_dynamic_stack: false
    .vgpr_count:     0
    .vgpr_spill_count: 0
    .wavefront_size: 64
  - .agpr_count:     0
    .args:
      - .offset:         0
        .size:           128
        .value_kind:     by_value
    .group_segment_fixed_size: 0
    .kernarg_segment_align: 8
    .kernarg_segment_size: 128
    .language:       OpenCL C
    .language_version:
      - 2
      - 0
    .max_flat_workgroup_size: 512
    .name:           _ZN7rocprim17ROCPRIM_400000_NS6detail17trampoline_kernelINS0_14default_configENS1_33run_length_encode_config_selectorIljNS0_4plusIjEEEEZZNS1_33reduce_by_key_impl_wrapped_configILNS1_25lookback_scan_determinismE0ES3_S7_PKlNS0_17constant_iteratorIjlEEPlSE_SE_S6_NS0_8equal_toIlEEEE10hipError_tPvRmT2_T3_mT4_T5_T6_T7_T8_P12ihipStream_tbENKUlT_T0_E_clISt17integral_constantIbLb0EESY_EEDaST_SU_EUlST_E_NS1_11comp_targetILNS1_3genE10ELNS1_11target_archE1200ELNS1_3gpuE4ELNS1_3repE0EEENS1_30default_config_static_selectorELNS0_4arch9wavefront6targetE1EEEvT1_
    .private_segment_fixed_size: 0
    .sgpr_count:     6
    .sgpr_spill_count: 0
    .symbol:         _ZN7rocprim17ROCPRIM_400000_NS6detail17trampoline_kernelINS0_14default_configENS1_33run_length_encode_config_selectorIljNS0_4plusIjEEEEZZNS1_33reduce_by_key_impl_wrapped_configILNS1_25lookback_scan_determinismE0ES3_S7_PKlNS0_17constant_iteratorIjlEEPlSE_SE_S6_NS0_8equal_toIlEEEE10hipError_tPvRmT2_T3_mT4_T5_T6_T7_T8_P12ihipStream_tbENKUlT_T0_E_clISt17integral_constantIbLb0EESY_EEDaST_SU_EUlST_E_NS1_11comp_targetILNS1_3genE10ELNS1_11target_archE1200ELNS1_3gpuE4ELNS1_3repE0EEENS1_30default_config_static_selectorELNS0_4arch9wavefront6targetE1EEEvT1_.kd
    .uniform_work_group_size: 1
    .uses_dynamic_stack: false
    .vgpr_count:     0
    .vgpr_spill_count: 0
    .wavefront_size: 64
  - .agpr_count:     0
    .args:
      - .offset:         0
        .size:           128
        .value_kind:     by_value
    .group_segment_fixed_size: 0
    .kernarg_segment_align: 8
    .kernarg_segment_size: 128
    .language:       OpenCL C
    .language_version:
      - 2
      - 0
    .max_flat_workgroup_size: 512
    .name:           _ZN7rocprim17ROCPRIM_400000_NS6detail17trampoline_kernelINS0_14default_configENS1_33run_length_encode_config_selectorIljNS0_4plusIjEEEEZZNS1_33reduce_by_key_impl_wrapped_configILNS1_25lookback_scan_determinismE0ES3_S7_PKlNS0_17constant_iteratorIjlEEPlSE_SE_S6_NS0_8equal_toIlEEEE10hipError_tPvRmT2_T3_mT4_T5_T6_T7_T8_P12ihipStream_tbENKUlT_T0_E_clISt17integral_constantIbLb0EESY_EEDaST_SU_EUlST_E_NS1_11comp_targetILNS1_3genE9ELNS1_11target_archE1100ELNS1_3gpuE3ELNS1_3repE0EEENS1_30default_config_static_selectorELNS0_4arch9wavefront6targetE1EEEvT1_
    .private_segment_fixed_size: 0
    .sgpr_count:     6
    .sgpr_spill_count: 0
    .symbol:         _ZN7rocprim17ROCPRIM_400000_NS6detail17trampoline_kernelINS0_14default_configENS1_33run_length_encode_config_selectorIljNS0_4plusIjEEEEZZNS1_33reduce_by_key_impl_wrapped_configILNS1_25lookback_scan_determinismE0ES3_S7_PKlNS0_17constant_iteratorIjlEEPlSE_SE_S6_NS0_8equal_toIlEEEE10hipError_tPvRmT2_T3_mT4_T5_T6_T7_T8_P12ihipStream_tbENKUlT_T0_E_clISt17integral_constantIbLb0EESY_EEDaST_SU_EUlST_E_NS1_11comp_targetILNS1_3genE9ELNS1_11target_archE1100ELNS1_3gpuE3ELNS1_3repE0EEENS1_30default_config_static_selectorELNS0_4arch9wavefront6targetE1EEEvT1_.kd
    .uniform_work_group_size: 1
    .uses_dynamic_stack: false
    .vgpr_count:     0
    .vgpr_spill_count: 0
    .wavefront_size: 64
  - .agpr_count:     0
    .args:
      - .offset:         0
        .size:           128
        .value_kind:     by_value
    .group_segment_fixed_size: 0
    .kernarg_segment_align: 8
    .kernarg_segment_size: 128
    .language:       OpenCL C
    .language_version:
      - 2
      - 0
    .max_flat_workgroup_size: 512
    .name:           _ZN7rocprim17ROCPRIM_400000_NS6detail17trampoline_kernelINS0_14default_configENS1_33run_length_encode_config_selectorIljNS0_4plusIjEEEEZZNS1_33reduce_by_key_impl_wrapped_configILNS1_25lookback_scan_determinismE0ES3_S7_PKlNS0_17constant_iteratorIjlEEPlSE_SE_S6_NS0_8equal_toIlEEEE10hipError_tPvRmT2_T3_mT4_T5_T6_T7_T8_P12ihipStream_tbENKUlT_T0_E_clISt17integral_constantIbLb0EESY_EEDaST_SU_EUlST_E_NS1_11comp_targetILNS1_3genE8ELNS1_11target_archE1030ELNS1_3gpuE2ELNS1_3repE0EEENS1_30default_config_static_selectorELNS0_4arch9wavefront6targetE1EEEvT1_
    .private_segment_fixed_size: 0
    .sgpr_count:     6
    .sgpr_spill_count: 0
    .symbol:         _ZN7rocprim17ROCPRIM_400000_NS6detail17trampoline_kernelINS0_14default_configENS1_33run_length_encode_config_selectorIljNS0_4plusIjEEEEZZNS1_33reduce_by_key_impl_wrapped_configILNS1_25lookback_scan_determinismE0ES3_S7_PKlNS0_17constant_iteratorIjlEEPlSE_SE_S6_NS0_8equal_toIlEEEE10hipError_tPvRmT2_T3_mT4_T5_T6_T7_T8_P12ihipStream_tbENKUlT_T0_E_clISt17integral_constantIbLb0EESY_EEDaST_SU_EUlST_E_NS1_11comp_targetILNS1_3genE8ELNS1_11target_archE1030ELNS1_3gpuE2ELNS1_3repE0EEENS1_30default_config_static_selectorELNS0_4arch9wavefront6targetE1EEEvT1_.kd
    .uniform_work_group_size: 1
    .uses_dynamic_stack: false
    .vgpr_count:     0
    .vgpr_spill_count: 0
    .wavefront_size: 64
  - .agpr_count:     0
    .args:
      - .offset:         0
        .size:           128
        .value_kind:     by_value
    .group_segment_fixed_size: 0
    .kernarg_segment_align: 8
    .kernarg_segment_size: 128
    .language:       OpenCL C
    .language_version:
      - 2
      - 0
    .max_flat_workgroup_size: 256
    .name:           _ZN7rocprim17ROCPRIM_400000_NS6detail17trampoline_kernelINS0_14default_configENS1_33run_length_encode_config_selectorIljNS0_4plusIjEEEEZZNS1_33reduce_by_key_impl_wrapped_configILNS1_25lookback_scan_determinismE0ES3_S7_PKlNS0_17constant_iteratorIjlEEPlSE_SE_S6_NS0_8equal_toIlEEEE10hipError_tPvRmT2_T3_mT4_T5_T6_T7_T8_P12ihipStream_tbENKUlT_T0_E_clISt17integral_constantIbLb1EESY_EEDaST_SU_EUlST_E_NS1_11comp_targetILNS1_3genE0ELNS1_11target_archE4294967295ELNS1_3gpuE0ELNS1_3repE0EEENS1_30default_config_static_selectorELNS0_4arch9wavefront6targetE1EEEvT1_
    .private_segment_fixed_size: 0
    .sgpr_count:     6
    .sgpr_spill_count: 0
    .symbol:         _ZN7rocprim17ROCPRIM_400000_NS6detail17trampoline_kernelINS0_14default_configENS1_33run_length_encode_config_selectorIljNS0_4plusIjEEEEZZNS1_33reduce_by_key_impl_wrapped_configILNS1_25lookback_scan_determinismE0ES3_S7_PKlNS0_17constant_iteratorIjlEEPlSE_SE_S6_NS0_8equal_toIlEEEE10hipError_tPvRmT2_T3_mT4_T5_T6_T7_T8_P12ihipStream_tbENKUlT_T0_E_clISt17integral_constantIbLb1EESY_EEDaST_SU_EUlST_E_NS1_11comp_targetILNS1_3genE0ELNS1_11target_archE4294967295ELNS1_3gpuE0ELNS1_3repE0EEENS1_30default_config_static_selectorELNS0_4arch9wavefront6targetE1EEEvT1_.kd
    .uniform_work_group_size: 1
    .uses_dynamic_stack: false
    .vgpr_count:     0
    .vgpr_spill_count: 0
    .wavefront_size: 64
  - .agpr_count:     0
    .args:
      - .offset:         0
        .size:           128
        .value_kind:     by_value
    .group_segment_fixed_size: 61440
    .kernarg_segment_align: 8
    .kernarg_segment_size: 128
    .language:       OpenCL C
    .language_version:
      - 2
      - 0
    .max_flat_workgroup_size: 512
    .name:           _ZN7rocprim17ROCPRIM_400000_NS6detail17trampoline_kernelINS0_14default_configENS1_33run_length_encode_config_selectorIljNS0_4plusIjEEEEZZNS1_33reduce_by_key_impl_wrapped_configILNS1_25lookback_scan_determinismE0ES3_S7_PKlNS0_17constant_iteratorIjlEEPlSE_SE_S6_NS0_8equal_toIlEEEE10hipError_tPvRmT2_T3_mT4_T5_T6_T7_T8_P12ihipStream_tbENKUlT_T0_E_clISt17integral_constantIbLb1EESY_EEDaST_SU_EUlST_E_NS1_11comp_targetILNS1_3genE5ELNS1_11target_archE942ELNS1_3gpuE9ELNS1_3repE0EEENS1_30default_config_static_selectorELNS0_4arch9wavefront6targetE1EEEvT1_
    .private_segment_fixed_size: 0
    .sgpr_count:     72
    .sgpr_spill_count: 0
    .symbol:         _ZN7rocprim17ROCPRIM_400000_NS6detail17trampoline_kernelINS0_14default_configENS1_33run_length_encode_config_selectorIljNS0_4plusIjEEEEZZNS1_33reduce_by_key_impl_wrapped_configILNS1_25lookback_scan_determinismE0ES3_S7_PKlNS0_17constant_iteratorIjlEEPlSE_SE_S6_NS0_8equal_toIlEEEE10hipError_tPvRmT2_T3_mT4_T5_T6_T7_T8_P12ihipStream_tbENKUlT_T0_E_clISt17integral_constantIbLb1EESY_EEDaST_SU_EUlST_E_NS1_11comp_targetILNS1_3genE5ELNS1_11target_archE942ELNS1_3gpuE9ELNS1_3repE0EEENS1_30default_config_static_selectorELNS0_4arch9wavefront6targetE1EEEvT1_.kd
    .uniform_work_group_size: 1
    .uses_dynamic_stack: false
    .vgpr_count:     90
    .vgpr_spill_count: 0
    .wavefront_size: 64
  - .agpr_count:     0
    .args:
      - .offset:         0
        .size:           128
        .value_kind:     by_value
    .group_segment_fixed_size: 0
    .kernarg_segment_align: 8
    .kernarg_segment_size: 128
    .language:       OpenCL C
    .language_version:
      - 2
      - 0
    .max_flat_workgroup_size: 256
    .name:           _ZN7rocprim17ROCPRIM_400000_NS6detail17trampoline_kernelINS0_14default_configENS1_33run_length_encode_config_selectorIljNS0_4plusIjEEEEZZNS1_33reduce_by_key_impl_wrapped_configILNS1_25lookback_scan_determinismE0ES3_S7_PKlNS0_17constant_iteratorIjlEEPlSE_SE_S6_NS0_8equal_toIlEEEE10hipError_tPvRmT2_T3_mT4_T5_T6_T7_T8_P12ihipStream_tbENKUlT_T0_E_clISt17integral_constantIbLb1EESY_EEDaST_SU_EUlST_E_NS1_11comp_targetILNS1_3genE4ELNS1_11target_archE910ELNS1_3gpuE8ELNS1_3repE0EEENS1_30default_config_static_selectorELNS0_4arch9wavefront6targetE1EEEvT1_
    .private_segment_fixed_size: 0
    .sgpr_count:     6
    .sgpr_spill_count: 0
    .symbol:         _ZN7rocprim17ROCPRIM_400000_NS6detail17trampoline_kernelINS0_14default_configENS1_33run_length_encode_config_selectorIljNS0_4plusIjEEEEZZNS1_33reduce_by_key_impl_wrapped_configILNS1_25lookback_scan_determinismE0ES3_S7_PKlNS0_17constant_iteratorIjlEEPlSE_SE_S6_NS0_8equal_toIlEEEE10hipError_tPvRmT2_T3_mT4_T5_T6_T7_T8_P12ihipStream_tbENKUlT_T0_E_clISt17integral_constantIbLb1EESY_EEDaST_SU_EUlST_E_NS1_11comp_targetILNS1_3genE4ELNS1_11target_archE910ELNS1_3gpuE8ELNS1_3repE0EEENS1_30default_config_static_selectorELNS0_4arch9wavefront6targetE1EEEvT1_.kd
    .uniform_work_group_size: 1
    .uses_dynamic_stack: false
    .vgpr_count:     0
    .vgpr_spill_count: 0
    .wavefront_size: 64
  - .agpr_count:     0
    .args:
      - .offset:         0
        .size:           128
        .value_kind:     by_value
    .group_segment_fixed_size: 0
    .kernarg_segment_align: 8
    .kernarg_segment_size: 128
    .language:       OpenCL C
    .language_version:
      - 2
      - 0
    .max_flat_workgroup_size: 256
    .name:           _ZN7rocprim17ROCPRIM_400000_NS6detail17trampoline_kernelINS0_14default_configENS1_33run_length_encode_config_selectorIljNS0_4plusIjEEEEZZNS1_33reduce_by_key_impl_wrapped_configILNS1_25lookback_scan_determinismE0ES3_S7_PKlNS0_17constant_iteratorIjlEEPlSE_SE_S6_NS0_8equal_toIlEEEE10hipError_tPvRmT2_T3_mT4_T5_T6_T7_T8_P12ihipStream_tbENKUlT_T0_E_clISt17integral_constantIbLb1EESY_EEDaST_SU_EUlST_E_NS1_11comp_targetILNS1_3genE3ELNS1_11target_archE908ELNS1_3gpuE7ELNS1_3repE0EEENS1_30default_config_static_selectorELNS0_4arch9wavefront6targetE1EEEvT1_
    .private_segment_fixed_size: 0
    .sgpr_count:     6
    .sgpr_spill_count: 0
    .symbol:         _ZN7rocprim17ROCPRIM_400000_NS6detail17trampoline_kernelINS0_14default_configENS1_33run_length_encode_config_selectorIljNS0_4plusIjEEEEZZNS1_33reduce_by_key_impl_wrapped_configILNS1_25lookback_scan_determinismE0ES3_S7_PKlNS0_17constant_iteratorIjlEEPlSE_SE_S6_NS0_8equal_toIlEEEE10hipError_tPvRmT2_T3_mT4_T5_T6_T7_T8_P12ihipStream_tbENKUlT_T0_E_clISt17integral_constantIbLb1EESY_EEDaST_SU_EUlST_E_NS1_11comp_targetILNS1_3genE3ELNS1_11target_archE908ELNS1_3gpuE7ELNS1_3repE0EEENS1_30default_config_static_selectorELNS0_4arch9wavefront6targetE1EEEvT1_.kd
    .uniform_work_group_size: 1
    .uses_dynamic_stack: false
    .vgpr_count:     0
    .vgpr_spill_count: 0
    .wavefront_size: 64
  - .agpr_count:     0
    .args:
      - .offset:         0
        .size:           128
        .value_kind:     by_value
    .group_segment_fixed_size: 0
    .kernarg_segment_align: 8
    .kernarg_segment_size: 128
    .language:       OpenCL C
    .language_version:
      - 2
      - 0
    .max_flat_workgroup_size: 256
    .name:           _ZN7rocprim17ROCPRIM_400000_NS6detail17trampoline_kernelINS0_14default_configENS1_33run_length_encode_config_selectorIljNS0_4plusIjEEEEZZNS1_33reduce_by_key_impl_wrapped_configILNS1_25lookback_scan_determinismE0ES3_S7_PKlNS0_17constant_iteratorIjlEEPlSE_SE_S6_NS0_8equal_toIlEEEE10hipError_tPvRmT2_T3_mT4_T5_T6_T7_T8_P12ihipStream_tbENKUlT_T0_E_clISt17integral_constantIbLb1EESY_EEDaST_SU_EUlST_E_NS1_11comp_targetILNS1_3genE2ELNS1_11target_archE906ELNS1_3gpuE6ELNS1_3repE0EEENS1_30default_config_static_selectorELNS0_4arch9wavefront6targetE1EEEvT1_
    .private_segment_fixed_size: 0
    .sgpr_count:     6
    .sgpr_spill_count: 0
    .symbol:         _ZN7rocprim17ROCPRIM_400000_NS6detail17trampoline_kernelINS0_14default_configENS1_33run_length_encode_config_selectorIljNS0_4plusIjEEEEZZNS1_33reduce_by_key_impl_wrapped_configILNS1_25lookback_scan_determinismE0ES3_S7_PKlNS0_17constant_iteratorIjlEEPlSE_SE_S6_NS0_8equal_toIlEEEE10hipError_tPvRmT2_T3_mT4_T5_T6_T7_T8_P12ihipStream_tbENKUlT_T0_E_clISt17integral_constantIbLb1EESY_EEDaST_SU_EUlST_E_NS1_11comp_targetILNS1_3genE2ELNS1_11target_archE906ELNS1_3gpuE6ELNS1_3repE0EEENS1_30default_config_static_selectorELNS0_4arch9wavefront6targetE1EEEvT1_.kd
    .uniform_work_group_size: 1
    .uses_dynamic_stack: false
    .vgpr_count:     0
    .vgpr_spill_count: 0
    .wavefront_size: 64
  - .agpr_count:     0
    .args:
      - .offset:         0
        .size:           128
        .value_kind:     by_value
    .group_segment_fixed_size: 0
    .kernarg_segment_align: 8
    .kernarg_segment_size: 128
    .language:       OpenCL C
    .language_version:
      - 2
      - 0
    .max_flat_workgroup_size: 512
    .name:           _ZN7rocprim17ROCPRIM_400000_NS6detail17trampoline_kernelINS0_14default_configENS1_33run_length_encode_config_selectorIljNS0_4plusIjEEEEZZNS1_33reduce_by_key_impl_wrapped_configILNS1_25lookback_scan_determinismE0ES3_S7_PKlNS0_17constant_iteratorIjlEEPlSE_SE_S6_NS0_8equal_toIlEEEE10hipError_tPvRmT2_T3_mT4_T5_T6_T7_T8_P12ihipStream_tbENKUlT_T0_E_clISt17integral_constantIbLb1EESY_EEDaST_SU_EUlST_E_NS1_11comp_targetILNS1_3genE10ELNS1_11target_archE1201ELNS1_3gpuE5ELNS1_3repE0EEENS1_30default_config_static_selectorELNS0_4arch9wavefront6targetE1EEEvT1_
    .private_segment_fixed_size: 0
    .sgpr_count:     6
    .sgpr_spill_count: 0
    .symbol:         _ZN7rocprim17ROCPRIM_400000_NS6detail17trampoline_kernelINS0_14default_configENS1_33run_length_encode_config_selectorIljNS0_4plusIjEEEEZZNS1_33reduce_by_key_impl_wrapped_configILNS1_25lookback_scan_determinismE0ES3_S7_PKlNS0_17constant_iteratorIjlEEPlSE_SE_S6_NS0_8equal_toIlEEEE10hipError_tPvRmT2_T3_mT4_T5_T6_T7_T8_P12ihipStream_tbENKUlT_T0_E_clISt17integral_constantIbLb1EESY_EEDaST_SU_EUlST_E_NS1_11comp_targetILNS1_3genE10ELNS1_11target_archE1201ELNS1_3gpuE5ELNS1_3repE0EEENS1_30default_config_static_selectorELNS0_4arch9wavefront6targetE1EEEvT1_.kd
    .uniform_work_group_size: 1
    .uses_dynamic_stack: false
    .vgpr_count:     0
    .vgpr_spill_count: 0
    .wavefront_size: 64
  - .agpr_count:     0
    .args:
      - .offset:         0
        .size:           128
        .value_kind:     by_value
    .group_segment_fixed_size: 0
    .kernarg_segment_align: 8
    .kernarg_segment_size: 128
    .language:       OpenCL C
    .language_version:
      - 2
      - 0
    .max_flat_workgroup_size: 512
    .name:           _ZN7rocprim17ROCPRIM_400000_NS6detail17trampoline_kernelINS0_14default_configENS1_33run_length_encode_config_selectorIljNS0_4plusIjEEEEZZNS1_33reduce_by_key_impl_wrapped_configILNS1_25lookback_scan_determinismE0ES3_S7_PKlNS0_17constant_iteratorIjlEEPlSE_SE_S6_NS0_8equal_toIlEEEE10hipError_tPvRmT2_T3_mT4_T5_T6_T7_T8_P12ihipStream_tbENKUlT_T0_E_clISt17integral_constantIbLb1EESY_EEDaST_SU_EUlST_E_NS1_11comp_targetILNS1_3genE10ELNS1_11target_archE1200ELNS1_3gpuE4ELNS1_3repE0EEENS1_30default_config_static_selectorELNS0_4arch9wavefront6targetE1EEEvT1_
    .private_segment_fixed_size: 0
    .sgpr_count:     6
    .sgpr_spill_count: 0
    .symbol:         _ZN7rocprim17ROCPRIM_400000_NS6detail17trampoline_kernelINS0_14default_configENS1_33run_length_encode_config_selectorIljNS0_4plusIjEEEEZZNS1_33reduce_by_key_impl_wrapped_configILNS1_25lookback_scan_determinismE0ES3_S7_PKlNS0_17constant_iteratorIjlEEPlSE_SE_S6_NS0_8equal_toIlEEEE10hipError_tPvRmT2_T3_mT4_T5_T6_T7_T8_P12ihipStream_tbENKUlT_T0_E_clISt17integral_constantIbLb1EESY_EEDaST_SU_EUlST_E_NS1_11comp_targetILNS1_3genE10ELNS1_11target_archE1200ELNS1_3gpuE4ELNS1_3repE0EEENS1_30default_config_static_selectorELNS0_4arch9wavefront6targetE1EEEvT1_.kd
    .uniform_work_group_size: 1
    .uses_dynamic_stack: false
    .vgpr_count:     0
    .vgpr_spill_count: 0
    .wavefront_size: 64
  - .agpr_count:     0
    .args:
      - .offset:         0
        .size:           128
        .value_kind:     by_value
    .group_segment_fixed_size: 0
    .kernarg_segment_align: 8
    .kernarg_segment_size: 128
    .language:       OpenCL C
    .language_version:
      - 2
      - 0
    .max_flat_workgroup_size: 512
    .name:           _ZN7rocprim17ROCPRIM_400000_NS6detail17trampoline_kernelINS0_14default_configENS1_33run_length_encode_config_selectorIljNS0_4plusIjEEEEZZNS1_33reduce_by_key_impl_wrapped_configILNS1_25lookback_scan_determinismE0ES3_S7_PKlNS0_17constant_iteratorIjlEEPlSE_SE_S6_NS0_8equal_toIlEEEE10hipError_tPvRmT2_T3_mT4_T5_T6_T7_T8_P12ihipStream_tbENKUlT_T0_E_clISt17integral_constantIbLb1EESY_EEDaST_SU_EUlST_E_NS1_11comp_targetILNS1_3genE9ELNS1_11target_archE1100ELNS1_3gpuE3ELNS1_3repE0EEENS1_30default_config_static_selectorELNS0_4arch9wavefront6targetE1EEEvT1_
    .private_segment_fixed_size: 0
    .sgpr_count:     6
    .sgpr_spill_count: 0
    .symbol:         _ZN7rocprim17ROCPRIM_400000_NS6detail17trampoline_kernelINS0_14default_configENS1_33run_length_encode_config_selectorIljNS0_4plusIjEEEEZZNS1_33reduce_by_key_impl_wrapped_configILNS1_25lookback_scan_determinismE0ES3_S7_PKlNS0_17constant_iteratorIjlEEPlSE_SE_S6_NS0_8equal_toIlEEEE10hipError_tPvRmT2_T3_mT4_T5_T6_T7_T8_P12ihipStream_tbENKUlT_T0_E_clISt17integral_constantIbLb1EESY_EEDaST_SU_EUlST_E_NS1_11comp_targetILNS1_3genE9ELNS1_11target_archE1100ELNS1_3gpuE3ELNS1_3repE0EEENS1_30default_config_static_selectorELNS0_4arch9wavefront6targetE1EEEvT1_.kd
    .uniform_work_group_size: 1
    .uses_dynamic_stack: false
    .vgpr_count:     0
    .vgpr_spill_count: 0
    .wavefront_size: 64
  - .agpr_count:     0
    .args:
      - .offset:         0
        .size:           128
        .value_kind:     by_value
    .group_segment_fixed_size: 0
    .kernarg_segment_align: 8
    .kernarg_segment_size: 128
    .language:       OpenCL C
    .language_version:
      - 2
      - 0
    .max_flat_workgroup_size: 512
    .name:           _ZN7rocprim17ROCPRIM_400000_NS6detail17trampoline_kernelINS0_14default_configENS1_33run_length_encode_config_selectorIljNS0_4plusIjEEEEZZNS1_33reduce_by_key_impl_wrapped_configILNS1_25lookback_scan_determinismE0ES3_S7_PKlNS0_17constant_iteratorIjlEEPlSE_SE_S6_NS0_8equal_toIlEEEE10hipError_tPvRmT2_T3_mT4_T5_T6_T7_T8_P12ihipStream_tbENKUlT_T0_E_clISt17integral_constantIbLb1EESY_EEDaST_SU_EUlST_E_NS1_11comp_targetILNS1_3genE8ELNS1_11target_archE1030ELNS1_3gpuE2ELNS1_3repE0EEENS1_30default_config_static_selectorELNS0_4arch9wavefront6targetE1EEEvT1_
    .private_segment_fixed_size: 0
    .sgpr_count:     6
    .sgpr_spill_count: 0
    .symbol:         _ZN7rocprim17ROCPRIM_400000_NS6detail17trampoline_kernelINS0_14default_configENS1_33run_length_encode_config_selectorIljNS0_4plusIjEEEEZZNS1_33reduce_by_key_impl_wrapped_configILNS1_25lookback_scan_determinismE0ES3_S7_PKlNS0_17constant_iteratorIjlEEPlSE_SE_S6_NS0_8equal_toIlEEEE10hipError_tPvRmT2_T3_mT4_T5_T6_T7_T8_P12ihipStream_tbENKUlT_T0_E_clISt17integral_constantIbLb1EESY_EEDaST_SU_EUlST_E_NS1_11comp_targetILNS1_3genE8ELNS1_11target_archE1030ELNS1_3gpuE2ELNS1_3repE0EEENS1_30default_config_static_selectorELNS0_4arch9wavefront6targetE1EEEvT1_.kd
    .uniform_work_group_size: 1
    .uses_dynamic_stack: false
    .vgpr_count:     0
    .vgpr_spill_count: 0
    .wavefront_size: 64
  - .agpr_count:     0
    .args:
      - .offset:         0
        .size:           128
        .value_kind:     by_value
    .group_segment_fixed_size: 0
    .kernarg_segment_align: 8
    .kernarg_segment_size: 128
    .language:       OpenCL C
    .language_version:
      - 2
      - 0
    .max_flat_workgroup_size: 256
    .name:           _ZN7rocprim17ROCPRIM_400000_NS6detail17trampoline_kernelINS0_14default_configENS1_33run_length_encode_config_selectorIljNS0_4plusIjEEEEZZNS1_33reduce_by_key_impl_wrapped_configILNS1_25lookback_scan_determinismE0ES3_S7_PKlNS0_17constant_iteratorIjlEEPlSE_SE_S6_NS0_8equal_toIlEEEE10hipError_tPvRmT2_T3_mT4_T5_T6_T7_T8_P12ihipStream_tbENKUlT_T0_E_clISt17integral_constantIbLb1EESX_IbLb0EEEEDaST_SU_EUlST_E_NS1_11comp_targetILNS1_3genE0ELNS1_11target_archE4294967295ELNS1_3gpuE0ELNS1_3repE0EEENS1_30default_config_static_selectorELNS0_4arch9wavefront6targetE1EEEvT1_
    .private_segment_fixed_size: 0
    .sgpr_count:     6
    .sgpr_spill_count: 0
    .symbol:         _ZN7rocprim17ROCPRIM_400000_NS6detail17trampoline_kernelINS0_14default_configENS1_33run_length_encode_config_selectorIljNS0_4plusIjEEEEZZNS1_33reduce_by_key_impl_wrapped_configILNS1_25lookback_scan_determinismE0ES3_S7_PKlNS0_17constant_iteratorIjlEEPlSE_SE_S6_NS0_8equal_toIlEEEE10hipError_tPvRmT2_T3_mT4_T5_T6_T7_T8_P12ihipStream_tbENKUlT_T0_E_clISt17integral_constantIbLb1EESX_IbLb0EEEEDaST_SU_EUlST_E_NS1_11comp_targetILNS1_3genE0ELNS1_11target_archE4294967295ELNS1_3gpuE0ELNS1_3repE0EEENS1_30default_config_static_selectorELNS0_4arch9wavefront6targetE1EEEvT1_.kd
    .uniform_work_group_size: 1
    .uses_dynamic_stack: false
    .vgpr_count:     0
    .vgpr_spill_count: 0
    .wavefront_size: 64
  - .agpr_count:     0
    .args:
      - .offset:         0
        .size:           128
        .value_kind:     by_value
    .group_segment_fixed_size: 61440
    .kernarg_segment_align: 8
    .kernarg_segment_size: 128
    .language:       OpenCL C
    .language_version:
      - 2
      - 0
    .max_flat_workgroup_size: 512
    .name:           _ZN7rocprim17ROCPRIM_400000_NS6detail17trampoline_kernelINS0_14default_configENS1_33run_length_encode_config_selectorIljNS0_4plusIjEEEEZZNS1_33reduce_by_key_impl_wrapped_configILNS1_25lookback_scan_determinismE0ES3_S7_PKlNS0_17constant_iteratorIjlEEPlSE_SE_S6_NS0_8equal_toIlEEEE10hipError_tPvRmT2_T3_mT4_T5_T6_T7_T8_P12ihipStream_tbENKUlT_T0_E_clISt17integral_constantIbLb1EESX_IbLb0EEEEDaST_SU_EUlST_E_NS1_11comp_targetILNS1_3genE5ELNS1_11target_archE942ELNS1_3gpuE9ELNS1_3repE0EEENS1_30default_config_static_selectorELNS0_4arch9wavefront6targetE1EEEvT1_
    .private_segment_fixed_size: 0
    .sgpr_count:     70
    .sgpr_spill_count: 0
    .symbol:         _ZN7rocprim17ROCPRIM_400000_NS6detail17trampoline_kernelINS0_14default_configENS1_33run_length_encode_config_selectorIljNS0_4plusIjEEEEZZNS1_33reduce_by_key_impl_wrapped_configILNS1_25lookback_scan_determinismE0ES3_S7_PKlNS0_17constant_iteratorIjlEEPlSE_SE_S6_NS0_8equal_toIlEEEE10hipError_tPvRmT2_T3_mT4_T5_T6_T7_T8_P12ihipStream_tbENKUlT_T0_E_clISt17integral_constantIbLb1EESX_IbLb0EEEEDaST_SU_EUlST_E_NS1_11comp_targetILNS1_3genE5ELNS1_11target_archE942ELNS1_3gpuE9ELNS1_3repE0EEENS1_30default_config_static_selectorELNS0_4arch9wavefront6targetE1EEEvT1_.kd
    .uniform_work_group_size: 1
    .uses_dynamic_stack: false
    .vgpr_count:     90
    .vgpr_spill_count: 0
    .wavefront_size: 64
  - .agpr_count:     0
    .args:
      - .offset:         0
        .size:           128
        .value_kind:     by_value
    .group_segment_fixed_size: 0
    .kernarg_segment_align: 8
    .kernarg_segment_size: 128
    .language:       OpenCL C
    .language_version:
      - 2
      - 0
    .max_flat_workgroup_size: 256
    .name:           _ZN7rocprim17ROCPRIM_400000_NS6detail17trampoline_kernelINS0_14default_configENS1_33run_length_encode_config_selectorIljNS0_4plusIjEEEEZZNS1_33reduce_by_key_impl_wrapped_configILNS1_25lookback_scan_determinismE0ES3_S7_PKlNS0_17constant_iteratorIjlEEPlSE_SE_S6_NS0_8equal_toIlEEEE10hipError_tPvRmT2_T3_mT4_T5_T6_T7_T8_P12ihipStream_tbENKUlT_T0_E_clISt17integral_constantIbLb1EESX_IbLb0EEEEDaST_SU_EUlST_E_NS1_11comp_targetILNS1_3genE4ELNS1_11target_archE910ELNS1_3gpuE8ELNS1_3repE0EEENS1_30default_config_static_selectorELNS0_4arch9wavefront6targetE1EEEvT1_
    .private_segment_fixed_size: 0
    .sgpr_count:     6
    .sgpr_spill_count: 0
    .symbol:         _ZN7rocprim17ROCPRIM_400000_NS6detail17trampoline_kernelINS0_14default_configENS1_33run_length_encode_config_selectorIljNS0_4plusIjEEEEZZNS1_33reduce_by_key_impl_wrapped_configILNS1_25lookback_scan_determinismE0ES3_S7_PKlNS0_17constant_iteratorIjlEEPlSE_SE_S6_NS0_8equal_toIlEEEE10hipError_tPvRmT2_T3_mT4_T5_T6_T7_T8_P12ihipStream_tbENKUlT_T0_E_clISt17integral_constantIbLb1EESX_IbLb0EEEEDaST_SU_EUlST_E_NS1_11comp_targetILNS1_3genE4ELNS1_11target_archE910ELNS1_3gpuE8ELNS1_3repE0EEENS1_30default_config_static_selectorELNS0_4arch9wavefront6targetE1EEEvT1_.kd
    .uniform_work_group_size: 1
    .uses_dynamic_stack: false
    .vgpr_count:     0
    .vgpr_spill_count: 0
    .wavefront_size: 64
  - .agpr_count:     0
    .args:
      - .offset:         0
        .size:           128
        .value_kind:     by_value
    .group_segment_fixed_size: 0
    .kernarg_segment_align: 8
    .kernarg_segment_size: 128
    .language:       OpenCL C
    .language_version:
      - 2
      - 0
    .max_flat_workgroup_size: 256
    .name:           _ZN7rocprim17ROCPRIM_400000_NS6detail17trampoline_kernelINS0_14default_configENS1_33run_length_encode_config_selectorIljNS0_4plusIjEEEEZZNS1_33reduce_by_key_impl_wrapped_configILNS1_25lookback_scan_determinismE0ES3_S7_PKlNS0_17constant_iteratorIjlEEPlSE_SE_S6_NS0_8equal_toIlEEEE10hipError_tPvRmT2_T3_mT4_T5_T6_T7_T8_P12ihipStream_tbENKUlT_T0_E_clISt17integral_constantIbLb1EESX_IbLb0EEEEDaST_SU_EUlST_E_NS1_11comp_targetILNS1_3genE3ELNS1_11target_archE908ELNS1_3gpuE7ELNS1_3repE0EEENS1_30default_config_static_selectorELNS0_4arch9wavefront6targetE1EEEvT1_
    .private_segment_fixed_size: 0
    .sgpr_count:     6
    .sgpr_spill_count: 0
    .symbol:         _ZN7rocprim17ROCPRIM_400000_NS6detail17trampoline_kernelINS0_14default_configENS1_33run_length_encode_config_selectorIljNS0_4plusIjEEEEZZNS1_33reduce_by_key_impl_wrapped_configILNS1_25lookback_scan_determinismE0ES3_S7_PKlNS0_17constant_iteratorIjlEEPlSE_SE_S6_NS0_8equal_toIlEEEE10hipError_tPvRmT2_T3_mT4_T5_T6_T7_T8_P12ihipStream_tbENKUlT_T0_E_clISt17integral_constantIbLb1EESX_IbLb0EEEEDaST_SU_EUlST_E_NS1_11comp_targetILNS1_3genE3ELNS1_11target_archE908ELNS1_3gpuE7ELNS1_3repE0EEENS1_30default_config_static_selectorELNS0_4arch9wavefront6targetE1EEEvT1_.kd
    .uniform_work_group_size: 1
    .uses_dynamic_stack: false
    .vgpr_count:     0
    .vgpr_spill_count: 0
    .wavefront_size: 64
  - .agpr_count:     0
    .args:
      - .offset:         0
        .size:           128
        .value_kind:     by_value
    .group_segment_fixed_size: 0
    .kernarg_segment_align: 8
    .kernarg_segment_size: 128
    .language:       OpenCL C
    .language_version:
      - 2
      - 0
    .max_flat_workgroup_size: 256
    .name:           _ZN7rocprim17ROCPRIM_400000_NS6detail17trampoline_kernelINS0_14default_configENS1_33run_length_encode_config_selectorIljNS0_4plusIjEEEEZZNS1_33reduce_by_key_impl_wrapped_configILNS1_25lookback_scan_determinismE0ES3_S7_PKlNS0_17constant_iteratorIjlEEPlSE_SE_S6_NS0_8equal_toIlEEEE10hipError_tPvRmT2_T3_mT4_T5_T6_T7_T8_P12ihipStream_tbENKUlT_T0_E_clISt17integral_constantIbLb1EESX_IbLb0EEEEDaST_SU_EUlST_E_NS1_11comp_targetILNS1_3genE2ELNS1_11target_archE906ELNS1_3gpuE6ELNS1_3repE0EEENS1_30default_config_static_selectorELNS0_4arch9wavefront6targetE1EEEvT1_
    .private_segment_fixed_size: 0
    .sgpr_count:     6
    .sgpr_spill_count: 0
    .symbol:         _ZN7rocprim17ROCPRIM_400000_NS6detail17trampoline_kernelINS0_14default_configENS1_33run_length_encode_config_selectorIljNS0_4plusIjEEEEZZNS1_33reduce_by_key_impl_wrapped_configILNS1_25lookback_scan_determinismE0ES3_S7_PKlNS0_17constant_iteratorIjlEEPlSE_SE_S6_NS0_8equal_toIlEEEE10hipError_tPvRmT2_T3_mT4_T5_T6_T7_T8_P12ihipStream_tbENKUlT_T0_E_clISt17integral_constantIbLb1EESX_IbLb0EEEEDaST_SU_EUlST_E_NS1_11comp_targetILNS1_3genE2ELNS1_11target_archE906ELNS1_3gpuE6ELNS1_3repE0EEENS1_30default_config_static_selectorELNS0_4arch9wavefront6targetE1EEEvT1_.kd
    .uniform_work_group_size: 1
    .uses_dynamic_stack: false
    .vgpr_count:     0
    .vgpr_spill_count: 0
    .wavefront_size: 64
  - .agpr_count:     0
    .args:
      - .offset:         0
        .size:           128
        .value_kind:     by_value
    .group_segment_fixed_size: 0
    .kernarg_segment_align: 8
    .kernarg_segment_size: 128
    .language:       OpenCL C
    .language_version:
      - 2
      - 0
    .max_flat_workgroup_size: 512
    .name:           _ZN7rocprim17ROCPRIM_400000_NS6detail17trampoline_kernelINS0_14default_configENS1_33run_length_encode_config_selectorIljNS0_4plusIjEEEEZZNS1_33reduce_by_key_impl_wrapped_configILNS1_25lookback_scan_determinismE0ES3_S7_PKlNS0_17constant_iteratorIjlEEPlSE_SE_S6_NS0_8equal_toIlEEEE10hipError_tPvRmT2_T3_mT4_T5_T6_T7_T8_P12ihipStream_tbENKUlT_T0_E_clISt17integral_constantIbLb1EESX_IbLb0EEEEDaST_SU_EUlST_E_NS1_11comp_targetILNS1_3genE10ELNS1_11target_archE1201ELNS1_3gpuE5ELNS1_3repE0EEENS1_30default_config_static_selectorELNS0_4arch9wavefront6targetE1EEEvT1_
    .private_segment_fixed_size: 0
    .sgpr_count:     6
    .sgpr_spill_count: 0
    .symbol:         _ZN7rocprim17ROCPRIM_400000_NS6detail17trampoline_kernelINS0_14default_configENS1_33run_length_encode_config_selectorIljNS0_4plusIjEEEEZZNS1_33reduce_by_key_impl_wrapped_configILNS1_25lookback_scan_determinismE0ES3_S7_PKlNS0_17constant_iteratorIjlEEPlSE_SE_S6_NS0_8equal_toIlEEEE10hipError_tPvRmT2_T3_mT4_T5_T6_T7_T8_P12ihipStream_tbENKUlT_T0_E_clISt17integral_constantIbLb1EESX_IbLb0EEEEDaST_SU_EUlST_E_NS1_11comp_targetILNS1_3genE10ELNS1_11target_archE1201ELNS1_3gpuE5ELNS1_3repE0EEENS1_30default_config_static_selectorELNS0_4arch9wavefront6targetE1EEEvT1_.kd
    .uniform_work_group_size: 1
    .uses_dynamic_stack: false
    .vgpr_count:     0
    .vgpr_spill_count: 0
    .wavefront_size: 64
  - .agpr_count:     0
    .args:
      - .offset:         0
        .size:           128
        .value_kind:     by_value
    .group_segment_fixed_size: 0
    .kernarg_segment_align: 8
    .kernarg_segment_size: 128
    .language:       OpenCL C
    .language_version:
      - 2
      - 0
    .max_flat_workgroup_size: 512
    .name:           _ZN7rocprim17ROCPRIM_400000_NS6detail17trampoline_kernelINS0_14default_configENS1_33run_length_encode_config_selectorIljNS0_4plusIjEEEEZZNS1_33reduce_by_key_impl_wrapped_configILNS1_25lookback_scan_determinismE0ES3_S7_PKlNS0_17constant_iteratorIjlEEPlSE_SE_S6_NS0_8equal_toIlEEEE10hipError_tPvRmT2_T3_mT4_T5_T6_T7_T8_P12ihipStream_tbENKUlT_T0_E_clISt17integral_constantIbLb1EESX_IbLb0EEEEDaST_SU_EUlST_E_NS1_11comp_targetILNS1_3genE10ELNS1_11target_archE1200ELNS1_3gpuE4ELNS1_3repE0EEENS1_30default_config_static_selectorELNS0_4arch9wavefront6targetE1EEEvT1_
    .private_segment_fixed_size: 0
    .sgpr_count:     6
    .sgpr_spill_count: 0
    .symbol:         _ZN7rocprim17ROCPRIM_400000_NS6detail17trampoline_kernelINS0_14default_configENS1_33run_length_encode_config_selectorIljNS0_4plusIjEEEEZZNS1_33reduce_by_key_impl_wrapped_configILNS1_25lookback_scan_determinismE0ES3_S7_PKlNS0_17constant_iteratorIjlEEPlSE_SE_S6_NS0_8equal_toIlEEEE10hipError_tPvRmT2_T3_mT4_T5_T6_T7_T8_P12ihipStream_tbENKUlT_T0_E_clISt17integral_constantIbLb1EESX_IbLb0EEEEDaST_SU_EUlST_E_NS1_11comp_targetILNS1_3genE10ELNS1_11target_archE1200ELNS1_3gpuE4ELNS1_3repE0EEENS1_30default_config_static_selectorELNS0_4arch9wavefront6targetE1EEEvT1_.kd
    .uniform_work_group_size: 1
    .uses_dynamic_stack: false
    .vgpr_count:     0
    .vgpr_spill_count: 0
    .wavefront_size: 64
  - .agpr_count:     0
    .args:
      - .offset:         0
        .size:           128
        .value_kind:     by_value
    .group_segment_fixed_size: 0
    .kernarg_segment_align: 8
    .kernarg_segment_size: 128
    .language:       OpenCL C
    .language_version:
      - 2
      - 0
    .max_flat_workgroup_size: 512
    .name:           _ZN7rocprim17ROCPRIM_400000_NS6detail17trampoline_kernelINS0_14default_configENS1_33run_length_encode_config_selectorIljNS0_4plusIjEEEEZZNS1_33reduce_by_key_impl_wrapped_configILNS1_25lookback_scan_determinismE0ES3_S7_PKlNS0_17constant_iteratorIjlEEPlSE_SE_S6_NS0_8equal_toIlEEEE10hipError_tPvRmT2_T3_mT4_T5_T6_T7_T8_P12ihipStream_tbENKUlT_T0_E_clISt17integral_constantIbLb1EESX_IbLb0EEEEDaST_SU_EUlST_E_NS1_11comp_targetILNS1_3genE9ELNS1_11target_archE1100ELNS1_3gpuE3ELNS1_3repE0EEENS1_30default_config_static_selectorELNS0_4arch9wavefront6targetE1EEEvT1_
    .private_segment_fixed_size: 0
    .sgpr_count:     6
    .sgpr_spill_count: 0
    .symbol:         _ZN7rocprim17ROCPRIM_400000_NS6detail17trampoline_kernelINS0_14default_configENS1_33run_length_encode_config_selectorIljNS0_4plusIjEEEEZZNS1_33reduce_by_key_impl_wrapped_configILNS1_25lookback_scan_determinismE0ES3_S7_PKlNS0_17constant_iteratorIjlEEPlSE_SE_S6_NS0_8equal_toIlEEEE10hipError_tPvRmT2_T3_mT4_T5_T6_T7_T8_P12ihipStream_tbENKUlT_T0_E_clISt17integral_constantIbLb1EESX_IbLb0EEEEDaST_SU_EUlST_E_NS1_11comp_targetILNS1_3genE9ELNS1_11target_archE1100ELNS1_3gpuE3ELNS1_3repE0EEENS1_30default_config_static_selectorELNS0_4arch9wavefront6targetE1EEEvT1_.kd
    .uniform_work_group_size: 1
    .uses_dynamic_stack: false
    .vgpr_count:     0
    .vgpr_spill_count: 0
    .wavefront_size: 64
  - .agpr_count:     0
    .args:
      - .offset:         0
        .size:           128
        .value_kind:     by_value
    .group_segment_fixed_size: 0
    .kernarg_segment_align: 8
    .kernarg_segment_size: 128
    .language:       OpenCL C
    .language_version:
      - 2
      - 0
    .max_flat_workgroup_size: 512
    .name:           _ZN7rocprim17ROCPRIM_400000_NS6detail17trampoline_kernelINS0_14default_configENS1_33run_length_encode_config_selectorIljNS0_4plusIjEEEEZZNS1_33reduce_by_key_impl_wrapped_configILNS1_25lookback_scan_determinismE0ES3_S7_PKlNS0_17constant_iteratorIjlEEPlSE_SE_S6_NS0_8equal_toIlEEEE10hipError_tPvRmT2_T3_mT4_T5_T6_T7_T8_P12ihipStream_tbENKUlT_T0_E_clISt17integral_constantIbLb1EESX_IbLb0EEEEDaST_SU_EUlST_E_NS1_11comp_targetILNS1_3genE8ELNS1_11target_archE1030ELNS1_3gpuE2ELNS1_3repE0EEENS1_30default_config_static_selectorELNS0_4arch9wavefront6targetE1EEEvT1_
    .private_segment_fixed_size: 0
    .sgpr_count:     6
    .sgpr_spill_count: 0
    .symbol:         _ZN7rocprim17ROCPRIM_400000_NS6detail17trampoline_kernelINS0_14default_configENS1_33run_length_encode_config_selectorIljNS0_4plusIjEEEEZZNS1_33reduce_by_key_impl_wrapped_configILNS1_25lookback_scan_determinismE0ES3_S7_PKlNS0_17constant_iteratorIjlEEPlSE_SE_S6_NS0_8equal_toIlEEEE10hipError_tPvRmT2_T3_mT4_T5_T6_T7_T8_P12ihipStream_tbENKUlT_T0_E_clISt17integral_constantIbLb1EESX_IbLb0EEEEDaST_SU_EUlST_E_NS1_11comp_targetILNS1_3genE8ELNS1_11target_archE1030ELNS1_3gpuE2ELNS1_3repE0EEENS1_30default_config_static_selectorELNS0_4arch9wavefront6targetE1EEEvT1_.kd
    .uniform_work_group_size: 1
    .uses_dynamic_stack: false
    .vgpr_count:     0
    .vgpr_spill_count: 0
    .wavefront_size: 64
  - .agpr_count:     0
    .args:
      - .offset:         0
        .size:           128
        .value_kind:     by_value
    .group_segment_fixed_size: 0
    .kernarg_segment_align: 8
    .kernarg_segment_size: 128
    .language:       OpenCL C
    .language_version:
      - 2
      - 0
    .max_flat_workgroup_size: 256
    .name:           _ZN7rocprim17ROCPRIM_400000_NS6detail17trampoline_kernelINS0_14default_configENS1_33run_length_encode_config_selectorIljNS0_4plusIjEEEEZZNS1_33reduce_by_key_impl_wrapped_configILNS1_25lookback_scan_determinismE0ES3_S7_PKlNS0_17constant_iteratorIjlEEPlSE_SE_S6_NS0_8equal_toIlEEEE10hipError_tPvRmT2_T3_mT4_T5_T6_T7_T8_P12ihipStream_tbENKUlT_T0_E_clISt17integral_constantIbLb0EESX_IbLb1EEEEDaST_SU_EUlST_E_NS1_11comp_targetILNS1_3genE0ELNS1_11target_archE4294967295ELNS1_3gpuE0ELNS1_3repE0EEENS1_30default_config_static_selectorELNS0_4arch9wavefront6targetE1EEEvT1_
    .private_segment_fixed_size: 0
    .sgpr_count:     6
    .sgpr_spill_count: 0
    .symbol:         _ZN7rocprim17ROCPRIM_400000_NS6detail17trampoline_kernelINS0_14default_configENS1_33run_length_encode_config_selectorIljNS0_4plusIjEEEEZZNS1_33reduce_by_key_impl_wrapped_configILNS1_25lookback_scan_determinismE0ES3_S7_PKlNS0_17constant_iteratorIjlEEPlSE_SE_S6_NS0_8equal_toIlEEEE10hipError_tPvRmT2_T3_mT4_T5_T6_T7_T8_P12ihipStream_tbENKUlT_T0_E_clISt17integral_constantIbLb0EESX_IbLb1EEEEDaST_SU_EUlST_E_NS1_11comp_targetILNS1_3genE0ELNS1_11target_archE4294967295ELNS1_3gpuE0ELNS1_3repE0EEENS1_30default_config_static_selectorELNS0_4arch9wavefront6targetE1EEEvT1_.kd
    .uniform_work_group_size: 1
    .uses_dynamic_stack: false
    .vgpr_count:     0
    .vgpr_spill_count: 0
    .wavefront_size: 64
  - .agpr_count:     0
    .args:
      - .offset:         0
        .size:           128
        .value_kind:     by_value
    .group_segment_fixed_size: 61440
    .kernarg_segment_align: 8
    .kernarg_segment_size: 128
    .language:       OpenCL C
    .language_version:
      - 2
      - 0
    .max_flat_workgroup_size: 512
    .name:           _ZN7rocprim17ROCPRIM_400000_NS6detail17trampoline_kernelINS0_14default_configENS1_33run_length_encode_config_selectorIljNS0_4plusIjEEEEZZNS1_33reduce_by_key_impl_wrapped_configILNS1_25lookback_scan_determinismE0ES3_S7_PKlNS0_17constant_iteratorIjlEEPlSE_SE_S6_NS0_8equal_toIlEEEE10hipError_tPvRmT2_T3_mT4_T5_T6_T7_T8_P12ihipStream_tbENKUlT_T0_E_clISt17integral_constantIbLb0EESX_IbLb1EEEEDaST_SU_EUlST_E_NS1_11comp_targetILNS1_3genE5ELNS1_11target_archE942ELNS1_3gpuE9ELNS1_3repE0EEENS1_30default_config_static_selectorELNS0_4arch9wavefront6targetE1EEEvT1_
    .private_segment_fixed_size: 0
    .sgpr_count:     72
    .sgpr_spill_count: 0
    .symbol:         _ZN7rocprim17ROCPRIM_400000_NS6detail17trampoline_kernelINS0_14default_configENS1_33run_length_encode_config_selectorIljNS0_4plusIjEEEEZZNS1_33reduce_by_key_impl_wrapped_configILNS1_25lookback_scan_determinismE0ES3_S7_PKlNS0_17constant_iteratorIjlEEPlSE_SE_S6_NS0_8equal_toIlEEEE10hipError_tPvRmT2_T3_mT4_T5_T6_T7_T8_P12ihipStream_tbENKUlT_T0_E_clISt17integral_constantIbLb0EESX_IbLb1EEEEDaST_SU_EUlST_E_NS1_11comp_targetILNS1_3genE5ELNS1_11target_archE942ELNS1_3gpuE9ELNS1_3repE0EEENS1_30default_config_static_selectorELNS0_4arch9wavefront6targetE1EEEvT1_.kd
    .uniform_work_group_size: 1
    .uses_dynamic_stack: false
    .vgpr_count:     90
    .vgpr_spill_count: 0
    .wavefront_size: 64
  - .agpr_count:     0
    .args:
      - .offset:         0
        .size:           128
        .value_kind:     by_value
    .group_segment_fixed_size: 0
    .kernarg_segment_align: 8
    .kernarg_segment_size: 128
    .language:       OpenCL C
    .language_version:
      - 2
      - 0
    .max_flat_workgroup_size: 256
    .name:           _ZN7rocprim17ROCPRIM_400000_NS6detail17trampoline_kernelINS0_14default_configENS1_33run_length_encode_config_selectorIljNS0_4plusIjEEEEZZNS1_33reduce_by_key_impl_wrapped_configILNS1_25lookback_scan_determinismE0ES3_S7_PKlNS0_17constant_iteratorIjlEEPlSE_SE_S6_NS0_8equal_toIlEEEE10hipError_tPvRmT2_T3_mT4_T5_T6_T7_T8_P12ihipStream_tbENKUlT_T0_E_clISt17integral_constantIbLb0EESX_IbLb1EEEEDaST_SU_EUlST_E_NS1_11comp_targetILNS1_3genE4ELNS1_11target_archE910ELNS1_3gpuE8ELNS1_3repE0EEENS1_30default_config_static_selectorELNS0_4arch9wavefront6targetE1EEEvT1_
    .private_segment_fixed_size: 0
    .sgpr_count:     6
    .sgpr_spill_count: 0
    .symbol:         _ZN7rocprim17ROCPRIM_400000_NS6detail17trampoline_kernelINS0_14default_configENS1_33run_length_encode_config_selectorIljNS0_4plusIjEEEEZZNS1_33reduce_by_key_impl_wrapped_configILNS1_25lookback_scan_determinismE0ES3_S7_PKlNS0_17constant_iteratorIjlEEPlSE_SE_S6_NS0_8equal_toIlEEEE10hipError_tPvRmT2_T3_mT4_T5_T6_T7_T8_P12ihipStream_tbENKUlT_T0_E_clISt17integral_constantIbLb0EESX_IbLb1EEEEDaST_SU_EUlST_E_NS1_11comp_targetILNS1_3genE4ELNS1_11target_archE910ELNS1_3gpuE8ELNS1_3repE0EEENS1_30default_config_static_selectorELNS0_4arch9wavefront6targetE1EEEvT1_.kd
    .uniform_work_group_size: 1
    .uses_dynamic_stack: false
    .vgpr_count:     0
    .vgpr_spill_count: 0
    .wavefront_size: 64
  - .agpr_count:     0
    .args:
      - .offset:         0
        .size:           128
        .value_kind:     by_value
    .group_segment_fixed_size: 0
    .kernarg_segment_align: 8
    .kernarg_segment_size: 128
    .language:       OpenCL C
    .language_version:
      - 2
      - 0
    .max_flat_workgroup_size: 256
    .name:           _ZN7rocprim17ROCPRIM_400000_NS6detail17trampoline_kernelINS0_14default_configENS1_33run_length_encode_config_selectorIljNS0_4plusIjEEEEZZNS1_33reduce_by_key_impl_wrapped_configILNS1_25lookback_scan_determinismE0ES3_S7_PKlNS0_17constant_iteratorIjlEEPlSE_SE_S6_NS0_8equal_toIlEEEE10hipError_tPvRmT2_T3_mT4_T5_T6_T7_T8_P12ihipStream_tbENKUlT_T0_E_clISt17integral_constantIbLb0EESX_IbLb1EEEEDaST_SU_EUlST_E_NS1_11comp_targetILNS1_3genE3ELNS1_11target_archE908ELNS1_3gpuE7ELNS1_3repE0EEENS1_30default_config_static_selectorELNS0_4arch9wavefront6targetE1EEEvT1_
    .private_segment_fixed_size: 0
    .sgpr_count:     6
    .sgpr_spill_count: 0
    .symbol:         _ZN7rocprim17ROCPRIM_400000_NS6detail17trampoline_kernelINS0_14default_configENS1_33run_length_encode_config_selectorIljNS0_4plusIjEEEEZZNS1_33reduce_by_key_impl_wrapped_configILNS1_25lookback_scan_determinismE0ES3_S7_PKlNS0_17constant_iteratorIjlEEPlSE_SE_S6_NS0_8equal_toIlEEEE10hipError_tPvRmT2_T3_mT4_T5_T6_T7_T8_P12ihipStream_tbENKUlT_T0_E_clISt17integral_constantIbLb0EESX_IbLb1EEEEDaST_SU_EUlST_E_NS1_11comp_targetILNS1_3genE3ELNS1_11target_archE908ELNS1_3gpuE7ELNS1_3repE0EEENS1_30default_config_static_selectorELNS0_4arch9wavefront6targetE1EEEvT1_.kd
    .uniform_work_group_size: 1
    .uses_dynamic_stack: false
    .vgpr_count:     0
    .vgpr_spill_count: 0
    .wavefront_size: 64
  - .agpr_count:     0
    .args:
      - .offset:         0
        .size:           128
        .value_kind:     by_value
    .group_segment_fixed_size: 0
    .kernarg_segment_align: 8
    .kernarg_segment_size: 128
    .language:       OpenCL C
    .language_version:
      - 2
      - 0
    .max_flat_workgroup_size: 256
    .name:           _ZN7rocprim17ROCPRIM_400000_NS6detail17trampoline_kernelINS0_14default_configENS1_33run_length_encode_config_selectorIljNS0_4plusIjEEEEZZNS1_33reduce_by_key_impl_wrapped_configILNS1_25lookback_scan_determinismE0ES3_S7_PKlNS0_17constant_iteratorIjlEEPlSE_SE_S6_NS0_8equal_toIlEEEE10hipError_tPvRmT2_T3_mT4_T5_T6_T7_T8_P12ihipStream_tbENKUlT_T0_E_clISt17integral_constantIbLb0EESX_IbLb1EEEEDaST_SU_EUlST_E_NS1_11comp_targetILNS1_3genE2ELNS1_11target_archE906ELNS1_3gpuE6ELNS1_3repE0EEENS1_30default_config_static_selectorELNS0_4arch9wavefront6targetE1EEEvT1_
    .private_segment_fixed_size: 0
    .sgpr_count:     6
    .sgpr_spill_count: 0
    .symbol:         _ZN7rocprim17ROCPRIM_400000_NS6detail17trampoline_kernelINS0_14default_configENS1_33run_length_encode_config_selectorIljNS0_4plusIjEEEEZZNS1_33reduce_by_key_impl_wrapped_configILNS1_25lookback_scan_determinismE0ES3_S7_PKlNS0_17constant_iteratorIjlEEPlSE_SE_S6_NS0_8equal_toIlEEEE10hipError_tPvRmT2_T3_mT4_T5_T6_T7_T8_P12ihipStream_tbENKUlT_T0_E_clISt17integral_constantIbLb0EESX_IbLb1EEEEDaST_SU_EUlST_E_NS1_11comp_targetILNS1_3genE2ELNS1_11target_archE906ELNS1_3gpuE6ELNS1_3repE0EEENS1_30default_config_static_selectorELNS0_4arch9wavefront6targetE1EEEvT1_.kd
    .uniform_work_group_size: 1
    .uses_dynamic_stack: false
    .vgpr_count:     0
    .vgpr_spill_count: 0
    .wavefront_size: 64
  - .agpr_count:     0
    .args:
      - .offset:         0
        .size:           128
        .value_kind:     by_value
    .group_segment_fixed_size: 0
    .kernarg_segment_align: 8
    .kernarg_segment_size: 128
    .language:       OpenCL C
    .language_version:
      - 2
      - 0
    .max_flat_workgroup_size: 512
    .name:           _ZN7rocprim17ROCPRIM_400000_NS6detail17trampoline_kernelINS0_14default_configENS1_33run_length_encode_config_selectorIljNS0_4plusIjEEEEZZNS1_33reduce_by_key_impl_wrapped_configILNS1_25lookback_scan_determinismE0ES3_S7_PKlNS0_17constant_iteratorIjlEEPlSE_SE_S6_NS0_8equal_toIlEEEE10hipError_tPvRmT2_T3_mT4_T5_T6_T7_T8_P12ihipStream_tbENKUlT_T0_E_clISt17integral_constantIbLb0EESX_IbLb1EEEEDaST_SU_EUlST_E_NS1_11comp_targetILNS1_3genE10ELNS1_11target_archE1201ELNS1_3gpuE5ELNS1_3repE0EEENS1_30default_config_static_selectorELNS0_4arch9wavefront6targetE1EEEvT1_
    .private_segment_fixed_size: 0
    .sgpr_count:     6
    .sgpr_spill_count: 0
    .symbol:         _ZN7rocprim17ROCPRIM_400000_NS6detail17trampoline_kernelINS0_14default_configENS1_33run_length_encode_config_selectorIljNS0_4plusIjEEEEZZNS1_33reduce_by_key_impl_wrapped_configILNS1_25lookback_scan_determinismE0ES3_S7_PKlNS0_17constant_iteratorIjlEEPlSE_SE_S6_NS0_8equal_toIlEEEE10hipError_tPvRmT2_T3_mT4_T5_T6_T7_T8_P12ihipStream_tbENKUlT_T0_E_clISt17integral_constantIbLb0EESX_IbLb1EEEEDaST_SU_EUlST_E_NS1_11comp_targetILNS1_3genE10ELNS1_11target_archE1201ELNS1_3gpuE5ELNS1_3repE0EEENS1_30default_config_static_selectorELNS0_4arch9wavefront6targetE1EEEvT1_.kd
    .uniform_work_group_size: 1
    .uses_dynamic_stack: false
    .vgpr_count:     0
    .vgpr_spill_count: 0
    .wavefront_size: 64
  - .agpr_count:     0
    .args:
      - .offset:         0
        .size:           128
        .value_kind:     by_value
    .group_segment_fixed_size: 0
    .kernarg_segment_align: 8
    .kernarg_segment_size: 128
    .language:       OpenCL C
    .language_version:
      - 2
      - 0
    .max_flat_workgroup_size: 512
    .name:           _ZN7rocprim17ROCPRIM_400000_NS6detail17trampoline_kernelINS0_14default_configENS1_33run_length_encode_config_selectorIljNS0_4plusIjEEEEZZNS1_33reduce_by_key_impl_wrapped_configILNS1_25lookback_scan_determinismE0ES3_S7_PKlNS0_17constant_iteratorIjlEEPlSE_SE_S6_NS0_8equal_toIlEEEE10hipError_tPvRmT2_T3_mT4_T5_T6_T7_T8_P12ihipStream_tbENKUlT_T0_E_clISt17integral_constantIbLb0EESX_IbLb1EEEEDaST_SU_EUlST_E_NS1_11comp_targetILNS1_3genE10ELNS1_11target_archE1200ELNS1_3gpuE4ELNS1_3repE0EEENS1_30default_config_static_selectorELNS0_4arch9wavefront6targetE1EEEvT1_
    .private_segment_fixed_size: 0
    .sgpr_count:     6
    .sgpr_spill_count: 0
    .symbol:         _ZN7rocprim17ROCPRIM_400000_NS6detail17trampoline_kernelINS0_14default_configENS1_33run_length_encode_config_selectorIljNS0_4plusIjEEEEZZNS1_33reduce_by_key_impl_wrapped_configILNS1_25lookback_scan_determinismE0ES3_S7_PKlNS0_17constant_iteratorIjlEEPlSE_SE_S6_NS0_8equal_toIlEEEE10hipError_tPvRmT2_T3_mT4_T5_T6_T7_T8_P12ihipStream_tbENKUlT_T0_E_clISt17integral_constantIbLb0EESX_IbLb1EEEEDaST_SU_EUlST_E_NS1_11comp_targetILNS1_3genE10ELNS1_11target_archE1200ELNS1_3gpuE4ELNS1_3repE0EEENS1_30default_config_static_selectorELNS0_4arch9wavefront6targetE1EEEvT1_.kd
    .uniform_work_group_size: 1
    .uses_dynamic_stack: false
    .vgpr_count:     0
    .vgpr_spill_count: 0
    .wavefront_size: 64
  - .agpr_count:     0
    .args:
      - .offset:         0
        .size:           128
        .value_kind:     by_value
    .group_segment_fixed_size: 0
    .kernarg_segment_align: 8
    .kernarg_segment_size: 128
    .language:       OpenCL C
    .language_version:
      - 2
      - 0
    .max_flat_workgroup_size: 512
    .name:           _ZN7rocprim17ROCPRIM_400000_NS6detail17trampoline_kernelINS0_14default_configENS1_33run_length_encode_config_selectorIljNS0_4plusIjEEEEZZNS1_33reduce_by_key_impl_wrapped_configILNS1_25lookback_scan_determinismE0ES3_S7_PKlNS0_17constant_iteratorIjlEEPlSE_SE_S6_NS0_8equal_toIlEEEE10hipError_tPvRmT2_T3_mT4_T5_T6_T7_T8_P12ihipStream_tbENKUlT_T0_E_clISt17integral_constantIbLb0EESX_IbLb1EEEEDaST_SU_EUlST_E_NS1_11comp_targetILNS1_3genE9ELNS1_11target_archE1100ELNS1_3gpuE3ELNS1_3repE0EEENS1_30default_config_static_selectorELNS0_4arch9wavefront6targetE1EEEvT1_
    .private_segment_fixed_size: 0
    .sgpr_count:     6
    .sgpr_spill_count: 0
    .symbol:         _ZN7rocprim17ROCPRIM_400000_NS6detail17trampoline_kernelINS0_14default_configENS1_33run_length_encode_config_selectorIljNS0_4plusIjEEEEZZNS1_33reduce_by_key_impl_wrapped_configILNS1_25lookback_scan_determinismE0ES3_S7_PKlNS0_17constant_iteratorIjlEEPlSE_SE_S6_NS0_8equal_toIlEEEE10hipError_tPvRmT2_T3_mT4_T5_T6_T7_T8_P12ihipStream_tbENKUlT_T0_E_clISt17integral_constantIbLb0EESX_IbLb1EEEEDaST_SU_EUlST_E_NS1_11comp_targetILNS1_3genE9ELNS1_11target_archE1100ELNS1_3gpuE3ELNS1_3repE0EEENS1_30default_config_static_selectorELNS0_4arch9wavefront6targetE1EEEvT1_.kd
    .uniform_work_group_size: 1
    .uses_dynamic_stack: false
    .vgpr_count:     0
    .vgpr_spill_count: 0
    .wavefront_size: 64
  - .agpr_count:     0
    .args:
      - .offset:         0
        .size:           128
        .value_kind:     by_value
    .group_segment_fixed_size: 0
    .kernarg_segment_align: 8
    .kernarg_segment_size: 128
    .language:       OpenCL C
    .language_version:
      - 2
      - 0
    .max_flat_workgroup_size: 512
    .name:           _ZN7rocprim17ROCPRIM_400000_NS6detail17trampoline_kernelINS0_14default_configENS1_33run_length_encode_config_selectorIljNS0_4plusIjEEEEZZNS1_33reduce_by_key_impl_wrapped_configILNS1_25lookback_scan_determinismE0ES3_S7_PKlNS0_17constant_iteratorIjlEEPlSE_SE_S6_NS0_8equal_toIlEEEE10hipError_tPvRmT2_T3_mT4_T5_T6_T7_T8_P12ihipStream_tbENKUlT_T0_E_clISt17integral_constantIbLb0EESX_IbLb1EEEEDaST_SU_EUlST_E_NS1_11comp_targetILNS1_3genE8ELNS1_11target_archE1030ELNS1_3gpuE2ELNS1_3repE0EEENS1_30default_config_static_selectorELNS0_4arch9wavefront6targetE1EEEvT1_
    .private_segment_fixed_size: 0
    .sgpr_count:     6
    .sgpr_spill_count: 0
    .symbol:         _ZN7rocprim17ROCPRIM_400000_NS6detail17trampoline_kernelINS0_14default_configENS1_33run_length_encode_config_selectorIljNS0_4plusIjEEEEZZNS1_33reduce_by_key_impl_wrapped_configILNS1_25lookback_scan_determinismE0ES3_S7_PKlNS0_17constant_iteratorIjlEEPlSE_SE_S6_NS0_8equal_toIlEEEE10hipError_tPvRmT2_T3_mT4_T5_T6_T7_T8_P12ihipStream_tbENKUlT_T0_E_clISt17integral_constantIbLb0EESX_IbLb1EEEEDaST_SU_EUlST_E_NS1_11comp_targetILNS1_3genE8ELNS1_11target_archE1030ELNS1_3gpuE2ELNS1_3repE0EEENS1_30default_config_static_selectorELNS0_4arch9wavefront6targetE1EEEvT1_.kd
    .uniform_work_group_size: 1
    .uses_dynamic_stack: false
    .vgpr_count:     0
    .vgpr_spill_count: 0
    .wavefront_size: 64
  - .agpr_count:     0
    .args:
      - .offset:         0
        .size:           8
        .value_kind:     by_value
      - .address_space:  global
        .offset:         8
        .size:           8
        .value_kind:     global_buffer
      - .address_space:  global
        .offset:         16
        .size:           8
        .value_kind:     global_buffer
      - .offset:         24
        .size:           4
        .value_kind:     hidden_block_count_x
      - .offset:         28
        .size:           4
        .value_kind:     hidden_block_count_y
      - .offset:         32
        .size:           4
        .value_kind:     hidden_block_count_z
      - .offset:         36
        .size:           2
        .value_kind:     hidden_group_size_x
      - .offset:         38
        .size:           2
        .value_kind:     hidden_group_size_y
      - .offset:         40
        .size:           2
        .value_kind:     hidden_group_size_z
      - .offset:         42
        .size:           2
        .value_kind:     hidden_remainder_x
      - .offset:         44
        .size:           2
        .value_kind:     hidden_remainder_y
      - .offset:         46
        .size:           2
        .value_kind:     hidden_remainder_z
      - .offset:         64
        .size:           8
        .value_kind:     hidden_global_offset_x
      - .offset:         72
        .size:           8
        .value_kind:     hidden_global_offset_y
      - .offset:         80
        .size:           8
        .value_kind:     hidden_global_offset_z
      - .offset:         88
        .size:           2
        .value_kind:     hidden_grid_dims
    .group_segment_fixed_size: 0
    .kernarg_segment_align: 8
    .kernarg_segment_size: 280
    .language:       OpenCL C
    .language_version:
      - 2
      - 0
    .max_flat_workgroup_size: 1024
    .name:           _ZN2at6native8internal12_GLOBAL__N_126adjacent_difference_kernelIPKsEEvlT_Pi
    .private_segment_fixed_size: 0
    .sgpr_count:     22
    .sgpr_spill_count: 0
    .symbol:         _ZN2at6native8internal12_GLOBAL__N_126adjacent_difference_kernelIPKsEEvlT_Pi.kd
    .uniform_work_group_size: 1
    .uses_dynamic_stack: false
    .vgpr_count:     10
    .vgpr_spill_count: 0
    .wavefront_size: 64
  - .agpr_count:     0
    .args:
      - .offset:         0
        .size:           112
        .value_kind:     by_value
    .group_segment_fixed_size: 0
    .kernarg_segment_align: 8
    .kernarg_segment_size: 112
    .language:       OpenCL C
    .language_version:
      - 2
      - 0
    .max_flat_workgroup_size: 256
    .name:           _ZN7rocprim17ROCPRIM_400000_NS6detail17trampoline_kernelINS0_14default_configENS1_25partition_config_selectorILNS1_17partition_subalgoE8EsNS0_10empty_typeEbEEZZNS1_14partition_implILS5_8ELb0ES3_jPKsPS6_PKS6_NS0_5tupleIJPsS6_EEENSE_IJSB_SB_EEENS0_18inequality_wrapperIN6hipcub16HIPCUB_304000_NS8EqualityEEEPlJS6_EEE10hipError_tPvRmT3_T4_T5_T6_T7_T9_mT8_P12ihipStream_tbDpT10_ENKUlT_T0_E_clISt17integral_constantIbLb0EES17_EEDaS12_S13_EUlS12_E_NS1_11comp_targetILNS1_3genE0ELNS1_11target_archE4294967295ELNS1_3gpuE0ELNS1_3repE0EEENS1_30default_config_static_selectorELNS0_4arch9wavefront6targetE1EEEvT1_
    .private_segment_fixed_size: 0
    .sgpr_count:     6
    .sgpr_spill_count: 0
    .symbol:         _ZN7rocprim17ROCPRIM_400000_NS6detail17trampoline_kernelINS0_14default_configENS1_25partition_config_selectorILNS1_17partition_subalgoE8EsNS0_10empty_typeEbEEZZNS1_14partition_implILS5_8ELb0ES3_jPKsPS6_PKS6_NS0_5tupleIJPsS6_EEENSE_IJSB_SB_EEENS0_18inequality_wrapperIN6hipcub16HIPCUB_304000_NS8EqualityEEEPlJS6_EEE10hipError_tPvRmT3_T4_T5_T6_T7_T9_mT8_P12ihipStream_tbDpT10_ENKUlT_T0_E_clISt17integral_constantIbLb0EES17_EEDaS12_S13_EUlS12_E_NS1_11comp_targetILNS1_3genE0ELNS1_11target_archE4294967295ELNS1_3gpuE0ELNS1_3repE0EEENS1_30default_config_static_selectorELNS0_4arch9wavefront6targetE1EEEvT1_.kd
    .uniform_work_group_size: 1
    .uses_dynamic_stack: false
    .vgpr_count:     0
    .vgpr_spill_count: 0
    .wavefront_size: 64
  - .agpr_count:     0
    .args:
      - .offset:         0
        .size:           112
        .value_kind:     by_value
    .group_segment_fixed_size: 30728
    .kernarg_segment_align: 8
    .kernarg_segment_size: 112
    .language:       OpenCL C
    .language_version:
      - 2
      - 0
    .max_flat_workgroup_size: 512
    .name:           _ZN7rocprim17ROCPRIM_400000_NS6detail17trampoline_kernelINS0_14default_configENS1_25partition_config_selectorILNS1_17partition_subalgoE8EsNS0_10empty_typeEbEEZZNS1_14partition_implILS5_8ELb0ES3_jPKsPS6_PKS6_NS0_5tupleIJPsS6_EEENSE_IJSB_SB_EEENS0_18inequality_wrapperIN6hipcub16HIPCUB_304000_NS8EqualityEEEPlJS6_EEE10hipError_tPvRmT3_T4_T5_T6_T7_T9_mT8_P12ihipStream_tbDpT10_ENKUlT_T0_E_clISt17integral_constantIbLb0EES17_EEDaS12_S13_EUlS12_E_NS1_11comp_targetILNS1_3genE5ELNS1_11target_archE942ELNS1_3gpuE9ELNS1_3repE0EEENS1_30default_config_static_selectorELNS0_4arch9wavefront6targetE1EEEvT1_
    .private_segment_fixed_size: 0
    .sgpr_count:     84
    .sgpr_spill_count: 0
    .symbol:         _ZN7rocprim17ROCPRIM_400000_NS6detail17trampoline_kernelINS0_14default_configENS1_25partition_config_selectorILNS1_17partition_subalgoE8EsNS0_10empty_typeEbEEZZNS1_14partition_implILS5_8ELb0ES3_jPKsPS6_PKS6_NS0_5tupleIJPsS6_EEENSE_IJSB_SB_EEENS0_18inequality_wrapperIN6hipcub16HIPCUB_304000_NS8EqualityEEEPlJS6_EEE10hipError_tPvRmT3_T4_T5_T6_T7_T9_mT8_P12ihipStream_tbDpT10_ENKUlT_T0_E_clISt17integral_constantIbLb0EES17_EEDaS12_S13_EUlS12_E_NS1_11comp_targetILNS1_3genE5ELNS1_11target_archE942ELNS1_3gpuE9ELNS1_3repE0EEENS1_30default_config_static_selectorELNS0_4arch9wavefront6targetE1EEEvT1_.kd
    .uniform_work_group_size: 1
    .uses_dynamic_stack: false
    .vgpr_count:     128
    .vgpr_spill_count: 0
    .wavefront_size: 64
  - .agpr_count:     0
    .args:
      - .offset:         0
        .size:           112
        .value_kind:     by_value
    .group_segment_fixed_size: 0
    .kernarg_segment_align: 8
    .kernarg_segment_size: 112
    .language:       OpenCL C
    .language_version:
      - 2
      - 0
    .max_flat_workgroup_size: 256
    .name:           _ZN7rocprim17ROCPRIM_400000_NS6detail17trampoline_kernelINS0_14default_configENS1_25partition_config_selectorILNS1_17partition_subalgoE8EsNS0_10empty_typeEbEEZZNS1_14partition_implILS5_8ELb0ES3_jPKsPS6_PKS6_NS0_5tupleIJPsS6_EEENSE_IJSB_SB_EEENS0_18inequality_wrapperIN6hipcub16HIPCUB_304000_NS8EqualityEEEPlJS6_EEE10hipError_tPvRmT3_T4_T5_T6_T7_T9_mT8_P12ihipStream_tbDpT10_ENKUlT_T0_E_clISt17integral_constantIbLb0EES17_EEDaS12_S13_EUlS12_E_NS1_11comp_targetILNS1_3genE4ELNS1_11target_archE910ELNS1_3gpuE8ELNS1_3repE0EEENS1_30default_config_static_selectorELNS0_4arch9wavefront6targetE1EEEvT1_
    .private_segment_fixed_size: 0
    .sgpr_count:     6
    .sgpr_spill_count: 0
    .symbol:         _ZN7rocprim17ROCPRIM_400000_NS6detail17trampoline_kernelINS0_14default_configENS1_25partition_config_selectorILNS1_17partition_subalgoE8EsNS0_10empty_typeEbEEZZNS1_14partition_implILS5_8ELb0ES3_jPKsPS6_PKS6_NS0_5tupleIJPsS6_EEENSE_IJSB_SB_EEENS0_18inequality_wrapperIN6hipcub16HIPCUB_304000_NS8EqualityEEEPlJS6_EEE10hipError_tPvRmT3_T4_T5_T6_T7_T9_mT8_P12ihipStream_tbDpT10_ENKUlT_T0_E_clISt17integral_constantIbLb0EES17_EEDaS12_S13_EUlS12_E_NS1_11comp_targetILNS1_3genE4ELNS1_11target_archE910ELNS1_3gpuE8ELNS1_3repE0EEENS1_30default_config_static_selectorELNS0_4arch9wavefront6targetE1EEEvT1_.kd
    .uniform_work_group_size: 1
    .uses_dynamic_stack: false
    .vgpr_count:     0
    .vgpr_spill_count: 0
    .wavefront_size: 64
  - .agpr_count:     0
    .args:
      - .offset:         0
        .size:           112
        .value_kind:     by_value
    .group_segment_fixed_size: 0
    .kernarg_segment_align: 8
    .kernarg_segment_size: 112
    .language:       OpenCL C
    .language_version:
      - 2
      - 0
    .max_flat_workgroup_size: 256
    .name:           _ZN7rocprim17ROCPRIM_400000_NS6detail17trampoline_kernelINS0_14default_configENS1_25partition_config_selectorILNS1_17partition_subalgoE8EsNS0_10empty_typeEbEEZZNS1_14partition_implILS5_8ELb0ES3_jPKsPS6_PKS6_NS0_5tupleIJPsS6_EEENSE_IJSB_SB_EEENS0_18inequality_wrapperIN6hipcub16HIPCUB_304000_NS8EqualityEEEPlJS6_EEE10hipError_tPvRmT3_T4_T5_T6_T7_T9_mT8_P12ihipStream_tbDpT10_ENKUlT_T0_E_clISt17integral_constantIbLb0EES17_EEDaS12_S13_EUlS12_E_NS1_11comp_targetILNS1_3genE3ELNS1_11target_archE908ELNS1_3gpuE7ELNS1_3repE0EEENS1_30default_config_static_selectorELNS0_4arch9wavefront6targetE1EEEvT1_
    .private_segment_fixed_size: 0
    .sgpr_count:     6
    .sgpr_spill_count: 0
    .symbol:         _ZN7rocprim17ROCPRIM_400000_NS6detail17trampoline_kernelINS0_14default_configENS1_25partition_config_selectorILNS1_17partition_subalgoE8EsNS0_10empty_typeEbEEZZNS1_14partition_implILS5_8ELb0ES3_jPKsPS6_PKS6_NS0_5tupleIJPsS6_EEENSE_IJSB_SB_EEENS0_18inequality_wrapperIN6hipcub16HIPCUB_304000_NS8EqualityEEEPlJS6_EEE10hipError_tPvRmT3_T4_T5_T6_T7_T9_mT8_P12ihipStream_tbDpT10_ENKUlT_T0_E_clISt17integral_constantIbLb0EES17_EEDaS12_S13_EUlS12_E_NS1_11comp_targetILNS1_3genE3ELNS1_11target_archE908ELNS1_3gpuE7ELNS1_3repE0EEENS1_30default_config_static_selectorELNS0_4arch9wavefront6targetE1EEEvT1_.kd
    .uniform_work_group_size: 1
    .uses_dynamic_stack: false
    .vgpr_count:     0
    .vgpr_spill_count: 0
    .wavefront_size: 64
  - .agpr_count:     0
    .args:
      - .offset:         0
        .size:           112
        .value_kind:     by_value
    .group_segment_fixed_size: 0
    .kernarg_segment_align: 8
    .kernarg_segment_size: 112
    .language:       OpenCL C
    .language_version:
      - 2
      - 0
    .max_flat_workgroup_size: 192
    .name:           _ZN7rocprim17ROCPRIM_400000_NS6detail17trampoline_kernelINS0_14default_configENS1_25partition_config_selectorILNS1_17partition_subalgoE8EsNS0_10empty_typeEbEEZZNS1_14partition_implILS5_8ELb0ES3_jPKsPS6_PKS6_NS0_5tupleIJPsS6_EEENSE_IJSB_SB_EEENS0_18inequality_wrapperIN6hipcub16HIPCUB_304000_NS8EqualityEEEPlJS6_EEE10hipError_tPvRmT3_T4_T5_T6_T7_T9_mT8_P12ihipStream_tbDpT10_ENKUlT_T0_E_clISt17integral_constantIbLb0EES17_EEDaS12_S13_EUlS12_E_NS1_11comp_targetILNS1_3genE2ELNS1_11target_archE906ELNS1_3gpuE6ELNS1_3repE0EEENS1_30default_config_static_selectorELNS0_4arch9wavefront6targetE1EEEvT1_
    .private_segment_fixed_size: 0
    .sgpr_count:     6
    .sgpr_spill_count: 0
    .symbol:         _ZN7rocprim17ROCPRIM_400000_NS6detail17trampoline_kernelINS0_14default_configENS1_25partition_config_selectorILNS1_17partition_subalgoE8EsNS0_10empty_typeEbEEZZNS1_14partition_implILS5_8ELb0ES3_jPKsPS6_PKS6_NS0_5tupleIJPsS6_EEENSE_IJSB_SB_EEENS0_18inequality_wrapperIN6hipcub16HIPCUB_304000_NS8EqualityEEEPlJS6_EEE10hipError_tPvRmT3_T4_T5_T6_T7_T9_mT8_P12ihipStream_tbDpT10_ENKUlT_T0_E_clISt17integral_constantIbLb0EES17_EEDaS12_S13_EUlS12_E_NS1_11comp_targetILNS1_3genE2ELNS1_11target_archE906ELNS1_3gpuE6ELNS1_3repE0EEENS1_30default_config_static_selectorELNS0_4arch9wavefront6targetE1EEEvT1_.kd
    .uniform_work_group_size: 1
    .uses_dynamic_stack: false
    .vgpr_count:     0
    .vgpr_spill_count: 0
    .wavefront_size: 64
  - .agpr_count:     0
    .args:
      - .offset:         0
        .size:           112
        .value_kind:     by_value
    .group_segment_fixed_size: 0
    .kernarg_segment_align: 8
    .kernarg_segment_size: 112
    .language:       OpenCL C
    .language_version:
      - 2
      - 0
    .max_flat_workgroup_size: 256
    .name:           _ZN7rocprim17ROCPRIM_400000_NS6detail17trampoline_kernelINS0_14default_configENS1_25partition_config_selectorILNS1_17partition_subalgoE8EsNS0_10empty_typeEbEEZZNS1_14partition_implILS5_8ELb0ES3_jPKsPS6_PKS6_NS0_5tupleIJPsS6_EEENSE_IJSB_SB_EEENS0_18inequality_wrapperIN6hipcub16HIPCUB_304000_NS8EqualityEEEPlJS6_EEE10hipError_tPvRmT3_T4_T5_T6_T7_T9_mT8_P12ihipStream_tbDpT10_ENKUlT_T0_E_clISt17integral_constantIbLb0EES17_EEDaS12_S13_EUlS12_E_NS1_11comp_targetILNS1_3genE10ELNS1_11target_archE1200ELNS1_3gpuE4ELNS1_3repE0EEENS1_30default_config_static_selectorELNS0_4arch9wavefront6targetE1EEEvT1_
    .private_segment_fixed_size: 0
    .sgpr_count:     6
    .sgpr_spill_count: 0
    .symbol:         _ZN7rocprim17ROCPRIM_400000_NS6detail17trampoline_kernelINS0_14default_configENS1_25partition_config_selectorILNS1_17partition_subalgoE8EsNS0_10empty_typeEbEEZZNS1_14partition_implILS5_8ELb0ES3_jPKsPS6_PKS6_NS0_5tupleIJPsS6_EEENSE_IJSB_SB_EEENS0_18inequality_wrapperIN6hipcub16HIPCUB_304000_NS8EqualityEEEPlJS6_EEE10hipError_tPvRmT3_T4_T5_T6_T7_T9_mT8_P12ihipStream_tbDpT10_ENKUlT_T0_E_clISt17integral_constantIbLb0EES17_EEDaS12_S13_EUlS12_E_NS1_11comp_targetILNS1_3genE10ELNS1_11target_archE1200ELNS1_3gpuE4ELNS1_3repE0EEENS1_30default_config_static_selectorELNS0_4arch9wavefront6targetE1EEEvT1_.kd
    .uniform_work_group_size: 1
    .uses_dynamic_stack: false
    .vgpr_count:     0
    .vgpr_spill_count: 0
    .wavefront_size: 64
  - .agpr_count:     0
    .args:
      - .offset:         0
        .size:           112
        .value_kind:     by_value
    .group_segment_fixed_size: 0
    .kernarg_segment_align: 8
    .kernarg_segment_size: 112
    .language:       OpenCL C
    .language_version:
      - 2
      - 0
    .max_flat_workgroup_size: 128
    .name:           _ZN7rocprim17ROCPRIM_400000_NS6detail17trampoline_kernelINS0_14default_configENS1_25partition_config_selectorILNS1_17partition_subalgoE8EsNS0_10empty_typeEbEEZZNS1_14partition_implILS5_8ELb0ES3_jPKsPS6_PKS6_NS0_5tupleIJPsS6_EEENSE_IJSB_SB_EEENS0_18inequality_wrapperIN6hipcub16HIPCUB_304000_NS8EqualityEEEPlJS6_EEE10hipError_tPvRmT3_T4_T5_T6_T7_T9_mT8_P12ihipStream_tbDpT10_ENKUlT_T0_E_clISt17integral_constantIbLb0EES17_EEDaS12_S13_EUlS12_E_NS1_11comp_targetILNS1_3genE9ELNS1_11target_archE1100ELNS1_3gpuE3ELNS1_3repE0EEENS1_30default_config_static_selectorELNS0_4arch9wavefront6targetE1EEEvT1_
    .private_segment_fixed_size: 0
    .sgpr_count:     6
    .sgpr_spill_count: 0
    .symbol:         _ZN7rocprim17ROCPRIM_400000_NS6detail17trampoline_kernelINS0_14default_configENS1_25partition_config_selectorILNS1_17partition_subalgoE8EsNS0_10empty_typeEbEEZZNS1_14partition_implILS5_8ELb0ES3_jPKsPS6_PKS6_NS0_5tupleIJPsS6_EEENSE_IJSB_SB_EEENS0_18inequality_wrapperIN6hipcub16HIPCUB_304000_NS8EqualityEEEPlJS6_EEE10hipError_tPvRmT3_T4_T5_T6_T7_T9_mT8_P12ihipStream_tbDpT10_ENKUlT_T0_E_clISt17integral_constantIbLb0EES17_EEDaS12_S13_EUlS12_E_NS1_11comp_targetILNS1_3genE9ELNS1_11target_archE1100ELNS1_3gpuE3ELNS1_3repE0EEENS1_30default_config_static_selectorELNS0_4arch9wavefront6targetE1EEEvT1_.kd
    .uniform_work_group_size: 1
    .uses_dynamic_stack: false
    .vgpr_count:     0
    .vgpr_spill_count: 0
    .wavefront_size: 64
  - .agpr_count:     0
    .args:
      - .offset:         0
        .size:           112
        .value_kind:     by_value
    .group_segment_fixed_size: 0
    .kernarg_segment_align: 8
    .kernarg_segment_size: 112
    .language:       OpenCL C
    .language_version:
      - 2
      - 0
    .max_flat_workgroup_size: 384
    .name:           _ZN7rocprim17ROCPRIM_400000_NS6detail17trampoline_kernelINS0_14default_configENS1_25partition_config_selectorILNS1_17partition_subalgoE8EsNS0_10empty_typeEbEEZZNS1_14partition_implILS5_8ELb0ES3_jPKsPS6_PKS6_NS0_5tupleIJPsS6_EEENSE_IJSB_SB_EEENS0_18inequality_wrapperIN6hipcub16HIPCUB_304000_NS8EqualityEEEPlJS6_EEE10hipError_tPvRmT3_T4_T5_T6_T7_T9_mT8_P12ihipStream_tbDpT10_ENKUlT_T0_E_clISt17integral_constantIbLb0EES17_EEDaS12_S13_EUlS12_E_NS1_11comp_targetILNS1_3genE8ELNS1_11target_archE1030ELNS1_3gpuE2ELNS1_3repE0EEENS1_30default_config_static_selectorELNS0_4arch9wavefront6targetE1EEEvT1_
    .private_segment_fixed_size: 0
    .sgpr_count:     6
    .sgpr_spill_count: 0
    .symbol:         _ZN7rocprim17ROCPRIM_400000_NS6detail17trampoline_kernelINS0_14default_configENS1_25partition_config_selectorILNS1_17partition_subalgoE8EsNS0_10empty_typeEbEEZZNS1_14partition_implILS5_8ELb0ES3_jPKsPS6_PKS6_NS0_5tupleIJPsS6_EEENSE_IJSB_SB_EEENS0_18inequality_wrapperIN6hipcub16HIPCUB_304000_NS8EqualityEEEPlJS6_EEE10hipError_tPvRmT3_T4_T5_T6_T7_T9_mT8_P12ihipStream_tbDpT10_ENKUlT_T0_E_clISt17integral_constantIbLb0EES17_EEDaS12_S13_EUlS12_E_NS1_11comp_targetILNS1_3genE8ELNS1_11target_archE1030ELNS1_3gpuE2ELNS1_3repE0EEENS1_30default_config_static_selectorELNS0_4arch9wavefront6targetE1EEEvT1_.kd
    .uniform_work_group_size: 1
    .uses_dynamic_stack: false
    .vgpr_count:     0
    .vgpr_spill_count: 0
    .wavefront_size: 64
  - .agpr_count:     0
    .args:
      - .offset:         0
        .size:           128
        .value_kind:     by_value
    .group_segment_fixed_size: 0
    .kernarg_segment_align: 8
    .kernarg_segment_size: 128
    .language:       OpenCL C
    .language_version:
      - 2
      - 0
    .max_flat_workgroup_size: 256
    .name:           _ZN7rocprim17ROCPRIM_400000_NS6detail17trampoline_kernelINS0_14default_configENS1_25partition_config_selectorILNS1_17partition_subalgoE8EsNS0_10empty_typeEbEEZZNS1_14partition_implILS5_8ELb0ES3_jPKsPS6_PKS6_NS0_5tupleIJPsS6_EEENSE_IJSB_SB_EEENS0_18inequality_wrapperIN6hipcub16HIPCUB_304000_NS8EqualityEEEPlJS6_EEE10hipError_tPvRmT3_T4_T5_T6_T7_T9_mT8_P12ihipStream_tbDpT10_ENKUlT_T0_E_clISt17integral_constantIbLb1EES17_EEDaS12_S13_EUlS12_E_NS1_11comp_targetILNS1_3genE0ELNS1_11target_archE4294967295ELNS1_3gpuE0ELNS1_3repE0EEENS1_30default_config_static_selectorELNS0_4arch9wavefront6targetE1EEEvT1_
    .private_segment_fixed_size: 0
    .sgpr_count:     6
    .sgpr_spill_count: 0
    .symbol:         _ZN7rocprim17ROCPRIM_400000_NS6detail17trampoline_kernelINS0_14default_configENS1_25partition_config_selectorILNS1_17partition_subalgoE8EsNS0_10empty_typeEbEEZZNS1_14partition_implILS5_8ELb0ES3_jPKsPS6_PKS6_NS0_5tupleIJPsS6_EEENSE_IJSB_SB_EEENS0_18inequality_wrapperIN6hipcub16HIPCUB_304000_NS8EqualityEEEPlJS6_EEE10hipError_tPvRmT3_T4_T5_T6_T7_T9_mT8_P12ihipStream_tbDpT10_ENKUlT_T0_E_clISt17integral_constantIbLb1EES17_EEDaS12_S13_EUlS12_E_NS1_11comp_targetILNS1_3genE0ELNS1_11target_archE4294967295ELNS1_3gpuE0ELNS1_3repE0EEENS1_30default_config_static_selectorELNS0_4arch9wavefront6targetE1EEEvT1_.kd
    .uniform_work_group_size: 1
    .uses_dynamic_stack: false
    .vgpr_count:     0
    .vgpr_spill_count: 0
    .wavefront_size: 64
  - .agpr_count:     0
    .args:
      - .offset:         0
        .size:           128
        .value_kind:     by_value
    .group_segment_fixed_size: 30728
    .kernarg_segment_align: 8
    .kernarg_segment_size: 128
    .language:       OpenCL C
    .language_version:
      - 2
      - 0
    .max_flat_workgroup_size: 512
    .name:           _ZN7rocprim17ROCPRIM_400000_NS6detail17trampoline_kernelINS0_14default_configENS1_25partition_config_selectorILNS1_17partition_subalgoE8EsNS0_10empty_typeEbEEZZNS1_14partition_implILS5_8ELb0ES3_jPKsPS6_PKS6_NS0_5tupleIJPsS6_EEENSE_IJSB_SB_EEENS0_18inequality_wrapperIN6hipcub16HIPCUB_304000_NS8EqualityEEEPlJS6_EEE10hipError_tPvRmT3_T4_T5_T6_T7_T9_mT8_P12ihipStream_tbDpT10_ENKUlT_T0_E_clISt17integral_constantIbLb1EES17_EEDaS12_S13_EUlS12_E_NS1_11comp_targetILNS1_3genE5ELNS1_11target_archE942ELNS1_3gpuE9ELNS1_3repE0EEENS1_30default_config_static_selectorELNS0_4arch9wavefront6targetE1EEEvT1_
    .private_segment_fixed_size: 0
    .sgpr_count:     87
    .sgpr_spill_count: 0
    .symbol:         _ZN7rocprim17ROCPRIM_400000_NS6detail17trampoline_kernelINS0_14default_configENS1_25partition_config_selectorILNS1_17partition_subalgoE8EsNS0_10empty_typeEbEEZZNS1_14partition_implILS5_8ELb0ES3_jPKsPS6_PKS6_NS0_5tupleIJPsS6_EEENSE_IJSB_SB_EEENS0_18inequality_wrapperIN6hipcub16HIPCUB_304000_NS8EqualityEEEPlJS6_EEE10hipError_tPvRmT3_T4_T5_T6_T7_T9_mT8_P12ihipStream_tbDpT10_ENKUlT_T0_E_clISt17integral_constantIbLb1EES17_EEDaS12_S13_EUlS12_E_NS1_11comp_targetILNS1_3genE5ELNS1_11target_archE942ELNS1_3gpuE9ELNS1_3repE0EEENS1_30default_config_static_selectorELNS0_4arch9wavefront6targetE1EEEvT1_.kd
    .uniform_work_group_size: 1
    .uses_dynamic_stack: false
    .vgpr_count:     132
    .vgpr_spill_count: 0
    .wavefront_size: 64
  - .agpr_count:     0
    .args:
      - .offset:         0
        .size:           128
        .value_kind:     by_value
    .group_segment_fixed_size: 0
    .kernarg_segment_align: 8
    .kernarg_segment_size: 128
    .language:       OpenCL C
    .language_version:
      - 2
      - 0
    .max_flat_workgroup_size: 256
    .name:           _ZN7rocprim17ROCPRIM_400000_NS6detail17trampoline_kernelINS0_14default_configENS1_25partition_config_selectorILNS1_17partition_subalgoE8EsNS0_10empty_typeEbEEZZNS1_14partition_implILS5_8ELb0ES3_jPKsPS6_PKS6_NS0_5tupleIJPsS6_EEENSE_IJSB_SB_EEENS0_18inequality_wrapperIN6hipcub16HIPCUB_304000_NS8EqualityEEEPlJS6_EEE10hipError_tPvRmT3_T4_T5_T6_T7_T9_mT8_P12ihipStream_tbDpT10_ENKUlT_T0_E_clISt17integral_constantIbLb1EES17_EEDaS12_S13_EUlS12_E_NS1_11comp_targetILNS1_3genE4ELNS1_11target_archE910ELNS1_3gpuE8ELNS1_3repE0EEENS1_30default_config_static_selectorELNS0_4arch9wavefront6targetE1EEEvT1_
    .private_segment_fixed_size: 0
    .sgpr_count:     6
    .sgpr_spill_count: 0
    .symbol:         _ZN7rocprim17ROCPRIM_400000_NS6detail17trampoline_kernelINS0_14default_configENS1_25partition_config_selectorILNS1_17partition_subalgoE8EsNS0_10empty_typeEbEEZZNS1_14partition_implILS5_8ELb0ES3_jPKsPS6_PKS6_NS0_5tupleIJPsS6_EEENSE_IJSB_SB_EEENS0_18inequality_wrapperIN6hipcub16HIPCUB_304000_NS8EqualityEEEPlJS6_EEE10hipError_tPvRmT3_T4_T5_T6_T7_T9_mT8_P12ihipStream_tbDpT10_ENKUlT_T0_E_clISt17integral_constantIbLb1EES17_EEDaS12_S13_EUlS12_E_NS1_11comp_targetILNS1_3genE4ELNS1_11target_archE910ELNS1_3gpuE8ELNS1_3repE0EEENS1_30default_config_static_selectorELNS0_4arch9wavefront6targetE1EEEvT1_.kd
    .uniform_work_group_size: 1
    .uses_dynamic_stack: false
    .vgpr_count:     0
    .vgpr_spill_count: 0
    .wavefront_size: 64
  - .agpr_count:     0
    .args:
      - .offset:         0
        .size:           128
        .value_kind:     by_value
    .group_segment_fixed_size: 0
    .kernarg_segment_align: 8
    .kernarg_segment_size: 128
    .language:       OpenCL C
    .language_version:
      - 2
      - 0
    .max_flat_workgroup_size: 256
    .name:           _ZN7rocprim17ROCPRIM_400000_NS6detail17trampoline_kernelINS0_14default_configENS1_25partition_config_selectorILNS1_17partition_subalgoE8EsNS0_10empty_typeEbEEZZNS1_14partition_implILS5_8ELb0ES3_jPKsPS6_PKS6_NS0_5tupleIJPsS6_EEENSE_IJSB_SB_EEENS0_18inequality_wrapperIN6hipcub16HIPCUB_304000_NS8EqualityEEEPlJS6_EEE10hipError_tPvRmT3_T4_T5_T6_T7_T9_mT8_P12ihipStream_tbDpT10_ENKUlT_T0_E_clISt17integral_constantIbLb1EES17_EEDaS12_S13_EUlS12_E_NS1_11comp_targetILNS1_3genE3ELNS1_11target_archE908ELNS1_3gpuE7ELNS1_3repE0EEENS1_30default_config_static_selectorELNS0_4arch9wavefront6targetE1EEEvT1_
    .private_segment_fixed_size: 0
    .sgpr_count:     6
    .sgpr_spill_count: 0
    .symbol:         _ZN7rocprim17ROCPRIM_400000_NS6detail17trampoline_kernelINS0_14default_configENS1_25partition_config_selectorILNS1_17partition_subalgoE8EsNS0_10empty_typeEbEEZZNS1_14partition_implILS5_8ELb0ES3_jPKsPS6_PKS6_NS0_5tupleIJPsS6_EEENSE_IJSB_SB_EEENS0_18inequality_wrapperIN6hipcub16HIPCUB_304000_NS8EqualityEEEPlJS6_EEE10hipError_tPvRmT3_T4_T5_T6_T7_T9_mT8_P12ihipStream_tbDpT10_ENKUlT_T0_E_clISt17integral_constantIbLb1EES17_EEDaS12_S13_EUlS12_E_NS1_11comp_targetILNS1_3genE3ELNS1_11target_archE908ELNS1_3gpuE7ELNS1_3repE0EEENS1_30default_config_static_selectorELNS0_4arch9wavefront6targetE1EEEvT1_.kd
    .uniform_work_group_size: 1
    .uses_dynamic_stack: false
    .vgpr_count:     0
    .vgpr_spill_count: 0
    .wavefront_size: 64
  - .agpr_count:     0
    .args:
      - .offset:         0
        .size:           128
        .value_kind:     by_value
    .group_segment_fixed_size: 0
    .kernarg_segment_align: 8
    .kernarg_segment_size: 128
    .language:       OpenCL C
    .language_version:
      - 2
      - 0
    .max_flat_workgroup_size: 192
    .name:           _ZN7rocprim17ROCPRIM_400000_NS6detail17trampoline_kernelINS0_14default_configENS1_25partition_config_selectorILNS1_17partition_subalgoE8EsNS0_10empty_typeEbEEZZNS1_14partition_implILS5_8ELb0ES3_jPKsPS6_PKS6_NS0_5tupleIJPsS6_EEENSE_IJSB_SB_EEENS0_18inequality_wrapperIN6hipcub16HIPCUB_304000_NS8EqualityEEEPlJS6_EEE10hipError_tPvRmT3_T4_T5_T6_T7_T9_mT8_P12ihipStream_tbDpT10_ENKUlT_T0_E_clISt17integral_constantIbLb1EES17_EEDaS12_S13_EUlS12_E_NS1_11comp_targetILNS1_3genE2ELNS1_11target_archE906ELNS1_3gpuE6ELNS1_3repE0EEENS1_30default_config_static_selectorELNS0_4arch9wavefront6targetE1EEEvT1_
    .private_segment_fixed_size: 0
    .sgpr_count:     6
    .sgpr_spill_count: 0
    .symbol:         _ZN7rocprim17ROCPRIM_400000_NS6detail17trampoline_kernelINS0_14default_configENS1_25partition_config_selectorILNS1_17partition_subalgoE8EsNS0_10empty_typeEbEEZZNS1_14partition_implILS5_8ELb0ES3_jPKsPS6_PKS6_NS0_5tupleIJPsS6_EEENSE_IJSB_SB_EEENS0_18inequality_wrapperIN6hipcub16HIPCUB_304000_NS8EqualityEEEPlJS6_EEE10hipError_tPvRmT3_T4_T5_T6_T7_T9_mT8_P12ihipStream_tbDpT10_ENKUlT_T0_E_clISt17integral_constantIbLb1EES17_EEDaS12_S13_EUlS12_E_NS1_11comp_targetILNS1_3genE2ELNS1_11target_archE906ELNS1_3gpuE6ELNS1_3repE0EEENS1_30default_config_static_selectorELNS0_4arch9wavefront6targetE1EEEvT1_.kd
    .uniform_work_group_size: 1
    .uses_dynamic_stack: false
    .vgpr_count:     0
    .vgpr_spill_count: 0
    .wavefront_size: 64
  - .agpr_count:     0
    .args:
      - .offset:         0
        .size:           128
        .value_kind:     by_value
    .group_segment_fixed_size: 0
    .kernarg_segment_align: 8
    .kernarg_segment_size: 128
    .language:       OpenCL C
    .language_version:
      - 2
      - 0
    .max_flat_workgroup_size: 256
    .name:           _ZN7rocprim17ROCPRIM_400000_NS6detail17trampoline_kernelINS0_14default_configENS1_25partition_config_selectorILNS1_17partition_subalgoE8EsNS0_10empty_typeEbEEZZNS1_14partition_implILS5_8ELb0ES3_jPKsPS6_PKS6_NS0_5tupleIJPsS6_EEENSE_IJSB_SB_EEENS0_18inequality_wrapperIN6hipcub16HIPCUB_304000_NS8EqualityEEEPlJS6_EEE10hipError_tPvRmT3_T4_T5_T6_T7_T9_mT8_P12ihipStream_tbDpT10_ENKUlT_T0_E_clISt17integral_constantIbLb1EES17_EEDaS12_S13_EUlS12_E_NS1_11comp_targetILNS1_3genE10ELNS1_11target_archE1200ELNS1_3gpuE4ELNS1_3repE0EEENS1_30default_config_static_selectorELNS0_4arch9wavefront6targetE1EEEvT1_
    .private_segment_fixed_size: 0
    .sgpr_count:     6
    .sgpr_spill_count: 0
    .symbol:         _ZN7rocprim17ROCPRIM_400000_NS6detail17trampoline_kernelINS0_14default_configENS1_25partition_config_selectorILNS1_17partition_subalgoE8EsNS0_10empty_typeEbEEZZNS1_14partition_implILS5_8ELb0ES3_jPKsPS6_PKS6_NS0_5tupleIJPsS6_EEENSE_IJSB_SB_EEENS0_18inequality_wrapperIN6hipcub16HIPCUB_304000_NS8EqualityEEEPlJS6_EEE10hipError_tPvRmT3_T4_T5_T6_T7_T9_mT8_P12ihipStream_tbDpT10_ENKUlT_T0_E_clISt17integral_constantIbLb1EES17_EEDaS12_S13_EUlS12_E_NS1_11comp_targetILNS1_3genE10ELNS1_11target_archE1200ELNS1_3gpuE4ELNS1_3repE0EEENS1_30default_config_static_selectorELNS0_4arch9wavefront6targetE1EEEvT1_.kd
    .uniform_work_group_size: 1
    .uses_dynamic_stack: false
    .vgpr_count:     0
    .vgpr_spill_count: 0
    .wavefront_size: 64
  - .agpr_count:     0
    .args:
      - .offset:         0
        .size:           128
        .value_kind:     by_value
    .group_segment_fixed_size: 0
    .kernarg_segment_align: 8
    .kernarg_segment_size: 128
    .language:       OpenCL C
    .language_version:
      - 2
      - 0
    .max_flat_workgroup_size: 128
    .name:           _ZN7rocprim17ROCPRIM_400000_NS6detail17trampoline_kernelINS0_14default_configENS1_25partition_config_selectorILNS1_17partition_subalgoE8EsNS0_10empty_typeEbEEZZNS1_14partition_implILS5_8ELb0ES3_jPKsPS6_PKS6_NS0_5tupleIJPsS6_EEENSE_IJSB_SB_EEENS0_18inequality_wrapperIN6hipcub16HIPCUB_304000_NS8EqualityEEEPlJS6_EEE10hipError_tPvRmT3_T4_T5_T6_T7_T9_mT8_P12ihipStream_tbDpT10_ENKUlT_T0_E_clISt17integral_constantIbLb1EES17_EEDaS12_S13_EUlS12_E_NS1_11comp_targetILNS1_3genE9ELNS1_11target_archE1100ELNS1_3gpuE3ELNS1_3repE0EEENS1_30default_config_static_selectorELNS0_4arch9wavefront6targetE1EEEvT1_
    .private_segment_fixed_size: 0
    .sgpr_count:     6
    .sgpr_spill_count: 0
    .symbol:         _ZN7rocprim17ROCPRIM_400000_NS6detail17trampoline_kernelINS0_14default_configENS1_25partition_config_selectorILNS1_17partition_subalgoE8EsNS0_10empty_typeEbEEZZNS1_14partition_implILS5_8ELb0ES3_jPKsPS6_PKS6_NS0_5tupleIJPsS6_EEENSE_IJSB_SB_EEENS0_18inequality_wrapperIN6hipcub16HIPCUB_304000_NS8EqualityEEEPlJS6_EEE10hipError_tPvRmT3_T4_T5_T6_T7_T9_mT8_P12ihipStream_tbDpT10_ENKUlT_T0_E_clISt17integral_constantIbLb1EES17_EEDaS12_S13_EUlS12_E_NS1_11comp_targetILNS1_3genE9ELNS1_11target_archE1100ELNS1_3gpuE3ELNS1_3repE0EEENS1_30default_config_static_selectorELNS0_4arch9wavefront6targetE1EEEvT1_.kd
    .uniform_work_group_size: 1
    .uses_dynamic_stack: false
    .vgpr_count:     0
    .vgpr_spill_count: 0
    .wavefront_size: 64
  - .agpr_count:     0
    .args:
      - .offset:         0
        .size:           128
        .value_kind:     by_value
    .group_segment_fixed_size: 0
    .kernarg_segment_align: 8
    .kernarg_segment_size: 128
    .language:       OpenCL C
    .language_version:
      - 2
      - 0
    .max_flat_workgroup_size: 384
    .name:           _ZN7rocprim17ROCPRIM_400000_NS6detail17trampoline_kernelINS0_14default_configENS1_25partition_config_selectorILNS1_17partition_subalgoE8EsNS0_10empty_typeEbEEZZNS1_14partition_implILS5_8ELb0ES3_jPKsPS6_PKS6_NS0_5tupleIJPsS6_EEENSE_IJSB_SB_EEENS0_18inequality_wrapperIN6hipcub16HIPCUB_304000_NS8EqualityEEEPlJS6_EEE10hipError_tPvRmT3_T4_T5_T6_T7_T9_mT8_P12ihipStream_tbDpT10_ENKUlT_T0_E_clISt17integral_constantIbLb1EES17_EEDaS12_S13_EUlS12_E_NS1_11comp_targetILNS1_3genE8ELNS1_11target_archE1030ELNS1_3gpuE2ELNS1_3repE0EEENS1_30default_config_static_selectorELNS0_4arch9wavefront6targetE1EEEvT1_
    .private_segment_fixed_size: 0
    .sgpr_count:     6
    .sgpr_spill_count: 0
    .symbol:         _ZN7rocprim17ROCPRIM_400000_NS6detail17trampoline_kernelINS0_14default_configENS1_25partition_config_selectorILNS1_17partition_subalgoE8EsNS0_10empty_typeEbEEZZNS1_14partition_implILS5_8ELb0ES3_jPKsPS6_PKS6_NS0_5tupleIJPsS6_EEENSE_IJSB_SB_EEENS0_18inequality_wrapperIN6hipcub16HIPCUB_304000_NS8EqualityEEEPlJS6_EEE10hipError_tPvRmT3_T4_T5_T6_T7_T9_mT8_P12ihipStream_tbDpT10_ENKUlT_T0_E_clISt17integral_constantIbLb1EES17_EEDaS12_S13_EUlS12_E_NS1_11comp_targetILNS1_3genE8ELNS1_11target_archE1030ELNS1_3gpuE2ELNS1_3repE0EEENS1_30default_config_static_selectorELNS0_4arch9wavefront6targetE1EEEvT1_.kd
    .uniform_work_group_size: 1
    .uses_dynamic_stack: false
    .vgpr_count:     0
    .vgpr_spill_count: 0
    .wavefront_size: 64
  - .agpr_count:     0
    .args:
      - .offset:         0
        .size:           112
        .value_kind:     by_value
    .group_segment_fixed_size: 0
    .kernarg_segment_align: 8
    .kernarg_segment_size: 112
    .language:       OpenCL C
    .language_version:
      - 2
      - 0
    .max_flat_workgroup_size: 256
    .name:           _ZN7rocprim17ROCPRIM_400000_NS6detail17trampoline_kernelINS0_14default_configENS1_25partition_config_selectorILNS1_17partition_subalgoE8EsNS0_10empty_typeEbEEZZNS1_14partition_implILS5_8ELb0ES3_jPKsPS6_PKS6_NS0_5tupleIJPsS6_EEENSE_IJSB_SB_EEENS0_18inequality_wrapperIN6hipcub16HIPCUB_304000_NS8EqualityEEEPlJS6_EEE10hipError_tPvRmT3_T4_T5_T6_T7_T9_mT8_P12ihipStream_tbDpT10_ENKUlT_T0_E_clISt17integral_constantIbLb1EES16_IbLb0EEEEDaS12_S13_EUlS12_E_NS1_11comp_targetILNS1_3genE0ELNS1_11target_archE4294967295ELNS1_3gpuE0ELNS1_3repE0EEENS1_30default_config_static_selectorELNS0_4arch9wavefront6targetE1EEEvT1_
    .private_segment_fixed_size: 0
    .sgpr_count:     6
    .sgpr_spill_count: 0
    .symbol:         _ZN7rocprim17ROCPRIM_400000_NS6detail17trampoline_kernelINS0_14default_configENS1_25partition_config_selectorILNS1_17partition_subalgoE8EsNS0_10empty_typeEbEEZZNS1_14partition_implILS5_8ELb0ES3_jPKsPS6_PKS6_NS0_5tupleIJPsS6_EEENSE_IJSB_SB_EEENS0_18inequality_wrapperIN6hipcub16HIPCUB_304000_NS8EqualityEEEPlJS6_EEE10hipError_tPvRmT3_T4_T5_T6_T7_T9_mT8_P12ihipStream_tbDpT10_ENKUlT_T0_E_clISt17integral_constantIbLb1EES16_IbLb0EEEEDaS12_S13_EUlS12_E_NS1_11comp_targetILNS1_3genE0ELNS1_11target_archE4294967295ELNS1_3gpuE0ELNS1_3repE0EEENS1_30default_config_static_selectorELNS0_4arch9wavefront6targetE1EEEvT1_.kd
    .uniform_work_group_size: 1
    .uses_dynamic_stack: false
    .vgpr_count:     0
    .vgpr_spill_count: 0
    .wavefront_size: 64
  - .agpr_count:     0
    .args:
      - .offset:         0
        .size:           112
        .value_kind:     by_value
    .group_segment_fixed_size: 30728
    .kernarg_segment_align: 8
    .kernarg_segment_size: 112
    .language:       OpenCL C
    .language_version:
      - 2
      - 0
    .max_flat_workgroup_size: 512
    .name:           _ZN7rocprim17ROCPRIM_400000_NS6detail17trampoline_kernelINS0_14default_configENS1_25partition_config_selectorILNS1_17partition_subalgoE8EsNS0_10empty_typeEbEEZZNS1_14partition_implILS5_8ELb0ES3_jPKsPS6_PKS6_NS0_5tupleIJPsS6_EEENSE_IJSB_SB_EEENS0_18inequality_wrapperIN6hipcub16HIPCUB_304000_NS8EqualityEEEPlJS6_EEE10hipError_tPvRmT3_T4_T5_T6_T7_T9_mT8_P12ihipStream_tbDpT10_ENKUlT_T0_E_clISt17integral_constantIbLb1EES16_IbLb0EEEEDaS12_S13_EUlS12_E_NS1_11comp_targetILNS1_3genE5ELNS1_11target_archE942ELNS1_3gpuE9ELNS1_3repE0EEENS1_30default_config_static_selectorELNS0_4arch9wavefront6targetE1EEEvT1_
    .private_segment_fixed_size: 0
    .sgpr_count:     84
    .sgpr_spill_count: 0
    .symbol:         _ZN7rocprim17ROCPRIM_400000_NS6detail17trampoline_kernelINS0_14default_configENS1_25partition_config_selectorILNS1_17partition_subalgoE8EsNS0_10empty_typeEbEEZZNS1_14partition_implILS5_8ELb0ES3_jPKsPS6_PKS6_NS0_5tupleIJPsS6_EEENSE_IJSB_SB_EEENS0_18inequality_wrapperIN6hipcub16HIPCUB_304000_NS8EqualityEEEPlJS6_EEE10hipError_tPvRmT3_T4_T5_T6_T7_T9_mT8_P12ihipStream_tbDpT10_ENKUlT_T0_E_clISt17integral_constantIbLb1EES16_IbLb0EEEEDaS12_S13_EUlS12_E_NS1_11comp_targetILNS1_3genE5ELNS1_11target_archE942ELNS1_3gpuE9ELNS1_3repE0EEENS1_30default_config_static_selectorELNS0_4arch9wavefront6targetE1EEEvT1_.kd
    .uniform_work_group_size: 1
    .uses_dynamic_stack: false
    .vgpr_count:     128
    .vgpr_spill_count: 0
    .wavefront_size: 64
  - .agpr_count:     0
    .args:
      - .offset:         0
        .size:           112
        .value_kind:     by_value
    .group_segment_fixed_size: 0
    .kernarg_segment_align: 8
    .kernarg_segment_size: 112
    .language:       OpenCL C
    .language_version:
      - 2
      - 0
    .max_flat_workgroup_size: 256
    .name:           _ZN7rocprim17ROCPRIM_400000_NS6detail17trampoline_kernelINS0_14default_configENS1_25partition_config_selectorILNS1_17partition_subalgoE8EsNS0_10empty_typeEbEEZZNS1_14partition_implILS5_8ELb0ES3_jPKsPS6_PKS6_NS0_5tupleIJPsS6_EEENSE_IJSB_SB_EEENS0_18inequality_wrapperIN6hipcub16HIPCUB_304000_NS8EqualityEEEPlJS6_EEE10hipError_tPvRmT3_T4_T5_T6_T7_T9_mT8_P12ihipStream_tbDpT10_ENKUlT_T0_E_clISt17integral_constantIbLb1EES16_IbLb0EEEEDaS12_S13_EUlS12_E_NS1_11comp_targetILNS1_3genE4ELNS1_11target_archE910ELNS1_3gpuE8ELNS1_3repE0EEENS1_30default_config_static_selectorELNS0_4arch9wavefront6targetE1EEEvT1_
    .private_segment_fixed_size: 0
    .sgpr_count:     6
    .sgpr_spill_count: 0
    .symbol:         _ZN7rocprim17ROCPRIM_400000_NS6detail17trampoline_kernelINS0_14default_configENS1_25partition_config_selectorILNS1_17partition_subalgoE8EsNS0_10empty_typeEbEEZZNS1_14partition_implILS5_8ELb0ES3_jPKsPS6_PKS6_NS0_5tupleIJPsS6_EEENSE_IJSB_SB_EEENS0_18inequality_wrapperIN6hipcub16HIPCUB_304000_NS8EqualityEEEPlJS6_EEE10hipError_tPvRmT3_T4_T5_T6_T7_T9_mT8_P12ihipStream_tbDpT10_ENKUlT_T0_E_clISt17integral_constantIbLb1EES16_IbLb0EEEEDaS12_S13_EUlS12_E_NS1_11comp_targetILNS1_3genE4ELNS1_11target_archE910ELNS1_3gpuE8ELNS1_3repE0EEENS1_30default_config_static_selectorELNS0_4arch9wavefront6targetE1EEEvT1_.kd
    .uniform_work_group_size: 1
    .uses_dynamic_stack: false
    .vgpr_count:     0
    .vgpr_spill_count: 0
    .wavefront_size: 64
  - .agpr_count:     0
    .args:
      - .offset:         0
        .size:           112
        .value_kind:     by_value
    .group_segment_fixed_size: 0
    .kernarg_segment_align: 8
    .kernarg_segment_size: 112
    .language:       OpenCL C
    .language_version:
      - 2
      - 0
    .max_flat_workgroup_size: 256
    .name:           _ZN7rocprim17ROCPRIM_400000_NS6detail17trampoline_kernelINS0_14default_configENS1_25partition_config_selectorILNS1_17partition_subalgoE8EsNS0_10empty_typeEbEEZZNS1_14partition_implILS5_8ELb0ES3_jPKsPS6_PKS6_NS0_5tupleIJPsS6_EEENSE_IJSB_SB_EEENS0_18inequality_wrapperIN6hipcub16HIPCUB_304000_NS8EqualityEEEPlJS6_EEE10hipError_tPvRmT3_T4_T5_T6_T7_T9_mT8_P12ihipStream_tbDpT10_ENKUlT_T0_E_clISt17integral_constantIbLb1EES16_IbLb0EEEEDaS12_S13_EUlS12_E_NS1_11comp_targetILNS1_3genE3ELNS1_11target_archE908ELNS1_3gpuE7ELNS1_3repE0EEENS1_30default_config_static_selectorELNS0_4arch9wavefront6targetE1EEEvT1_
    .private_segment_fixed_size: 0
    .sgpr_count:     6
    .sgpr_spill_count: 0
    .symbol:         _ZN7rocprim17ROCPRIM_400000_NS6detail17trampoline_kernelINS0_14default_configENS1_25partition_config_selectorILNS1_17partition_subalgoE8EsNS0_10empty_typeEbEEZZNS1_14partition_implILS5_8ELb0ES3_jPKsPS6_PKS6_NS0_5tupleIJPsS6_EEENSE_IJSB_SB_EEENS0_18inequality_wrapperIN6hipcub16HIPCUB_304000_NS8EqualityEEEPlJS6_EEE10hipError_tPvRmT3_T4_T5_T6_T7_T9_mT8_P12ihipStream_tbDpT10_ENKUlT_T0_E_clISt17integral_constantIbLb1EES16_IbLb0EEEEDaS12_S13_EUlS12_E_NS1_11comp_targetILNS1_3genE3ELNS1_11target_archE908ELNS1_3gpuE7ELNS1_3repE0EEENS1_30default_config_static_selectorELNS0_4arch9wavefront6targetE1EEEvT1_.kd
    .uniform_work_group_size: 1
    .uses_dynamic_stack: false
    .vgpr_count:     0
    .vgpr_spill_count: 0
    .wavefront_size: 64
  - .agpr_count:     0
    .args:
      - .offset:         0
        .size:           112
        .value_kind:     by_value
    .group_segment_fixed_size: 0
    .kernarg_segment_align: 8
    .kernarg_segment_size: 112
    .language:       OpenCL C
    .language_version:
      - 2
      - 0
    .max_flat_workgroup_size: 192
    .name:           _ZN7rocprim17ROCPRIM_400000_NS6detail17trampoline_kernelINS0_14default_configENS1_25partition_config_selectorILNS1_17partition_subalgoE8EsNS0_10empty_typeEbEEZZNS1_14partition_implILS5_8ELb0ES3_jPKsPS6_PKS6_NS0_5tupleIJPsS6_EEENSE_IJSB_SB_EEENS0_18inequality_wrapperIN6hipcub16HIPCUB_304000_NS8EqualityEEEPlJS6_EEE10hipError_tPvRmT3_T4_T5_T6_T7_T9_mT8_P12ihipStream_tbDpT10_ENKUlT_T0_E_clISt17integral_constantIbLb1EES16_IbLb0EEEEDaS12_S13_EUlS12_E_NS1_11comp_targetILNS1_3genE2ELNS1_11target_archE906ELNS1_3gpuE6ELNS1_3repE0EEENS1_30default_config_static_selectorELNS0_4arch9wavefront6targetE1EEEvT1_
    .private_segment_fixed_size: 0
    .sgpr_count:     6
    .sgpr_spill_count: 0
    .symbol:         _ZN7rocprim17ROCPRIM_400000_NS6detail17trampoline_kernelINS0_14default_configENS1_25partition_config_selectorILNS1_17partition_subalgoE8EsNS0_10empty_typeEbEEZZNS1_14partition_implILS5_8ELb0ES3_jPKsPS6_PKS6_NS0_5tupleIJPsS6_EEENSE_IJSB_SB_EEENS0_18inequality_wrapperIN6hipcub16HIPCUB_304000_NS8EqualityEEEPlJS6_EEE10hipError_tPvRmT3_T4_T5_T6_T7_T9_mT8_P12ihipStream_tbDpT10_ENKUlT_T0_E_clISt17integral_constantIbLb1EES16_IbLb0EEEEDaS12_S13_EUlS12_E_NS1_11comp_targetILNS1_3genE2ELNS1_11target_archE906ELNS1_3gpuE6ELNS1_3repE0EEENS1_30default_config_static_selectorELNS0_4arch9wavefront6targetE1EEEvT1_.kd
    .uniform_work_group_size: 1
    .uses_dynamic_stack: false
    .vgpr_count:     0
    .vgpr_spill_count: 0
    .wavefront_size: 64
  - .agpr_count:     0
    .args:
      - .offset:         0
        .size:           112
        .value_kind:     by_value
    .group_segment_fixed_size: 0
    .kernarg_segment_align: 8
    .kernarg_segment_size: 112
    .language:       OpenCL C
    .language_version:
      - 2
      - 0
    .max_flat_workgroup_size: 256
    .name:           _ZN7rocprim17ROCPRIM_400000_NS6detail17trampoline_kernelINS0_14default_configENS1_25partition_config_selectorILNS1_17partition_subalgoE8EsNS0_10empty_typeEbEEZZNS1_14partition_implILS5_8ELb0ES3_jPKsPS6_PKS6_NS0_5tupleIJPsS6_EEENSE_IJSB_SB_EEENS0_18inequality_wrapperIN6hipcub16HIPCUB_304000_NS8EqualityEEEPlJS6_EEE10hipError_tPvRmT3_T4_T5_T6_T7_T9_mT8_P12ihipStream_tbDpT10_ENKUlT_T0_E_clISt17integral_constantIbLb1EES16_IbLb0EEEEDaS12_S13_EUlS12_E_NS1_11comp_targetILNS1_3genE10ELNS1_11target_archE1200ELNS1_3gpuE4ELNS1_3repE0EEENS1_30default_config_static_selectorELNS0_4arch9wavefront6targetE1EEEvT1_
    .private_segment_fixed_size: 0
    .sgpr_count:     6
    .sgpr_spill_count: 0
    .symbol:         _ZN7rocprim17ROCPRIM_400000_NS6detail17trampoline_kernelINS0_14default_configENS1_25partition_config_selectorILNS1_17partition_subalgoE8EsNS0_10empty_typeEbEEZZNS1_14partition_implILS5_8ELb0ES3_jPKsPS6_PKS6_NS0_5tupleIJPsS6_EEENSE_IJSB_SB_EEENS0_18inequality_wrapperIN6hipcub16HIPCUB_304000_NS8EqualityEEEPlJS6_EEE10hipError_tPvRmT3_T4_T5_T6_T7_T9_mT8_P12ihipStream_tbDpT10_ENKUlT_T0_E_clISt17integral_constantIbLb1EES16_IbLb0EEEEDaS12_S13_EUlS12_E_NS1_11comp_targetILNS1_3genE10ELNS1_11target_archE1200ELNS1_3gpuE4ELNS1_3repE0EEENS1_30default_config_static_selectorELNS0_4arch9wavefront6targetE1EEEvT1_.kd
    .uniform_work_group_size: 1
    .uses_dynamic_stack: false
    .vgpr_count:     0
    .vgpr_spill_count: 0
    .wavefront_size: 64
  - .agpr_count:     0
    .args:
      - .offset:         0
        .size:           112
        .value_kind:     by_value
    .group_segment_fixed_size: 0
    .kernarg_segment_align: 8
    .kernarg_segment_size: 112
    .language:       OpenCL C
    .language_version:
      - 2
      - 0
    .max_flat_workgroup_size: 128
    .name:           _ZN7rocprim17ROCPRIM_400000_NS6detail17trampoline_kernelINS0_14default_configENS1_25partition_config_selectorILNS1_17partition_subalgoE8EsNS0_10empty_typeEbEEZZNS1_14partition_implILS5_8ELb0ES3_jPKsPS6_PKS6_NS0_5tupleIJPsS6_EEENSE_IJSB_SB_EEENS0_18inequality_wrapperIN6hipcub16HIPCUB_304000_NS8EqualityEEEPlJS6_EEE10hipError_tPvRmT3_T4_T5_T6_T7_T9_mT8_P12ihipStream_tbDpT10_ENKUlT_T0_E_clISt17integral_constantIbLb1EES16_IbLb0EEEEDaS12_S13_EUlS12_E_NS1_11comp_targetILNS1_3genE9ELNS1_11target_archE1100ELNS1_3gpuE3ELNS1_3repE0EEENS1_30default_config_static_selectorELNS0_4arch9wavefront6targetE1EEEvT1_
    .private_segment_fixed_size: 0
    .sgpr_count:     6
    .sgpr_spill_count: 0
    .symbol:         _ZN7rocprim17ROCPRIM_400000_NS6detail17trampoline_kernelINS0_14default_configENS1_25partition_config_selectorILNS1_17partition_subalgoE8EsNS0_10empty_typeEbEEZZNS1_14partition_implILS5_8ELb0ES3_jPKsPS6_PKS6_NS0_5tupleIJPsS6_EEENSE_IJSB_SB_EEENS0_18inequality_wrapperIN6hipcub16HIPCUB_304000_NS8EqualityEEEPlJS6_EEE10hipError_tPvRmT3_T4_T5_T6_T7_T9_mT8_P12ihipStream_tbDpT10_ENKUlT_T0_E_clISt17integral_constantIbLb1EES16_IbLb0EEEEDaS12_S13_EUlS12_E_NS1_11comp_targetILNS1_3genE9ELNS1_11target_archE1100ELNS1_3gpuE3ELNS1_3repE0EEENS1_30default_config_static_selectorELNS0_4arch9wavefront6targetE1EEEvT1_.kd
    .uniform_work_group_size: 1
    .uses_dynamic_stack: false
    .vgpr_count:     0
    .vgpr_spill_count: 0
    .wavefront_size: 64
  - .agpr_count:     0
    .args:
      - .offset:         0
        .size:           112
        .value_kind:     by_value
    .group_segment_fixed_size: 0
    .kernarg_segment_align: 8
    .kernarg_segment_size: 112
    .language:       OpenCL C
    .language_version:
      - 2
      - 0
    .max_flat_workgroup_size: 384
    .name:           _ZN7rocprim17ROCPRIM_400000_NS6detail17trampoline_kernelINS0_14default_configENS1_25partition_config_selectorILNS1_17partition_subalgoE8EsNS0_10empty_typeEbEEZZNS1_14partition_implILS5_8ELb0ES3_jPKsPS6_PKS6_NS0_5tupleIJPsS6_EEENSE_IJSB_SB_EEENS0_18inequality_wrapperIN6hipcub16HIPCUB_304000_NS8EqualityEEEPlJS6_EEE10hipError_tPvRmT3_T4_T5_T6_T7_T9_mT8_P12ihipStream_tbDpT10_ENKUlT_T0_E_clISt17integral_constantIbLb1EES16_IbLb0EEEEDaS12_S13_EUlS12_E_NS1_11comp_targetILNS1_3genE8ELNS1_11target_archE1030ELNS1_3gpuE2ELNS1_3repE0EEENS1_30default_config_static_selectorELNS0_4arch9wavefront6targetE1EEEvT1_
    .private_segment_fixed_size: 0
    .sgpr_count:     6
    .sgpr_spill_count: 0
    .symbol:         _ZN7rocprim17ROCPRIM_400000_NS6detail17trampoline_kernelINS0_14default_configENS1_25partition_config_selectorILNS1_17partition_subalgoE8EsNS0_10empty_typeEbEEZZNS1_14partition_implILS5_8ELb0ES3_jPKsPS6_PKS6_NS0_5tupleIJPsS6_EEENSE_IJSB_SB_EEENS0_18inequality_wrapperIN6hipcub16HIPCUB_304000_NS8EqualityEEEPlJS6_EEE10hipError_tPvRmT3_T4_T5_T6_T7_T9_mT8_P12ihipStream_tbDpT10_ENKUlT_T0_E_clISt17integral_constantIbLb1EES16_IbLb0EEEEDaS12_S13_EUlS12_E_NS1_11comp_targetILNS1_3genE8ELNS1_11target_archE1030ELNS1_3gpuE2ELNS1_3repE0EEENS1_30default_config_static_selectorELNS0_4arch9wavefront6targetE1EEEvT1_.kd
    .uniform_work_group_size: 1
    .uses_dynamic_stack: false
    .vgpr_count:     0
    .vgpr_spill_count: 0
    .wavefront_size: 64
  - .agpr_count:     0
    .args:
      - .offset:         0
        .size:           128
        .value_kind:     by_value
    .group_segment_fixed_size: 0
    .kernarg_segment_align: 8
    .kernarg_segment_size: 128
    .language:       OpenCL C
    .language_version:
      - 2
      - 0
    .max_flat_workgroup_size: 256
    .name:           _ZN7rocprim17ROCPRIM_400000_NS6detail17trampoline_kernelINS0_14default_configENS1_25partition_config_selectorILNS1_17partition_subalgoE8EsNS0_10empty_typeEbEEZZNS1_14partition_implILS5_8ELb0ES3_jPKsPS6_PKS6_NS0_5tupleIJPsS6_EEENSE_IJSB_SB_EEENS0_18inequality_wrapperIN6hipcub16HIPCUB_304000_NS8EqualityEEEPlJS6_EEE10hipError_tPvRmT3_T4_T5_T6_T7_T9_mT8_P12ihipStream_tbDpT10_ENKUlT_T0_E_clISt17integral_constantIbLb0EES16_IbLb1EEEEDaS12_S13_EUlS12_E_NS1_11comp_targetILNS1_3genE0ELNS1_11target_archE4294967295ELNS1_3gpuE0ELNS1_3repE0EEENS1_30default_config_static_selectorELNS0_4arch9wavefront6targetE1EEEvT1_
    .private_segment_fixed_size: 0
    .sgpr_count:     6
    .sgpr_spill_count: 0
    .symbol:         _ZN7rocprim17ROCPRIM_400000_NS6detail17trampoline_kernelINS0_14default_configENS1_25partition_config_selectorILNS1_17partition_subalgoE8EsNS0_10empty_typeEbEEZZNS1_14partition_implILS5_8ELb0ES3_jPKsPS6_PKS6_NS0_5tupleIJPsS6_EEENSE_IJSB_SB_EEENS0_18inequality_wrapperIN6hipcub16HIPCUB_304000_NS8EqualityEEEPlJS6_EEE10hipError_tPvRmT3_T4_T5_T6_T7_T9_mT8_P12ihipStream_tbDpT10_ENKUlT_T0_E_clISt17integral_constantIbLb0EES16_IbLb1EEEEDaS12_S13_EUlS12_E_NS1_11comp_targetILNS1_3genE0ELNS1_11target_archE4294967295ELNS1_3gpuE0ELNS1_3repE0EEENS1_30default_config_static_selectorELNS0_4arch9wavefront6targetE1EEEvT1_.kd
    .uniform_work_group_size: 1
    .uses_dynamic_stack: false
    .vgpr_count:     0
    .vgpr_spill_count: 0
    .wavefront_size: 64
  - .agpr_count:     0
    .args:
      - .offset:         0
        .size:           128
        .value_kind:     by_value
    .group_segment_fixed_size: 30728
    .kernarg_segment_align: 8
    .kernarg_segment_size: 128
    .language:       OpenCL C
    .language_version:
      - 2
      - 0
    .max_flat_workgroup_size: 512
    .name:           _ZN7rocprim17ROCPRIM_400000_NS6detail17trampoline_kernelINS0_14default_configENS1_25partition_config_selectorILNS1_17partition_subalgoE8EsNS0_10empty_typeEbEEZZNS1_14partition_implILS5_8ELb0ES3_jPKsPS6_PKS6_NS0_5tupleIJPsS6_EEENSE_IJSB_SB_EEENS0_18inequality_wrapperIN6hipcub16HIPCUB_304000_NS8EqualityEEEPlJS6_EEE10hipError_tPvRmT3_T4_T5_T6_T7_T9_mT8_P12ihipStream_tbDpT10_ENKUlT_T0_E_clISt17integral_constantIbLb0EES16_IbLb1EEEEDaS12_S13_EUlS12_E_NS1_11comp_targetILNS1_3genE5ELNS1_11target_archE942ELNS1_3gpuE9ELNS1_3repE0EEENS1_30default_config_static_selectorELNS0_4arch9wavefront6targetE1EEEvT1_
    .private_segment_fixed_size: 0
    .sgpr_count:     87
    .sgpr_spill_count: 0
    .symbol:         _ZN7rocprim17ROCPRIM_400000_NS6detail17trampoline_kernelINS0_14default_configENS1_25partition_config_selectorILNS1_17partition_subalgoE8EsNS0_10empty_typeEbEEZZNS1_14partition_implILS5_8ELb0ES3_jPKsPS6_PKS6_NS0_5tupleIJPsS6_EEENSE_IJSB_SB_EEENS0_18inequality_wrapperIN6hipcub16HIPCUB_304000_NS8EqualityEEEPlJS6_EEE10hipError_tPvRmT3_T4_T5_T6_T7_T9_mT8_P12ihipStream_tbDpT10_ENKUlT_T0_E_clISt17integral_constantIbLb0EES16_IbLb1EEEEDaS12_S13_EUlS12_E_NS1_11comp_targetILNS1_3genE5ELNS1_11target_archE942ELNS1_3gpuE9ELNS1_3repE0EEENS1_30default_config_static_selectorELNS0_4arch9wavefront6targetE1EEEvT1_.kd
    .uniform_work_group_size: 1
    .uses_dynamic_stack: false
    .vgpr_count:     132
    .vgpr_spill_count: 0
    .wavefront_size: 64
  - .agpr_count:     0
    .args:
      - .offset:         0
        .size:           128
        .value_kind:     by_value
    .group_segment_fixed_size: 0
    .kernarg_segment_align: 8
    .kernarg_segment_size: 128
    .language:       OpenCL C
    .language_version:
      - 2
      - 0
    .max_flat_workgroup_size: 256
    .name:           _ZN7rocprim17ROCPRIM_400000_NS6detail17trampoline_kernelINS0_14default_configENS1_25partition_config_selectorILNS1_17partition_subalgoE8EsNS0_10empty_typeEbEEZZNS1_14partition_implILS5_8ELb0ES3_jPKsPS6_PKS6_NS0_5tupleIJPsS6_EEENSE_IJSB_SB_EEENS0_18inequality_wrapperIN6hipcub16HIPCUB_304000_NS8EqualityEEEPlJS6_EEE10hipError_tPvRmT3_T4_T5_T6_T7_T9_mT8_P12ihipStream_tbDpT10_ENKUlT_T0_E_clISt17integral_constantIbLb0EES16_IbLb1EEEEDaS12_S13_EUlS12_E_NS1_11comp_targetILNS1_3genE4ELNS1_11target_archE910ELNS1_3gpuE8ELNS1_3repE0EEENS1_30default_config_static_selectorELNS0_4arch9wavefront6targetE1EEEvT1_
    .private_segment_fixed_size: 0
    .sgpr_count:     6
    .sgpr_spill_count: 0
    .symbol:         _ZN7rocprim17ROCPRIM_400000_NS6detail17trampoline_kernelINS0_14default_configENS1_25partition_config_selectorILNS1_17partition_subalgoE8EsNS0_10empty_typeEbEEZZNS1_14partition_implILS5_8ELb0ES3_jPKsPS6_PKS6_NS0_5tupleIJPsS6_EEENSE_IJSB_SB_EEENS0_18inequality_wrapperIN6hipcub16HIPCUB_304000_NS8EqualityEEEPlJS6_EEE10hipError_tPvRmT3_T4_T5_T6_T7_T9_mT8_P12ihipStream_tbDpT10_ENKUlT_T0_E_clISt17integral_constantIbLb0EES16_IbLb1EEEEDaS12_S13_EUlS12_E_NS1_11comp_targetILNS1_3genE4ELNS1_11target_archE910ELNS1_3gpuE8ELNS1_3repE0EEENS1_30default_config_static_selectorELNS0_4arch9wavefront6targetE1EEEvT1_.kd
    .uniform_work_group_size: 1
    .uses_dynamic_stack: false
    .vgpr_count:     0
    .vgpr_spill_count: 0
    .wavefront_size: 64
  - .agpr_count:     0
    .args:
      - .offset:         0
        .size:           128
        .value_kind:     by_value
    .group_segment_fixed_size: 0
    .kernarg_segment_align: 8
    .kernarg_segment_size: 128
    .language:       OpenCL C
    .language_version:
      - 2
      - 0
    .max_flat_workgroup_size: 256
    .name:           _ZN7rocprim17ROCPRIM_400000_NS6detail17trampoline_kernelINS0_14default_configENS1_25partition_config_selectorILNS1_17partition_subalgoE8EsNS0_10empty_typeEbEEZZNS1_14partition_implILS5_8ELb0ES3_jPKsPS6_PKS6_NS0_5tupleIJPsS6_EEENSE_IJSB_SB_EEENS0_18inequality_wrapperIN6hipcub16HIPCUB_304000_NS8EqualityEEEPlJS6_EEE10hipError_tPvRmT3_T4_T5_T6_T7_T9_mT8_P12ihipStream_tbDpT10_ENKUlT_T0_E_clISt17integral_constantIbLb0EES16_IbLb1EEEEDaS12_S13_EUlS12_E_NS1_11comp_targetILNS1_3genE3ELNS1_11target_archE908ELNS1_3gpuE7ELNS1_3repE0EEENS1_30default_config_static_selectorELNS0_4arch9wavefront6targetE1EEEvT1_
    .private_segment_fixed_size: 0
    .sgpr_count:     6
    .sgpr_spill_count: 0
    .symbol:         _ZN7rocprim17ROCPRIM_400000_NS6detail17trampoline_kernelINS0_14default_configENS1_25partition_config_selectorILNS1_17partition_subalgoE8EsNS0_10empty_typeEbEEZZNS1_14partition_implILS5_8ELb0ES3_jPKsPS6_PKS6_NS0_5tupleIJPsS6_EEENSE_IJSB_SB_EEENS0_18inequality_wrapperIN6hipcub16HIPCUB_304000_NS8EqualityEEEPlJS6_EEE10hipError_tPvRmT3_T4_T5_T6_T7_T9_mT8_P12ihipStream_tbDpT10_ENKUlT_T0_E_clISt17integral_constantIbLb0EES16_IbLb1EEEEDaS12_S13_EUlS12_E_NS1_11comp_targetILNS1_3genE3ELNS1_11target_archE908ELNS1_3gpuE7ELNS1_3repE0EEENS1_30default_config_static_selectorELNS0_4arch9wavefront6targetE1EEEvT1_.kd
    .uniform_work_group_size: 1
    .uses_dynamic_stack: false
    .vgpr_count:     0
    .vgpr_spill_count: 0
    .wavefront_size: 64
  - .agpr_count:     0
    .args:
      - .offset:         0
        .size:           128
        .value_kind:     by_value
    .group_segment_fixed_size: 0
    .kernarg_segment_align: 8
    .kernarg_segment_size: 128
    .language:       OpenCL C
    .language_version:
      - 2
      - 0
    .max_flat_workgroup_size: 192
    .name:           _ZN7rocprim17ROCPRIM_400000_NS6detail17trampoline_kernelINS0_14default_configENS1_25partition_config_selectorILNS1_17partition_subalgoE8EsNS0_10empty_typeEbEEZZNS1_14partition_implILS5_8ELb0ES3_jPKsPS6_PKS6_NS0_5tupleIJPsS6_EEENSE_IJSB_SB_EEENS0_18inequality_wrapperIN6hipcub16HIPCUB_304000_NS8EqualityEEEPlJS6_EEE10hipError_tPvRmT3_T4_T5_T6_T7_T9_mT8_P12ihipStream_tbDpT10_ENKUlT_T0_E_clISt17integral_constantIbLb0EES16_IbLb1EEEEDaS12_S13_EUlS12_E_NS1_11comp_targetILNS1_3genE2ELNS1_11target_archE906ELNS1_3gpuE6ELNS1_3repE0EEENS1_30default_config_static_selectorELNS0_4arch9wavefront6targetE1EEEvT1_
    .private_segment_fixed_size: 0
    .sgpr_count:     6
    .sgpr_spill_count: 0
    .symbol:         _ZN7rocprim17ROCPRIM_400000_NS6detail17trampoline_kernelINS0_14default_configENS1_25partition_config_selectorILNS1_17partition_subalgoE8EsNS0_10empty_typeEbEEZZNS1_14partition_implILS5_8ELb0ES3_jPKsPS6_PKS6_NS0_5tupleIJPsS6_EEENSE_IJSB_SB_EEENS0_18inequality_wrapperIN6hipcub16HIPCUB_304000_NS8EqualityEEEPlJS6_EEE10hipError_tPvRmT3_T4_T5_T6_T7_T9_mT8_P12ihipStream_tbDpT10_ENKUlT_T0_E_clISt17integral_constantIbLb0EES16_IbLb1EEEEDaS12_S13_EUlS12_E_NS1_11comp_targetILNS1_3genE2ELNS1_11target_archE906ELNS1_3gpuE6ELNS1_3repE0EEENS1_30default_config_static_selectorELNS0_4arch9wavefront6targetE1EEEvT1_.kd
    .uniform_work_group_size: 1
    .uses_dynamic_stack: false
    .vgpr_count:     0
    .vgpr_spill_count: 0
    .wavefront_size: 64
  - .agpr_count:     0
    .args:
      - .offset:         0
        .size:           128
        .value_kind:     by_value
    .group_segment_fixed_size: 0
    .kernarg_segment_align: 8
    .kernarg_segment_size: 128
    .language:       OpenCL C
    .language_version:
      - 2
      - 0
    .max_flat_workgroup_size: 256
    .name:           _ZN7rocprim17ROCPRIM_400000_NS6detail17trampoline_kernelINS0_14default_configENS1_25partition_config_selectorILNS1_17partition_subalgoE8EsNS0_10empty_typeEbEEZZNS1_14partition_implILS5_8ELb0ES3_jPKsPS6_PKS6_NS0_5tupleIJPsS6_EEENSE_IJSB_SB_EEENS0_18inequality_wrapperIN6hipcub16HIPCUB_304000_NS8EqualityEEEPlJS6_EEE10hipError_tPvRmT3_T4_T5_T6_T7_T9_mT8_P12ihipStream_tbDpT10_ENKUlT_T0_E_clISt17integral_constantIbLb0EES16_IbLb1EEEEDaS12_S13_EUlS12_E_NS1_11comp_targetILNS1_3genE10ELNS1_11target_archE1200ELNS1_3gpuE4ELNS1_3repE0EEENS1_30default_config_static_selectorELNS0_4arch9wavefront6targetE1EEEvT1_
    .private_segment_fixed_size: 0
    .sgpr_count:     6
    .sgpr_spill_count: 0
    .symbol:         _ZN7rocprim17ROCPRIM_400000_NS6detail17trampoline_kernelINS0_14default_configENS1_25partition_config_selectorILNS1_17partition_subalgoE8EsNS0_10empty_typeEbEEZZNS1_14partition_implILS5_8ELb0ES3_jPKsPS6_PKS6_NS0_5tupleIJPsS6_EEENSE_IJSB_SB_EEENS0_18inequality_wrapperIN6hipcub16HIPCUB_304000_NS8EqualityEEEPlJS6_EEE10hipError_tPvRmT3_T4_T5_T6_T7_T9_mT8_P12ihipStream_tbDpT10_ENKUlT_T0_E_clISt17integral_constantIbLb0EES16_IbLb1EEEEDaS12_S13_EUlS12_E_NS1_11comp_targetILNS1_3genE10ELNS1_11target_archE1200ELNS1_3gpuE4ELNS1_3repE0EEENS1_30default_config_static_selectorELNS0_4arch9wavefront6targetE1EEEvT1_.kd
    .uniform_work_group_size: 1
    .uses_dynamic_stack: false
    .vgpr_count:     0
    .vgpr_spill_count: 0
    .wavefront_size: 64
  - .agpr_count:     0
    .args:
      - .offset:         0
        .size:           128
        .value_kind:     by_value
    .group_segment_fixed_size: 0
    .kernarg_segment_align: 8
    .kernarg_segment_size: 128
    .language:       OpenCL C
    .language_version:
      - 2
      - 0
    .max_flat_workgroup_size: 128
    .name:           _ZN7rocprim17ROCPRIM_400000_NS6detail17trampoline_kernelINS0_14default_configENS1_25partition_config_selectorILNS1_17partition_subalgoE8EsNS0_10empty_typeEbEEZZNS1_14partition_implILS5_8ELb0ES3_jPKsPS6_PKS6_NS0_5tupleIJPsS6_EEENSE_IJSB_SB_EEENS0_18inequality_wrapperIN6hipcub16HIPCUB_304000_NS8EqualityEEEPlJS6_EEE10hipError_tPvRmT3_T4_T5_T6_T7_T9_mT8_P12ihipStream_tbDpT10_ENKUlT_T0_E_clISt17integral_constantIbLb0EES16_IbLb1EEEEDaS12_S13_EUlS12_E_NS1_11comp_targetILNS1_3genE9ELNS1_11target_archE1100ELNS1_3gpuE3ELNS1_3repE0EEENS1_30default_config_static_selectorELNS0_4arch9wavefront6targetE1EEEvT1_
    .private_segment_fixed_size: 0
    .sgpr_count:     6
    .sgpr_spill_count: 0
    .symbol:         _ZN7rocprim17ROCPRIM_400000_NS6detail17trampoline_kernelINS0_14default_configENS1_25partition_config_selectorILNS1_17partition_subalgoE8EsNS0_10empty_typeEbEEZZNS1_14partition_implILS5_8ELb0ES3_jPKsPS6_PKS6_NS0_5tupleIJPsS6_EEENSE_IJSB_SB_EEENS0_18inequality_wrapperIN6hipcub16HIPCUB_304000_NS8EqualityEEEPlJS6_EEE10hipError_tPvRmT3_T4_T5_T6_T7_T9_mT8_P12ihipStream_tbDpT10_ENKUlT_T0_E_clISt17integral_constantIbLb0EES16_IbLb1EEEEDaS12_S13_EUlS12_E_NS1_11comp_targetILNS1_3genE9ELNS1_11target_archE1100ELNS1_3gpuE3ELNS1_3repE0EEENS1_30default_config_static_selectorELNS0_4arch9wavefront6targetE1EEEvT1_.kd
    .uniform_work_group_size: 1
    .uses_dynamic_stack: false
    .vgpr_count:     0
    .vgpr_spill_count: 0
    .wavefront_size: 64
  - .agpr_count:     0
    .args:
      - .offset:         0
        .size:           128
        .value_kind:     by_value
    .group_segment_fixed_size: 0
    .kernarg_segment_align: 8
    .kernarg_segment_size: 128
    .language:       OpenCL C
    .language_version:
      - 2
      - 0
    .max_flat_workgroup_size: 384
    .name:           _ZN7rocprim17ROCPRIM_400000_NS6detail17trampoline_kernelINS0_14default_configENS1_25partition_config_selectorILNS1_17partition_subalgoE8EsNS0_10empty_typeEbEEZZNS1_14partition_implILS5_8ELb0ES3_jPKsPS6_PKS6_NS0_5tupleIJPsS6_EEENSE_IJSB_SB_EEENS0_18inequality_wrapperIN6hipcub16HIPCUB_304000_NS8EqualityEEEPlJS6_EEE10hipError_tPvRmT3_T4_T5_T6_T7_T9_mT8_P12ihipStream_tbDpT10_ENKUlT_T0_E_clISt17integral_constantIbLb0EES16_IbLb1EEEEDaS12_S13_EUlS12_E_NS1_11comp_targetILNS1_3genE8ELNS1_11target_archE1030ELNS1_3gpuE2ELNS1_3repE0EEENS1_30default_config_static_selectorELNS0_4arch9wavefront6targetE1EEEvT1_
    .private_segment_fixed_size: 0
    .sgpr_count:     6
    .sgpr_spill_count: 0
    .symbol:         _ZN7rocprim17ROCPRIM_400000_NS6detail17trampoline_kernelINS0_14default_configENS1_25partition_config_selectorILNS1_17partition_subalgoE8EsNS0_10empty_typeEbEEZZNS1_14partition_implILS5_8ELb0ES3_jPKsPS6_PKS6_NS0_5tupleIJPsS6_EEENSE_IJSB_SB_EEENS0_18inequality_wrapperIN6hipcub16HIPCUB_304000_NS8EqualityEEEPlJS6_EEE10hipError_tPvRmT3_T4_T5_T6_T7_T9_mT8_P12ihipStream_tbDpT10_ENKUlT_T0_E_clISt17integral_constantIbLb0EES16_IbLb1EEEEDaS12_S13_EUlS12_E_NS1_11comp_targetILNS1_3genE8ELNS1_11target_archE1030ELNS1_3gpuE2ELNS1_3repE0EEENS1_30default_config_static_selectorELNS0_4arch9wavefront6targetE1EEEvT1_.kd
    .uniform_work_group_size: 1
    .uses_dynamic_stack: false
    .vgpr_count:     0
    .vgpr_spill_count: 0
    .wavefront_size: 64
  - .agpr_count:     0
    .args:
      - .offset:         0
        .size:           128
        .value_kind:     by_value
    .group_segment_fixed_size: 0
    .kernarg_segment_align: 8
    .kernarg_segment_size: 128
    .language:       OpenCL C
    .language_version:
      - 2
      - 0
    .max_flat_workgroup_size: 512
    .name:           _ZN7rocprim17ROCPRIM_400000_NS6detail17trampoline_kernelINS0_14default_configENS1_33run_length_encode_config_selectorIsjNS0_4plusIjEEEEZZNS1_33reduce_by_key_impl_wrapped_configILNS1_25lookback_scan_determinismE0ES3_S7_PKsNS0_17constant_iteratorIjlEEPsPlSF_S6_NS0_8equal_toIsEEEE10hipError_tPvRmT2_T3_mT4_T5_T6_T7_T8_P12ihipStream_tbENKUlT_T0_E_clISt17integral_constantIbLb0EESZ_EEDaSU_SV_EUlSU_E_NS1_11comp_targetILNS1_3genE0ELNS1_11target_archE4294967295ELNS1_3gpuE0ELNS1_3repE0EEENS1_30default_config_static_selectorELNS0_4arch9wavefront6targetE1EEEvT1_
    .private_segment_fixed_size: 0
    .sgpr_count:     6
    .sgpr_spill_count: 0
    .symbol:         _ZN7rocprim17ROCPRIM_400000_NS6detail17trampoline_kernelINS0_14default_configENS1_33run_length_encode_config_selectorIsjNS0_4plusIjEEEEZZNS1_33reduce_by_key_impl_wrapped_configILNS1_25lookback_scan_determinismE0ES3_S7_PKsNS0_17constant_iteratorIjlEEPsPlSF_S6_NS0_8equal_toIsEEEE10hipError_tPvRmT2_T3_mT4_T5_T6_T7_T8_P12ihipStream_tbENKUlT_T0_E_clISt17integral_constantIbLb0EESZ_EEDaSU_SV_EUlSU_E_NS1_11comp_targetILNS1_3genE0ELNS1_11target_archE4294967295ELNS1_3gpuE0ELNS1_3repE0EEENS1_30default_config_static_selectorELNS0_4arch9wavefront6targetE1EEEvT1_.kd
    .uniform_work_group_size: 1
    .uses_dynamic_stack: false
    .vgpr_count:     0
    .vgpr_spill_count: 0
    .wavefront_size: 64
  - .agpr_count:     0
    .args:
      - .offset:         0
        .size:           128
        .value_kind:     by_value
    .group_segment_fixed_size: 28672
    .kernarg_segment_align: 8
    .kernarg_segment_size: 128
    .language:       OpenCL C
    .language_version:
      - 2
      - 0
    .max_flat_workgroup_size: 512
    .name:           _ZN7rocprim17ROCPRIM_400000_NS6detail17trampoline_kernelINS0_14default_configENS1_33run_length_encode_config_selectorIsjNS0_4plusIjEEEEZZNS1_33reduce_by_key_impl_wrapped_configILNS1_25lookback_scan_determinismE0ES3_S7_PKsNS0_17constant_iteratorIjlEEPsPlSF_S6_NS0_8equal_toIsEEEE10hipError_tPvRmT2_T3_mT4_T5_T6_T7_T8_P12ihipStream_tbENKUlT_T0_E_clISt17integral_constantIbLb0EESZ_EEDaSU_SV_EUlSU_E_NS1_11comp_targetILNS1_3genE5ELNS1_11target_archE942ELNS1_3gpuE9ELNS1_3repE0EEENS1_30default_config_static_selectorELNS0_4arch9wavefront6targetE1EEEvT1_
    .private_segment_fixed_size: 0
    .sgpr_count:     68
    .sgpr_spill_count: 0
    .symbol:         _ZN7rocprim17ROCPRIM_400000_NS6detail17trampoline_kernelINS0_14default_configENS1_33run_length_encode_config_selectorIsjNS0_4plusIjEEEEZZNS1_33reduce_by_key_impl_wrapped_configILNS1_25lookback_scan_determinismE0ES3_S7_PKsNS0_17constant_iteratorIjlEEPsPlSF_S6_NS0_8equal_toIsEEEE10hipError_tPvRmT2_T3_mT4_T5_T6_T7_T8_P12ihipStream_tbENKUlT_T0_E_clISt17integral_constantIbLb0EESZ_EEDaSU_SV_EUlSU_E_NS1_11comp_targetILNS1_3genE5ELNS1_11target_archE942ELNS1_3gpuE9ELNS1_3repE0EEENS1_30default_config_static_selectorELNS0_4arch9wavefront6targetE1EEEvT1_.kd
    .uniform_work_group_size: 1
    .uses_dynamic_stack: false
    .vgpr_count:     105
    .vgpr_spill_count: 0
    .wavefront_size: 64
  - .agpr_count:     0
    .args:
      - .offset:         0
        .size:           128
        .value_kind:     by_value
    .group_segment_fixed_size: 0
    .kernarg_segment_align: 8
    .kernarg_segment_size: 128
    .language:       OpenCL C
    .language_version:
      - 2
      - 0
    .max_flat_workgroup_size: 192
    .name:           _ZN7rocprim17ROCPRIM_400000_NS6detail17trampoline_kernelINS0_14default_configENS1_33run_length_encode_config_selectorIsjNS0_4plusIjEEEEZZNS1_33reduce_by_key_impl_wrapped_configILNS1_25lookback_scan_determinismE0ES3_S7_PKsNS0_17constant_iteratorIjlEEPsPlSF_S6_NS0_8equal_toIsEEEE10hipError_tPvRmT2_T3_mT4_T5_T6_T7_T8_P12ihipStream_tbENKUlT_T0_E_clISt17integral_constantIbLb0EESZ_EEDaSU_SV_EUlSU_E_NS1_11comp_targetILNS1_3genE4ELNS1_11target_archE910ELNS1_3gpuE8ELNS1_3repE0EEENS1_30default_config_static_selectorELNS0_4arch9wavefront6targetE1EEEvT1_
    .private_segment_fixed_size: 0
    .sgpr_count:     6
    .sgpr_spill_count: 0
    .symbol:         _ZN7rocprim17ROCPRIM_400000_NS6detail17trampoline_kernelINS0_14default_configENS1_33run_length_encode_config_selectorIsjNS0_4plusIjEEEEZZNS1_33reduce_by_key_impl_wrapped_configILNS1_25lookback_scan_determinismE0ES3_S7_PKsNS0_17constant_iteratorIjlEEPsPlSF_S6_NS0_8equal_toIsEEEE10hipError_tPvRmT2_T3_mT4_T5_T6_T7_T8_P12ihipStream_tbENKUlT_T0_E_clISt17integral_constantIbLb0EESZ_EEDaSU_SV_EUlSU_E_NS1_11comp_targetILNS1_3genE4ELNS1_11target_archE910ELNS1_3gpuE8ELNS1_3repE0EEENS1_30default_config_static_selectorELNS0_4arch9wavefront6targetE1EEEvT1_.kd
    .uniform_work_group_size: 1
    .uses_dynamic_stack: false
    .vgpr_count:     0
    .vgpr_spill_count: 0
    .wavefront_size: 64
  - .agpr_count:     0
    .args:
      - .offset:         0
        .size:           128
        .value_kind:     by_value
    .group_segment_fixed_size: 0
    .kernarg_segment_align: 8
    .kernarg_segment_size: 128
    .language:       OpenCL C
    .language_version:
      - 2
      - 0
    .max_flat_workgroup_size: 512
    .name:           _ZN7rocprim17ROCPRIM_400000_NS6detail17trampoline_kernelINS0_14default_configENS1_33run_length_encode_config_selectorIsjNS0_4plusIjEEEEZZNS1_33reduce_by_key_impl_wrapped_configILNS1_25lookback_scan_determinismE0ES3_S7_PKsNS0_17constant_iteratorIjlEEPsPlSF_S6_NS0_8equal_toIsEEEE10hipError_tPvRmT2_T3_mT4_T5_T6_T7_T8_P12ihipStream_tbENKUlT_T0_E_clISt17integral_constantIbLb0EESZ_EEDaSU_SV_EUlSU_E_NS1_11comp_targetILNS1_3genE3ELNS1_11target_archE908ELNS1_3gpuE7ELNS1_3repE0EEENS1_30default_config_static_selectorELNS0_4arch9wavefront6targetE1EEEvT1_
    .private_segment_fixed_size: 0
    .sgpr_count:     6
    .sgpr_spill_count: 0
    .symbol:         _ZN7rocprim17ROCPRIM_400000_NS6detail17trampoline_kernelINS0_14default_configENS1_33run_length_encode_config_selectorIsjNS0_4plusIjEEEEZZNS1_33reduce_by_key_impl_wrapped_configILNS1_25lookback_scan_determinismE0ES3_S7_PKsNS0_17constant_iteratorIjlEEPsPlSF_S6_NS0_8equal_toIsEEEE10hipError_tPvRmT2_T3_mT4_T5_T6_T7_T8_P12ihipStream_tbENKUlT_T0_E_clISt17integral_constantIbLb0EESZ_EEDaSU_SV_EUlSU_E_NS1_11comp_targetILNS1_3genE3ELNS1_11target_archE908ELNS1_3gpuE7ELNS1_3repE0EEENS1_30default_config_static_selectorELNS0_4arch9wavefront6targetE1EEEvT1_.kd
    .uniform_work_group_size: 1
    .uses_dynamic_stack: false
    .vgpr_count:     0
    .vgpr_spill_count: 0
    .wavefront_size: 64
  - .agpr_count:     0
    .args:
      - .offset:         0
        .size:           128
        .value_kind:     by_value
    .group_segment_fixed_size: 0
    .kernarg_segment_align: 8
    .kernarg_segment_size: 128
    .language:       OpenCL C
    .language_version:
      - 2
      - 0
    .max_flat_workgroup_size: 256
    .name:           _ZN7rocprim17ROCPRIM_400000_NS6detail17trampoline_kernelINS0_14default_configENS1_33run_length_encode_config_selectorIsjNS0_4plusIjEEEEZZNS1_33reduce_by_key_impl_wrapped_configILNS1_25lookback_scan_determinismE0ES3_S7_PKsNS0_17constant_iteratorIjlEEPsPlSF_S6_NS0_8equal_toIsEEEE10hipError_tPvRmT2_T3_mT4_T5_T6_T7_T8_P12ihipStream_tbENKUlT_T0_E_clISt17integral_constantIbLb0EESZ_EEDaSU_SV_EUlSU_E_NS1_11comp_targetILNS1_3genE2ELNS1_11target_archE906ELNS1_3gpuE6ELNS1_3repE0EEENS1_30default_config_static_selectorELNS0_4arch9wavefront6targetE1EEEvT1_
    .private_segment_fixed_size: 0
    .sgpr_count:     6
    .sgpr_spill_count: 0
    .symbol:         _ZN7rocprim17ROCPRIM_400000_NS6detail17trampoline_kernelINS0_14default_configENS1_33run_length_encode_config_selectorIsjNS0_4plusIjEEEEZZNS1_33reduce_by_key_impl_wrapped_configILNS1_25lookback_scan_determinismE0ES3_S7_PKsNS0_17constant_iteratorIjlEEPsPlSF_S6_NS0_8equal_toIsEEEE10hipError_tPvRmT2_T3_mT4_T5_T6_T7_T8_P12ihipStream_tbENKUlT_T0_E_clISt17integral_constantIbLb0EESZ_EEDaSU_SV_EUlSU_E_NS1_11comp_targetILNS1_3genE2ELNS1_11target_archE906ELNS1_3gpuE6ELNS1_3repE0EEENS1_30default_config_static_selectorELNS0_4arch9wavefront6targetE1EEEvT1_.kd
    .uniform_work_group_size: 1
    .uses_dynamic_stack: false
    .vgpr_count:     0
    .vgpr_spill_count: 0
    .wavefront_size: 64
  - .agpr_count:     0
    .args:
      - .offset:         0
        .size:           128
        .value_kind:     by_value
    .group_segment_fixed_size: 0
    .kernarg_segment_align: 8
    .kernarg_segment_size: 128
    .language:       OpenCL C
    .language_version:
      - 2
      - 0
    .max_flat_workgroup_size: 512
    .name:           _ZN7rocprim17ROCPRIM_400000_NS6detail17trampoline_kernelINS0_14default_configENS1_33run_length_encode_config_selectorIsjNS0_4plusIjEEEEZZNS1_33reduce_by_key_impl_wrapped_configILNS1_25lookback_scan_determinismE0ES3_S7_PKsNS0_17constant_iteratorIjlEEPsPlSF_S6_NS0_8equal_toIsEEEE10hipError_tPvRmT2_T3_mT4_T5_T6_T7_T8_P12ihipStream_tbENKUlT_T0_E_clISt17integral_constantIbLb0EESZ_EEDaSU_SV_EUlSU_E_NS1_11comp_targetILNS1_3genE10ELNS1_11target_archE1201ELNS1_3gpuE5ELNS1_3repE0EEENS1_30default_config_static_selectorELNS0_4arch9wavefront6targetE1EEEvT1_
    .private_segment_fixed_size: 0
    .sgpr_count:     6
    .sgpr_spill_count: 0
    .symbol:         _ZN7rocprim17ROCPRIM_400000_NS6detail17trampoline_kernelINS0_14default_configENS1_33run_length_encode_config_selectorIsjNS0_4plusIjEEEEZZNS1_33reduce_by_key_impl_wrapped_configILNS1_25lookback_scan_determinismE0ES3_S7_PKsNS0_17constant_iteratorIjlEEPsPlSF_S6_NS0_8equal_toIsEEEE10hipError_tPvRmT2_T3_mT4_T5_T6_T7_T8_P12ihipStream_tbENKUlT_T0_E_clISt17integral_constantIbLb0EESZ_EEDaSU_SV_EUlSU_E_NS1_11comp_targetILNS1_3genE10ELNS1_11target_archE1201ELNS1_3gpuE5ELNS1_3repE0EEENS1_30default_config_static_selectorELNS0_4arch9wavefront6targetE1EEEvT1_.kd
    .uniform_work_group_size: 1
    .uses_dynamic_stack: false
    .vgpr_count:     0
    .vgpr_spill_count: 0
    .wavefront_size: 64
  - .agpr_count:     0
    .args:
      - .offset:         0
        .size:           128
        .value_kind:     by_value
    .group_segment_fixed_size: 0
    .kernarg_segment_align: 8
    .kernarg_segment_size: 128
    .language:       OpenCL C
    .language_version:
      - 2
      - 0
    .max_flat_workgroup_size: 384
    .name:           _ZN7rocprim17ROCPRIM_400000_NS6detail17trampoline_kernelINS0_14default_configENS1_33run_length_encode_config_selectorIsjNS0_4plusIjEEEEZZNS1_33reduce_by_key_impl_wrapped_configILNS1_25lookback_scan_determinismE0ES3_S7_PKsNS0_17constant_iteratorIjlEEPsPlSF_S6_NS0_8equal_toIsEEEE10hipError_tPvRmT2_T3_mT4_T5_T6_T7_T8_P12ihipStream_tbENKUlT_T0_E_clISt17integral_constantIbLb0EESZ_EEDaSU_SV_EUlSU_E_NS1_11comp_targetILNS1_3genE10ELNS1_11target_archE1200ELNS1_3gpuE4ELNS1_3repE0EEENS1_30default_config_static_selectorELNS0_4arch9wavefront6targetE1EEEvT1_
    .private_segment_fixed_size: 0
    .sgpr_count:     6
    .sgpr_spill_count: 0
    .symbol:         _ZN7rocprim17ROCPRIM_400000_NS6detail17trampoline_kernelINS0_14default_configENS1_33run_length_encode_config_selectorIsjNS0_4plusIjEEEEZZNS1_33reduce_by_key_impl_wrapped_configILNS1_25lookback_scan_determinismE0ES3_S7_PKsNS0_17constant_iteratorIjlEEPsPlSF_S6_NS0_8equal_toIsEEEE10hipError_tPvRmT2_T3_mT4_T5_T6_T7_T8_P12ihipStream_tbENKUlT_T0_E_clISt17integral_constantIbLb0EESZ_EEDaSU_SV_EUlSU_E_NS1_11comp_targetILNS1_3genE10ELNS1_11target_archE1200ELNS1_3gpuE4ELNS1_3repE0EEENS1_30default_config_static_selectorELNS0_4arch9wavefront6targetE1EEEvT1_.kd
    .uniform_work_group_size: 1
    .uses_dynamic_stack: false
    .vgpr_count:     0
    .vgpr_spill_count: 0
    .wavefront_size: 64
  - .agpr_count:     0
    .args:
      - .offset:         0
        .size:           128
        .value_kind:     by_value
    .group_segment_fixed_size: 0
    .kernarg_segment_align: 8
    .kernarg_segment_size: 128
    .language:       OpenCL C
    .language_version:
      - 2
      - 0
    .max_flat_workgroup_size: 512
    .name:           _ZN7rocprim17ROCPRIM_400000_NS6detail17trampoline_kernelINS0_14default_configENS1_33run_length_encode_config_selectorIsjNS0_4plusIjEEEEZZNS1_33reduce_by_key_impl_wrapped_configILNS1_25lookback_scan_determinismE0ES3_S7_PKsNS0_17constant_iteratorIjlEEPsPlSF_S6_NS0_8equal_toIsEEEE10hipError_tPvRmT2_T3_mT4_T5_T6_T7_T8_P12ihipStream_tbENKUlT_T0_E_clISt17integral_constantIbLb0EESZ_EEDaSU_SV_EUlSU_E_NS1_11comp_targetILNS1_3genE9ELNS1_11target_archE1100ELNS1_3gpuE3ELNS1_3repE0EEENS1_30default_config_static_selectorELNS0_4arch9wavefront6targetE1EEEvT1_
    .private_segment_fixed_size: 0
    .sgpr_count:     6
    .sgpr_spill_count: 0
    .symbol:         _ZN7rocprim17ROCPRIM_400000_NS6detail17trampoline_kernelINS0_14default_configENS1_33run_length_encode_config_selectorIsjNS0_4plusIjEEEEZZNS1_33reduce_by_key_impl_wrapped_configILNS1_25lookback_scan_determinismE0ES3_S7_PKsNS0_17constant_iteratorIjlEEPsPlSF_S6_NS0_8equal_toIsEEEE10hipError_tPvRmT2_T3_mT4_T5_T6_T7_T8_P12ihipStream_tbENKUlT_T0_E_clISt17integral_constantIbLb0EESZ_EEDaSU_SV_EUlSU_E_NS1_11comp_targetILNS1_3genE9ELNS1_11target_archE1100ELNS1_3gpuE3ELNS1_3repE0EEENS1_30default_config_static_selectorELNS0_4arch9wavefront6targetE1EEEvT1_.kd
    .uniform_work_group_size: 1
    .uses_dynamic_stack: false
    .vgpr_count:     0
    .vgpr_spill_count: 0
    .wavefront_size: 64
  - .agpr_count:     0
    .args:
      - .offset:         0
        .size:           128
        .value_kind:     by_value
    .group_segment_fixed_size: 0
    .kernarg_segment_align: 8
    .kernarg_segment_size: 128
    .language:       OpenCL C
    .language_version:
      - 2
      - 0
    .max_flat_workgroup_size: 384
    .name:           _ZN7rocprim17ROCPRIM_400000_NS6detail17trampoline_kernelINS0_14default_configENS1_33run_length_encode_config_selectorIsjNS0_4plusIjEEEEZZNS1_33reduce_by_key_impl_wrapped_configILNS1_25lookback_scan_determinismE0ES3_S7_PKsNS0_17constant_iteratorIjlEEPsPlSF_S6_NS0_8equal_toIsEEEE10hipError_tPvRmT2_T3_mT4_T5_T6_T7_T8_P12ihipStream_tbENKUlT_T0_E_clISt17integral_constantIbLb0EESZ_EEDaSU_SV_EUlSU_E_NS1_11comp_targetILNS1_3genE8ELNS1_11target_archE1030ELNS1_3gpuE2ELNS1_3repE0EEENS1_30default_config_static_selectorELNS0_4arch9wavefront6targetE1EEEvT1_
    .private_segment_fixed_size: 0
    .sgpr_count:     6
    .sgpr_spill_count: 0
    .symbol:         _ZN7rocprim17ROCPRIM_400000_NS6detail17trampoline_kernelINS0_14default_configENS1_33run_length_encode_config_selectorIsjNS0_4plusIjEEEEZZNS1_33reduce_by_key_impl_wrapped_configILNS1_25lookback_scan_determinismE0ES3_S7_PKsNS0_17constant_iteratorIjlEEPsPlSF_S6_NS0_8equal_toIsEEEE10hipError_tPvRmT2_T3_mT4_T5_T6_T7_T8_P12ihipStream_tbENKUlT_T0_E_clISt17integral_constantIbLb0EESZ_EEDaSU_SV_EUlSU_E_NS1_11comp_targetILNS1_3genE8ELNS1_11target_archE1030ELNS1_3gpuE2ELNS1_3repE0EEENS1_30default_config_static_selectorELNS0_4arch9wavefront6targetE1EEEvT1_.kd
    .uniform_work_group_size: 1
    .uses_dynamic_stack: false
    .vgpr_count:     0
    .vgpr_spill_count: 0
    .wavefront_size: 64
  - .agpr_count:     0
    .args:
      - .offset:         0
        .size:           128
        .value_kind:     by_value
    .group_segment_fixed_size: 0
    .kernarg_segment_align: 8
    .kernarg_segment_size: 128
    .language:       OpenCL C
    .language_version:
      - 2
      - 0
    .max_flat_workgroup_size: 512
    .name:           _ZN7rocprim17ROCPRIM_400000_NS6detail17trampoline_kernelINS0_14default_configENS1_33run_length_encode_config_selectorIsjNS0_4plusIjEEEEZZNS1_33reduce_by_key_impl_wrapped_configILNS1_25lookback_scan_determinismE0ES3_S7_PKsNS0_17constant_iteratorIjlEEPsPlSF_S6_NS0_8equal_toIsEEEE10hipError_tPvRmT2_T3_mT4_T5_T6_T7_T8_P12ihipStream_tbENKUlT_T0_E_clISt17integral_constantIbLb1EESZ_EEDaSU_SV_EUlSU_E_NS1_11comp_targetILNS1_3genE0ELNS1_11target_archE4294967295ELNS1_3gpuE0ELNS1_3repE0EEENS1_30default_config_static_selectorELNS0_4arch9wavefront6targetE1EEEvT1_
    .private_segment_fixed_size: 0
    .sgpr_count:     6
    .sgpr_spill_count: 0
    .symbol:         _ZN7rocprim17ROCPRIM_400000_NS6detail17trampoline_kernelINS0_14default_configENS1_33run_length_encode_config_selectorIsjNS0_4plusIjEEEEZZNS1_33reduce_by_key_impl_wrapped_configILNS1_25lookback_scan_determinismE0ES3_S7_PKsNS0_17constant_iteratorIjlEEPsPlSF_S6_NS0_8equal_toIsEEEE10hipError_tPvRmT2_T3_mT4_T5_T6_T7_T8_P12ihipStream_tbENKUlT_T0_E_clISt17integral_constantIbLb1EESZ_EEDaSU_SV_EUlSU_E_NS1_11comp_targetILNS1_3genE0ELNS1_11target_archE4294967295ELNS1_3gpuE0ELNS1_3repE0EEENS1_30default_config_static_selectorELNS0_4arch9wavefront6targetE1EEEvT1_.kd
    .uniform_work_group_size: 1
    .uses_dynamic_stack: false
    .vgpr_count:     0
    .vgpr_spill_count: 0
    .wavefront_size: 64
  - .agpr_count:     0
    .args:
      - .offset:         0
        .size:           128
        .value_kind:     by_value
    .group_segment_fixed_size: 28672
    .kernarg_segment_align: 8
    .kernarg_segment_size: 128
    .language:       OpenCL C
    .language_version:
      - 2
      - 0
    .max_flat_workgroup_size: 512
    .name:           _ZN7rocprim17ROCPRIM_400000_NS6detail17trampoline_kernelINS0_14default_configENS1_33run_length_encode_config_selectorIsjNS0_4plusIjEEEEZZNS1_33reduce_by_key_impl_wrapped_configILNS1_25lookback_scan_determinismE0ES3_S7_PKsNS0_17constant_iteratorIjlEEPsPlSF_S6_NS0_8equal_toIsEEEE10hipError_tPvRmT2_T3_mT4_T5_T6_T7_T8_P12ihipStream_tbENKUlT_T0_E_clISt17integral_constantIbLb1EESZ_EEDaSU_SV_EUlSU_E_NS1_11comp_targetILNS1_3genE5ELNS1_11target_archE942ELNS1_3gpuE9ELNS1_3repE0EEENS1_30default_config_static_selectorELNS0_4arch9wavefront6targetE1EEEvT1_
    .private_segment_fixed_size: 0
    .sgpr_count:     70
    .sgpr_spill_count: 0
    .symbol:         _ZN7rocprim17ROCPRIM_400000_NS6detail17trampoline_kernelINS0_14default_configENS1_33run_length_encode_config_selectorIsjNS0_4plusIjEEEEZZNS1_33reduce_by_key_impl_wrapped_configILNS1_25lookback_scan_determinismE0ES3_S7_PKsNS0_17constant_iteratorIjlEEPsPlSF_S6_NS0_8equal_toIsEEEE10hipError_tPvRmT2_T3_mT4_T5_T6_T7_T8_P12ihipStream_tbENKUlT_T0_E_clISt17integral_constantIbLb1EESZ_EEDaSU_SV_EUlSU_E_NS1_11comp_targetILNS1_3genE5ELNS1_11target_archE942ELNS1_3gpuE9ELNS1_3repE0EEENS1_30default_config_static_selectorELNS0_4arch9wavefront6targetE1EEEvT1_.kd
    .uniform_work_group_size: 1
    .uses_dynamic_stack: false
    .vgpr_count:     105
    .vgpr_spill_count: 0
    .wavefront_size: 64
  - .agpr_count:     0
    .args:
      - .offset:         0
        .size:           128
        .value_kind:     by_value
    .group_segment_fixed_size: 0
    .kernarg_segment_align: 8
    .kernarg_segment_size: 128
    .language:       OpenCL C
    .language_version:
      - 2
      - 0
    .max_flat_workgroup_size: 192
    .name:           _ZN7rocprim17ROCPRIM_400000_NS6detail17trampoline_kernelINS0_14default_configENS1_33run_length_encode_config_selectorIsjNS0_4plusIjEEEEZZNS1_33reduce_by_key_impl_wrapped_configILNS1_25lookback_scan_determinismE0ES3_S7_PKsNS0_17constant_iteratorIjlEEPsPlSF_S6_NS0_8equal_toIsEEEE10hipError_tPvRmT2_T3_mT4_T5_T6_T7_T8_P12ihipStream_tbENKUlT_T0_E_clISt17integral_constantIbLb1EESZ_EEDaSU_SV_EUlSU_E_NS1_11comp_targetILNS1_3genE4ELNS1_11target_archE910ELNS1_3gpuE8ELNS1_3repE0EEENS1_30default_config_static_selectorELNS0_4arch9wavefront6targetE1EEEvT1_
    .private_segment_fixed_size: 0
    .sgpr_count:     6
    .sgpr_spill_count: 0
    .symbol:         _ZN7rocprim17ROCPRIM_400000_NS6detail17trampoline_kernelINS0_14default_configENS1_33run_length_encode_config_selectorIsjNS0_4plusIjEEEEZZNS1_33reduce_by_key_impl_wrapped_configILNS1_25lookback_scan_determinismE0ES3_S7_PKsNS0_17constant_iteratorIjlEEPsPlSF_S6_NS0_8equal_toIsEEEE10hipError_tPvRmT2_T3_mT4_T5_T6_T7_T8_P12ihipStream_tbENKUlT_T0_E_clISt17integral_constantIbLb1EESZ_EEDaSU_SV_EUlSU_E_NS1_11comp_targetILNS1_3genE4ELNS1_11target_archE910ELNS1_3gpuE8ELNS1_3repE0EEENS1_30default_config_static_selectorELNS0_4arch9wavefront6targetE1EEEvT1_.kd
    .uniform_work_group_size: 1
    .uses_dynamic_stack: false
    .vgpr_count:     0
    .vgpr_spill_count: 0
    .wavefront_size: 64
  - .agpr_count:     0
    .args:
      - .offset:         0
        .size:           128
        .value_kind:     by_value
    .group_segment_fixed_size: 0
    .kernarg_segment_align: 8
    .kernarg_segment_size: 128
    .language:       OpenCL C
    .language_version:
      - 2
      - 0
    .max_flat_workgroup_size: 512
    .name:           _ZN7rocprim17ROCPRIM_400000_NS6detail17trampoline_kernelINS0_14default_configENS1_33run_length_encode_config_selectorIsjNS0_4plusIjEEEEZZNS1_33reduce_by_key_impl_wrapped_configILNS1_25lookback_scan_determinismE0ES3_S7_PKsNS0_17constant_iteratorIjlEEPsPlSF_S6_NS0_8equal_toIsEEEE10hipError_tPvRmT2_T3_mT4_T5_T6_T7_T8_P12ihipStream_tbENKUlT_T0_E_clISt17integral_constantIbLb1EESZ_EEDaSU_SV_EUlSU_E_NS1_11comp_targetILNS1_3genE3ELNS1_11target_archE908ELNS1_3gpuE7ELNS1_3repE0EEENS1_30default_config_static_selectorELNS0_4arch9wavefront6targetE1EEEvT1_
    .private_segment_fixed_size: 0
    .sgpr_count:     6
    .sgpr_spill_count: 0
    .symbol:         _ZN7rocprim17ROCPRIM_400000_NS6detail17trampoline_kernelINS0_14default_configENS1_33run_length_encode_config_selectorIsjNS0_4plusIjEEEEZZNS1_33reduce_by_key_impl_wrapped_configILNS1_25lookback_scan_determinismE0ES3_S7_PKsNS0_17constant_iteratorIjlEEPsPlSF_S6_NS0_8equal_toIsEEEE10hipError_tPvRmT2_T3_mT4_T5_T6_T7_T8_P12ihipStream_tbENKUlT_T0_E_clISt17integral_constantIbLb1EESZ_EEDaSU_SV_EUlSU_E_NS1_11comp_targetILNS1_3genE3ELNS1_11target_archE908ELNS1_3gpuE7ELNS1_3repE0EEENS1_30default_config_static_selectorELNS0_4arch9wavefront6targetE1EEEvT1_.kd
    .uniform_work_group_size: 1
    .uses_dynamic_stack: false
    .vgpr_count:     0
    .vgpr_spill_count: 0
    .wavefront_size: 64
  - .agpr_count:     0
    .args:
      - .offset:         0
        .size:           128
        .value_kind:     by_value
    .group_segment_fixed_size: 0
    .kernarg_segment_align: 8
    .kernarg_segment_size: 128
    .language:       OpenCL C
    .language_version:
      - 2
      - 0
    .max_flat_workgroup_size: 256
    .name:           _ZN7rocprim17ROCPRIM_400000_NS6detail17trampoline_kernelINS0_14default_configENS1_33run_length_encode_config_selectorIsjNS0_4plusIjEEEEZZNS1_33reduce_by_key_impl_wrapped_configILNS1_25lookback_scan_determinismE0ES3_S7_PKsNS0_17constant_iteratorIjlEEPsPlSF_S6_NS0_8equal_toIsEEEE10hipError_tPvRmT2_T3_mT4_T5_T6_T7_T8_P12ihipStream_tbENKUlT_T0_E_clISt17integral_constantIbLb1EESZ_EEDaSU_SV_EUlSU_E_NS1_11comp_targetILNS1_3genE2ELNS1_11target_archE906ELNS1_3gpuE6ELNS1_3repE0EEENS1_30default_config_static_selectorELNS0_4arch9wavefront6targetE1EEEvT1_
    .private_segment_fixed_size: 0
    .sgpr_count:     6
    .sgpr_spill_count: 0
    .symbol:         _ZN7rocprim17ROCPRIM_400000_NS6detail17trampoline_kernelINS0_14default_configENS1_33run_length_encode_config_selectorIsjNS0_4plusIjEEEEZZNS1_33reduce_by_key_impl_wrapped_configILNS1_25lookback_scan_determinismE0ES3_S7_PKsNS0_17constant_iteratorIjlEEPsPlSF_S6_NS0_8equal_toIsEEEE10hipError_tPvRmT2_T3_mT4_T5_T6_T7_T8_P12ihipStream_tbENKUlT_T0_E_clISt17integral_constantIbLb1EESZ_EEDaSU_SV_EUlSU_E_NS1_11comp_targetILNS1_3genE2ELNS1_11target_archE906ELNS1_3gpuE6ELNS1_3repE0EEENS1_30default_config_static_selectorELNS0_4arch9wavefront6targetE1EEEvT1_.kd
    .uniform_work_group_size: 1
    .uses_dynamic_stack: false
    .vgpr_count:     0
    .vgpr_spill_count: 0
    .wavefront_size: 64
  - .agpr_count:     0
    .args:
      - .offset:         0
        .size:           128
        .value_kind:     by_value
    .group_segment_fixed_size: 0
    .kernarg_segment_align: 8
    .kernarg_segment_size: 128
    .language:       OpenCL C
    .language_version:
      - 2
      - 0
    .max_flat_workgroup_size: 512
    .name:           _ZN7rocprim17ROCPRIM_400000_NS6detail17trampoline_kernelINS0_14default_configENS1_33run_length_encode_config_selectorIsjNS0_4plusIjEEEEZZNS1_33reduce_by_key_impl_wrapped_configILNS1_25lookback_scan_determinismE0ES3_S7_PKsNS0_17constant_iteratorIjlEEPsPlSF_S6_NS0_8equal_toIsEEEE10hipError_tPvRmT2_T3_mT4_T5_T6_T7_T8_P12ihipStream_tbENKUlT_T0_E_clISt17integral_constantIbLb1EESZ_EEDaSU_SV_EUlSU_E_NS1_11comp_targetILNS1_3genE10ELNS1_11target_archE1201ELNS1_3gpuE5ELNS1_3repE0EEENS1_30default_config_static_selectorELNS0_4arch9wavefront6targetE1EEEvT1_
    .private_segment_fixed_size: 0
    .sgpr_count:     6
    .sgpr_spill_count: 0
    .symbol:         _ZN7rocprim17ROCPRIM_400000_NS6detail17trampoline_kernelINS0_14default_configENS1_33run_length_encode_config_selectorIsjNS0_4plusIjEEEEZZNS1_33reduce_by_key_impl_wrapped_configILNS1_25lookback_scan_determinismE0ES3_S7_PKsNS0_17constant_iteratorIjlEEPsPlSF_S6_NS0_8equal_toIsEEEE10hipError_tPvRmT2_T3_mT4_T5_T6_T7_T8_P12ihipStream_tbENKUlT_T0_E_clISt17integral_constantIbLb1EESZ_EEDaSU_SV_EUlSU_E_NS1_11comp_targetILNS1_3genE10ELNS1_11target_archE1201ELNS1_3gpuE5ELNS1_3repE0EEENS1_30default_config_static_selectorELNS0_4arch9wavefront6targetE1EEEvT1_.kd
    .uniform_work_group_size: 1
    .uses_dynamic_stack: false
    .vgpr_count:     0
    .vgpr_spill_count: 0
    .wavefront_size: 64
  - .agpr_count:     0
    .args:
      - .offset:         0
        .size:           128
        .value_kind:     by_value
    .group_segment_fixed_size: 0
    .kernarg_segment_align: 8
    .kernarg_segment_size: 128
    .language:       OpenCL C
    .language_version:
      - 2
      - 0
    .max_flat_workgroup_size: 384
    .name:           _ZN7rocprim17ROCPRIM_400000_NS6detail17trampoline_kernelINS0_14default_configENS1_33run_length_encode_config_selectorIsjNS0_4plusIjEEEEZZNS1_33reduce_by_key_impl_wrapped_configILNS1_25lookback_scan_determinismE0ES3_S7_PKsNS0_17constant_iteratorIjlEEPsPlSF_S6_NS0_8equal_toIsEEEE10hipError_tPvRmT2_T3_mT4_T5_T6_T7_T8_P12ihipStream_tbENKUlT_T0_E_clISt17integral_constantIbLb1EESZ_EEDaSU_SV_EUlSU_E_NS1_11comp_targetILNS1_3genE10ELNS1_11target_archE1200ELNS1_3gpuE4ELNS1_3repE0EEENS1_30default_config_static_selectorELNS0_4arch9wavefront6targetE1EEEvT1_
    .private_segment_fixed_size: 0
    .sgpr_count:     6
    .sgpr_spill_count: 0
    .symbol:         _ZN7rocprim17ROCPRIM_400000_NS6detail17trampoline_kernelINS0_14default_configENS1_33run_length_encode_config_selectorIsjNS0_4plusIjEEEEZZNS1_33reduce_by_key_impl_wrapped_configILNS1_25lookback_scan_determinismE0ES3_S7_PKsNS0_17constant_iteratorIjlEEPsPlSF_S6_NS0_8equal_toIsEEEE10hipError_tPvRmT2_T3_mT4_T5_T6_T7_T8_P12ihipStream_tbENKUlT_T0_E_clISt17integral_constantIbLb1EESZ_EEDaSU_SV_EUlSU_E_NS1_11comp_targetILNS1_3genE10ELNS1_11target_archE1200ELNS1_3gpuE4ELNS1_3repE0EEENS1_30default_config_static_selectorELNS0_4arch9wavefront6targetE1EEEvT1_.kd
    .uniform_work_group_size: 1
    .uses_dynamic_stack: false
    .vgpr_count:     0
    .vgpr_spill_count: 0
    .wavefront_size: 64
  - .agpr_count:     0
    .args:
      - .offset:         0
        .size:           128
        .value_kind:     by_value
    .group_segment_fixed_size: 0
    .kernarg_segment_align: 8
    .kernarg_segment_size: 128
    .language:       OpenCL C
    .language_version:
      - 2
      - 0
    .max_flat_workgroup_size: 512
    .name:           _ZN7rocprim17ROCPRIM_400000_NS6detail17trampoline_kernelINS0_14default_configENS1_33run_length_encode_config_selectorIsjNS0_4plusIjEEEEZZNS1_33reduce_by_key_impl_wrapped_configILNS1_25lookback_scan_determinismE0ES3_S7_PKsNS0_17constant_iteratorIjlEEPsPlSF_S6_NS0_8equal_toIsEEEE10hipError_tPvRmT2_T3_mT4_T5_T6_T7_T8_P12ihipStream_tbENKUlT_T0_E_clISt17integral_constantIbLb1EESZ_EEDaSU_SV_EUlSU_E_NS1_11comp_targetILNS1_3genE9ELNS1_11target_archE1100ELNS1_3gpuE3ELNS1_3repE0EEENS1_30default_config_static_selectorELNS0_4arch9wavefront6targetE1EEEvT1_
    .private_segment_fixed_size: 0
    .sgpr_count:     6
    .sgpr_spill_count: 0
    .symbol:         _ZN7rocprim17ROCPRIM_400000_NS6detail17trampoline_kernelINS0_14default_configENS1_33run_length_encode_config_selectorIsjNS0_4plusIjEEEEZZNS1_33reduce_by_key_impl_wrapped_configILNS1_25lookback_scan_determinismE0ES3_S7_PKsNS0_17constant_iteratorIjlEEPsPlSF_S6_NS0_8equal_toIsEEEE10hipError_tPvRmT2_T3_mT4_T5_T6_T7_T8_P12ihipStream_tbENKUlT_T0_E_clISt17integral_constantIbLb1EESZ_EEDaSU_SV_EUlSU_E_NS1_11comp_targetILNS1_3genE9ELNS1_11target_archE1100ELNS1_3gpuE3ELNS1_3repE0EEENS1_30default_config_static_selectorELNS0_4arch9wavefront6targetE1EEEvT1_.kd
    .uniform_work_group_size: 1
    .uses_dynamic_stack: false
    .vgpr_count:     0
    .vgpr_spill_count: 0
    .wavefront_size: 64
  - .agpr_count:     0
    .args:
      - .offset:         0
        .size:           128
        .value_kind:     by_value
    .group_segment_fixed_size: 0
    .kernarg_segment_align: 8
    .kernarg_segment_size: 128
    .language:       OpenCL C
    .language_version:
      - 2
      - 0
    .max_flat_workgroup_size: 384
    .name:           _ZN7rocprim17ROCPRIM_400000_NS6detail17trampoline_kernelINS0_14default_configENS1_33run_length_encode_config_selectorIsjNS0_4plusIjEEEEZZNS1_33reduce_by_key_impl_wrapped_configILNS1_25lookback_scan_determinismE0ES3_S7_PKsNS0_17constant_iteratorIjlEEPsPlSF_S6_NS0_8equal_toIsEEEE10hipError_tPvRmT2_T3_mT4_T5_T6_T7_T8_P12ihipStream_tbENKUlT_T0_E_clISt17integral_constantIbLb1EESZ_EEDaSU_SV_EUlSU_E_NS1_11comp_targetILNS1_3genE8ELNS1_11target_archE1030ELNS1_3gpuE2ELNS1_3repE0EEENS1_30default_config_static_selectorELNS0_4arch9wavefront6targetE1EEEvT1_
    .private_segment_fixed_size: 0
    .sgpr_count:     6
    .sgpr_spill_count: 0
    .symbol:         _ZN7rocprim17ROCPRIM_400000_NS6detail17trampoline_kernelINS0_14default_configENS1_33run_length_encode_config_selectorIsjNS0_4plusIjEEEEZZNS1_33reduce_by_key_impl_wrapped_configILNS1_25lookback_scan_determinismE0ES3_S7_PKsNS0_17constant_iteratorIjlEEPsPlSF_S6_NS0_8equal_toIsEEEE10hipError_tPvRmT2_T3_mT4_T5_T6_T7_T8_P12ihipStream_tbENKUlT_T0_E_clISt17integral_constantIbLb1EESZ_EEDaSU_SV_EUlSU_E_NS1_11comp_targetILNS1_3genE8ELNS1_11target_archE1030ELNS1_3gpuE2ELNS1_3repE0EEENS1_30default_config_static_selectorELNS0_4arch9wavefront6targetE1EEEvT1_.kd
    .uniform_work_group_size: 1
    .uses_dynamic_stack: false
    .vgpr_count:     0
    .vgpr_spill_count: 0
    .wavefront_size: 64
  - .agpr_count:     0
    .args:
      - .offset:         0
        .size:           128
        .value_kind:     by_value
    .group_segment_fixed_size: 0
    .kernarg_segment_align: 8
    .kernarg_segment_size: 128
    .language:       OpenCL C
    .language_version:
      - 2
      - 0
    .max_flat_workgroup_size: 512
    .name:           _ZN7rocprim17ROCPRIM_400000_NS6detail17trampoline_kernelINS0_14default_configENS1_33run_length_encode_config_selectorIsjNS0_4plusIjEEEEZZNS1_33reduce_by_key_impl_wrapped_configILNS1_25lookback_scan_determinismE0ES3_S7_PKsNS0_17constant_iteratorIjlEEPsPlSF_S6_NS0_8equal_toIsEEEE10hipError_tPvRmT2_T3_mT4_T5_T6_T7_T8_P12ihipStream_tbENKUlT_T0_E_clISt17integral_constantIbLb1EESY_IbLb0EEEEDaSU_SV_EUlSU_E_NS1_11comp_targetILNS1_3genE0ELNS1_11target_archE4294967295ELNS1_3gpuE0ELNS1_3repE0EEENS1_30default_config_static_selectorELNS0_4arch9wavefront6targetE1EEEvT1_
    .private_segment_fixed_size: 0
    .sgpr_count:     6
    .sgpr_spill_count: 0
    .symbol:         _ZN7rocprim17ROCPRIM_400000_NS6detail17trampoline_kernelINS0_14default_configENS1_33run_length_encode_config_selectorIsjNS0_4plusIjEEEEZZNS1_33reduce_by_key_impl_wrapped_configILNS1_25lookback_scan_determinismE0ES3_S7_PKsNS0_17constant_iteratorIjlEEPsPlSF_S6_NS0_8equal_toIsEEEE10hipError_tPvRmT2_T3_mT4_T5_T6_T7_T8_P12ihipStream_tbENKUlT_T0_E_clISt17integral_constantIbLb1EESY_IbLb0EEEEDaSU_SV_EUlSU_E_NS1_11comp_targetILNS1_3genE0ELNS1_11target_archE4294967295ELNS1_3gpuE0ELNS1_3repE0EEENS1_30default_config_static_selectorELNS0_4arch9wavefront6targetE1EEEvT1_.kd
    .uniform_work_group_size: 1
    .uses_dynamic_stack: false
    .vgpr_count:     0
    .vgpr_spill_count: 0
    .wavefront_size: 64
  - .agpr_count:     0
    .args:
      - .offset:         0
        .size:           128
        .value_kind:     by_value
    .group_segment_fixed_size: 28672
    .kernarg_segment_align: 8
    .kernarg_segment_size: 128
    .language:       OpenCL C
    .language_version:
      - 2
      - 0
    .max_flat_workgroup_size: 512
    .name:           _ZN7rocprim17ROCPRIM_400000_NS6detail17trampoline_kernelINS0_14default_configENS1_33run_length_encode_config_selectorIsjNS0_4plusIjEEEEZZNS1_33reduce_by_key_impl_wrapped_configILNS1_25lookback_scan_determinismE0ES3_S7_PKsNS0_17constant_iteratorIjlEEPsPlSF_S6_NS0_8equal_toIsEEEE10hipError_tPvRmT2_T3_mT4_T5_T6_T7_T8_P12ihipStream_tbENKUlT_T0_E_clISt17integral_constantIbLb1EESY_IbLb0EEEEDaSU_SV_EUlSU_E_NS1_11comp_targetILNS1_3genE5ELNS1_11target_archE942ELNS1_3gpuE9ELNS1_3repE0EEENS1_30default_config_static_selectorELNS0_4arch9wavefront6targetE1EEEvT1_
    .private_segment_fixed_size: 0
    .sgpr_count:     68
    .sgpr_spill_count: 0
    .symbol:         _ZN7rocprim17ROCPRIM_400000_NS6detail17trampoline_kernelINS0_14default_configENS1_33run_length_encode_config_selectorIsjNS0_4plusIjEEEEZZNS1_33reduce_by_key_impl_wrapped_configILNS1_25lookback_scan_determinismE0ES3_S7_PKsNS0_17constant_iteratorIjlEEPsPlSF_S6_NS0_8equal_toIsEEEE10hipError_tPvRmT2_T3_mT4_T5_T6_T7_T8_P12ihipStream_tbENKUlT_T0_E_clISt17integral_constantIbLb1EESY_IbLb0EEEEDaSU_SV_EUlSU_E_NS1_11comp_targetILNS1_3genE5ELNS1_11target_archE942ELNS1_3gpuE9ELNS1_3repE0EEENS1_30default_config_static_selectorELNS0_4arch9wavefront6targetE1EEEvT1_.kd
    .uniform_work_group_size: 1
    .uses_dynamic_stack: false
    .vgpr_count:     105
    .vgpr_spill_count: 0
    .wavefront_size: 64
  - .agpr_count:     0
    .args:
      - .offset:         0
        .size:           128
        .value_kind:     by_value
    .group_segment_fixed_size: 0
    .kernarg_segment_align: 8
    .kernarg_segment_size: 128
    .language:       OpenCL C
    .language_version:
      - 2
      - 0
    .max_flat_workgroup_size: 192
    .name:           _ZN7rocprim17ROCPRIM_400000_NS6detail17trampoline_kernelINS0_14default_configENS1_33run_length_encode_config_selectorIsjNS0_4plusIjEEEEZZNS1_33reduce_by_key_impl_wrapped_configILNS1_25lookback_scan_determinismE0ES3_S7_PKsNS0_17constant_iteratorIjlEEPsPlSF_S6_NS0_8equal_toIsEEEE10hipError_tPvRmT2_T3_mT4_T5_T6_T7_T8_P12ihipStream_tbENKUlT_T0_E_clISt17integral_constantIbLb1EESY_IbLb0EEEEDaSU_SV_EUlSU_E_NS1_11comp_targetILNS1_3genE4ELNS1_11target_archE910ELNS1_3gpuE8ELNS1_3repE0EEENS1_30default_config_static_selectorELNS0_4arch9wavefront6targetE1EEEvT1_
    .private_segment_fixed_size: 0
    .sgpr_count:     6
    .sgpr_spill_count: 0
    .symbol:         _ZN7rocprim17ROCPRIM_400000_NS6detail17trampoline_kernelINS0_14default_configENS1_33run_length_encode_config_selectorIsjNS0_4plusIjEEEEZZNS1_33reduce_by_key_impl_wrapped_configILNS1_25lookback_scan_determinismE0ES3_S7_PKsNS0_17constant_iteratorIjlEEPsPlSF_S6_NS0_8equal_toIsEEEE10hipError_tPvRmT2_T3_mT4_T5_T6_T7_T8_P12ihipStream_tbENKUlT_T0_E_clISt17integral_constantIbLb1EESY_IbLb0EEEEDaSU_SV_EUlSU_E_NS1_11comp_targetILNS1_3genE4ELNS1_11target_archE910ELNS1_3gpuE8ELNS1_3repE0EEENS1_30default_config_static_selectorELNS0_4arch9wavefront6targetE1EEEvT1_.kd
    .uniform_work_group_size: 1
    .uses_dynamic_stack: false
    .vgpr_count:     0
    .vgpr_spill_count: 0
    .wavefront_size: 64
  - .agpr_count:     0
    .args:
      - .offset:         0
        .size:           128
        .value_kind:     by_value
    .group_segment_fixed_size: 0
    .kernarg_segment_align: 8
    .kernarg_segment_size: 128
    .language:       OpenCL C
    .language_version:
      - 2
      - 0
    .max_flat_workgroup_size: 512
    .name:           _ZN7rocprim17ROCPRIM_400000_NS6detail17trampoline_kernelINS0_14default_configENS1_33run_length_encode_config_selectorIsjNS0_4plusIjEEEEZZNS1_33reduce_by_key_impl_wrapped_configILNS1_25lookback_scan_determinismE0ES3_S7_PKsNS0_17constant_iteratorIjlEEPsPlSF_S6_NS0_8equal_toIsEEEE10hipError_tPvRmT2_T3_mT4_T5_T6_T7_T8_P12ihipStream_tbENKUlT_T0_E_clISt17integral_constantIbLb1EESY_IbLb0EEEEDaSU_SV_EUlSU_E_NS1_11comp_targetILNS1_3genE3ELNS1_11target_archE908ELNS1_3gpuE7ELNS1_3repE0EEENS1_30default_config_static_selectorELNS0_4arch9wavefront6targetE1EEEvT1_
    .private_segment_fixed_size: 0
    .sgpr_count:     6
    .sgpr_spill_count: 0
    .symbol:         _ZN7rocprim17ROCPRIM_400000_NS6detail17trampoline_kernelINS0_14default_configENS1_33run_length_encode_config_selectorIsjNS0_4plusIjEEEEZZNS1_33reduce_by_key_impl_wrapped_configILNS1_25lookback_scan_determinismE0ES3_S7_PKsNS0_17constant_iteratorIjlEEPsPlSF_S6_NS0_8equal_toIsEEEE10hipError_tPvRmT2_T3_mT4_T5_T6_T7_T8_P12ihipStream_tbENKUlT_T0_E_clISt17integral_constantIbLb1EESY_IbLb0EEEEDaSU_SV_EUlSU_E_NS1_11comp_targetILNS1_3genE3ELNS1_11target_archE908ELNS1_3gpuE7ELNS1_3repE0EEENS1_30default_config_static_selectorELNS0_4arch9wavefront6targetE1EEEvT1_.kd
    .uniform_work_group_size: 1
    .uses_dynamic_stack: false
    .vgpr_count:     0
    .vgpr_spill_count: 0
    .wavefront_size: 64
  - .agpr_count:     0
    .args:
      - .offset:         0
        .size:           128
        .value_kind:     by_value
    .group_segment_fixed_size: 0
    .kernarg_segment_align: 8
    .kernarg_segment_size: 128
    .language:       OpenCL C
    .language_version:
      - 2
      - 0
    .max_flat_workgroup_size: 256
    .name:           _ZN7rocprim17ROCPRIM_400000_NS6detail17trampoline_kernelINS0_14default_configENS1_33run_length_encode_config_selectorIsjNS0_4plusIjEEEEZZNS1_33reduce_by_key_impl_wrapped_configILNS1_25lookback_scan_determinismE0ES3_S7_PKsNS0_17constant_iteratorIjlEEPsPlSF_S6_NS0_8equal_toIsEEEE10hipError_tPvRmT2_T3_mT4_T5_T6_T7_T8_P12ihipStream_tbENKUlT_T0_E_clISt17integral_constantIbLb1EESY_IbLb0EEEEDaSU_SV_EUlSU_E_NS1_11comp_targetILNS1_3genE2ELNS1_11target_archE906ELNS1_3gpuE6ELNS1_3repE0EEENS1_30default_config_static_selectorELNS0_4arch9wavefront6targetE1EEEvT1_
    .private_segment_fixed_size: 0
    .sgpr_count:     6
    .sgpr_spill_count: 0
    .symbol:         _ZN7rocprim17ROCPRIM_400000_NS6detail17trampoline_kernelINS0_14default_configENS1_33run_length_encode_config_selectorIsjNS0_4plusIjEEEEZZNS1_33reduce_by_key_impl_wrapped_configILNS1_25lookback_scan_determinismE0ES3_S7_PKsNS0_17constant_iteratorIjlEEPsPlSF_S6_NS0_8equal_toIsEEEE10hipError_tPvRmT2_T3_mT4_T5_T6_T7_T8_P12ihipStream_tbENKUlT_T0_E_clISt17integral_constantIbLb1EESY_IbLb0EEEEDaSU_SV_EUlSU_E_NS1_11comp_targetILNS1_3genE2ELNS1_11target_archE906ELNS1_3gpuE6ELNS1_3repE0EEENS1_30default_config_static_selectorELNS0_4arch9wavefront6targetE1EEEvT1_.kd
    .uniform_work_group_size: 1
    .uses_dynamic_stack: false
    .vgpr_count:     0
    .vgpr_spill_count: 0
    .wavefront_size: 64
  - .agpr_count:     0
    .args:
      - .offset:         0
        .size:           128
        .value_kind:     by_value
    .group_segment_fixed_size: 0
    .kernarg_segment_align: 8
    .kernarg_segment_size: 128
    .language:       OpenCL C
    .language_version:
      - 2
      - 0
    .max_flat_workgroup_size: 512
    .name:           _ZN7rocprim17ROCPRIM_400000_NS6detail17trampoline_kernelINS0_14default_configENS1_33run_length_encode_config_selectorIsjNS0_4plusIjEEEEZZNS1_33reduce_by_key_impl_wrapped_configILNS1_25lookback_scan_determinismE0ES3_S7_PKsNS0_17constant_iteratorIjlEEPsPlSF_S6_NS0_8equal_toIsEEEE10hipError_tPvRmT2_T3_mT4_T5_T6_T7_T8_P12ihipStream_tbENKUlT_T0_E_clISt17integral_constantIbLb1EESY_IbLb0EEEEDaSU_SV_EUlSU_E_NS1_11comp_targetILNS1_3genE10ELNS1_11target_archE1201ELNS1_3gpuE5ELNS1_3repE0EEENS1_30default_config_static_selectorELNS0_4arch9wavefront6targetE1EEEvT1_
    .private_segment_fixed_size: 0
    .sgpr_count:     6
    .sgpr_spill_count: 0
    .symbol:         _ZN7rocprim17ROCPRIM_400000_NS6detail17trampoline_kernelINS0_14default_configENS1_33run_length_encode_config_selectorIsjNS0_4plusIjEEEEZZNS1_33reduce_by_key_impl_wrapped_configILNS1_25lookback_scan_determinismE0ES3_S7_PKsNS0_17constant_iteratorIjlEEPsPlSF_S6_NS0_8equal_toIsEEEE10hipError_tPvRmT2_T3_mT4_T5_T6_T7_T8_P12ihipStream_tbENKUlT_T0_E_clISt17integral_constantIbLb1EESY_IbLb0EEEEDaSU_SV_EUlSU_E_NS1_11comp_targetILNS1_3genE10ELNS1_11target_archE1201ELNS1_3gpuE5ELNS1_3repE0EEENS1_30default_config_static_selectorELNS0_4arch9wavefront6targetE1EEEvT1_.kd
    .uniform_work_group_size: 1
    .uses_dynamic_stack: false
    .vgpr_count:     0
    .vgpr_spill_count: 0
    .wavefront_size: 64
  - .agpr_count:     0
    .args:
      - .offset:         0
        .size:           128
        .value_kind:     by_value
    .group_segment_fixed_size: 0
    .kernarg_segment_align: 8
    .kernarg_segment_size: 128
    .language:       OpenCL C
    .language_version:
      - 2
      - 0
    .max_flat_workgroup_size: 384
    .name:           _ZN7rocprim17ROCPRIM_400000_NS6detail17trampoline_kernelINS0_14default_configENS1_33run_length_encode_config_selectorIsjNS0_4plusIjEEEEZZNS1_33reduce_by_key_impl_wrapped_configILNS1_25lookback_scan_determinismE0ES3_S7_PKsNS0_17constant_iteratorIjlEEPsPlSF_S6_NS0_8equal_toIsEEEE10hipError_tPvRmT2_T3_mT4_T5_T6_T7_T8_P12ihipStream_tbENKUlT_T0_E_clISt17integral_constantIbLb1EESY_IbLb0EEEEDaSU_SV_EUlSU_E_NS1_11comp_targetILNS1_3genE10ELNS1_11target_archE1200ELNS1_3gpuE4ELNS1_3repE0EEENS1_30default_config_static_selectorELNS0_4arch9wavefront6targetE1EEEvT1_
    .private_segment_fixed_size: 0
    .sgpr_count:     6
    .sgpr_spill_count: 0
    .symbol:         _ZN7rocprim17ROCPRIM_400000_NS6detail17trampoline_kernelINS0_14default_configENS1_33run_length_encode_config_selectorIsjNS0_4plusIjEEEEZZNS1_33reduce_by_key_impl_wrapped_configILNS1_25lookback_scan_determinismE0ES3_S7_PKsNS0_17constant_iteratorIjlEEPsPlSF_S6_NS0_8equal_toIsEEEE10hipError_tPvRmT2_T3_mT4_T5_T6_T7_T8_P12ihipStream_tbENKUlT_T0_E_clISt17integral_constantIbLb1EESY_IbLb0EEEEDaSU_SV_EUlSU_E_NS1_11comp_targetILNS1_3genE10ELNS1_11target_archE1200ELNS1_3gpuE4ELNS1_3repE0EEENS1_30default_config_static_selectorELNS0_4arch9wavefront6targetE1EEEvT1_.kd
    .uniform_work_group_size: 1
    .uses_dynamic_stack: false
    .vgpr_count:     0
    .vgpr_spill_count: 0
    .wavefront_size: 64
  - .agpr_count:     0
    .args:
      - .offset:         0
        .size:           128
        .value_kind:     by_value
    .group_segment_fixed_size: 0
    .kernarg_segment_align: 8
    .kernarg_segment_size: 128
    .language:       OpenCL C
    .language_version:
      - 2
      - 0
    .max_flat_workgroup_size: 512
    .name:           _ZN7rocprim17ROCPRIM_400000_NS6detail17trampoline_kernelINS0_14default_configENS1_33run_length_encode_config_selectorIsjNS0_4plusIjEEEEZZNS1_33reduce_by_key_impl_wrapped_configILNS1_25lookback_scan_determinismE0ES3_S7_PKsNS0_17constant_iteratorIjlEEPsPlSF_S6_NS0_8equal_toIsEEEE10hipError_tPvRmT2_T3_mT4_T5_T6_T7_T8_P12ihipStream_tbENKUlT_T0_E_clISt17integral_constantIbLb1EESY_IbLb0EEEEDaSU_SV_EUlSU_E_NS1_11comp_targetILNS1_3genE9ELNS1_11target_archE1100ELNS1_3gpuE3ELNS1_3repE0EEENS1_30default_config_static_selectorELNS0_4arch9wavefront6targetE1EEEvT1_
    .private_segment_fixed_size: 0
    .sgpr_count:     6
    .sgpr_spill_count: 0
    .symbol:         _ZN7rocprim17ROCPRIM_400000_NS6detail17trampoline_kernelINS0_14default_configENS1_33run_length_encode_config_selectorIsjNS0_4plusIjEEEEZZNS1_33reduce_by_key_impl_wrapped_configILNS1_25lookback_scan_determinismE0ES3_S7_PKsNS0_17constant_iteratorIjlEEPsPlSF_S6_NS0_8equal_toIsEEEE10hipError_tPvRmT2_T3_mT4_T5_T6_T7_T8_P12ihipStream_tbENKUlT_T0_E_clISt17integral_constantIbLb1EESY_IbLb0EEEEDaSU_SV_EUlSU_E_NS1_11comp_targetILNS1_3genE9ELNS1_11target_archE1100ELNS1_3gpuE3ELNS1_3repE0EEENS1_30default_config_static_selectorELNS0_4arch9wavefront6targetE1EEEvT1_.kd
    .uniform_work_group_size: 1
    .uses_dynamic_stack: false
    .vgpr_count:     0
    .vgpr_spill_count: 0
    .wavefront_size: 64
  - .agpr_count:     0
    .args:
      - .offset:         0
        .size:           128
        .value_kind:     by_value
    .group_segment_fixed_size: 0
    .kernarg_segment_align: 8
    .kernarg_segment_size: 128
    .language:       OpenCL C
    .language_version:
      - 2
      - 0
    .max_flat_workgroup_size: 384
    .name:           _ZN7rocprim17ROCPRIM_400000_NS6detail17trampoline_kernelINS0_14default_configENS1_33run_length_encode_config_selectorIsjNS0_4plusIjEEEEZZNS1_33reduce_by_key_impl_wrapped_configILNS1_25lookback_scan_determinismE0ES3_S7_PKsNS0_17constant_iteratorIjlEEPsPlSF_S6_NS0_8equal_toIsEEEE10hipError_tPvRmT2_T3_mT4_T5_T6_T7_T8_P12ihipStream_tbENKUlT_T0_E_clISt17integral_constantIbLb1EESY_IbLb0EEEEDaSU_SV_EUlSU_E_NS1_11comp_targetILNS1_3genE8ELNS1_11target_archE1030ELNS1_3gpuE2ELNS1_3repE0EEENS1_30default_config_static_selectorELNS0_4arch9wavefront6targetE1EEEvT1_
    .private_segment_fixed_size: 0
    .sgpr_count:     6
    .sgpr_spill_count: 0
    .symbol:         _ZN7rocprim17ROCPRIM_400000_NS6detail17trampoline_kernelINS0_14default_configENS1_33run_length_encode_config_selectorIsjNS0_4plusIjEEEEZZNS1_33reduce_by_key_impl_wrapped_configILNS1_25lookback_scan_determinismE0ES3_S7_PKsNS0_17constant_iteratorIjlEEPsPlSF_S6_NS0_8equal_toIsEEEE10hipError_tPvRmT2_T3_mT4_T5_T6_T7_T8_P12ihipStream_tbENKUlT_T0_E_clISt17integral_constantIbLb1EESY_IbLb0EEEEDaSU_SV_EUlSU_E_NS1_11comp_targetILNS1_3genE8ELNS1_11target_archE1030ELNS1_3gpuE2ELNS1_3repE0EEENS1_30default_config_static_selectorELNS0_4arch9wavefront6targetE1EEEvT1_.kd
    .uniform_work_group_size: 1
    .uses_dynamic_stack: false
    .vgpr_count:     0
    .vgpr_spill_count: 0
    .wavefront_size: 64
  - .agpr_count:     0
    .args:
      - .offset:         0
        .size:           128
        .value_kind:     by_value
    .group_segment_fixed_size: 0
    .kernarg_segment_align: 8
    .kernarg_segment_size: 128
    .language:       OpenCL C
    .language_version:
      - 2
      - 0
    .max_flat_workgroup_size: 512
    .name:           _ZN7rocprim17ROCPRIM_400000_NS6detail17trampoline_kernelINS0_14default_configENS1_33run_length_encode_config_selectorIsjNS0_4plusIjEEEEZZNS1_33reduce_by_key_impl_wrapped_configILNS1_25lookback_scan_determinismE0ES3_S7_PKsNS0_17constant_iteratorIjlEEPsPlSF_S6_NS0_8equal_toIsEEEE10hipError_tPvRmT2_T3_mT4_T5_T6_T7_T8_P12ihipStream_tbENKUlT_T0_E_clISt17integral_constantIbLb0EESY_IbLb1EEEEDaSU_SV_EUlSU_E_NS1_11comp_targetILNS1_3genE0ELNS1_11target_archE4294967295ELNS1_3gpuE0ELNS1_3repE0EEENS1_30default_config_static_selectorELNS0_4arch9wavefront6targetE1EEEvT1_
    .private_segment_fixed_size: 0
    .sgpr_count:     6
    .sgpr_spill_count: 0
    .symbol:         _ZN7rocprim17ROCPRIM_400000_NS6detail17trampoline_kernelINS0_14default_configENS1_33run_length_encode_config_selectorIsjNS0_4plusIjEEEEZZNS1_33reduce_by_key_impl_wrapped_configILNS1_25lookback_scan_determinismE0ES3_S7_PKsNS0_17constant_iteratorIjlEEPsPlSF_S6_NS0_8equal_toIsEEEE10hipError_tPvRmT2_T3_mT4_T5_T6_T7_T8_P12ihipStream_tbENKUlT_T0_E_clISt17integral_constantIbLb0EESY_IbLb1EEEEDaSU_SV_EUlSU_E_NS1_11comp_targetILNS1_3genE0ELNS1_11target_archE4294967295ELNS1_3gpuE0ELNS1_3repE0EEENS1_30default_config_static_selectorELNS0_4arch9wavefront6targetE1EEEvT1_.kd
    .uniform_work_group_size: 1
    .uses_dynamic_stack: false
    .vgpr_count:     0
    .vgpr_spill_count: 0
    .wavefront_size: 64
  - .agpr_count:     0
    .args:
      - .offset:         0
        .size:           128
        .value_kind:     by_value
    .group_segment_fixed_size: 28672
    .kernarg_segment_align: 8
    .kernarg_segment_size: 128
    .language:       OpenCL C
    .language_version:
      - 2
      - 0
    .max_flat_workgroup_size: 512
    .name:           _ZN7rocprim17ROCPRIM_400000_NS6detail17trampoline_kernelINS0_14default_configENS1_33run_length_encode_config_selectorIsjNS0_4plusIjEEEEZZNS1_33reduce_by_key_impl_wrapped_configILNS1_25lookback_scan_determinismE0ES3_S7_PKsNS0_17constant_iteratorIjlEEPsPlSF_S6_NS0_8equal_toIsEEEE10hipError_tPvRmT2_T3_mT4_T5_T6_T7_T8_P12ihipStream_tbENKUlT_T0_E_clISt17integral_constantIbLb0EESY_IbLb1EEEEDaSU_SV_EUlSU_E_NS1_11comp_targetILNS1_3genE5ELNS1_11target_archE942ELNS1_3gpuE9ELNS1_3repE0EEENS1_30default_config_static_selectorELNS0_4arch9wavefront6targetE1EEEvT1_
    .private_segment_fixed_size: 0
    .sgpr_count:     70
    .sgpr_spill_count: 0
    .symbol:         _ZN7rocprim17ROCPRIM_400000_NS6detail17trampoline_kernelINS0_14default_configENS1_33run_length_encode_config_selectorIsjNS0_4plusIjEEEEZZNS1_33reduce_by_key_impl_wrapped_configILNS1_25lookback_scan_determinismE0ES3_S7_PKsNS0_17constant_iteratorIjlEEPsPlSF_S6_NS0_8equal_toIsEEEE10hipError_tPvRmT2_T3_mT4_T5_T6_T7_T8_P12ihipStream_tbENKUlT_T0_E_clISt17integral_constantIbLb0EESY_IbLb1EEEEDaSU_SV_EUlSU_E_NS1_11comp_targetILNS1_3genE5ELNS1_11target_archE942ELNS1_3gpuE9ELNS1_3repE0EEENS1_30default_config_static_selectorELNS0_4arch9wavefront6targetE1EEEvT1_.kd
    .uniform_work_group_size: 1
    .uses_dynamic_stack: false
    .vgpr_count:     105
    .vgpr_spill_count: 0
    .wavefront_size: 64
  - .agpr_count:     0
    .args:
      - .offset:         0
        .size:           128
        .value_kind:     by_value
    .group_segment_fixed_size: 0
    .kernarg_segment_align: 8
    .kernarg_segment_size: 128
    .language:       OpenCL C
    .language_version:
      - 2
      - 0
    .max_flat_workgroup_size: 192
    .name:           _ZN7rocprim17ROCPRIM_400000_NS6detail17trampoline_kernelINS0_14default_configENS1_33run_length_encode_config_selectorIsjNS0_4plusIjEEEEZZNS1_33reduce_by_key_impl_wrapped_configILNS1_25lookback_scan_determinismE0ES3_S7_PKsNS0_17constant_iteratorIjlEEPsPlSF_S6_NS0_8equal_toIsEEEE10hipError_tPvRmT2_T3_mT4_T5_T6_T7_T8_P12ihipStream_tbENKUlT_T0_E_clISt17integral_constantIbLb0EESY_IbLb1EEEEDaSU_SV_EUlSU_E_NS1_11comp_targetILNS1_3genE4ELNS1_11target_archE910ELNS1_3gpuE8ELNS1_3repE0EEENS1_30default_config_static_selectorELNS0_4arch9wavefront6targetE1EEEvT1_
    .private_segment_fixed_size: 0
    .sgpr_count:     6
    .sgpr_spill_count: 0
    .symbol:         _ZN7rocprim17ROCPRIM_400000_NS6detail17trampoline_kernelINS0_14default_configENS1_33run_length_encode_config_selectorIsjNS0_4plusIjEEEEZZNS1_33reduce_by_key_impl_wrapped_configILNS1_25lookback_scan_determinismE0ES3_S7_PKsNS0_17constant_iteratorIjlEEPsPlSF_S6_NS0_8equal_toIsEEEE10hipError_tPvRmT2_T3_mT4_T5_T6_T7_T8_P12ihipStream_tbENKUlT_T0_E_clISt17integral_constantIbLb0EESY_IbLb1EEEEDaSU_SV_EUlSU_E_NS1_11comp_targetILNS1_3genE4ELNS1_11target_archE910ELNS1_3gpuE8ELNS1_3repE0EEENS1_30default_config_static_selectorELNS0_4arch9wavefront6targetE1EEEvT1_.kd
    .uniform_work_group_size: 1
    .uses_dynamic_stack: false
    .vgpr_count:     0
    .vgpr_spill_count: 0
    .wavefront_size: 64
  - .agpr_count:     0
    .args:
      - .offset:         0
        .size:           128
        .value_kind:     by_value
    .group_segment_fixed_size: 0
    .kernarg_segment_align: 8
    .kernarg_segment_size: 128
    .language:       OpenCL C
    .language_version:
      - 2
      - 0
    .max_flat_workgroup_size: 512
    .name:           _ZN7rocprim17ROCPRIM_400000_NS6detail17trampoline_kernelINS0_14default_configENS1_33run_length_encode_config_selectorIsjNS0_4plusIjEEEEZZNS1_33reduce_by_key_impl_wrapped_configILNS1_25lookback_scan_determinismE0ES3_S7_PKsNS0_17constant_iteratorIjlEEPsPlSF_S6_NS0_8equal_toIsEEEE10hipError_tPvRmT2_T3_mT4_T5_T6_T7_T8_P12ihipStream_tbENKUlT_T0_E_clISt17integral_constantIbLb0EESY_IbLb1EEEEDaSU_SV_EUlSU_E_NS1_11comp_targetILNS1_3genE3ELNS1_11target_archE908ELNS1_3gpuE7ELNS1_3repE0EEENS1_30default_config_static_selectorELNS0_4arch9wavefront6targetE1EEEvT1_
    .private_segment_fixed_size: 0
    .sgpr_count:     6
    .sgpr_spill_count: 0
    .symbol:         _ZN7rocprim17ROCPRIM_400000_NS6detail17trampoline_kernelINS0_14default_configENS1_33run_length_encode_config_selectorIsjNS0_4plusIjEEEEZZNS1_33reduce_by_key_impl_wrapped_configILNS1_25lookback_scan_determinismE0ES3_S7_PKsNS0_17constant_iteratorIjlEEPsPlSF_S6_NS0_8equal_toIsEEEE10hipError_tPvRmT2_T3_mT4_T5_T6_T7_T8_P12ihipStream_tbENKUlT_T0_E_clISt17integral_constantIbLb0EESY_IbLb1EEEEDaSU_SV_EUlSU_E_NS1_11comp_targetILNS1_3genE3ELNS1_11target_archE908ELNS1_3gpuE7ELNS1_3repE0EEENS1_30default_config_static_selectorELNS0_4arch9wavefront6targetE1EEEvT1_.kd
    .uniform_work_group_size: 1
    .uses_dynamic_stack: false
    .vgpr_count:     0
    .vgpr_spill_count: 0
    .wavefront_size: 64
  - .agpr_count:     0
    .args:
      - .offset:         0
        .size:           128
        .value_kind:     by_value
    .group_segment_fixed_size: 0
    .kernarg_segment_align: 8
    .kernarg_segment_size: 128
    .language:       OpenCL C
    .language_version:
      - 2
      - 0
    .max_flat_workgroup_size: 256
    .name:           _ZN7rocprim17ROCPRIM_400000_NS6detail17trampoline_kernelINS0_14default_configENS1_33run_length_encode_config_selectorIsjNS0_4plusIjEEEEZZNS1_33reduce_by_key_impl_wrapped_configILNS1_25lookback_scan_determinismE0ES3_S7_PKsNS0_17constant_iteratorIjlEEPsPlSF_S6_NS0_8equal_toIsEEEE10hipError_tPvRmT2_T3_mT4_T5_T6_T7_T8_P12ihipStream_tbENKUlT_T0_E_clISt17integral_constantIbLb0EESY_IbLb1EEEEDaSU_SV_EUlSU_E_NS1_11comp_targetILNS1_3genE2ELNS1_11target_archE906ELNS1_3gpuE6ELNS1_3repE0EEENS1_30default_config_static_selectorELNS0_4arch9wavefront6targetE1EEEvT1_
    .private_segment_fixed_size: 0
    .sgpr_count:     6
    .sgpr_spill_count: 0
    .symbol:         _ZN7rocprim17ROCPRIM_400000_NS6detail17trampoline_kernelINS0_14default_configENS1_33run_length_encode_config_selectorIsjNS0_4plusIjEEEEZZNS1_33reduce_by_key_impl_wrapped_configILNS1_25lookback_scan_determinismE0ES3_S7_PKsNS0_17constant_iteratorIjlEEPsPlSF_S6_NS0_8equal_toIsEEEE10hipError_tPvRmT2_T3_mT4_T5_T6_T7_T8_P12ihipStream_tbENKUlT_T0_E_clISt17integral_constantIbLb0EESY_IbLb1EEEEDaSU_SV_EUlSU_E_NS1_11comp_targetILNS1_3genE2ELNS1_11target_archE906ELNS1_3gpuE6ELNS1_3repE0EEENS1_30default_config_static_selectorELNS0_4arch9wavefront6targetE1EEEvT1_.kd
    .uniform_work_group_size: 1
    .uses_dynamic_stack: false
    .vgpr_count:     0
    .vgpr_spill_count: 0
    .wavefront_size: 64
  - .agpr_count:     0
    .args:
      - .offset:         0
        .size:           128
        .value_kind:     by_value
    .group_segment_fixed_size: 0
    .kernarg_segment_align: 8
    .kernarg_segment_size: 128
    .language:       OpenCL C
    .language_version:
      - 2
      - 0
    .max_flat_workgroup_size: 512
    .name:           _ZN7rocprim17ROCPRIM_400000_NS6detail17trampoline_kernelINS0_14default_configENS1_33run_length_encode_config_selectorIsjNS0_4plusIjEEEEZZNS1_33reduce_by_key_impl_wrapped_configILNS1_25lookback_scan_determinismE0ES3_S7_PKsNS0_17constant_iteratorIjlEEPsPlSF_S6_NS0_8equal_toIsEEEE10hipError_tPvRmT2_T3_mT4_T5_T6_T7_T8_P12ihipStream_tbENKUlT_T0_E_clISt17integral_constantIbLb0EESY_IbLb1EEEEDaSU_SV_EUlSU_E_NS1_11comp_targetILNS1_3genE10ELNS1_11target_archE1201ELNS1_3gpuE5ELNS1_3repE0EEENS1_30default_config_static_selectorELNS0_4arch9wavefront6targetE1EEEvT1_
    .private_segment_fixed_size: 0
    .sgpr_count:     6
    .sgpr_spill_count: 0
    .symbol:         _ZN7rocprim17ROCPRIM_400000_NS6detail17trampoline_kernelINS0_14default_configENS1_33run_length_encode_config_selectorIsjNS0_4plusIjEEEEZZNS1_33reduce_by_key_impl_wrapped_configILNS1_25lookback_scan_determinismE0ES3_S7_PKsNS0_17constant_iteratorIjlEEPsPlSF_S6_NS0_8equal_toIsEEEE10hipError_tPvRmT2_T3_mT4_T5_T6_T7_T8_P12ihipStream_tbENKUlT_T0_E_clISt17integral_constantIbLb0EESY_IbLb1EEEEDaSU_SV_EUlSU_E_NS1_11comp_targetILNS1_3genE10ELNS1_11target_archE1201ELNS1_3gpuE5ELNS1_3repE0EEENS1_30default_config_static_selectorELNS0_4arch9wavefront6targetE1EEEvT1_.kd
    .uniform_work_group_size: 1
    .uses_dynamic_stack: false
    .vgpr_count:     0
    .vgpr_spill_count: 0
    .wavefront_size: 64
  - .agpr_count:     0
    .args:
      - .offset:         0
        .size:           128
        .value_kind:     by_value
    .group_segment_fixed_size: 0
    .kernarg_segment_align: 8
    .kernarg_segment_size: 128
    .language:       OpenCL C
    .language_version:
      - 2
      - 0
    .max_flat_workgroup_size: 384
    .name:           _ZN7rocprim17ROCPRIM_400000_NS6detail17trampoline_kernelINS0_14default_configENS1_33run_length_encode_config_selectorIsjNS0_4plusIjEEEEZZNS1_33reduce_by_key_impl_wrapped_configILNS1_25lookback_scan_determinismE0ES3_S7_PKsNS0_17constant_iteratorIjlEEPsPlSF_S6_NS0_8equal_toIsEEEE10hipError_tPvRmT2_T3_mT4_T5_T6_T7_T8_P12ihipStream_tbENKUlT_T0_E_clISt17integral_constantIbLb0EESY_IbLb1EEEEDaSU_SV_EUlSU_E_NS1_11comp_targetILNS1_3genE10ELNS1_11target_archE1200ELNS1_3gpuE4ELNS1_3repE0EEENS1_30default_config_static_selectorELNS0_4arch9wavefront6targetE1EEEvT1_
    .private_segment_fixed_size: 0
    .sgpr_count:     6
    .sgpr_spill_count: 0
    .symbol:         _ZN7rocprim17ROCPRIM_400000_NS6detail17trampoline_kernelINS0_14default_configENS1_33run_length_encode_config_selectorIsjNS0_4plusIjEEEEZZNS1_33reduce_by_key_impl_wrapped_configILNS1_25lookback_scan_determinismE0ES3_S7_PKsNS0_17constant_iteratorIjlEEPsPlSF_S6_NS0_8equal_toIsEEEE10hipError_tPvRmT2_T3_mT4_T5_T6_T7_T8_P12ihipStream_tbENKUlT_T0_E_clISt17integral_constantIbLb0EESY_IbLb1EEEEDaSU_SV_EUlSU_E_NS1_11comp_targetILNS1_3genE10ELNS1_11target_archE1200ELNS1_3gpuE4ELNS1_3repE0EEENS1_30default_config_static_selectorELNS0_4arch9wavefront6targetE1EEEvT1_.kd
    .uniform_work_group_size: 1
    .uses_dynamic_stack: false
    .vgpr_count:     0
    .vgpr_spill_count: 0
    .wavefront_size: 64
  - .agpr_count:     0
    .args:
      - .offset:         0
        .size:           128
        .value_kind:     by_value
    .group_segment_fixed_size: 0
    .kernarg_segment_align: 8
    .kernarg_segment_size: 128
    .language:       OpenCL C
    .language_version:
      - 2
      - 0
    .max_flat_workgroup_size: 512
    .name:           _ZN7rocprim17ROCPRIM_400000_NS6detail17trampoline_kernelINS0_14default_configENS1_33run_length_encode_config_selectorIsjNS0_4plusIjEEEEZZNS1_33reduce_by_key_impl_wrapped_configILNS1_25lookback_scan_determinismE0ES3_S7_PKsNS0_17constant_iteratorIjlEEPsPlSF_S6_NS0_8equal_toIsEEEE10hipError_tPvRmT2_T3_mT4_T5_T6_T7_T8_P12ihipStream_tbENKUlT_T0_E_clISt17integral_constantIbLb0EESY_IbLb1EEEEDaSU_SV_EUlSU_E_NS1_11comp_targetILNS1_3genE9ELNS1_11target_archE1100ELNS1_3gpuE3ELNS1_3repE0EEENS1_30default_config_static_selectorELNS0_4arch9wavefront6targetE1EEEvT1_
    .private_segment_fixed_size: 0
    .sgpr_count:     6
    .sgpr_spill_count: 0
    .symbol:         _ZN7rocprim17ROCPRIM_400000_NS6detail17trampoline_kernelINS0_14default_configENS1_33run_length_encode_config_selectorIsjNS0_4plusIjEEEEZZNS1_33reduce_by_key_impl_wrapped_configILNS1_25lookback_scan_determinismE0ES3_S7_PKsNS0_17constant_iteratorIjlEEPsPlSF_S6_NS0_8equal_toIsEEEE10hipError_tPvRmT2_T3_mT4_T5_T6_T7_T8_P12ihipStream_tbENKUlT_T0_E_clISt17integral_constantIbLb0EESY_IbLb1EEEEDaSU_SV_EUlSU_E_NS1_11comp_targetILNS1_3genE9ELNS1_11target_archE1100ELNS1_3gpuE3ELNS1_3repE0EEENS1_30default_config_static_selectorELNS0_4arch9wavefront6targetE1EEEvT1_.kd
    .uniform_work_group_size: 1
    .uses_dynamic_stack: false
    .vgpr_count:     0
    .vgpr_spill_count: 0
    .wavefront_size: 64
  - .agpr_count:     0
    .args:
      - .offset:         0
        .size:           128
        .value_kind:     by_value
    .group_segment_fixed_size: 0
    .kernarg_segment_align: 8
    .kernarg_segment_size: 128
    .language:       OpenCL C
    .language_version:
      - 2
      - 0
    .max_flat_workgroup_size: 384
    .name:           _ZN7rocprim17ROCPRIM_400000_NS6detail17trampoline_kernelINS0_14default_configENS1_33run_length_encode_config_selectorIsjNS0_4plusIjEEEEZZNS1_33reduce_by_key_impl_wrapped_configILNS1_25lookback_scan_determinismE0ES3_S7_PKsNS0_17constant_iteratorIjlEEPsPlSF_S6_NS0_8equal_toIsEEEE10hipError_tPvRmT2_T3_mT4_T5_T6_T7_T8_P12ihipStream_tbENKUlT_T0_E_clISt17integral_constantIbLb0EESY_IbLb1EEEEDaSU_SV_EUlSU_E_NS1_11comp_targetILNS1_3genE8ELNS1_11target_archE1030ELNS1_3gpuE2ELNS1_3repE0EEENS1_30default_config_static_selectorELNS0_4arch9wavefront6targetE1EEEvT1_
    .private_segment_fixed_size: 0
    .sgpr_count:     6
    .sgpr_spill_count: 0
    .symbol:         _ZN7rocprim17ROCPRIM_400000_NS6detail17trampoline_kernelINS0_14default_configENS1_33run_length_encode_config_selectorIsjNS0_4plusIjEEEEZZNS1_33reduce_by_key_impl_wrapped_configILNS1_25lookback_scan_determinismE0ES3_S7_PKsNS0_17constant_iteratorIjlEEPsPlSF_S6_NS0_8equal_toIsEEEE10hipError_tPvRmT2_T3_mT4_T5_T6_T7_T8_P12ihipStream_tbENKUlT_T0_E_clISt17integral_constantIbLb0EESY_IbLb1EEEEDaSU_SV_EUlSU_E_NS1_11comp_targetILNS1_3genE8ELNS1_11target_archE1030ELNS1_3gpuE2ELNS1_3repE0EEENS1_30default_config_static_selectorELNS0_4arch9wavefront6targetE1EEEvT1_.kd
    .uniform_work_group_size: 1
    .uses_dynamic_stack: false
    .vgpr_count:     0
    .vgpr_spill_count: 0
    .wavefront_size: 64
  - .agpr_count:     0
    .args:
      - .offset:         0
        .size:           8
        .value_kind:     by_value
      - .address_space:  global
        .offset:         8
        .size:           8
        .value_kind:     global_buffer
      - .address_space:  global
        .offset:         16
        .size:           8
        .value_kind:     global_buffer
      - .offset:         24
        .size:           4
        .value_kind:     hidden_block_count_x
      - .offset:         28
        .size:           4
        .value_kind:     hidden_block_count_y
      - .offset:         32
        .size:           4
        .value_kind:     hidden_block_count_z
      - .offset:         36
        .size:           2
        .value_kind:     hidden_group_size_x
      - .offset:         38
        .size:           2
        .value_kind:     hidden_group_size_y
      - .offset:         40
        .size:           2
        .value_kind:     hidden_group_size_z
      - .offset:         42
        .size:           2
        .value_kind:     hidden_remainder_x
      - .offset:         44
        .size:           2
        .value_kind:     hidden_remainder_y
      - .offset:         46
        .size:           2
        .value_kind:     hidden_remainder_z
      - .offset:         64
        .size:           8
        .value_kind:     hidden_global_offset_x
      - .offset:         72
        .size:           8
        .value_kind:     hidden_global_offset_y
      - .offset:         80
        .size:           8
        .value_kind:     hidden_global_offset_z
      - .offset:         88
        .size:           2
        .value_kind:     hidden_grid_dims
    .group_segment_fixed_size: 0
    .kernarg_segment_align: 8
    .kernarg_segment_size: 280
    .language:       OpenCL C
    .language_version:
      - 2
      - 0
    .max_flat_workgroup_size: 1024
    .name:           _ZN2at6native8internal12_GLOBAL__N_126adjacent_difference_kernelIPKjEEvlT_Pi
    .private_segment_fixed_size: 0
    .sgpr_count:     22
    .sgpr_spill_count: 0
    .symbol:         _ZN2at6native8internal12_GLOBAL__N_126adjacent_difference_kernelIPKjEEvlT_Pi.kd
    .uniform_work_group_size: 1
    .uses_dynamic_stack: false
    .vgpr_count:     11
    .vgpr_spill_count: 0
    .wavefront_size: 64
  - .agpr_count:     0
    .args:
      - .offset:         0
        .size:           112
        .value_kind:     by_value
    .group_segment_fixed_size: 0
    .kernarg_segment_align: 8
    .kernarg_segment_size: 112
    .language:       OpenCL C
    .language_version:
      - 2
      - 0
    .max_flat_workgroup_size: 512
    .name:           _ZN7rocprim17ROCPRIM_400000_NS6detail17trampoline_kernelINS0_14default_configENS1_25partition_config_selectorILNS1_17partition_subalgoE8EjNS0_10empty_typeEbEEZZNS1_14partition_implILS5_8ELb0ES3_jPKjPS6_PKS6_NS0_5tupleIJPjS6_EEENSE_IJSB_SB_EEENS0_18inequality_wrapperIN6hipcub16HIPCUB_304000_NS8EqualityEEEPlJS6_EEE10hipError_tPvRmT3_T4_T5_T6_T7_T9_mT8_P12ihipStream_tbDpT10_ENKUlT_T0_E_clISt17integral_constantIbLb0EES17_EEDaS12_S13_EUlS12_E_NS1_11comp_targetILNS1_3genE0ELNS1_11target_archE4294967295ELNS1_3gpuE0ELNS1_3repE0EEENS1_30default_config_static_selectorELNS0_4arch9wavefront6targetE1EEEvT1_
    .private_segment_fixed_size: 0
    .sgpr_count:     6
    .sgpr_spill_count: 0
    .symbol:         _ZN7rocprim17ROCPRIM_400000_NS6detail17trampoline_kernelINS0_14default_configENS1_25partition_config_selectorILNS1_17partition_subalgoE8EjNS0_10empty_typeEbEEZZNS1_14partition_implILS5_8ELb0ES3_jPKjPS6_PKS6_NS0_5tupleIJPjS6_EEENSE_IJSB_SB_EEENS0_18inequality_wrapperIN6hipcub16HIPCUB_304000_NS8EqualityEEEPlJS6_EEE10hipError_tPvRmT3_T4_T5_T6_T7_T9_mT8_P12ihipStream_tbDpT10_ENKUlT_T0_E_clISt17integral_constantIbLb0EES17_EEDaS12_S13_EUlS12_E_NS1_11comp_targetILNS1_3genE0ELNS1_11target_archE4294967295ELNS1_3gpuE0ELNS1_3repE0EEENS1_30default_config_static_selectorELNS0_4arch9wavefront6targetE1EEEvT1_.kd
    .uniform_work_group_size: 1
    .uses_dynamic_stack: false
    .vgpr_count:     0
    .vgpr_spill_count: 0
    .wavefront_size: 64
  - .agpr_count:     0
    .args:
      - .offset:         0
        .size:           112
        .value_kind:     by_value
    .group_segment_fixed_size: 30728
    .kernarg_segment_align: 8
    .kernarg_segment_size: 112
    .language:       OpenCL C
    .language_version:
      - 2
      - 0
    .max_flat_workgroup_size: 512
    .name:           _ZN7rocprim17ROCPRIM_400000_NS6detail17trampoline_kernelINS0_14default_configENS1_25partition_config_selectorILNS1_17partition_subalgoE8EjNS0_10empty_typeEbEEZZNS1_14partition_implILS5_8ELb0ES3_jPKjPS6_PKS6_NS0_5tupleIJPjS6_EEENSE_IJSB_SB_EEENS0_18inequality_wrapperIN6hipcub16HIPCUB_304000_NS8EqualityEEEPlJS6_EEE10hipError_tPvRmT3_T4_T5_T6_T7_T9_mT8_P12ihipStream_tbDpT10_ENKUlT_T0_E_clISt17integral_constantIbLb0EES17_EEDaS12_S13_EUlS12_E_NS1_11comp_targetILNS1_3genE5ELNS1_11target_archE942ELNS1_3gpuE9ELNS1_3repE0EEENS1_30default_config_static_selectorELNS0_4arch9wavefront6targetE1EEEvT1_
    .private_segment_fixed_size: 0
    .sgpr_count:     54
    .sgpr_spill_count: 0
    .symbol:         _ZN7rocprim17ROCPRIM_400000_NS6detail17trampoline_kernelINS0_14default_configENS1_25partition_config_selectorILNS1_17partition_subalgoE8EjNS0_10empty_typeEbEEZZNS1_14partition_implILS5_8ELb0ES3_jPKjPS6_PKS6_NS0_5tupleIJPjS6_EEENSE_IJSB_SB_EEENS0_18inequality_wrapperIN6hipcub16HIPCUB_304000_NS8EqualityEEEPlJS6_EEE10hipError_tPvRmT3_T4_T5_T6_T7_T9_mT8_P12ihipStream_tbDpT10_ENKUlT_T0_E_clISt17integral_constantIbLb0EES17_EEDaS12_S13_EUlS12_E_NS1_11comp_targetILNS1_3genE5ELNS1_11target_archE942ELNS1_3gpuE9ELNS1_3repE0EEENS1_30default_config_static_selectorELNS0_4arch9wavefront6targetE1EEEvT1_.kd
    .uniform_work_group_size: 1
    .uses_dynamic_stack: false
    .vgpr_count:     74
    .vgpr_spill_count: 0
    .wavefront_size: 64
  - .agpr_count:     0
    .args:
      - .offset:         0
        .size:           112
        .value_kind:     by_value
    .group_segment_fixed_size: 0
    .kernarg_segment_align: 8
    .kernarg_segment_size: 112
    .language:       OpenCL C
    .language_version:
      - 2
      - 0
    .max_flat_workgroup_size: 256
    .name:           _ZN7rocprim17ROCPRIM_400000_NS6detail17trampoline_kernelINS0_14default_configENS1_25partition_config_selectorILNS1_17partition_subalgoE8EjNS0_10empty_typeEbEEZZNS1_14partition_implILS5_8ELb0ES3_jPKjPS6_PKS6_NS0_5tupleIJPjS6_EEENSE_IJSB_SB_EEENS0_18inequality_wrapperIN6hipcub16HIPCUB_304000_NS8EqualityEEEPlJS6_EEE10hipError_tPvRmT3_T4_T5_T6_T7_T9_mT8_P12ihipStream_tbDpT10_ENKUlT_T0_E_clISt17integral_constantIbLb0EES17_EEDaS12_S13_EUlS12_E_NS1_11comp_targetILNS1_3genE4ELNS1_11target_archE910ELNS1_3gpuE8ELNS1_3repE0EEENS1_30default_config_static_selectorELNS0_4arch9wavefront6targetE1EEEvT1_
    .private_segment_fixed_size: 0
    .sgpr_count:     6
    .sgpr_spill_count: 0
    .symbol:         _ZN7rocprim17ROCPRIM_400000_NS6detail17trampoline_kernelINS0_14default_configENS1_25partition_config_selectorILNS1_17partition_subalgoE8EjNS0_10empty_typeEbEEZZNS1_14partition_implILS5_8ELb0ES3_jPKjPS6_PKS6_NS0_5tupleIJPjS6_EEENSE_IJSB_SB_EEENS0_18inequality_wrapperIN6hipcub16HIPCUB_304000_NS8EqualityEEEPlJS6_EEE10hipError_tPvRmT3_T4_T5_T6_T7_T9_mT8_P12ihipStream_tbDpT10_ENKUlT_T0_E_clISt17integral_constantIbLb0EES17_EEDaS12_S13_EUlS12_E_NS1_11comp_targetILNS1_3genE4ELNS1_11target_archE910ELNS1_3gpuE8ELNS1_3repE0EEENS1_30default_config_static_selectorELNS0_4arch9wavefront6targetE1EEEvT1_.kd
    .uniform_work_group_size: 1
    .uses_dynamic_stack: false
    .vgpr_count:     0
    .vgpr_spill_count: 0
    .wavefront_size: 64
  - .agpr_count:     0
    .args:
      - .offset:         0
        .size:           112
        .value_kind:     by_value
    .group_segment_fixed_size: 0
    .kernarg_segment_align: 8
    .kernarg_segment_size: 112
    .language:       OpenCL C
    .language_version:
      - 2
      - 0
    .max_flat_workgroup_size: 512
    .name:           _ZN7rocprim17ROCPRIM_400000_NS6detail17trampoline_kernelINS0_14default_configENS1_25partition_config_selectorILNS1_17partition_subalgoE8EjNS0_10empty_typeEbEEZZNS1_14partition_implILS5_8ELb0ES3_jPKjPS6_PKS6_NS0_5tupleIJPjS6_EEENSE_IJSB_SB_EEENS0_18inequality_wrapperIN6hipcub16HIPCUB_304000_NS8EqualityEEEPlJS6_EEE10hipError_tPvRmT3_T4_T5_T6_T7_T9_mT8_P12ihipStream_tbDpT10_ENKUlT_T0_E_clISt17integral_constantIbLb0EES17_EEDaS12_S13_EUlS12_E_NS1_11comp_targetILNS1_3genE3ELNS1_11target_archE908ELNS1_3gpuE7ELNS1_3repE0EEENS1_30default_config_static_selectorELNS0_4arch9wavefront6targetE1EEEvT1_
    .private_segment_fixed_size: 0
    .sgpr_count:     6
    .sgpr_spill_count: 0
    .symbol:         _ZN7rocprim17ROCPRIM_400000_NS6detail17trampoline_kernelINS0_14default_configENS1_25partition_config_selectorILNS1_17partition_subalgoE8EjNS0_10empty_typeEbEEZZNS1_14partition_implILS5_8ELb0ES3_jPKjPS6_PKS6_NS0_5tupleIJPjS6_EEENSE_IJSB_SB_EEENS0_18inequality_wrapperIN6hipcub16HIPCUB_304000_NS8EqualityEEEPlJS6_EEE10hipError_tPvRmT3_T4_T5_T6_T7_T9_mT8_P12ihipStream_tbDpT10_ENKUlT_T0_E_clISt17integral_constantIbLb0EES17_EEDaS12_S13_EUlS12_E_NS1_11comp_targetILNS1_3genE3ELNS1_11target_archE908ELNS1_3gpuE7ELNS1_3repE0EEENS1_30default_config_static_selectorELNS0_4arch9wavefront6targetE1EEEvT1_.kd
    .uniform_work_group_size: 1
    .uses_dynamic_stack: false
    .vgpr_count:     0
    .vgpr_spill_count: 0
    .wavefront_size: 64
  - .agpr_count:     0
    .args:
      - .offset:         0
        .size:           112
        .value_kind:     by_value
    .group_segment_fixed_size: 0
    .kernarg_segment_align: 8
    .kernarg_segment_size: 112
    .language:       OpenCL C
    .language_version:
      - 2
      - 0
    .max_flat_workgroup_size: 256
    .name:           _ZN7rocprim17ROCPRIM_400000_NS6detail17trampoline_kernelINS0_14default_configENS1_25partition_config_selectorILNS1_17partition_subalgoE8EjNS0_10empty_typeEbEEZZNS1_14partition_implILS5_8ELb0ES3_jPKjPS6_PKS6_NS0_5tupleIJPjS6_EEENSE_IJSB_SB_EEENS0_18inequality_wrapperIN6hipcub16HIPCUB_304000_NS8EqualityEEEPlJS6_EEE10hipError_tPvRmT3_T4_T5_T6_T7_T9_mT8_P12ihipStream_tbDpT10_ENKUlT_T0_E_clISt17integral_constantIbLb0EES17_EEDaS12_S13_EUlS12_E_NS1_11comp_targetILNS1_3genE2ELNS1_11target_archE906ELNS1_3gpuE6ELNS1_3repE0EEENS1_30default_config_static_selectorELNS0_4arch9wavefront6targetE1EEEvT1_
    .private_segment_fixed_size: 0
    .sgpr_count:     6
    .sgpr_spill_count: 0
    .symbol:         _ZN7rocprim17ROCPRIM_400000_NS6detail17trampoline_kernelINS0_14default_configENS1_25partition_config_selectorILNS1_17partition_subalgoE8EjNS0_10empty_typeEbEEZZNS1_14partition_implILS5_8ELb0ES3_jPKjPS6_PKS6_NS0_5tupleIJPjS6_EEENSE_IJSB_SB_EEENS0_18inequality_wrapperIN6hipcub16HIPCUB_304000_NS8EqualityEEEPlJS6_EEE10hipError_tPvRmT3_T4_T5_T6_T7_T9_mT8_P12ihipStream_tbDpT10_ENKUlT_T0_E_clISt17integral_constantIbLb0EES17_EEDaS12_S13_EUlS12_E_NS1_11comp_targetILNS1_3genE2ELNS1_11target_archE906ELNS1_3gpuE6ELNS1_3repE0EEENS1_30default_config_static_selectorELNS0_4arch9wavefront6targetE1EEEvT1_.kd
    .uniform_work_group_size: 1
    .uses_dynamic_stack: false
    .vgpr_count:     0
    .vgpr_spill_count: 0
    .wavefront_size: 64
  - .agpr_count:     0
    .args:
      - .offset:         0
        .size:           112
        .value_kind:     by_value
    .group_segment_fixed_size: 0
    .kernarg_segment_align: 8
    .kernarg_segment_size: 112
    .language:       OpenCL C
    .language_version:
      - 2
      - 0
    .max_flat_workgroup_size: 384
    .name:           _ZN7rocprim17ROCPRIM_400000_NS6detail17trampoline_kernelINS0_14default_configENS1_25partition_config_selectorILNS1_17partition_subalgoE8EjNS0_10empty_typeEbEEZZNS1_14partition_implILS5_8ELb0ES3_jPKjPS6_PKS6_NS0_5tupleIJPjS6_EEENSE_IJSB_SB_EEENS0_18inequality_wrapperIN6hipcub16HIPCUB_304000_NS8EqualityEEEPlJS6_EEE10hipError_tPvRmT3_T4_T5_T6_T7_T9_mT8_P12ihipStream_tbDpT10_ENKUlT_T0_E_clISt17integral_constantIbLb0EES17_EEDaS12_S13_EUlS12_E_NS1_11comp_targetILNS1_3genE10ELNS1_11target_archE1200ELNS1_3gpuE4ELNS1_3repE0EEENS1_30default_config_static_selectorELNS0_4arch9wavefront6targetE1EEEvT1_
    .private_segment_fixed_size: 0
    .sgpr_count:     6
    .sgpr_spill_count: 0
    .symbol:         _ZN7rocprim17ROCPRIM_400000_NS6detail17trampoline_kernelINS0_14default_configENS1_25partition_config_selectorILNS1_17partition_subalgoE8EjNS0_10empty_typeEbEEZZNS1_14partition_implILS5_8ELb0ES3_jPKjPS6_PKS6_NS0_5tupleIJPjS6_EEENSE_IJSB_SB_EEENS0_18inequality_wrapperIN6hipcub16HIPCUB_304000_NS8EqualityEEEPlJS6_EEE10hipError_tPvRmT3_T4_T5_T6_T7_T9_mT8_P12ihipStream_tbDpT10_ENKUlT_T0_E_clISt17integral_constantIbLb0EES17_EEDaS12_S13_EUlS12_E_NS1_11comp_targetILNS1_3genE10ELNS1_11target_archE1200ELNS1_3gpuE4ELNS1_3repE0EEENS1_30default_config_static_selectorELNS0_4arch9wavefront6targetE1EEEvT1_.kd
    .uniform_work_group_size: 1
    .uses_dynamic_stack: false
    .vgpr_count:     0
    .vgpr_spill_count: 0
    .wavefront_size: 64
  - .agpr_count:     0
    .args:
      - .offset:         0
        .size:           112
        .value_kind:     by_value
    .group_segment_fixed_size: 0
    .kernarg_segment_align: 8
    .kernarg_segment_size: 112
    .language:       OpenCL C
    .language_version:
      - 2
      - 0
    .max_flat_workgroup_size: 384
    .name:           _ZN7rocprim17ROCPRIM_400000_NS6detail17trampoline_kernelINS0_14default_configENS1_25partition_config_selectorILNS1_17partition_subalgoE8EjNS0_10empty_typeEbEEZZNS1_14partition_implILS5_8ELb0ES3_jPKjPS6_PKS6_NS0_5tupleIJPjS6_EEENSE_IJSB_SB_EEENS0_18inequality_wrapperIN6hipcub16HIPCUB_304000_NS8EqualityEEEPlJS6_EEE10hipError_tPvRmT3_T4_T5_T6_T7_T9_mT8_P12ihipStream_tbDpT10_ENKUlT_T0_E_clISt17integral_constantIbLb0EES17_EEDaS12_S13_EUlS12_E_NS1_11comp_targetILNS1_3genE9ELNS1_11target_archE1100ELNS1_3gpuE3ELNS1_3repE0EEENS1_30default_config_static_selectorELNS0_4arch9wavefront6targetE1EEEvT1_
    .private_segment_fixed_size: 0
    .sgpr_count:     6
    .sgpr_spill_count: 0
    .symbol:         _ZN7rocprim17ROCPRIM_400000_NS6detail17trampoline_kernelINS0_14default_configENS1_25partition_config_selectorILNS1_17partition_subalgoE8EjNS0_10empty_typeEbEEZZNS1_14partition_implILS5_8ELb0ES3_jPKjPS6_PKS6_NS0_5tupleIJPjS6_EEENSE_IJSB_SB_EEENS0_18inequality_wrapperIN6hipcub16HIPCUB_304000_NS8EqualityEEEPlJS6_EEE10hipError_tPvRmT3_T4_T5_T6_T7_T9_mT8_P12ihipStream_tbDpT10_ENKUlT_T0_E_clISt17integral_constantIbLb0EES17_EEDaS12_S13_EUlS12_E_NS1_11comp_targetILNS1_3genE9ELNS1_11target_archE1100ELNS1_3gpuE3ELNS1_3repE0EEENS1_30default_config_static_selectorELNS0_4arch9wavefront6targetE1EEEvT1_.kd
    .uniform_work_group_size: 1
    .uses_dynamic_stack: false
    .vgpr_count:     0
    .vgpr_spill_count: 0
    .wavefront_size: 64
  - .agpr_count:     0
    .args:
      - .offset:         0
        .size:           112
        .value_kind:     by_value
    .group_segment_fixed_size: 0
    .kernarg_segment_align: 8
    .kernarg_segment_size: 112
    .language:       OpenCL C
    .language_version:
      - 2
      - 0
    .max_flat_workgroup_size: 512
    .name:           _ZN7rocprim17ROCPRIM_400000_NS6detail17trampoline_kernelINS0_14default_configENS1_25partition_config_selectorILNS1_17partition_subalgoE8EjNS0_10empty_typeEbEEZZNS1_14partition_implILS5_8ELb0ES3_jPKjPS6_PKS6_NS0_5tupleIJPjS6_EEENSE_IJSB_SB_EEENS0_18inequality_wrapperIN6hipcub16HIPCUB_304000_NS8EqualityEEEPlJS6_EEE10hipError_tPvRmT3_T4_T5_T6_T7_T9_mT8_P12ihipStream_tbDpT10_ENKUlT_T0_E_clISt17integral_constantIbLb0EES17_EEDaS12_S13_EUlS12_E_NS1_11comp_targetILNS1_3genE8ELNS1_11target_archE1030ELNS1_3gpuE2ELNS1_3repE0EEENS1_30default_config_static_selectorELNS0_4arch9wavefront6targetE1EEEvT1_
    .private_segment_fixed_size: 0
    .sgpr_count:     6
    .sgpr_spill_count: 0
    .symbol:         _ZN7rocprim17ROCPRIM_400000_NS6detail17trampoline_kernelINS0_14default_configENS1_25partition_config_selectorILNS1_17partition_subalgoE8EjNS0_10empty_typeEbEEZZNS1_14partition_implILS5_8ELb0ES3_jPKjPS6_PKS6_NS0_5tupleIJPjS6_EEENSE_IJSB_SB_EEENS0_18inequality_wrapperIN6hipcub16HIPCUB_304000_NS8EqualityEEEPlJS6_EEE10hipError_tPvRmT3_T4_T5_T6_T7_T9_mT8_P12ihipStream_tbDpT10_ENKUlT_T0_E_clISt17integral_constantIbLb0EES17_EEDaS12_S13_EUlS12_E_NS1_11comp_targetILNS1_3genE8ELNS1_11target_archE1030ELNS1_3gpuE2ELNS1_3repE0EEENS1_30default_config_static_selectorELNS0_4arch9wavefront6targetE1EEEvT1_.kd
    .uniform_work_group_size: 1
    .uses_dynamic_stack: false
    .vgpr_count:     0
    .vgpr_spill_count: 0
    .wavefront_size: 64
  - .agpr_count:     0
    .args:
      - .offset:         0
        .size:           128
        .value_kind:     by_value
    .group_segment_fixed_size: 0
    .kernarg_segment_align: 8
    .kernarg_segment_size: 128
    .language:       OpenCL C
    .language_version:
      - 2
      - 0
    .max_flat_workgroup_size: 512
    .name:           _ZN7rocprim17ROCPRIM_400000_NS6detail17trampoline_kernelINS0_14default_configENS1_25partition_config_selectorILNS1_17partition_subalgoE8EjNS0_10empty_typeEbEEZZNS1_14partition_implILS5_8ELb0ES3_jPKjPS6_PKS6_NS0_5tupleIJPjS6_EEENSE_IJSB_SB_EEENS0_18inequality_wrapperIN6hipcub16HIPCUB_304000_NS8EqualityEEEPlJS6_EEE10hipError_tPvRmT3_T4_T5_T6_T7_T9_mT8_P12ihipStream_tbDpT10_ENKUlT_T0_E_clISt17integral_constantIbLb1EES17_EEDaS12_S13_EUlS12_E_NS1_11comp_targetILNS1_3genE0ELNS1_11target_archE4294967295ELNS1_3gpuE0ELNS1_3repE0EEENS1_30default_config_static_selectorELNS0_4arch9wavefront6targetE1EEEvT1_
    .private_segment_fixed_size: 0
    .sgpr_count:     6
    .sgpr_spill_count: 0
    .symbol:         _ZN7rocprim17ROCPRIM_400000_NS6detail17trampoline_kernelINS0_14default_configENS1_25partition_config_selectorILNS1_17partition_subalgoE8EjNS0_10empty_typeEbEEZZNS1_14partition_implILS5_8ELb0ES3_jPKjPS6_PKS6_NS0_5tupleIJPjS6_EEENSE_IJSB_SB_EEENS0_18inequality_wrapperIN6hipcub16HIPCUB_304000_NS8EqualityEEEPlJS6_EEE10hipError_tPvRmT3_T4_T5_T6_T7_T9_mT8_P12ihipStream_tbDpT10_ENKUlT_T0_E_clISt17integral_constantIbLb1EES17_EEDaS12_S13_EUlS12_E_NS1_11comp_targetILNS1_3genE0ELNS1_11target_archE4294967295ELNS1_3gpuE0ELNS1_3repE0EEENS1_30default_config_static_selectorELNS0_4arch9wavefront6targetE1EEEvT1_.kd
    .uniform_work_group_size: 1
    .uses_dynamic_stack: false
    .vgpr_count:     0
    .vgpr_spill_count: 0
    .wavefront_size: 64
  - .agpr_count:     0
    .args:
      - .offset:         0
        .size:           128
        .value_kind:     by_value
    .group_segment_fixed_size: 30728
    .kernarg_segment_align: 8
    .kernarg_segment_size: 128
    .language:       OpenCL C
    .language_version:
      - 2
      - 0
    .max_flat_workgroup_size: 512
    .name:           _ZN7rocprim17ROCPRIM_400000_NS6detail17trampoline_kernelINS0_14default_configENS1_25partition_config_selectorILNS1_17partition_subalgoE8EjNS0_10empty_typeEbEEZZNS1_14partition_implILS5_8ELb0ES3_jPKjPS6_PKS6_NS0_5tupleIJPjS6_EEENSE_IJSB_SB_EEENS0_18inequality_wrapperIN6hipcub16HIPCUB_304000_NS8EqualityEEEPlJS6_EEE10hipError_tPvRmT3_T4_T5_T6_T7_T9_mT8_P12ihipStream_tbDpT10_ENKUlT_T0_E_clISt17integral_constantIbLb1EES17_EEDaS12_S13_EUlS12_E_NS1_11comp_targetILNS1_3genE5ELNS1_11target_archE942ELNS1_3gpuE9ELNS1_3repE0EEENS1_30default_config_static_selectorELNS0_4arch9wavefront6targetE1EEEvT1_
    .private_segment_fixed_size: 0
    .sgpr_count:     57
    .sgpr_spill_count: 0
    .symbol:         _ZN7rocprim17ROCPRIM_400000_NS6detail17trampoline_kernelINS0_14default_configENS1_25partition_config_selectorILNS1_17partition_subalgoE8EjNS0_10empty_typeEbEEZZNS1_14partition_implILS5_8ELb0ES3_jPKjPS6_PKS6_NS0_5tupleIJPjS6_EEENSE_IJSB_SB_EEENS0_18inequality_wrapperIN6hipcub16HIPCUB_304000_NS8EqualityEEEPlJS6_EEE10hipError_tPvRmT3_T4_T5_T6_T7_T9_mT8_P12ihipStream_tbDpT10_ENKUlT_T0_E_clISt17integral_constantIbLb1EES17_EEDaS12_S13_EUlS12_E_NS1_11comp_targetILNS1_3genE5ELNS1_11target_archE942ELNS1_3gpuE9ELNS1_3repE0EEENS1_30default_config_static_selectorELNS0_4arch9wavefront6targetE1EEEvT1_.kd
    .uniform_work_group_size: 1
    .uses_dynamic_stack: false
    .vgpr_count:     76
    .vgpr_spill_count: 0
    .wavefront_size: 64
  - .agpr_count:     0
    .args:
      - .offset:         0
        .size:           128
        .value_kind:     by_value
    .group_segment_fixed_size: 0
    .kernarg_segment_align: 8
    .kernarg_segment_size: 128
    .language:       OpenCL C
    .language_version:
      - 2
      - 0
    .max_flat_workgroup_size: 256
    .name:           _ZN7rocprim17ROCPRIM_400000_NS6detail17trampoline_kernelINS0_14default_configENS1_25partition_config_selectorILNS1_17partition_subalgoE8EjNS0_10empty_typeEbEEZZNS1_14partition_implILS5_8ELb0ES3_jPKjPS6_PKS6_NS0_5tupleIJPjS6_EEENSE_IJSB_SB_EEENS0_18inequality_wrapperIN6hipcub16HIPCUB_304000_NS8EqualityEEEPlJS6_EEE10hipError_tPvRmT3_T4_T5_T6_T7_T9_mT8_P12ihipStream_tbDpT10_ENKUlT_T0_E_clISt17integral_constantIbLb1EES17_EEDaS12_S13_EUlS12_E_NS1_11comp_targetILNS1_3genE4ELNS1_11target_archE910ELNS1_3gpuE8ELNS1_3repE0EEENS1_30default_config_static_selectorELNS0_4arch9wavefront6targetE1EEEvT1_
    .private_segment_fixed_size: 0
    .sgpr_count:     6
    .sgpr_spill_count: 0
    .symbol:         _ZN7rocprim17ROCPRIM_400000_NS6detail17trampoline_kernelINS0_14default_configENS1_25partition_config_selectorILNS1_17partition_subalgoE8EjNS0_10empty_typeEbEEZZNS1_14partition_implILS5_8ELb0ES3_jPKjPS6_PKS6_NS0_5tupleIJPjS6_EEENSE_IJSB_SB_EEENS0_18inequality_wrapperIN6hipcub16HIPCUB_304000_NS8EqualityEEEPlJS6_EEE10hipError_tPvRmT3_T4_T5_T6_T7_T9_mT8_P12ihipStream_tbDpT10_ENKUlT_T0_E_clISt17integral_constantIbLb1EES17_EEDaS12_S13_EUlS12_E_NS1_11comp_targetILNS1_3genE4ELNS1_11target_archE910ELNS1_3gpuE8ELNS1_3repE0EEENS1_30default_config_static_selectorELNS0_4arch9wavefront6targetE1EEEvT1_.kd
    .uniform_work_group_size: 1
    .uses_dynamic_stack: false
    .vgpr_count:     0
    .vgpr_spill_count: 0
    .wavefront_size: 64
  - .agpr_count:     0
    .args:
      - .offset:         0
        .size:           128
        .value_kind:     by_value
    .group_segment_fixed_size: 0
    .kernarg_segment_align: 8
    .kernarg_segment_size: 128
    .language:       OpenCL C
    .language_version:
      - 2
      - 0
    .max_flat_workgroup_size: 512
    .name:           _ZN7rocprim17ROCPRIM_400000_NS6detail17trampoline_kernelINS0_14default_configENS1_25partition_config_selectorILNS1_17partition_subalgoE8EjNS0_10empty_typeEbEEZZNS1_14partition_implILS5_8ELb0ES3_jPKjPS6_PKS6_NS0_5tupleIJPjS6_EEENSE_IJSB_SB_EEENS0_18inequality_wrapperIN6hipcub16HIPCUB_304000_NS8EqualityEEEPlJS6_EEE10hipError_tPvRmT3_T4_T5_T6_T7_T9_mT8_P12ihipStream_tbDpT10_ENKUlT_T0_E_clISt17integral_constantIbLb1EES17_EEDaS12_S13_EUlS12_E_NS1_11comp_targetILNS1_3genE3ELNS1_11target_archE908ELNS1_3gpuE7ELNS1_3repE0EEENS1_30default_config_static_selectorELNS0_4arch9wavefront6targetE1EEEvT1_
    .private_segment_fixed_size: 0
    .sgpr_count:     6
    .sgpr_spill_count: 0
    .symbol:         _ZN7rocprim17ROCPRIM_400000_NS6detail17trampoline_kernelINS0_14default_configENS1_25partition_config_selectorILNS1_17partition_subalgoE8EjNS0_10empty_typeEbEEZZNS1_14partition_implILS5_8ELb0ES3_jPKjPS6_PKS6_NS0_5tupleIJPjS6_EEENSE_IJSB_SB_EEENS0_18inequality_wrapperIN6hipcub16HIPCUB_304000_NS8EqualityEEEPlJS6_EEE10hipError_tPvRmT3_T4_T5_T6_T7_T9_mT8_P12ihipStream_tbDpT10_ENKUlT_T0_E_clISt17integral_constantIbLb1EES17_EEDaS12_S13_EUlS12_E_NS1_11comp_targetILNS1_3genE3ELNS1_11target_archE908ELNS1_3gpuE7ELNS1_3repE0EEENS1_30default_config_static_selectorELNS0_4arch9wavefront6targetE1EEEvT1_.kd
    .uniform_work_group_size: 1
    .uses_dynamic_stack: false
    .vgpr_count:     0
    .vgpr_spill_count: 0
    .wavefront_size: 64
  - .agpr_count:     0
    .args:
      - .offset:         0
        .size:           128
        .value_kind:     by_value
    .group_segment_fixed_size: 0
    .kernarg_segment_align: 8
    .kernarg_segment_size: 128
    .language:       OpenCL C
    .language_version:
      - 2
      - 0
    .max_flat_workgroup_size: 256
    .name:           _ZN7rocprim17ROCPRIM_400000_NS6detail17trampoline_kernelINS0_14default_configENS1_25partition_config_selectorILNS1_17partition_subalgoE8EjNS0_10empty_typeEbEEZZNS1_14partition_implILS5_8ELb0ES3_jPKjPS6_PKS6_NS0_5tupleIJPjS6_EEENSE_IJSB_SB_EEENS0_18inequality_wrapperIN6hipcub16HIPCUB_304000_NS8EqualityEEEPlJS6_EEE10hipError_tPvRmT3_T4_T5_T6_T7_T9_mT8_P12ihipStream_tbDpT10_ENKUlT_T0_E_clISt17integral_constantIbLb1EES17_EEDaS12_S13_EUlS12_E_NS1_11comp_targetILNS1_3genE2ELNS1_11target_archE906ELNS1_3gpuE6ELNS1_3repE0EEENS1_30default_config_static_selectorELNS0_4arch9wavefront6targetE1EEEvT1_
    .private_segment_fixed_size: 0
    .sgpr_count:     6
    .sgpr_spill_count: 0
    .symbol:         _ZN7rocprim17ROCPRIM_400000_NS6detail17trampoline_kernelINS0_14default_configENS1_25partition_config_selectorILNS1_17partition_subalgoE8EjNS0_10empty_typeEbEEZZNS1_14partition_implILS5_8ELb0ES3_jPKjPS6_PKS6_NS0_5tupleIJPjS6_EEENSE_IJSB_SB_EEENS0_18inequality_wrapperIN6hipcub16HIPCUB_304000_NS8EqualityEEEPlJS6_EEE10hipError_tPvRmT3_T4_T5_T6_T7_T9_mT8_P12ihipStream_tbDpT10_ENKUlT_T0_E_clISt17integral_constantIbLb1EES17_EEDaS12_S13_EUlS12_E_NS1_11comp_targetILNS1_3genE2ELNS1_11target_archE906ELNS1_3gpuE6ELNS1_3repE0EEENS1_30default_config_static_selectorELNS0_4arch9wavefront6targetE1EEEvT1_.kd
    .uniform_work_group_size: 1
    .uses_dynamic_stack: false
    .vgpr_count:     0
    .vgpr_spill_count: 0
    .wavefront_size: 64
  - .agpr_count:     0
    .args:
      - .offset:         0
        .size:           128
        .value_kind:     by_value
    .group_segment_fixed_size: 0
    .kernarg_segment_align: 8
    .kernarg_segment_size: 128
    .language:       OpenCL C
    .language_version:
      - 2
      - 0
    .max_flat_workgroup_size: 384
    .name:           _ZN7rocprim17ROCPRIM_400000_NS6detail17trampoline_kernelINS0_14default_configENS1_25partition_config_selectorILNS1_17partition_subalgoE8EjNS0_10empty_typeEbEEZZNS1_14partition_implILS5_8ELb0ES3_jPKjPS6_PKS6_NS0_5tupleIJPjS6_EEENSE_IJSB_SB_EEENS0_18inequality_wrapperIN6hipcub16HIPCUB_304000_NS8EqualityEEEPlJS6_EEE10hipError_tPvRmT3_T4_T5_T6_T7_T9_mT8_P12ihipStream_tbDpT10_ENKUlT_T0_E_clISt17integral_constantIbLb1EES17_EEDaS12_S13_EUlS12_E_NS1_11comp_targetILNS1_3genE10ELNS1_11target_archE1200ELNS1_3gpuE4ELNS1_3repE0EEENS1_30default_config_static_selectorELNS0_4arch9wavefront6targetE1EEEvT1_
    .private_segment_fixed_size: 0
    .sgpr_count:     6
    .sgpr_spill_count: 0
    .symbol:         _ZN7rocprim17ROCPRIM_400000_NS6detail17trampoline_kernelINS0_14default_configENS1_25partition_config_selectorILNS1_17partition_subalgoE8EjNS0_10empty_typeEbEEZZNS1_14partition_implILS5_8ELb0ES3_jPKjPS6_PKS6_NS0_5tupleIJPjS6_EEENSE_IJSB_SB_EEENS0_18inequality_wrapperIN6hipcub16HIPCUB_304000_NS8EqualityEEEPlJS6_EEE10hipError_tPvRmT3_T4_T5_T6_T7_T9_mT8_P12ihipStream_tbDpT10_ENKUlT_T0_E_clISt17integral_constantIbLb1EES17_EEDaS12_S13_EUlS12_E_NS1_11comp_targetILNS1_3genE10ELNS1_11target_archE1200ELNS1_3gpuE4ELNS1_3repE0EEENS1_30default_config_static_selectorELNS0_4arch9wavefront6targetE1EEEvT1_.kd
    .uniform_work_group_size: 1
    .uses_dynamic_stack: false
    .vgpr_count:     0
    .vgpr_spill_count: 0
    .wavefront_size: 64
  - .agpr_count:     0
    .args:
      - .offset:         0
        .size:           128
        .value_kind:     by_value
    .group_segment_fixed_size: 0
    .kernarg_segment_align: 8
    .kernarg_segment_size: 128
    .language:       OpenCL C
    .language_version:
      - 2
      - 0
    .max_flat_workgroup_size: 384
    .name:           _ZN7rocprim17ROCPRIM_400000_NS6detail17trampoline_kernelINS0_14default_configENS1_25partition_config_selectorILNS1_17partition_subalgoE8EjNS0_10empty_typeEbEEZZNS1_14partition_implILS5_8ELb0ES3_jPKjPS6_PKS6_NS0_5tupleIJPjS6_EEENSE_IJSB_SB_EEENS0_18inequality_wrapperIN6hipcub16HIPCUB_304000_NS8EqualityEEEPlJS6_EEE10hipError_tPvRmT3_T4_T5_T6_T7_T9_mT8_P12ihipStream_tbDpT10_ENKUlT_T0_E_clISt17integral_constantIbLb1EES17_EEDaS12_S13_EUlS12_E_NS1_11comp_targetILNS1_3genE9ELNS1_11target_archE1100ELNS1_3gpuE3ELNS1_3repE0EEENS1_30default_config_static_selectorELNS0_4arch9wavefront6targetE1EEEvT1_
    .private_segment_fixed_size: 0
    .sgpr_count:     6
    .sgpr_spill_count: 0
    .symbol:         _ZN7rocprim17ROCPRIM_400000_NS6detail17trampoline_kernelINS0_14default_configENS1_25partition_config_selectorILNS1_17partition_subalgoE8EjNS0_10empty_typeEbEEZZNS1_14partition_implILS5_8ELb0ES3_jPKjPS6_PKS6_NS0_5tupleIJPjS6_EEENSE_IJSB_SB_EEENS0_18inequality_wrapperIN6hipcub16HIPCUB_304000_NS8EqualityEEEPlJS6_EEE10hipError_tPvRmT3_T4_T5_T6_T7_T9_mT8_P12ihipStream_tbDpT10_ENKUlT_T0_E_clISt17integral_constantIbLb1EES17_EEDaS12_S13_EUlS12_E_NS1_11comp_targetILNS1_3genE9ELNS1_11target_archE1100ELNS1_3gpuE3ELNS1_3repE0EEENS1_30default_config_static_selectorELNS0_4arch9wavefront6targetE1EEEvT1_.kd
    .uniform_work_group_size: 1
    .uses_dynamic_stack: false
    .vgpr_count:     0
    .vgpr_spill_count: 0
    .wavefront_size: 64
  - .agpr_count:     0
    .args:
      - .offset:         0
        .size:           128
        .value_kind:     by_value
    .group_segment_fixed_size: 0
    .kernarg_segment_align: 8
    .kernarg_segment_size: 128
    .language:       OpenCL C
    .language_version:
      - 2
      - 0
    .max_flat_workgroup_size: 512
    .name:           _ZN7rocprim17ROCPRIM_400000_NS6detail17trampoline_kernelINS0_14default_configENS1_25partition_config_selectorILNS1_17partition_subalgoE8EjNS0_10empty_typeEbEEZZNS1_14partition_implILS5_8ELb0ES3_jPKjPS6_PKS6_NS0_5tupleIJPjS6_EEENSE_IJSB_SB_EEENS0_18inequality_wrapperIN6hipcub16HIPCUB_304000_NS8EqualityEEEPlJS6_EEE10hipError_tPvRmT3_T4_T5_T6_T7_T9_mT8_P12ihipStream_tbDpT10_ENKUlT_T0_E_clISt17integral_constantIbLb1EES17_EEDaS12_S13_EUlS12_E_NS1_11comp_targetILNS1_3genE8ELNS1_11target_archE1030ELNS1_3gpuE2ELNS1_3repE0EEENS1_30default_config_static_selectorELNS0_4arch9wavefront6targetE1EEEvT1_
    .private_segment_fixed_size: 0
    .sgpr_count:     6
    .sgpr_spill_count: 0
    .symbol:         _ZN7rocprim17ROCPRIM_400000_NS6detail17trampoline_kernelINS0_14default_configENS1_25partition_config_selectorILNS1_17partition_subalgoE8EjNS0_10empty_typeEbEEZZNS1_14partition_implILS5_8ELb0ES3_jPKjPS6_PKS6_NS0_5tupleIJPjS6_EEENSE_IJSB_SB_EEENS0_18inequality_wrapperIN6hipcub16HIPCUB_304000_NS8EqualityEEEPlJS6_EEE10hipError_tPvRmT3_T4_T5_T6_T7_T9_mT8_P12ihipStream_tbDpT10_ENKUlT_T0_E_clISt17integral_constantIbLb1EES17_EEDaS12_S13_EUlS12_E_NS1_11comp_targetILNS1_3genE8ELNS1_11target_archE1030ELNS1_3gpuE2ELNS1_3repE0EEENS1_30default_config_static_selectorELNS0_4arch9wavefront6targetE1EEEvT1_.kd
    .uniform_work_group_size: 1
    .uses_dynamic_stack: false
    .vgpr_count:     0
    .vgpr_spill_count: 0
    .wavefront_size: 64
  - .agpr_count:     0
    .args:
      - .offset:         0
        .size:           112
        .value_kind:     by_value
    .group_segment_fixed_size: 0
    .kernarg_segment_align: 8
    .kernarg_segment_size: 112
    .language:       OpenCL C
    .language_version:
      - 2
      - 0
    .max_flat_workgroup_size: 512
    .name:           _ZN7rocprim17ROCPRIM_400000_NS6detail17trampoline_kernelINS0_14default_configENS1_25partition_config_selectorILNS1_17partition_subalgoE8EjNS0_10empty_typeEbEEZZNS1_14partition_implILS5_8ELb0ES3_jPKjPS6_PKS6_NS0_5tupleIJPjS6_EEENSE_IJSB_SB_EEENS0_18inequality_wrapperIN6hipcub16HIPCUB_304000_NS8EqualityEEEPlJS6_EEE10hipError_tPvRmT3_T4_T5_T6_T7_T9_mT8_P12ihipStream_tbDpT10_ENKUlT_T0_E_clISt17integral_constantIbLb1EES16_IbLb0EEEEDaS12_S13_EUlS12_E_NS1_11comp_targetILNS1_3genE0ELNS1_11target_archE4294967295ELNS1_3gpuE0ELNS1_3repE0EEENS1_30default_config_static_selectorELNS0_4arch9wavefront6targetE1EEEvT1_
    .private_segment_fixed_size: 0
    .sgpr_count:     6
    .sgpr_spill_count: 0
    .symbol:         _ZN7rocprim17ROCPRIM_400000_NS6detail17trampoline_kernelINS0_14default_configENS1_25partition_config_selectorILNS1_17partition_subalgoE8EjNS0_10empty_typeEbEEZZNS1_14partition_implILS5_8ELb0ES3_jPKjPS6_PKS6_NS0_5tupleIJPjS6_EEENSE_IJSB_SB_EEENS0_18inequality_wrapperIN6hipcub16HIPCUB_304000_NS8EqualityEEEPlJS6_EEE10hipError_tPvRmT3_T4_T5_T6_T7_T9_mT8_P12ihipStream_tbDpT10_ENKUlT_T0_E_clISt17integral_constantIbLb1EES16_IbLb0EEEEDaS12_S13_EUlS12_E_NS1_11comp_targetILNS1_3genE0ELNS1_11target_archE4294967295ELNS1_3gpuE0ELNS1_3repE0EEENS1_30default_config_static_selectorELNS0_4arch9wavefront6targetE1EEEvT1_.kd
    .uniform_work_group_size: 1
    .uses_dynamic_stack: false
    .vgpr_count:     0
    .vgpr_spill_count: 0
    .wavefront_size: 64
  - .agpr_count:     0
    .args:
      - .offset:         0
        .size:           112
        .value_kind:     by_value
    .group_segment_fixed_size: 30728
    .kernarg_segment_align: 8
    .kernarg_segment_size: 112
    .language:       OpenCL C
    .language_version:
      - 2
      - 0
    .max_flat_workgroup_size: 512
    .name:           _ZN7rocprim17ROCPRIM_400000_NS6detail17trampoline_kernelINS0_14default_configENS1_25partition_config_selectorILNS1_17partition_subalgoE8EjNS0_10empty_typeEbEEZZNS1_14partition_implILS5_8ELb0ES3_jPKjPS6_PKS6_NS0_5tupleIJPjS6_EEENSE_IJSB_SB_EEENS0_18inequality_wrapperIN6hipcub16HIPCUB_304000_NS8EqualityEEEPlJS6_EEE10hipError_tPvRmT3_T4_T5_T6_T7_T9_mT8_P12ihipStream_tbDpT10_ENKUlT_T0_E_clISt17integral_constantIbLb1EES16_IbLb0EEEEDaS12_S13_EUlS12_E_NS1_11comp_targetILNS1_3genE5ELNS1_11target_archE942ELNS1_3gpuE9ELNS1_3repE0EEENS1_30default_config_static_selectorELNS0_4arch9wavefront6targetE1EEEvT1_
    .private_segment_fixed_size: 0
    .sgpr_count:     54
    .sgpr_spill_count: 0
    .symbol:         _ZN7rocprim17ROCPRIM_400000_NS6detail17trampoline_kernelINS0_14default_configENS1_25partition_config_selectorILNS1_17partition_subalgoE8EjNS0_10empty_typeEbEEZZNS1_14partition_implILS5_8ELb0ES3_jPKjPS6_PKS6_NS0_5tupleIJPjS6_EEENSE_IJSB_SB_EEENS0_18inequality_wrapperIN6hipcub16HIPCUB_304000_NS8EqualityEEEPlJS6_EEE10hipError_tPvRmT3_T4_T5_T6_T7_T9_mT8_P12ihipStream_tbDpT10_ENKUlT_T0_E_clISt17integral_constantIbLb1EES16_IbLb0EEEEDaS12_S13_EUlS12_E_NS1_11comp_targetILNS1_3genE5ELNS1_11target_archE942ELNS1_3gpuE9ELNS1_3repE0EEENS1_30default_config_static_selectorELNS0_4arch9wavefront6targetE1EEEvT1_.kd
    .uniform_work_group_size: 1
    .uses_dynamic_stack: false
    .vgpr_count:     74
    .vgpr_spill_count: 0
    .wavefront_size: 64
  - .agpr_count:     0
    .args:
      - .offset:         0
        .size:           112
        .value_kind:     by_value
    .group_segment_fixed_size: 0
    .kernarg_segment_align: 8
    .kernarg_segment_size: 112
    .language:       OpenCL C
    .language_version:
      - 2
      - 0
    .max_flat_workgroup_size: 256
    .name:           _ZN7rocprim17ROCPRIM_400000_NS6detail17trampoline_kernelINS0_14default_configENS1_25partition_config_selectorILNS1_17partition_subalgoE8EjNS0_10empty_typeEbEEZZNS1_14partition_implILS5_8ELb0ES3_jPKjPS6_PKS6_NS0_5tupleIJPjS6_EEENSE_IJSB_SB_EEENS0_18inequality_wrapperIN6hipcub16HIPCUB_304000_NS8EqualityEEEPlJS6_EEE10hipError_tPvRmT3_T4_T5_T6_T7_T9_mT8_P12ihipStream_tbDpT10_ENKUlT_T0_E_clISt17integral_constantIbLb1EES16_IbLb0EEEEDaS12_S13_EUlS12_E_NS1_11comp_targetILNS1_3genE4ELNS1_11target_archE910ELNS1_3gpuE8ELNS1_3repE0EEENS1_30default_config_static_selectorELNS0_4arch9wavefront6targetE1EEEvT1_
    .private_segment_fixed_size: 0
    .sgpr_count:     6
    .sgpr_spill_count: 0
    .symbol:         _ZN7rocprim17ROCPRIM_400000_NS6detail17trampoline_kernelINS0_14default_configENS1_25partition_config_selectorILNS1_17partition_subalgoE8EjNS0_10empty_typeEbEEZZNS1_14partition_implILS5_8ELb0ES3_jPKjPS6_PKS6_NS0_5tupleIJPjS6_EEENSE_IJSB_SB_EEENS0_18inequality_wrapperIN6hipcub16HIPCUB_304000_NS8EqualityEEEPlJS6_EEE10hipError_tPvRmT3_T4_T5_T6_T7_T9_mT8_P12ihipStream_tbDpT10_ENKUlT_T0_E_clISt17integral_constantIbLb1EES16_IbLb0EEEEDaS12_S13_EUlS12_E_NS1_11comp_targetILNS1_3genE4ELNS1_11target_archE910ELNS1_3gpuE8ELNS1_3repE0EEENS1_30default_config_static_selectorELNS0_4arch9wavefront6targetE1EEEvT1_.kd
    .uniform_work_group_size: 1
    .uses_dynamic_stack: false
    .vgpr_count:     0
    .vgpr_spill_count: 0
    .wavefront_size: 64
  - .agpr_count:     0
    .args:
      - .offset:         0
        .size:           112
        .value_kind:     by_value
    .group_segment_fixed_size: 0
    .kernarg_segment_align: 8
    .kernarg_segment_size: 112
    .language:       OpenCL C
    .language_version:
      - 2
      - 0
    .max_flat_workgroup_size: 512
    .name:           _ZN7rocprim17ROCPRIM_400000_NS6detail17trampoline_kernelINS0_14default_configENS1_25partition_config_selectorILNS1_17partition_subalgoE8EjNS0_10empty_typeEbEEZZNS1_14partition_implILS5_8ELb0ES3_jPKjPS6_PKS6_NS0_5tupleIJPjS6_EEENSE_IJSB_SB_EEENS0_18inequality_wrapperIN6hipcub16HIPCUB_304000_NS8EqualityEEEPlJS6_EEE10hipError_tPvRmT3_T4_T5_T6_T7_T9_mT8_P12ihipStream_tbDpT10_ENKUlT_T0_E_clISt17integral_constantIbLb1EES16_IbLb0EEEEDaS12_S13_EUlS12_E_NS1_11comp_targetILNS1_3genE3ELNS1_11target_archE908ELNS1_3gpuE7ELNS1_3repE0EEENS1_30default_config_static_selectorELNS0_4arch9wavefront6targetE1EEEvT1_
    .private_segment_fixed_size: 0
    .sgpr_count:     6
    .sgpr_spill_count: 0
    .symbol:         _ZN7rocprim17ROCPRIM_400000_NS6detail17trampoline_kernelINS0_14default_configENS1_25partition_config_selectorILNS1_17partition_subalgoE8EjNS0_10empty_typeEbEEZZNS1_14partition_implILS5_8ELb0ES3_jPKjPS6_PKS6_NS0_5tupleIJPjS6_EEENSE_IJSB_SB_EEENS0_18inequality_wrapperIN6hipcub16HIPCUB_304000_NS8EqualityEEEPlJS6_EEE10hipError_tPvRmT3_T4_T5_T6_T7_T9_mT8_P12ihipStream_tbDpT10_ENKUlT_T0_E_clISt17integral_constantIbLb1EES16_IbLb0EEEEDaS12_S13_EUlS12_E_NS1_11comp_targetILNS1_3genE3ELNS1_11target_archE908ELNS1_3gpuE7ELNS1_3repE0EEENS1_30default_config_static_selectorELNS0_4arch9wavefront6targetE1EEEvT1_.kd
    .uniform_work_group_size: 1
    .uses_dynamic_stack: false
    .vgpr_count:     0
    .vgpr_spill_count: 0
    .wavefront_size: 64
  - .agpr_count:     0
    .args:
      - .offset:         0
        .size:           112
        .value_kind:     by_value
    .group_segment_fixed_size: 0
    .kernarg_segment_align: 8
    .kernarg_segment_size: 112
    .language:       OpenCL C
    .language_version:
      - 2
      - 0
    .max_flat_workgroup_size: 256
    .name:           _ZN7rocprim17ROCPRIM_400000_NS6detail17trampoline_kernelINS0_14default_configENS1_25partition_config_selectorILNS1_17partition_subalgoE8EjNS0_10empty_typeEbEEZZNS1_14partition_implILS5_8ELb0ES3_jPKjPS6_PKS6_NS0_5tupleIJPjS6_EEENSE_IJSB_SB_EEENS0_18inequality_wrapperIN6hipcub16HIPCUB_304000_NS8EqualityEEEPlJS6_EEE10hipError_tPvRmT3_T4_T5_T6_T7_T9_mT8_P12ihipStream_tbDpT10_ENKUlT_T0_E_clISt17integral_constantIbLb1EES16_IbLb0EEEEDaS12_S13_EUlS12_E_NS1_11comp_targetILNS1_3genE2ELNS1_11target_archE906ELNS1_3gpuE6ELNS1_3repE0EEENS1_30default_config_static_selectorELNS0_4arch9wavefront6targetE1EEEvT1_
    .private_segment_fixed_size: 0
    .sgpr_count:     6
    .sgpr_spill_count: 0
    .symbol:         _ZN7rocprim17ROCPRIM_400000_NS6detail17trampoline_kernelINS0_14default_configENS1_25partition_config_selectorILNS1_17partition_subalgoE8EjNS0_10empty_typeEbEEZZNS1_14partition_implILS5_8ELb0ES3_jPKjPS6_PKS6_NS0_5tupleIJPjS6_EEENSE_IJSB_SB_EEENS0_18inequality_wrapperIN6hipcub16HIPCUB_304000_NS8EqualityEEEPlJS6_EEE10hipError_tPvRmT3_T4_T5_T6_T7_T9_mT8_P12ihipStream_tbDpT10_ENKUlT_T0_E_clISt17integral_constantIbLb1EES16_IbLb0EEEEDaS12_S13_EUlS12_E_NS1_11comp_targetILNS1_3genE2ELNS1_11target_archE906ELNS1_3gpuE6ELNS1_3repE0EEENS1_30default_config_static_selectorELNS0_4arch9wavefront6targetE1EEEvT1_.kd
    .uniform_work_group_size: 1
    .uses_dynamic_stack: false
    .vgpr_count:     0
    .vgpr_spill_count: 0
    .wavefront_size: 64
  - .agpr_count:     0
    .args:
      - .offset:         0
        .size:           112
        .value_kind:     by_value
    .group_segment_fixed_size: 0
    .kernarg_segment_align: 8
    .kernarg_segment_size: 112
    .language:       OpenCL C
    .language_version:
      - 2
      - 0
    .max_flat_workgroup_size: 384
    .name:           _ZN7rocprim17ROCPRIM_400000_NS6detail17trampoline_kernelINS0_14default_configENS1_25partition_config_selectorILNS1_17partition_subalgoE8EjNS0_10empty_typeEbEEZZNS1_14partition_implILS5_8ELb0ES3_jPKjPS6_PKS6_NS0_5tupleIJPjS6_EEENSE_IJSB_SB_EEENS0_18inequality_wrapperIN6hipcub16HIPCUB_304000_NS8EqualityEEEPlJS6_EEE10hipError_tPvRmT3_T4_T5_T6_T7_T9_mT8_P12ihipStream_tbDpT10_ENKUlT_T0_E_clISt17integral_constantIbLb1EES16_IbLb0EEEEDaS12_S13_EUlS12_E_NS1_11comp_targetILNS1_3genE10ELNS1_11target_archE1200ELNS1_3gpuE4ELNS1_3repE0EEENS1_30default_config_static_selectorELNS0_4arch9wavefront6targetE1EEEvT1_
    .private_segment_fixed_size: 0
    .sgpr_count:     6
    .sgpr_spill_count: 0
    .symbol:         _ZN7rocprim17ROCPRIM_400000_NS6detail17trampoline_kernelINS0_14default_configENS1_25partition_config_selectorILNS1_17partition_subalgoE8EjNS0_10empty_typeEbEEZZNS1_14partition_implILS5_8ELb0ES3_jPKjPS6_PKS6_NS0_5tupleIJPjS6_EEENSE_IJSB_SB_EEENS0_18inequality_wrapperIN6hipcub16HIPCUB_304000_NS8EqualityEEEPlJS6_EEE10hipError_tPvRmT3_T4_T5_T6_T7_T9_mT8_P12ihipStream_tbDpT10_ENKUlT_T0_E_clISt17integral_constantIbLb1EES16_IbLb0EEEEDaS12_S13_EUlS12_E_NS1_11comp_targetILNS1_3genE10ELNS1_11target_archE1200ELNS1_3gpuE4ELNS1_3repE0EEENS1_30default_config_static_selectorELNS0_4arch9wavefront6targetE1EEEvT1_.kd
    .uniform_work_group_size: 1
    .uses_dynamic_stack: false
    .vgpr_count:     0
    .vgpr_spill_count: 0
    .wavefront_size: 64
  - .agpr_count:     0
    .args:
      - .offset:         0
        .size:           112
        .value_kind:     by_value
    .group_segment_fixed_size: 0
    .kernarg_segment_align: 8
    .kernarg_segment_size: 112
    .language:       OpenCL C
    .language_version:
      - 2
      - 0
    .max_flat_workgroup_size: 384
    .name:           _ZN7rocprim17ROCPRIM_400000_NS6detail17trampoline_kernelINS0_14default_configENS1_25partition_config_selectorILNS1_17partition_subalgoE8EjNS0_10empty_typeEbEEZZNS1_14partition_implILS5_8ELb0ES3_jPKjPS6_PKS6_NS0_5tupleIJPjS6_EEENSE_IJSB_SB_EEENS0_18inequality_wrapperIN6hipcub16HIPCUB_304000_NS8EqualityEEEPlJS6_EEE10hipError_tPvRmT3_T4_T5_T6_T7_T9_mT8_P12ihipStream_tbDpT10_ENKUlT_T0_E_clISt17integral_constantIbLb1EES16_IbLb0EEEEDaS12_S13_EUlS12_E_NS1_11comp_targetILNS1_3genE9ELNS1_11target_archE1100ELNS1_3gpuE3ELNS1_3repE0EEENS1_30default_config_static_selectorELNS0_4arch9wavefront6targetE1EEEvT1_
    .private_segment_fixed_size: 0
    .sgpr_count:     6
    .sgpr_spill_count: 0
    .symbol:         _ZN7rocprim17ROCPRIM_400000_NS6detail17trampoline_kernelINS0_14default_configENS1_25partition_config_selectorILNS1_17partition_subalgoE8EjNS0_10empty_typeEbEEZZNS1_14partition_implILS5_8ELb0ES3_jPKjPS6_PKS6_NS0_5tupleIJPjS6_EEENSE_IJSB_SB_EEENS0_18inequality_wrapperIN6hipcub16HIPCUB_304000_NS8EqualityEEEPlJS6_EEE10hipError_tPvRmT3_T4_T5_T6_T7_T9_mT8_P12ihipStream_tbDpT10_ENKUlT_T0_E_clISt17integral_constantIbLb1EES16_IbLb0EEEEDaS12_S13_EUlS12_E_NS1_11comp_targetILNS1_3genE9ELNS1_11target_archE1100ELNS1_3gpuE3ELNS1_3repE0EEENS1_30default_config_static_selectorELNS0_4arch9wavefront6targetE1EEEvT1_.kd
    .uniform_work_group_size: 1
    .uses_dynamic_stack: false
    .vgpr_count:     0
    .vgpr_spill_count: 0
    .wavefront_size: 64
  - .agpr_count:     0
    .args:
      - .offset:         0
        .size:           112
        .value_kind:     by_value
    .group_segment_fixed_size: 0
    .kernarg_segment_align: 8
    .kernarg_segment_size: 112
    .language:       OpenCL C
    .language_version:
      - 2
      - 0
    .max_flat_workgroup_size: 512
    .name:           _ZN7rocprim17ROCPRIM_400000_NS6detail17trampoline_kernelINS0_14default_configENS1_25partition_config_selectorILNS1_17partition_subalgoE8EjNS0_10empty_typeEbEEZZNS1_14partition_implILS5_8ELb0ES3_jPKjPS6_PKS6_NS0_5tupleIJPjS6_EEENSE_IJSB_SB_EEENS0_18inequality_wrapperIN6hipcub16HIPCUB_304000_NS8EqualityEEEPlJS6_EEE10hipError_tPvRmT3_T4_T5_T6_T7_T9_mT8_P12ihipStream_tbDpT10_ENKUlT_T0_E_clISt17integral_constantIbLb1EES16_IbLb0EEEEDaS12_S13_EUlS12_E_NS1_11comp_targetILNS1_3genE8ELNS1_11target_archE1030ELNS1_3gpuE2ELNS1_3repE0EEENS1_30default_config_static_selectorELNS0_4arch9wavefront6targetE1EEEvT1_
    .private_segment_fixed_size: 0
    .sgpr_count:     6
    .sgpr_spill_count: 0
    .symbol:         _ZN7rocprim17ROCPRIM_400000_NS6detail17trampoline_kernelINS0_14default_configENS1_25partition_config_selectorILNS1_17partition_subalgoE8EjNS0_10empty_typeEbEEZZNS1_14partition_implILS5_8ELb0ES3_jPKjPS6_PKS6_NS0_5tupleIJPjS6_EEENSE_IJSB_SB_EEENS0_18inequality_wrapperIN6hipcub16HIPCUB_304000_NS8EqualityEEEPlJS6_EEE10hipError_tPvRmT3_T4_T5_T6_T7_T9_mT8_P12ihipStream_tbDpT10_ENKUlT_T0_E_clISt17integral_constantIbLb1EES16_IbLb0EEEEDaS12_S13_EUlS12_E_NS1_11comp_targetILNS1_3genE8ELNS1_11target_archE1030ELNS1_3gpuE2ELNS1_3repE0EEENS1_30default_config_static_selectorELNS0_4arch9wavefront6targetE1EEEvT1_.kd
    .uniform_work_group_size: 1
    .uses_dynamic_stack: false
    .vgpr_count:     0
    .vgpr_spill_count: 0
    .wavefront_size: 64
  - .agpr_count:     0
    .args:
      - .offset:         0
        .size:           128
        .value_kind:     by_value
    .group_segment_fixed_size: 0
    .kernarg_segment_align: 8
    .kernarg_segment_size: 128
    .language:       OpenCL C
    .language_version:
      - 2
      - 0
    .max_flat_workgroup_size: 512
    .name:           _ZN7rocprim17ROCPRIM_400000_NS6detail17trampoline_kernelINS0_14default_configENS1_25partition_config_selectorILNS1_17partition_subalgoE8EjNS0_10empty_typeEbEEZZNS1_14partition_implILS5_8ELb0ES3_jPKjPS6_PKS6_NS0_5tupleIJPjS6_EEENSE_IJSB_SB_EEENS0_18inequality_wrapperIN6hipcub16HIPCUB_304000_NS8EqualityEEEPlJS6_EEE10hipError_tPvRmT3_T4_T5_T6_T7_T9_mT8_P12ihipStream_tbDpT10_ENKUlT_T0_E_clISt17integral_constantIbLb0EES16_IbLb1EEEEDaS12_S13_EUlS12_E_NS1_11comp_targetILNS1_3genE0ELNS1_11target_archE4294967295ELNS1_3gpuE0ELNS1_3repE0EEENS1_30default_config_static_selectorELNS0_4arch9wavefront6targetE1EEEvT1_
    .private_segment_fixed_size: 0
    .sgpr_count:     6
    .sgpr_spill_count: 0
    .symbol:         _ZN7rocprim17ROCPRIM_400000_NS6detail17trampoline_kernelINS0_14default_configENS1_25partition_config_selectorILNS1_17partition_subalgoE8EjNS0_10empty_typeEbEEZZNS1_14partition_implILS5_8ELb0ES3_jPKjPS6_PKS6_NS0_5tupleIJPjS6_EEENSE_IJSB_SB_EEENS0_18inequality_wrapperIN6hipcub16HIPCUB_304000_NS8EqualityEEEPlJS6_EEE10hipError_tPvRmT3_T4_T5_T6_T7_T9_mT8_P12ihipStream_tbDpT10_ENKUlT_T0_E_clISt17integral_constantIbLb0EES16_IbLb1EEEEDaS12_S13_EUlS12_E_NS1_11comp_targetILNS1_3genE0ELNS1_11target_archE4294967295ELNS1_3gpuE0ELNS1_3repE0EEENS1_30default_config_static_selectorELNS0_4arch9wavefront6targetE1EEEvT1_.kd
    .uniform_work_group_size: 1
    .uses_dynamic_stack: false
    .vgpr_count:     0
    .vgpr_spill_count: 0
    .wavefront_size: 64
  - .agpr_count:     0
    .args:
      - .offset:         0
        .size:           128
        .value_kind:     by_value
    .group_segment_fixed_size: 30728
    .kernarg_segment_align: 8
    .kernarg_segment_size: 128
    .language:       OpenCL C
    .language_version:
      - 2
      - 0
    .max_flat_workgroup_size: 512
    .name:           _ZN7rocprim17ROCPRIM_400000_NS6detail17trampoline_kernelINS0_14default_configENS1_25partition_config_selectorILNS1_17partition_subalgoE8EjNS0_10empty_typeEbEEZZNS1_14partition_implILS5_8ELb0ES3_jPKjPS6_PKS6_NS0_5tupleIJPjS6_EEENSE_IJSB_SB_EEENS0_18inequality_wrapperIN6hipcub16HIPCUB_304000_NS8EqualityEEEPlJS6_EEE10hipError_tPvRmT3_T4_T5_T6_T7_T9_mT8_P12ihipStream_tbDpT10_ENKUlT_T0_E_clISt17integral_constantIbLb0EES16_IbLb1EEEEDaS12_S13_EUlS12_E_NS1_11comp_targetILNS1_3genE5ELNS1_11target_archE942ELNS1_3gpuE9ELNS1_3repE0EEENS1_30default_config_static_selectorELNS0_4arch9wavefront6targetE1EEEvT1_
    .private_segment_fixed_size: 0
    .sgpr_count:     57
    .sgpr_spill_count: 0
    .symbol:         _ZN7rocprim17ROCPRIM_400000_NS6detail17trampoline_kernelINS0_14default_configENS1_25partition_config_selectorILNS1_17partition_subalgoE8EjNS0_10empty_typeEbEEZZNS1_14partition_implILS5_8ELb0ES3_jPKjPS6_PKS6_NS0_5tupleIJPjS6_EEENSE_IJSB_SB_EEENS0_18inequality_wrapperIN6hipcub16HIPCUB_304000_NS8EqualityEEEPlJS6_EEE10hipError_tPvRmT3_T4_T5_T6_T7_T9_mT8_P12ihipStream_tbDpT10_ENKUlT_T0_E_clISt17integral_constantIbLb0EES16_IbLb1EEEEDaS12_S13_EUlS12_E_NS1_11comp_targetILNS1_3genE5ELNS1_11target_archE942ELNS1_3gpuE9ELNS1_3repE0EEENS1_30default_config_static_selectorELNS0_4arch9wavefront6targetE1EEEvT1_.kd
    .uniform_work_group_size: 1
    .uses_dynamic_stack: false
    .vgpr_count:     76
    .vgpr_spill_count: 0
    .wavefront_size: 64
  - .agpr_count:     0
    .args:
      - .offset:         0
        .size:           128
        .value_kind:     by_value
    .group_segment_fixed_size: 0
    .kernarg_segment_align: 8
    .kernarg_segment_size: 128
    .language:       OpenCL C
    .language_version:
      - 2
      - 0
    .max_flat_workgroup_size: 256
    .name:           _ZN7rocprim17ROCPRIM_400000_NS6detail17trampoline_kernelINS0_14default_configENS1_25partition_config_selectorILNS1_17partition_subalgoE8EjNS0_10empty_typeEbEEZZNS1_14partition_implILS5_8ELb0ES3_jPKjPS6_PKS6_NS0_5tupleIJPjS6_EEENSE_IJSB_SB_EEENS0_18inequality_wrapperIN6hipcub16HIPCUB_304000_NS8EqualityEEEPlJS6_EEE10hipError_tPvRmT3_T4_T5_T6_T7_T9_mT8_P12ihipStream_tbDpT10_ENKUlT_T0_E_clISt17integral_constantIbLb0EES16_IbLb1EEEEDaS12_S13_EUlS12_E_NS1_11comp_targetILNS1_3genE4ELNS1_11target_archE910ELNS1_3gpuE8ELNS1_3repE0EEENS1_30default_config_static_selectorELNS0_4arch9wavefront6targetE1EEEvT1_
    .private_segment_fixed_size: 0
    .sgpr_count:     6
    .sgpr_spill_count: 0
    .symbol:         _ZN7rocprim17ROCPRIM_400000_NS6detail17trampoline_kernelINS0_14default_configENS1_25partition_config_selectorILNS1_17partition_subalgoE8EjNS0_10empty_typeEbEEZZNS1_14partition_implILS5_8ELb0ES3_jPKjPS6_PKS6_NS0_5tupleIJPjS6_EEENSE_IJSB_SB_EEENS0_18inequality_wrapperIN6hipcub16HIPCUB_304000_NS8EqualityEEEPlJS6_EEE10hipError_tPvRmT3_T4_T5_T6_T7_T9_mT8_P12ihipStream_tbDpT10_ENKUlT_T0_E_clISt17integral_constantIbLb0EES16_IbLb1EEEEDaS12_S13_EUlS12_E_NS1_11comp_targetILNS1_3genE4ELNS1_11target_archE910ELNS1_3gpuE8ELNS1_3repE0EEENS1_30default_config_static_selectorELNS0_4arch9wavefront6targetE1EEEvT1_.kd
    .uniform_work_group_size: 1
    .uses_dynamic_stack: false
    .vgpr_count:     0
    .vgpr_spill_count: 0
    .wavefront_size: 64
  - .agpr_count:     0
    .args:
      - .offset:         0
        .size:           128
        .value_kind:     by_value
    .group_segment_fixed_size: 0
    .kernarg_segment_align: 8
    .kernarg_segment_size: 128
    .language:       OpenCL C
    .language_version:
      - 2
      - 0
    .max_flat_workgroup_size: 512
    .name:           _ZN7rocprim17ROCPRIM_400000_NS6detail17trampoline_kernelINS0_14default_configENS1_25partition_config_selectorILNS1_17partition_subalgoE8EjNS0_10empty_typeEbEEZZNS1_14partition_implILS5_8ELb0ES3_jPKjPS6_PKS6_NS0_5tupleIJPjS6_EEENSE_IJSB_SB_EEENS0_18inequality_wrapperIN6hipcub16HIPCUB_304000_NS8EqualityEEEPlJS6_EEE10hipError_tPvRmT3_T4_T5_T6_T7_T9_mT8_P12ihipStream_tbDpT10_ENKUlT_T0_E_clISt17integral_constantIbLb0EES16_IbLb1EEEEDaS12_S13_EUlS12_E_NS1_11comp_targetILNS1_3genE3ELNS1_11target_archE908ELNS1_3gpuE7ELNS1_3repE0EEENS1_30default_config_static_selectorELNS0_4arch9wavefront6targetE1EEEvT1_
    .private_segment_fixed_size: 0
    .sgpr_count:     6
    .sgpr_spill_count: 0
    .symbol:         _ZN7rocprim17ROCPRIM_400000_NS6detail17trampoline_kernelINS0_14default_configENS1_25partition_config_selectorILNS1_17partition_subalgoE8EjNS0_10empty_typeEbEEZZNS1_14partition_implILS5_8ELb0ES3_jPKjPS6_PKS6_NS0_5tupleIJPjS6_EEENSE_IJSB_SB_EEENS0_18inequality_wrapperIN6hipcub16HIPCUB_304000_NS8EqualityEEEPlJS6_EEE10hipError_tPvRmT3_T4_T5_T6_T7_T9_mT8_P12ihipStream_tbDpT10_ENKUlT_T0_E_clISt17integral_constantIbLb0EES16_IbLb1EEEEDaS12_S13_EUlS12_E_NS1_11comp_targetILNS1_3genE3ELNS1_11target_archE908ELNS1_3gpuE7ELNS1_3repE0EEENS1_30default_config_static_selectorELNS0_4arch9wavefront6targetE1EEEvT1_.kd
    .uniform_work_group_size: 1
    .uses_dynamic_stack: false
    .vgpr_count:     0
    .vgpr_spill_count: 0
    .wavefront_size: 64
  - .agpr_count:     0
    .args:
      - .offset:         0
        .size:           128
        .value_kind:     by_value
    .group_segment_fixed_size: 0
    .kernarg_segment_align: 8
    .kernarg_segment_size: 128
    .language:       OpenCL C
    .language_version:
      - 2
      - 0
    .max_flat_workgroup_size: 256
    .name:           _ZN7rocprim17ROCPRIM_400000_NS6detail17trampoline_kernelINS0_14default_configENS1_25partition_config_selectorILNS1_17partition_subalgoE8EjNS0_10empty_typeEbEEZZNS1_14partition_implILS5_8ELb0ES3_jPKjPS6_PKS6_NS0_5tupleIJPjS6_EEENSE_IJSB_SB_EEENS0_18inequality_wrapperIN6hipcub16HIPCUB_304000_NS8EqualityEEEPlJS6_EEE10hipError_tPvRmT3_T4_T5_T6_T7_T9_mT8_P12ihipStream_tbDpT10_ENKUlT_T0_E_clISt17integral_constantIbLb0EES16_IbLb1EEEEDaS12_S13_EUlS12_E_NS1_11comp_targetILNS1_3genE2ELNS1_11target_archE906ELNS1_3gpuE6ELNS1_3repE0EEENS1_30default_config_static_selectorELNS0_4arch9wavefront6targetE1EEEvT1_
    .private_segment_fixed_size: 0
    .sgpr_count:     6
    .sgpr_spill_count: 0
    .symbol:         _ZN7rocprim17ROCPRIM_400000_NS6detail17trampoline_kernelINS0_14default_configENS1_25partition_config_selectorILNS1_17partition_subalgoE8EjNS0_10empty_typeEbEEZZNS1_14partition_implILS5_8ELb0ES3_jPKjPS6_PKS6_NS0_5tupleIJPjS6_EEENSE_IJSB_SB_EEENS0_18inequality_wrapperIN6hipcub16HIPCUB_304000_NS8EqualityEEEPlJS6_EEE10hipError_tPvRmT3_T4_T5_T6_T7_T9_mT8_P12ihipStream_tbDpT10_ENKUlT_T0_E_clISt17integral_constantIbLb0EES16_IbLb1EEEEDaS12_S13_EUlS12_E_NS1_11comp_targetILNS1_3genE2ELNS1_11target_archE906ELNS1_3gpuE6ELNS1_3repE0EEENS1_30default_config_static_selectorELNS0_4arch9wavefront6targetE1EEEvT1_.kd
    .uniform_work_group_size: 1
    .uses_dynamic_stack: false
    .vgpr_count:     0
    .vgpr_spill_count: 0
    .wavefront_size: 64
  - .agpr_count:     0
    .args:
      - .offset:         0
        .size:           128
        .value_kind:     by_value
    .group_segment_fixed_size: 0
    .kernarg_segment_align: 8
    .kernarg_segment_size: 128
    .language:       OpenCL C
    .language_version:
      - 2
      - 0
    .max_flat_workgroup_size: 384
    .name:           _ZN7rocprim17ROCPRIM_400000_NS6detail17trampoline_kernelINS0_14default_configENS1_25partition_config_selectorILNS1_17partition_subalgoE8EjNS0_10empty_typeEbEEZZNS1_14partition_implILS5_8ELb0ES3_jPKjPS6_PKS6_NS0_5tupleIJPjS6_EEENSE_IJSB_SB_EEENS0_18inequality_wrapperIN6hipcub16HIPCUB_304000_NS8EqualityEEEPlJS6_EEE10hipError_tPvRmT3_T4_T5_T6_T7_T9_mT8_P12ihipStream_tbDpT10_ENKUlT_T0_E_clISt17integral_constantIbLb0EES16_IbLb1EEEEDaS12_S13_EUlS12_E_NS1_11comp_targetILNS1_3genE10ELNS1_11target_archE1200ELNS1_3gpuE4ELNS1_3repE0EEENS1_30default_config_static_selectorELNS0_4arch9wavefront6targetE1EEEvT1_
    .private_segment_fixed_size: 0
    .sgpr_count:     6
    .sgpr_spill_count: 0
    .symbol:         _ZN7rocprim17ROCPRIM_400000_NS6detail17trampoline_kernelINS0_14default_configENS1_25partition_config_selectorILNS1_17partition_subalgoE8EjNS0_10empty_typeEbEEZZNS1_14partition_implILS5_8ELb0ES3_jPKjPS6_PKS6_NS0_5tupleIJPjS6_EEENSE_IJSB_SB_EEENS0_18inequality_wrapperIN6hipcub16HIPCUB_304000_NS8EqualityEEEPlJS6_EEE10hipError_tPvRmT3_T4_T5_T6_T7_T9_mT8_P12ihipStream_tbDpT10_ENKUlT_T0_E_clISt17integral_constantIbLb0EES16_IbLb1EEEEDaS12_S13_EUlS12_E_NS1_11comp_targetILNS1_3genE10ELNS1_11target_archE1200ELNS1_3gpuE4ELNS1_3repE0EEENS1_30default_config_static_selectorELNS0_4arch9wavefront6targetE1EEEvT1_.kd
    .uniform_work_group_size: 1
    .uses_dynamic_stack: false
    .vgpr_count:     0
    .vgpr_spill_count: 0
    .wavefront_size: 64
  - .agpr_count:     0
    .args:
      - .offset:         0
        .size:           128
        .value_kind:     by_value
    .group_segment_fixed_size: 0
    .kernarg_segment_align: 8
    .kernarg_segment_size: 128
    .language:       OpenCL C
    .language_version:
      - 2
      - 0
    .max_flat_workgroup_size: 384
    .name:           _ZN7rocprim17ROCPRIM_400000_NS6detail17trampoline_kernelINS0_14default_configENS1_25partition_config_selectorILNS1_17partition_subalgoE8EjNS0_10empty_typeEbEEZZNS1_14partition_implILS5_8ELb0ES3_jPKjPS6_PKS6_NS0_5tupleIJPjS6_EEENSE_IJSB_SB_EEENS0_18inequality_wrapperIN6hipcub16HIPCUB_304000_NS8EqualityEEEPlJS6_EEE10hipError_tPvRmT3_T4_T5_T6_T7_T9_mT8_P12ihipStream_tbDpT10_ENKUlT_T0_E_clISt17integral_constantIbLb0EES16_IbLb1EEEEDaS12_S13_EUlS12_E_NS1_11comp_targetILNS1_3genE9ELNS1_11target_archE1100ELNS1_3gpuE3ELNS1_3repE0EEENS1_30default_config_static_selectorELNS0_4arch9wavefront6targetE1EEEvT1_
    .private_segment_fixed_size: 0
    .sgpr_count:     6
    .sgpr_spill_count: 0
    .symbol:         _ZN7rocprim17ROCPRIM_400000_NS6detail17trampoline_kernelINS0_14default_configENS1_25partition_config_selectorILNS1_17partition_subalgoE8EjNS0_10empty_typeEbEEZZNS1_14partition_implILS5_8ELb0ES3_jPKjPS6_PKS6_NS0_5tupleIJPjS6_EEENSE_IJSB_SB_EEENS0_18inequality_wrapperIN6hipcub16HIPCUB_304000_NS8EqualityEEEPlJS6_EEE10hipError_tPvRmT3_T4_T5_T6_T7_T9_mT8_P12ihipStream_tbDpT10_ENKUlT_T0_E_clISt17integral_constantIbLb0EES16_IbLb1EEEEDaS12_S13_EUlS12_E_NS1_11comp_targetILNS1_3genE9ELNS1_11target_archE1100ELNS1_3gpuE3ELNS1_3repE0EEENS1_30default_config_static_selectorELNS0_4arch9wavefront6targetE1EEEvT1_.kd
    .uniform_work_group_size: 1
    .uses_dynamic_stack: false
    .vgpr_count:     0
    .vgpr_spill_count: 0
    .wavefront_size: 64
  - .agpr_count:     0
    .args:
      - .offset:         0
        .size:           128
        .value_kind:     by_value
    .group_segment_fixed_size: 0
    .kernarg_segment_align: 8
    .kernarg_segment_size: 128
    .language:       OpenCL C
    .language_version:
      - 2
      - 0
    .max_flat_workgroup_size: 512
    .name:           _ZN7rocprim17ROCPRIM_400000_NS6detail17trampoline_kernelINS0_14default_configENS1_25partition_config_selectorILNS1_17partition_subalgoE8EjNS0_10empty_typeEbEEZZNS1_14partition_implILS5_8ELb0ES3_jPKjPS6_PKS6_NS0_5tupleIJPjS6_EEENSE_IJSB_SB_EEENS0_18inequality_wrapperIN6hipcub16HIPCUB_304000_NS8EqualityEEEPlJS6_EEE10hipError_tPvRmT3_T4_T5_T6_T7_T9_mT8_P12ihipStream_tbDpT10_ENKUlT_T0_E_clISt17integral_constantIbLb0EES16_IbLb1EEEEDaS12_S13_EUlS12_E_NS1_11comp_targetILNS1_3genE8ELNS1_11target_archE1030ELNS1_3gpuE2ELNS1_3repE0EEENS1_30default_config_static_selectorELNS0_4arch9wavefront6targetE1EEEvT1_
    .private_segment_fixed_size: 0
    .sgpr_count:     6
    .sgpr_spill_count: 0
    .symbol:         _ZN7rocprim17ROCPRIM_400000_NS6detail17trampoline_kernelINS0_14default_configENS1_25partition_config_selectorILNS1_17partition_subalgoE8EjNS0_10empty_typeEbEEZZNS1_14partition_implILS5_8ELb0ES3_jPKjPS6_PKS6_NS0_5tupleIJPjS6_EEENSE_IJSB_SB_EEENS0_18inequality_wrapperIN6hipcub16HIPCUB_304000_NS8EqualityEEEPlJS6_EEE10hipError_tPvRmT3_T4_T5_T6_T7_T9_mT8_P12ihipStream_tbDpT10_ENKUlT_T0_E_clISt17integral_constantIbLb0EES16_IbLb1EEEEDaS12_S13_EUlS12_E_NS1_11comp_targetILNS1_3genE8ELNS1_11target_archE1030ELNS1_3gpuE2ELNS1_3repE0EEENS1_30default_config_static_selectorELNS0_4arch9wavefront6targetE1EEEvT1_.kd
    .uniform_work_group_size: 1
    .uses_dynamic_stack: false
    .vgpr_count:     0
    .vgpr_spill_count: 0
    .wavefront_size: 64
  - .agpr_count:     0
    .args:
      - .offset:         0
        .size:           128
        .value_kind:     by_value
    .group_segment_fixed_size: 0
    .kernarg_segment_align: 8
    .kernarg_segment_size: 128
    .language:       OpenCL C
    .language_version:
      - 2
      - 0
    .max_flat_workgroup_size: 256
    .name:           _ZN7rocprim17ROCPRIM_400000_NS6detail17trampoline_kernelINS0_14default_configENS1_33run_length_encode_config_selectorIjjNS0_4plusIjEEEEZZNS1_33reduce_by_key_impl_wrapped_configILNS1_25lookback_scan_determinismE0ES3_S7_PKjNS0_17constant_iteratorIjlEEPjPlSF_S6_NS0_8equal_toIjEEEE10hipError_tPvRmT2_T3_mT4_T5_T6_T7_T8_P12ihipStream_tbENKUlT_T0_E_clISt17integral_constantIbLb0EESZ_EEDaSU_SV_EUlSU_E_NS1_11comp_targetILNS1_3genE0ELNS1_11target_archE4294967295ELNS1_3gpuE0ELNS1_3repE0EEENS1_30default_config_static_selectorELNS0_4arch9wavefront6targetE1EEEvT1_
    .private_segment_fixed_size: 0
    .sgpr_count:     6
    .sgpr_spill_count: 0
    .symbol:         _ZN7rocprim17ROCPRIM_400000_NS6detail17trampoline_kernelINS0_14default_configENS1_33run_length_encode_config_selectorIjjNS0_4plusIjEEEEZZNS1_33reduce_by_key_impl_wrapped_configILNS1_25lookback_scan_determinismE0ES3_S7_PKjNS0_17constant_iteratorIjlEEPjPlSF_S6_NS0_8equal_toIjEEEE10hipError_tPvRmT2_T3_mT4_T5_T6_T7_T8_P12ihipStream_tbENKUlT_T0_E_clISt17integral_constantIbLb0EESZ_EEDaSU_SV_EUlSU_E_NS1_11comp_targetILNS1_3genE0ELNS1_11target_archE4294967295ELNS1_3gpuE0ELNS1_3repE0EEENS1_30default_config_static_selectorELNS0_4arch9wavefront6targetE1EEEvT1_.kd
    .uniform_work_group_size: 1
    .uses_dynamic_stack: false
    .vgpr_count:     0
    .vgpr_spill_count: 0
    .wavefront_size: 64
  - .agpr_count:     0
    .args:
      - .offset:         0
        .size:           128
        .value_kind:     by_value
    .group_segment_fixed_size: 30720
    .kernarg_segment_align: 8
    .kernarg_segment_size: 128
    .language:       OpenCL C
    .language_version:
      - 2
      - 0
    .max_flat_workgroup_size: 512
    .name:           _ZN7rocprim17ROCPRIM_400000_NS6detail17trampoline_kernelINS0_14default_configENS1_33run_length_encode_config_selectorIjjNS0_4plusIjEEEEZZNS1_33reduce_by_key_impl_wrapped_configILNS1_25lookback_scan_determinismE0ES3_S7_PKjNS0_17constant_iteratorIjlEEPjPlSF_S6_NS0_8equal_toIjEEEE10hipError_tPvRmT2_T3_mT4_T5_T6_T7_T8_P12ihipStream_tbENKUlT_T0_E_clISt17integral_constantIbLb0EESZ_EEDaSU_SV_EUlSU_E_NS1_11comp_targetILNS1_3genE5ELNS1_11target_archE942ELNS1_3gpuE9ELNS1_3repE0EEENS1_30default_config_static_selectorELNS0_4arch9wavefront6targetE1EEEvT1_
    .private_segment_fixed_size: 0
    .sgpr_count:     70
    .sgpr_spill_count: 0
    .symbol:         _ZN7rocprim17ROCPRIM_400000_NS6detail17trampoline_kernelINS0_14default_configENS1_33run_length_encode_config_selectorIjjNS0_4plusIjEEEEZZNS1_33reduce_by_key_impl_wrapped_configILNS1_25lookback_scan_determinismE0ES3_S7_PKjNS0_17constant_iteratorIjlEEPjPlSF_S6_NS0_8equal_toIjEEEE10hipError_tPvRmT2_T3_mT4_T5_T6_T7_T8_P12ihipStream_tbENKUlT_T0_E_clISt17integral_constantIbLb0EESZ_EEDaSU_SV_EUlSU_E_NS1_11comp_targetILNS1_3genE5ELNS1_11target_archE942ELNS1_3gpuE9ELNS1_3repE0EEENS1_30default_config_static_selectorELNS0_4arch9wavefront6targetE1EEEvT1_.kd
    .uniform_work_group_size: 1
    .uses_dynamic_stack: false
    .vgpr_count:     104
    .vgpr_spill_count: 0
    .wavefront_size: 64
  - .agpr_count:     0
    .args:
      - .offset:         0
        .size:           128
        .value_kind:     by_value
    .group_segment_fixed_size: 0
    .kernarg_segment_align: 8
    .kernarg_segment_size: 128
    .language:       OpenCL C
    .language_version:
      - 2
      - 0
    .max_flat_workgroup_size: 256
    .name:           _ZN7rocprim17ROCPRIM_400000_NS6detail17trampoline_kernelINS0_14default_configENS1_33run_length_encode_config_selectorIjjNS0_4plusIjEEEEZZNS1_33reduce_by_key_impl_wrapped_configILNS1_25lookback_scan_determinismE0ES3_S7_PKjNS0_17constant_iteratorIjlEEPjPlSF_S6_NS0_8equal_toIjEEEE10hipError_tPvRmT2_T3_mT4_T5_T6_T7_T8_P12ihipStream_tbENKUlT_T0_E_clISt17integral_constantIbLb0EESZ_EEDaSU_SV_EUlSU_E_NS1_11comp_targetILNS1_3genE4ELNS1_11target_archE910ELNS1_3gpuE8ELNS1_3repE0EEENS1_30default_config_static_selectorELNS0_4arch9wavefront6targetE1EEEvT1_
    .private_segment_fixed_size: 0
    .sgpr_count:     6
    .sgpr_spill_count: 0
    .symbol:         _ZN7rocprim17ROCPRIM_400000_NS6detail17trampoline_kernelINS0_14default_configENS1_33run_length_encode_config_selectorIjjNS0_4plusIjEEEEZZNS1_33reduce_by_key_impl_wrapped_configILNS1_25lookback_scan_determinismE0ES3_S7_PKjNS0_17constant_iteratorIjlEEPjPlSF_S6_NS0_8equal_toIjEEEE10hipError_tPvRmT2_T3_mT4_T5_T6_T7_T8_P12ihipStream_tbENKUlT_T0_E_clISt17integral_constantIbLb0EESZ_EEDaSU_SV_EUlSU_E_NS1_11comp_targetILNS1_3genE4ELNS1_11target_archE910ELNS1_3gpuE8ELNS1_3repE0EEENS1_30default_config_static_selectorELNS0_4arch9wavefront6targetE1EEEvT1_.kd
    .uniform_work_group_size: 1
    .uses_dynamic_stack: false
    .vgpr_count:     0
    .vgpr_spill_count: 0
    .wavefront_size: 64
  - .agpr_count:     0
    .args:
      - .offset:         0
        .size:           128
        .value_kind:     by_value
    .group_segment_fixed_size: 0
    .kernarg_segment_align: 8
    .kernarg_segment_size: 128
    .language:       OpenCL C
    .language_version:
      - 2
      - 0
    .max_flat_workgroup_size: 256
    .name:           _ZN7rocprim17ROCPRIM_400000_NS6detail17trampoline_kernelINS0_14default_configENS1_33run_length_encode_config_selectorIjjNS0_4plusIjEEEEZZNS1_33reduce_by_key_impl_wrapped_configILNS1_25lookback_scan_determinismE0ES3_S7_PKjNS0_17constant_iteratorIjlEEPjPlSF_S6_NS0_8equal_toIjEEEE10hipError_tPvRmT2_T3_mT4_T5_T6_T7_T8_P12ihipStream_tbENKUlT_T0_E_clISt17integral_constantIbLb0EESZ_EEDaSU_SV_EUlSU_E_NS1_11comp_targetILNS1_3genE3ELNS1_11target_archE908ELNS1_3gpuE7ELNS1_3repE0EEENS1_30default_config_static_selectorELNS0_4arch9wavefront6targetE1EEEvT1_
    .private_segment_fixed_size: 0
    .sgpr_count:     6
    .sgpr_spill_count: 0
    .symbol:         _ZN7rocprim17ROCPRIM_400000_NS6detail17trampoline_kernelINS0_14default_configENS1_33run_length_encode_config_selectorIjjNS0_4plusIjEEEEZZNS1_33reduce_by_key_impl_wrapped_configILNS1_25lookback_scan_determinismE0ES3_S7_PKjNS0_17constant_iteratorIjlEEPjPlSF_S6_NS0_8equal_toIjEEEE10hipError_tPvRmT2_T3_mT4_T5_T6_T7_T8_P12ihipStream_tbENKUlT_T0_E_clISt17integral_constantIbLb0EESZ_EEDaSU_SV_EUlSU_E_NS1_11comp_targetILNS1_3genE3ELNS1_11target_archE908ELNS1_3gpuE7ELNS1_3repE0EEENS1_30default_config_static_selectorELNS0_4arch9wavefront6targetE1EEEvT1_.kd
    .uniform_work_group_size: 1
    .uses_dynamic_stack: false
    .vgpr_count:     0
    .vgpr_spill_count: 0
    .wavefront_size: 64
  - .agpr_count:     0
    .args:
      - .offset:         0
        .size:           128
        .value_kind:     by_value
    .group_segment_fixed_size: 0
    .kernarg_segment_align: 8
    .kernarg_segment_size: 128
    .language:       OpenCL C
    .language_version:
      - 2
      - 0
    .max_flat_workgroup_size: 256
    .name:           _ZN7rocprim17ROCPRIM_400000_NS6detail17trampoline_kernelINS0_14default_configENS1_33run_length_encode_config_selectorIjjNS0_4plusIjEEEEZZNS1_33reduce_by_key_impl_wrapped_configILNS1_25lookback_scan_determinismE0ES3_S7_PKjNS0_17constant_iteratorIjlEEPjPlSF_S6_NS0_8equal_toIjEEEE10hipError_tPvRmT2_T3_mT4_T5_T6_T7_T8_P12ihipStream_tbENKUlT_T0_E_clISt17integral_constantIbLb0EESZ_EEDaSU_SV_EUlSU_E_NS1_11comp_targetILNS1_3genE2ELNS1_11target_archE906ELNS1_3gpuE6ELNS1_3repE0EEENS1_30default_config_static_selectorELNS0_4arch9wavefront6targetE1EEEvT1_
    .private_segment_fixed_size: 0
    .sgpr_count:     6
    .sgpr_spill_count: 0
    .symbol:         _ZN7rocprim17ROCPRIM_400000_NS6detail17trampoline_kernelINS0_14default_configENS1_33run_length_encode_config_selectorIjjNS0_4plusIjEEEEZZNS1_33reduce_by_key_impl_wrapped_configILNS1_25lookback_scan_determinismE0ES3_S7_PKjNS0_17constant_iteratorIjlEEPjPlSF_S6_NS0_8equal_toIjEEEE10hipError_tPvRmT2_T3_mT4_T5_T6_T7_T8_P12ihipStream_tbENKUlT_T0_E_clISt17integral_constantIbLb0EESZ_EEDaSU_SV_EUlSU_E_NS1_11comp_targetILNS1_3genE2ELNS1_11target_archE906ELNS1_3gpuE6ELNS1_3repE0EEENS1_30default_config_static_selectorELNS0_4arch9wavefront6targetE1EEEvT1_.kd
    .uniform_work_group_size: 1
    .uses_dynamic_stack: false
    .vgpr_count:     0
    .vgpr_spill_count: 0
    .wavefront_size: 64
  - .agpr_count:     0
    .args:
      - .offset:         0
        .size:           128
        .value_kind:     by_value
    .group_segment_fixed_size: 0
    .kernarg_segment_align: 8
    .kernarg_segment_size: 128
    .language:       OpenCL C
    .language_version:
      - 2
      - 0
    .max_flat_workgroup_size: 384
    .name:           _ZN7rocprim17ROCPRIM_400000_NS6detail17trampoline_kernelINS0_14default_configENS1_33run_length_encode_config_selectorIjjNS0_4plusIjEEEEZZNS1_33reduce_by_key_impl_wrapped_configILNS1_25lookback_scan_determinismE0ES3_S7_PKjNS0_17constant_iteratorIjlEEPjPlSF_S6_NS0_8equal_toIjEEEE10hipError_tPvRmT2_T3_mT4_T5_T6_T7_T8_P12ihipStream_tbENKUlT_T0_E_clISt17integral_constantIbLb0EESZ_EEDaSU_SV_EUlSU_E_NS1_11comp_targetILNS1_3genE10ELNS1_11target_archE1201ELNS1_3gpuE5ELNS1_3repE0EEENS1_30default_config_static_selectorELNS0_4arch9wavefront6targetE1EEEvT1_
    .private_segment_fixed_size: 0
    .sgpr_count:     6
    .sgpr_spill_count: 0
    .symbol:         _ZN7rocprim17ROCPRIM_400000_NS6detail17trampoline_kernelINS0_14default_configENS1_33run_length_encode_config_selectorIjjNS0_4plusIjEEEEZZNS1_33reduce_by_key_impl_wrapped_configILNS1_25lookback_scan_determinismE0ES3_S7_PKjNS0_17constant_iteratorIjlEEPjPlSF_S6_NS0_8equal_toIjEEEE10hipError_tPvRmT2_T3_mT4_T5_T6_T7_T8_P12ihipStream_tbENKUlT_T0_E_clISt17integral_constantIbLb0EESZ_EEDaSU_SV_EUlSU_E_NS1_11comp_targetILNS1_3genE10ELNS1_11target_archE1201ELNS1_3gpuE5ELNS1_3repE0EEENS1_30default_config_static_selectorELNS0_4arch9wavefront6targetE1EEEvT1_.kd
    .uniform_work_group_size: 1
    .uses_dynamic_stack: false
    .vgpr_count:     0
    .vgpr_spill_count: 0
    .wavefront_size: 64
  - .agpr_count:     0
    .args:
      - .offset:         0
        .size:           128
        .value_kind:     by_value
    .group_segment_fixed_size: 0
    .kernarg_segment_align: 8
    .kernarg_segment_size: 128
    .language:       OpenCL C
    .language_version:
      - 2
      - 0
    .max_flat_workgroup_size: 256
    .name:           _ZN7rocprim17ROCPRIM_400000_NS6detail17trampoline_kernelINS0_14default_configENS1_33run_length_encode_config_selectorIjjNS0_4plusIjEEEEZZNS1_33reduce_by_key_impl_wrapped_configILNS1_25lookback_scan_determinismE0ES3_S7_PKjNS0_17constant_iteratorIjlEEPjPlSF_S6_NS0_8equal_toIjEEEE10hipError_tPvRmT2_T3_mT4_T5_T6_T7_T8_P12ihipStream_tbENKUlT_T0_E_clISt17integral_constantIbLb0EESZ_EEDaSU_SV_EUlSU_E_NS1_11comp_targetILNS1_3genE10ELNS1_11target_archE1200ELNS1_3gpuE4ELNS1_3repE0EEENS1_30default_config_static_selectorELNS0_4arch9wavefront6targetE1EEEvT1_
    .private_segment_fixed_size: 0
    .sgpr_count:     6
    .sgpr_spill_count: 0
    .symbol:         _ZN7rocprim17ROCPRIM_400000_NS6detail17trampoline_kernelINS0_14default_configENS1_33run_length_encode_config_selectorIjjNS0_4plusIjEEEEZZNS1_33reduce_by_key_impl_wrapped_configILNS1_25lookback_scan_determinismE0ES3_S7_PKjNS0_17constant_iteratorIjlEEPjPlSF_S6_NS0_8equal_toIjEEEE10hipError_tPvRmT2_T3_mT4_T5_T6_T7_T8_P12ihipStream_tbENKUlT_T0_E_clISt17integral_constantIbLb0EESZ_EEDaSU_SV_EUlSU_E_NS1_11comp_targetILNS1_3genE10ELNS1_11target_archE1200ELNS1_3gpuE4ELNS1_3repE0EEENS1_30default_config_static_selectorELNS0_4arch9wavefront6targetE1EEEvT1_.kd
    .uniform_work_group_size: 1
    .uses_dynamic_stack: false
    .vgpr_count:     0
    .vgpr_spill_count: 0
    .wavefront_size: 64
  - .agpr_count:     0
    .args:
      - .offset:         0
        .size:           128
        .value_kind:     by_value
    .group_segment_fixed_size: 0
    .kernarg_segment_align: 8
    .kernarg_segment_size: 128
    .language:       OpenCL C
    .language_version:
      - 2
      - 0
    .max_flat_workgroup_size: 512
    .name:           _ZN7rocprim17ROCPRIM_400000_NS6detail17trampoline_kernelINS0_14default_configENS1_33run_length_encode_config_selectorIjjNS0_4plusIjEEEEZZNS1_33reduce_by_key_impl_wrapped_configILNS1_25lookback_scan_determinismE0ES3_S7_PKjNS0_17constant_iteratorIjlEEPjPlSF_S6_NS0_8equal_toIjEEEE10hipError_tPvRmT2_T3_mT4_T5_T6_T7_T8_P12ihipStream_tbENKUlT_T0_E_clISt17integral_constantIbLb0EESZ_EEDaSU_SV_EUlSU_E_NS1_11comp_targetILNS1_3genE9ELNS1_11target_archE1100ELNS1_3gpuE3ELNS1_3repE0EEENS1_30default_config_static_selectorELNS0_4arch9wavefront6targetE1EEEvT1_
    .private_segment_fixed_size: 0
    .sgpr_count:     6
    .sgpr_spill_count: 0
    .symbol:         _ZN7rocprim17ROCPRIM_400000_NS6detail17trampoline_kernelINS0_14default_configENS1_33run_length_encode_config_selectorIjjNS0_4plusIjEEEEZZNS1_33reduce_by_key_impl_wrapped_configILNS1_25lookback_scan_determinismE0ES3_S7_PKjNS0_17constant_iteratorIjlEEPjPlSF_S6_NS0_8equal_toIjEEEE10hipError_tPvRmT2_T3_mT4_T5_T6_T7_T8_P12ihipStream_tbENKUlT_T0_E_clISt17integral_constantIbLb0EESZ_EEDaSU_SV_EUlSU_E_NS1_11comp_targetILNS1_3genE9ELNS1_11target_archE1100ELNS1_3gpuE3ELNS1_3repE0EEENS1_30default_config_static_selectorELNS0_4arch9wavefront6targetE1EEEvT1_.kd
    .uniform_work_group_size: 1
    .uses_dynamic_stack: false
    .vgpr_count:     0
    .vgpr_spill_count: 0
    .wavefront_size: 64
  - .agpr_count:     0
    .args:
      - .offset:         0
        .size:           128
        .value_kind:     by_value
    .group_segment_fixed_size: 0
    .kernarg_segment_align: 8
    .kernarg_segment_size: 128
    .language:       OpenCL C
    .language_version:
      - 2
      - 0
    .max_flat_workgroup_size: 192
    .name:           _ZN7rocprim17ROCPRIM_400000_NS6detail17trampoline_kernelINS0_14default_configENS1_33run_length_encode_config_selectorIjjNS0_4plusIjEEEEZZNS1_33reduce_by_key_impl_wrapped_configILNS1_25lookback_scan_determinismE0ES3_S7_PKjNS0_17constant_iteratorIjlEEPjPlSF_S6_NS0_8equal_toIjEEEE10hipError_tPvRmT2_T3_mT4_T5_T6_T7_T8_P12ihipStream_tbENKUlT_T0_E_clISt17integral_constantIbLb0EESZ_EEDaSU_SV_EUlSU_E_NS1_11comp_targetILNS1_3genE8ELNS1_11target_archE1030ELNS1_3gpuE2ELNS1_3repE0EEENS1_30default_config_static_selectorELNS0_4arch9wavefront6targetE1EEEvT1_
    .private_segment_fixed_size: 0
    .sgpr_count:     6
    .sgpr_spill_count: 0
    .symbol:         _ZN7rocprim17ROCPRIM_400000_NS6detail17trampoline_kernelINS0_14default_configENS1_33run_length_encode_config_selectorIjjNS0_4plusIjEEEEZZNS1_33reduce_by_key_impl_wrapped_configILNS1_25lookback_scan_determinismE0ES3_S7_PKjNS0_17constant_iteratorIjlEEPjPlSF_S6_NS0_8equal_toIjEEEE10hipError_tPvRmT2_T3_mT4_T5_T6_T7_T8_P12ihipStream_tbENKUlT_T0_E_clISt17integral_constantIbLb0EESZ_EEDaSU_SV_EUlSU_E_NS1_11comp_targetILNS1_3genE8ELNS1_11target_archE1030ELNS1_3gpuE2ELNS1_3repE0EEENS1_30default_config_static_selectorELNS0_4arch9wavefront6targetE1EEEvT1_.kd
    .uniform_work_group_size: 1
    .uses_dynamic_stack: false
    .vgpr_count:     0
    .vgpr_spill_count: 0
    .wavefront_size: 64
  - .agpr_count:     0
    .args:
      - .offset:         0
        .size:           128
        .value_kind:     by_value
    .group_segment_fixed_size: 0
    .kernarg_segment_align: 8
    .kernarg_segment_size: 128
    .language:       OpenCL C
    .language_version:
      - 2
      - 0
    .max_flat_workgroup_size: 256
    .name:           _ZN7rocprim17ROCPRIM_400000_NS6detail17trampoline_kernelINS0_14default_configENS1_33run_length_encode_config_selectorIjjNS0_4plusIjEEEEZZNS1_33reduce_by_key_impl_wrapped_configILNS1_25lookback_scan_determinismE0ES3_S7_PKjNS0_17constant_iteratorIjlEEPjPlSF_S6_NS0_8equal_toIjEEEE10hipError_tPvRmT2_T3_mT4_T5_T6_T7_T8_P12ihipStream_tbENKUlT_T0_E_clISt17integral_constantIbLb1EESZ_EEDaSU_SV_EUlSU_E_NS1_11comp_targetILNS1_3genE0ELNS1_11target_archE4294967295ELNS1_3gpuE0ELNS1_3repE0EEENS1_30default_config_static_selectorELNS0_4arch9wavefront6targetE1EEEvT1_
    .private_segment_fixed_size: 0
    .sgpr_count:     6
    .sgpr_spill_count: 0
    .symbol:         _ZN7rocprim17ROCPRIM_400000_NS6detail17trampoline_kernelINS0_14default_configENS1_33run_length_encode_config_selectorIjjNS0_4plusIjEEEEZZNS1_33reduce_by_key_impl_wrapped_configILNS1_25lookback_scan_determinismE0ES3_S7_PKjNS0_17constant_iteratorIjlEEPjPlSF_S6_NS0_8equal_toIjEEEE10hipError_tPvRmT2_T3_mT4_T5_T6_T7_T8_P12ihipStream_tbENKUlT_T0_E_clISt17integral_constantIbLb1EESZ_EEDaSU_SV_EUlSU_E_NS1_11comp_targetILNS1_3genE0ELNS1_11target_archE4294967295ELNS1_3gpuE0ELNS1_3repE0EEENS1_30default_config_static_selectorELNS0_4arch9wavefront6targetE1EEEvT1_.kd
    .uniform_work_group_size: 1
    .uses_dynamic_stack: false
    .vgpr_count:     0
    .vgpr_spill_count: 0
    .wavefront_size: 64
  - .agpr_count:     0
    .args:
      - .offset:         0
        .size:           128
        .value_kind:     by_value
    .group_segment_fixed_size: 30720
    .kernarg_segment_align: 8
    .kernarg_segment_size: 128
    .language:       OpenCL C
    .language_version:
      - 2
      - 0
    .max_flat_workgroup_size: 512
    .name:           _ZN7rocprim17ROCPRIM_400000_NS6detail17trampoline_kernelINS0_14default_configENS1_33run_length_encode_config_selectorIjjNS0_4plusIjEEEEZZNS1_33reduce_by_key_impl_wrapped_configILNS1_25lookback_scan_determinismE0ES3_S7_PKjNS0_17constant_iteratorIjlEEPjPlSF_S6_NS0_8equal_toIjEEEE10hipError_tPvRmT2_T3_mT4_T5_T6_T7_T8_P12ihipStream_tbENKUlT_T0_E_clISt17integral_constantIbLb1EESZ_EEDaSU_SV_EUlSU_E_NS1_11comp_targetILNS1_3genE5ELNS1_11target_archE942ELNS1_3gpuE9ELNS1_3repE0EEENS1_30default_config_static_selectorELNS0_4arch9wavefront6targetE1EEEvT1_
    .private_segment_fixed_size: 0
    .sgpr_count:     72
    .sgpr_spill_count: 0
    .symbol:         _ZN7rocprim17ROCPRIM_400000_NS6detail17trampoline_kernelINS0_14default_configENS1_33run_length_encode_config_selectorIjjNS0_4plusIjEEEEZZNS1_33reduce_by_key_impl_wrapped_configILNS1_25lookback_scan_determinismE0ES3_S7_PKjNS0_17constant_iteratorIjlEEPjPlSF_S6_NS0_8equal_toIjEEEE10hipError_tPvRmT2_T3_mT4_T5_T6_T7_T8_P12ihipStream_tbENKUlT_T0_E_clISt17integral_constantIbLb1EESZ_EEDaSU_SV_EUlSU_E_NS1_11comp_targetILNS1_3genE5ELNS1_11target_archE942ELNS1_3gpuE9ELNS1_3repE0EEENS1_30default_config_static_selectorELNS0_4arch9wavefront6targetE1EEEvT1_.kd
    .uniform_work_group_size: 1
    .uses_dynamic_stack: false
    .vgpr_count:     104
    .vgpr_spill_count: 0
    .wavefront_size: 64
  - .agpr_count:     0
    .args:
      - .offset:         0
        .size:           128
        .value_kind:     by_value
    .group_segment_fixed_size: 0
    .kernarg_segment_align: 8
    .kernarg_segment_size: 128
    .language:       OpenCL C
    .language_version:
      - 2
      - 0
    .max_flat_workgroup_size: 256
    .name:           _ZN7rocprim17ROCPRIM_400000_NS6detail17trampoline_kernelINS0_14default_configENS1_33run_length_encode_config_selectorIjjNS0_4plusIjEEEEZZNS1_33reduce_by_key_impl_wrapped_configILNS1_25lookback_scan_determinismE0ES3_S7_PKjNS0_17constant_iteratorIjlEEPjPlSF_S6_NS0_8equal_toIjEEEE10hipError_tPvRmT2_T3_mT4_T5_T6_T7_T8_P12ihipStream_tbENKUlT_T0_E_clISt17integral_constantIbLb1EESZ_EEDaSU_SV_EUlSU_E_NS1_11comp_targetILNS1_3genE4ELNS1_11target_archE910ELNS1_3gpuE8ELNS1_3repE0EEENS1_30default_config_static_selectorELNS0_4arch9wavefront6targetE1EEEvT1_
    .private_segment_fixed_size: 0
    .sgpr_count:     6
    .sgpr_spill_count: 0
    .symbol:         _ZN7rocprim17ROCPRIM_400000_NS6detail17trampoline_kernelINS0_14default_configENS1_33run_length_encode_config_selectorIjjNS0_4plusIjEEEEZZNS1_33reduce_by_key_impl_wrapped_configILNS1_25lookback_scan_determinismE0ES3_S7_PKjNS0_17constant_iteratorIjlEEPjPlSF_S6_NS0_8equal_toIjEEEE10hipError_tPvRmT2_T3_mT4_T5_T6_T7_T8_P12ihipStream_tbENKUlT_T0_E_clISt17integral_constantIbLb1EESZ_EEDaSU_SV_EUlSU_E_NS1_11comp_targetILNS1_3genE4ELNS1_11target_archE910ELNS1_3gpuE8ELNS1_3repE0EEENS1_30default_config_static_selectorELNS0_4arch9wavefront6targetE1EEEvT1_.kd
    .uniform_work_group_size: 1
    .uses_dynamic_stack: false
    .vgpr_count:     0
    .vgpr_spill_count: 0
    .wavefront_size: 64
  - .agpr_count:     0
    .args:
      - .offset:         0
        .size:           128
        .value_kind:     by_value
    .group_segment_fixed_size: 0
    .kernarg_segment_align: 8
    .kernarg_segment_size: 128
    .language:       OpenCL C
    .language_version:
      - 2
      - 0
    .max_flat_workgroup_size: 256
    .name:           _ZN7rocprim17ROCPRIM_400000_NS6detail17trampoline_kernelINS0_14default_configENS1_33run_length_encode_config_selectorIjjNS0_4plusIjEEEEZZNS1_33reduce_by_key_impl_wrapped_configILNS1_25lookback_scan_determinismE0ES3_S7_PKjNS0_17constant_iteratorIjlEEPjPlSF_S6_NS0_8equal_toIjEEEE10hipError_tPvRmT2_T3_mT4_T5_T6_T7_T8_P12ihipStream_tbENKUlT_T0_E_clISt17integral_constantIbLb1EESZ_EEDaSU_SV_EUlSU_E_NS1_11comp_targetILNS1_3genE3ELNS1_11target_archE908ELNS1_3gpuE7ELNS1_3repE0EEENS1_30default_config_static_selectorELNS0_4arch9wavefront6targetE1EEEvT1_
    .private_segment_fixed_size: 0
    .sgpr_count:     6
    .sgpr_spill_count: 0
    .symbol:         _ZN7rocprim17ROCPRIM_400000_NS6detail17trampoline_kernelINS0_14default_configENS1_33run_length_encode_config_selectorIjjNS0_4plusIjEEEEZZNS1_33reduce_by_key_impl_wrapped_configILNS1_25lookback_scan_determinismE0ES3_S7_PKjNS0_17constant_iteratorIjlEEPjPlSF_S6_NS0_8equal_toIjEEEE10hipError_tPvRmT2_T3_mT4_T5_T6_T7_T8_P12ihipStream_tbENKUlT_T0_E_clISt17integral_constantIbLb1EESZ_EEDaSU_SV_EUlSU_E_NS1_11comp_targetILNS1_3genE3ELNS1_11target_archE908ELNS1_3gpuE7ELNS1_3repE0EEENS1_30default_config_static_selectorELNS0_4arch9wavefront6targetE1EEEvT1_.kd
    .uniform_work_group_size: 1
    .uses_dynamic_stack: false
    .vgpr_count:     0
    .vgpr_spill_count: 0
    .wavefront_size: 64
  - .agpr_count:     0
    .args:
      - .offset:         0
        .size:           128
        .value_kind:     by_value
    .group_segment_fixed_size: 0
    .kernarg_segment_align: 8
    .kernarg_segment_size: 128
    .language:       OpenCL C
    .language_version:
      - 2
      - 0
    .max_flat_workgroup_size: 256
    .name:           _ZN7rocprim17ROCPRIM_400000_NS6detail17trampoline_kernelINS0_14default_configENS1_33run_length_encode_config_selectorIjjNS0_4plusIjEEEEZZNS1_33reduce_by_key_impl_wrapped_configILNS1_25lookback_scan_determinismE0ES3_S7_PKjNS0_17constant_iteratorIjlEEPjPlSF_S6_NS0_8equal_toIjEEEE10hipError_tPvRmT2_T3_mT4_T5_T6_T7_T8_P12ihipStream_tbENKUlT_T0_E_clISt17integral_constantIbLb1EESZ_EEDaSU_SV_EUlSU_E_NS1_11comp_targetILNS1_3genE2ELNS1_11target_archE906ELNS1_3gpuE6ELNS1_3repE0EEENS1_30default_config_static_selectorELNS0_4arch9wavefront6targetE1EEEvT1_
    .private_segment_fixed_size: 0
    .sgpr_count:     6
    .sgpr_spill_count: 0
    .symbol:         _ZN7rocprim17ROCPRIM_400000_NS6detail17trampoline_kernelINS0_14default_configENS1_33run_length_encode_config_selectorIjjNS0_4plusIjEEEEZZNS1_33reduce_by_key_impl_wrapped_configILNS1_25lookback_scan_determinismE0ES3_S7_PKjNS0_17constant_iteratorIjlEEPjPlSF_S6_NS0_8equal_toIjEEEE10hipError_tPvRmT2_T3_mT4_T5_T6_T7_T8_P12ihipStream_tbENKUlT_T0_E_clISt17integral_constantIbLb1EESZ_EEDaSU_SV_EUlSU_E_NS1_11comp_targetILNS1_3genE2ELNS1_11target_archE906ELNS1_3gpuE6ELNS1_3repE0EEENS1_30default_config_static_selectorELNS0_4arch9wavefront6targetE1EEEvT1_.kd
    .uniform_work_group_size: 1
    .uses_dynamic_stack: false
    .vgpr_count:     0
    .vgpr_spill_count: 0
    .wavefront_size: 64
  - .agpr_count:     0
    .args:
      - .offset:         0
        .size:           128
        .value_kind:     by_value
    .group_segment_fixed_size: 0
    .kernarg_segment_align: 8
    .kernarg_segment_size: 128
    .language:       OpenCL C
    .language_version:
      - 2
      - 0
    .max_flat_workgroup_size: 384
    .name:           _ZN7rocprim17ROCPRIM_400000_NS6detail17trampoline_kernelINS0_14default_configENS1_33run_length_encode_config_selectorIjjNS0_4plusIjEEEEZZNS1_33reduce_by_key_impl_wrapped_configILNS1_25lookback_scan_determinismE0ES3_S7_PKjNS0_17constant_iteratorIjlEEPjPlSF_S6_NS0_8equal_toIjEEEE10hipError_tPvRmT2_T3_mT4_T5_T6_T7_T8_P12ihipStream_tbENKUlT_T0_E_clISt17integral_constantIbLb1EESZ_EEDaSU_SV_EUlSU_E_NS1_11comp_targetILNS1_3genE10ELNS1_11target_archE1201ELNS1_3gpuE5ELNS1_3repE0EEENS1_30default_config_static_selectorELNS0_4arch9wavefront6targetE1EEEvT1_
    .private_segment_fixed_size: 0
    .sgpr_count:     6
    .sgpr_spill_count: 0
    .symbol:         _ZN7rocprim17ROCPRIM_400000_NS6detail17trampoline_kernelINS0_14default_configENS1_33run_length_encode_config_selectorIjjNS0_4plusIjEEEEZZNS1_33reduce_by_key_impl_wrapped_configILNS1_25lookback_scan_determinismE0ES3_S7_PKjNS0_17constant_iteratorIjlEEPjPlSF_S6_NS0_8equal_toIjEEEE10hipError_tPvRmT2_T3_mT4_T5_T6_T7_T8_P12ihipStream_tbENKUlT_T0_E_clISt17integral_constantIbLb1EESZ_EEDaSU_SV_EUlSU_E_NS1_11comp_targetILNS1_3genE10ELNS1_11target_archE1201ELNS1_3gpuE5ELNS1_3repE0EEENS1_30default_config_static_selectorELNS0_4arch9wavefront6targetE1EEEvT1_.kd
    .uniform_work_group_size: 1
    .uses_dynamic_stack: false
    .vgpr_count:     0
    .vgpr_spill_count: 0
    .wavefront_size: 64
  - .agpr_count:     0
    .args:
      - .offset:         0
        .size:           128
        .value_kind:     by_value
    .group_segment_fixed_size: 0
    .kernarg_segment_align: 8
    .kernarg_segment_size: 128
    .language:       OpenCL C
    .language_version:
      - 2
      - 0
    .max_flat_workgroup_size: 256
    .name:           _ZN7rocprim17ROCPRIM_400000_NS6detail17trampoline_kernelINS0_14default_configENS1_33run_length_encode_config_selectorIjjNS0_4plusIjEEEEZZNS1_33reduce_by_key_impl_wrapped_configILNS1_25lookback_scan_determinismE0ES3_S7_PKjNS0_17constant_iteratorIjlEEPjPlSF_S6_NS0_8equal_toIjEEEE10hipError_tPvRmT2_T3_mT4_T5_T6_T7_T8_P12ihipStream_tbENKUlT_T0_E_clISt17integral_constantIbLb1EESZ_EEDaSU_SV_EUlSU_E_NS1_11comp_targetILNS1_3genE10ELNS1_11target_archE1200ELNS1_3gpuE4ELNS1_3repE0EEENS1_30default_config_static_selectorELNS0_4arch9wavefront6targetE1EEEvT1_
    .private_segment_fixed_size: 0
    .sgpr_count:     6
    .sgpr_spill_count: 0
    .symbol:         _ZN7rocprim17ROCPRIM_400000_NS6detail17trampoline_kernelINS0_14default_configENS1_33run_length_encode_config_selectorIjjNS0_4plusIjEEEEZZNS1_33reduce_by_key_impl_wrapped_configILNS1_25lookback_scan_determinismE0ES3_S7_PKjNS0_17constant_iteratorIjlEEPjPlSF_S6_NS0_8equal_toIjEEEE10hipError_tPvRmT2_T3_mT4_T5_T6_T7_T8_P12ihipStream_tbENKUlT_T0_E_clISt17integral_constantIbLb1EESZ_EEDaSU_SV_EUlSU_E_NS1_11comp_targetILNS1_3genE10ELNS1_11target_archE1200ELNS1_3gpuE4ELNS1_3repE0EEENS1_30default_config_static_selectorELNS0_4arch9wavefront6targetE1EEEvT1_.kd
    .uniform_work_group_size: 1
    .uses_dynamic_stack: false
    .vgpr_count:     0
    .vgpr_spill_count: 0
    .wavefront_size: 64
  - .agpr_count:     0
    .args:
      - .offset:         0
        .size:           128
        .value_kind:     by_value
    .group_segment_fixed_size: 0
    .kernarg_segment_align: 8
    .kernarg_segment_size: 128
    .language:       OpenCL C
    .language_version:
      - 2
      - 0
    .max_flat_workgroup_size: 512
    .name:           _ZN7rocprim17ROCPRIM_400000_NS6detail17trampoline_kernelINS0_14default_configENS1_33run_length_encode_config_selectorIjjNS0_4plusIjEEEEZZNS1_33reduce_by_key_impl_wrapped_configILNS1_25lookback_scan_determinismE0ES3_S7_PKjNS0_17constant_iteratorIjlEEPjPlSF_S6_NS0_8equal_toIjEEEE10hipError_tPvRmT2_T3_mT4_T5_T6_T7_T8_P12ihipStream_tbENKUlT_T0_E_clISt17integral_constantIbLb1EESZ_EEDaSU_SV_EUlSU_E_NS1_11comp_targetILNS1_3genE9ELNS1_11target_archE1100ELNS1_3gpuE3ELNS1_3repE0EEENS1_30default_config_static_selectorELNS0_4arch9wavefront6targetE1EEEvT1_
    .private_segment_fixed_size: 0
    .sgpr_count:     6
    .sgpr_spill_count: 0
    .symbol:         _ZN7rocprim17ROCPRIM_400000_NS6detail17trampoline_kernelINS0_14default_configENS1_33run_length_encode_config_selectorIjjNS0_4plusIjEEEEZZNS1_33reduce_by_key_impl_wrapped_configILNS1_25lookback_scan_determinismE0ES3_S7_PKjNS0_17constant_iteratorIjlEEPjPlSF_S6_NS0_8equal_toIjEEEE10hipError_tPvRmT2_T3_mT4_T5_T6_T7_T8_P12ihipStream_tbENKUlT_T0_E_clISt17integral_constantIbLb1EESZ_EEDaSU_SV_EUlSU_E_NS1_11comp_targetILNS1_3genE9ELNS1_11target_archE1100ELNS1_3gpuE3ELNS1_3repE0EEENS1_30default_config_static_selectorELNS0_4arch9wavefront6targetE1EEEvT1_.kd
    .uniform_work_group_size: 1
    .uses_dynamic_stack: false
    .vgpr_count:     0
    .vgpr_spill_count: 0
    .wavefront_size: 64
  - .agpr_count:     0
    .args:
      - .offset:         0
        .size:           128
        .value_kind:     by_value
    .group_segment_fixed_size: 0
    .kernarg_segment_align: 8
    .kernarg_segment_size: 128
    .language:       OpenCL C
    .language_version:
      - 2
      - 0
    .max_flat_workgroup_size: 192
    .name:           _ZN7rocprim17ROCPRIM_400000_NS6detail17trampoline_kernelINS0_14default_configENS1_33run_length_encode_config_selectorIjjNS0_4plusIjEEEEZZNS1_33reduce_by_key_impl_wrapped_configILNS1_25lookback_scan_determinismE0ES3_S7_PKjNS0_17constant_iteratorIjlEEPjPlSF_S6_NS0_8equal_toIjEEEE10hipError_tPvRmT2_T3_mT4_T5_T6_T7_T8_P12ihipStream_tbENKUlT_T0_E_clISt17integral_constantIbLb1EESZ_EEDaSU_SV_EUlSU_E_NS1_11comp_targetILNS1_3genE8ELNS1_11target_archE1030ELNS1_3gpuE2ELNS1_3repE0EEENS1_30default_config_static_selectorELNS0_4arch9wavefront6targetE1EEEvT1_
    .private_segment_fixed_size: 0
    .sgpr_count:     6
    .sgpr_spill_count: 0
    .symbol:         _ZN7rocprim17ROCPRIM_400000_NS6detail17trampoline_kernelINS0_14default_configENS1_33run_length_encode_config_selectorIjjNS0_4plusIjEEEEZZNS1_33reduce_by_key_impl_wrapped_configILNS1_25lookback_scan_determinismE0ES3_S7_PKjNS0_17constant_iteratorIjlEEPjPlSF_S6_NS0_8equal_toIjEEEE10hipError_tPvRmT2_T3_mT4_T5_T6_T7_T8_P12ihipStream_tbENKUlT_T0_E_clISt17integral_constantIbLb1EESZ_EEDaSU_SV_EUlSU_E_NS1_11comp_targetILNS1_3genE8ELNS1_11target_archE1030ELNS1_3gpuE2ELNS1_3repE0EEENS1_30default_config_static_selectorELNS0_4arch9wavefront6targetE1EEEvT1_.kd
    .uniform_work_group_size: 1
    .uses_dynamic_stack: false
    .vgpr_count:     0
    .vgpr_spill_count: 0
    .wavefront_size: 64
  - .agpr_count:     0
    .args:
      - .offset:         0
        .size:           128
        .value_kind:     by_value
    .group_segment_fixed_size: 0
    .kernarg_segment_align: 8
    .kernarg_segment_size: 128
    .language:       OpenCL C
    .language_version:
      - 2
      - 0
    .max_flat_workgroup_size: 256
    .name:           _ZN7rocprim17ROCPRIM_400000_NS6detail17trampoline_kernelINS0_14default_configENS1_33run_length_encode_config_selectorIjjNS0_4plusIjEEEEZZNS1_33reduce_by_key_impl_wrapped_configILNS1_25lookback_scan_determinismE0ES3_S7_PKjNS0_17constant_iteratorIjlEEPjPlSF_S6_NS0_8equal_toIjEEEE10hipError_tPvRmT2_T3_mT4_T5_T6_T7_T8_P12ihipStream_tbENKUlT_T0_E_clISt17integral_constantIbLb1EESY_IbLb0EEEEDaSU_SV_EUlSU_E_NS1_11comp_targetILNS1_3genE0ELNS1_11target_archE4294967295ELNS1_3gpuE0ELNS1_3repE0EEENS1_30default_config_static_selectorELNS0_4arch9wavefront6targetE1EEEvT1_
    .private_segment_fixed_size: 0
    .sgpr_count:     6
    .sgpr_spill_count: 0
    .symbol:         _ZN7rocprim17ROCPRIM_400000_NS6detail17trampoline_kernelINS0_14default_configENS1_33run_length_encode_config_selectorIjjNS0_4plusIjEEEEZZNS1_33reduce_by_key_impl_wrapped_configILNS1_25lookback_scan_determinismE0ES3_S7_PKjNS0_17constant_iteratorIjlEEPjPlSF_S6_NS0_8equal_toIjEEEE10hipError_tPvRmT2_T3_mT4_T5_T6_T7_T8_P12ihipStream_tbENKUlT_T0_E_clISt17integral_constantIbLb1EESY_IbLb0EEEEDaSU_SV_EUlSU_E_NS1_11comp_targetILNS1_3genE0ELNS1_11target_archE4294967295ELNS1_3gpuE0ELNS1_3repE0EEENS1_30default_config_static_selectorELNS0_4arch9wavefront6targetE1EEEvT1_.kd
    .uniform_work_group_size: 1
    .uses_dynamic_stack: false
    .vgpr_count:     0
    .vgpr_spill_count: 0
    .wavefront_size: 64
  - .agpr_count:     0
    .args:
      - .offset:         0
        .size:           128
        .value_kind:     by_value
    .group_segment_fixed_size: 30720
    .kernarg_segment_align: 8
    .kernarg_segment_size: 128
    .language:       OpenCL C
    .language_version:
      - 2
      - 0
    .max_flat_workgroup_size: 512
    .name:           _ZN7rocprim17ROCPRIM_400000_NS6detail17trampoline_kernelINS0_14default_configENS1_33run_length_encode_config_selectorIjjNS0_4plusIjEEEEZZNS1_33reduce_by_key_impl_wrapped_configILNS1_25lookback_scan_determinismE0ES3_S7_PKjNS0_17constant_iteratorIjlEEPjPlSF_S6_NS0_8equal_toIjEEEE10hipError_tPvRmT2_T3_mT4_T5_T6_T7_T8_P12ihipStream_tbENKUlT_T0_E_clISt17integral_constantIbLb1EESY_IbLb0EEEEDaSU_SV_EUlSU_E_NS1_11comp_targetILNS1_3genE5ELNS1_11target_archE942ELNS1_3gpuE9ELNS1_3repE0EEENS1_30default_config_static_selectorELNS0_4arch9wavefront6targetE1EEEvT1_
    .private_segment_fixed_size: 0
    .sgpr_count:     70
    .sgpr_spill_count: 0
    .symbol:         _ZN7rocprim17ROCPRIM_400000_NS6detail17trampoline_kernelINS0_14default_configENS1_33run_length_encode_config_selectorIjjNS0_4plusIjEEEEZZNS1_33reduce_by_key_impl_wrapped_configILNS1_25lookback_scan_determinismE0ES3_S7_PKjNS0_17constant_iteratorIjlEEPjPlSF_S6_NS0_8equal_toIjEEEE10hipError_tPvRmT2_T3_mT4_T5_T6_T7_T8_P12ihipStream_tbENKUlT_T0_E_clISt17integral_constantIbLb1EESY_IbLb0EEEEDaSU_SV_EUlSU_E_NS1_11comp_targetILNS1_3genE5ELNS1_11target_archE942ELNS1_3gpuE9ELNS1_3repE0EEENS1_30default_config_static_selectorELNS0_4arch9wavefront6targetE1EEEvT1_.kd
    .uniform_work_group_size: 1
    .uses_dynamic_stack: false
    .vgpr_count:     104
    .vgpr_spill_count: 0
    .wavefront_size: 64
  - .agpr_count:     0
    .args:
      - .offset:         0
        .size:           128
        .value_kind:     by_value
    .group_segment_fixed_size: 0
    .kernarg_segment_align: 8
    .kernarg_segment_size: 128
    .language:       OpenCL C
    .language_version:
      - 2
      - 0
    .max_flat_workgroup_size: 256
    .name:           _ZN7rocprim17ROCPRIM_400000_NS6detail17trampoline_kernelINS0_14default_configENS1_33run_length_encode_config_selectorIjjNS0_4plusIjEEEEZZNS1_33reduce_by_key_impl_wrapped_configILNS1_25lookback_scan_determinismE0ES3_S7_PKjNS0_17constant_iteratorIjlEEPjPlSF_S6_NS0_8equal_toIjEEEE10hipError_tPvRmT2_T3_mT4_T5_T6_T7_T8_P12ihipStream_tbENKUlT_T0_E_clISt17integral_constantIbLb1EESY_IbLb0EEEEDaSU_SV_EUlSU_E_NS1_11comp_targetILNS1_3genE4ELNS1_11target_archE910ELNS1_3gpuE8ELNS1_3repE0EEENS1_30default_config_static_selectorELNS0_4arch9wavefront6targetE1EEEvT1_
    .private_segment_fixed_size: 0
    .sgpr_count:     6
    .sgpr_spill_count: 0
    .symbol:         _ZN7rocprim17ROCPRIM_400000_NS6detail17trampoline_kernelINS0_14default_configENS1_33run_length_encode_config_selectorIjjNS0_4plusIjEEEEZZNS1_33reduce_by_key_impl_wrapped_configILNS1_25lookback_scan_determinismE0ES3_S7_PKjNS0_17constant_iteratorIjlEEPjPlSF_S6_NS0_8equal_toIjEEEE10hipError_tPvRmT2_T3_mT4_T5_T6_T7_T8_P12ihipStream_tbENKUlT_T0_E_clISt17integral_constantIbLb1EESY_IbLb0EEEEDaSU_SV_EUlSU_E_NS1_11comp_targetILNS1_3genE4ELNS1_11target_archE910ELNS1_3gpuE8ELNS1_3repE0EEENS1_30default_config_static_selectorELNS0_4arch9wavefront6targetE1EEEvT1_.kd
    .uniform_work_group_size: 1
    .uses_dynamic_stack: false
    .vgpr_count:     0
    .vgpr_spill_count: 0
    .wavefront_size: 64
  - .agpr_count:     0
    .args:
      - .offset:         0
        .size:           128
        .value_kind:     by_value
    .group_segment_fixed_size: 0
    .kernarg_segment_align: 8
    .kernarg_segment_size: 128
    .language:       OpenCL C
    .language_version:
      - 2
      - 0
    .max_flat_workgroup_size: 256
    .name:           _ZN7rocprim17ROCPRIM_400000_NS6detail17trampoline_kernelINS0_14default_configENS1_33run_length_encode_config_selectorIjjNS0_4plusIjEEEEZZNS1_33reduce_by_key_impl_wrapped_configILNS1_25lookback_scan_determinismE0ES3_S7_PKjNS0_17constant_iteratorIjlEEPjPlSF_S6_NS0_8equal_toIjEEEE10hipError_tPvRmT2_T3_mT4_T5_T6_T7_T8_P12ihipStream_tbENKUlT_T0_E_clISt17integral_constantIbLb1EESY_IbLb0EEEEDaSU_SV_EUlSU_E_NS1_11comp_targetILNS1_3genE3ELNS1_11target_archE908ELNS1_3gpuE7ELNS1_3repE0EEENS1_30default_config_static_selectorELNS0_4arch9wavefront6targetE1EEEvT1_
    .private_segment_fixed_size: 0
    .sgpr_count:     6
    .sgpr_spill_count: 0
    .symbol:         _ZN7rocprim17ROCPRIM_400000_NS6detail17trampoline_kernelINS0_14default_configENS1_33run_length_encode_config_selectorIjjNS0_4plusIjEEEEZZNS1_33reduce_by_key_impl_wrapped_configILNS1_25lookback_scan_determinismE0ES3_S7_PKjNS0_17constant_iteratorIjlEEPjPlSF_S6_NS0_8equal_toIjEEEE10hipError_tPvRmT2_T3_mT4_T5_T6_T7_T8_P12ihipStream_tbENKUlT_T0_E_clISt17integral_constantIbLb1EESY_IbLb0EEEEDaSU_SV_EUlSU_E_NS1_11comp_targetILNS1_3genE3ELNS1_11target_archE908ELNS1_3gpuE7ELNS1_3repE0EEENS1_30default_config_static_selectorELNS0_4arch9wavefront6targetE1EEEvT1_.kd
    .uniform_work_group_size: 1
    .uses_dynamic_stack: false
    .vgpr_count:     0
    .vgpr_spill_count: 0
    .wavefront_size: 64
  - .agpr_count:     0
    .args:
      - .offset:         0
        .size:           128
        .value_kind:     by_value
    .group_segment_fixed_size: 0
    .kernarg_segment_align: 8
    .kernarg_segment_size: 128
    .language:       OpenCL C
    .language_version:
      - 2
      - 0
    .max_flat_workgroup_size: 256
    .name:           _ZN7rocprim17ROCPRIM_400000_NS6detail17trampoline_kernelINS0_14default_configENS1_33run_length_encode_config_selectorIjjNS0_4plusIjEEEEZZNS1_33reduce_by_key_impl_wrapped_configILNS1_25lookback_scan_determinismE0ES3_S7_PKjNS0_17constant_iteratorIjlEEPjPlSF_S6_NS0_8equal_toIjEEEE10hipError_tPvRmT2_T3_mT4_T5_T6_T7_T8_P12ihipStream_tbENKUlT_T0_E_clISt17integral_constantIbLb1EESY_IbLb0EEEEDaSU_SV_EUlSU_E_NS1_11comp_targetILNS1_3genE2ELNS1_11target_archE906ELNS1_3gpuE6ELNS1_3repE0EEENS1_30default_config_static_selectorELNS0_4arch9wavefront6targetE1EEEvT1_
    .private_segment_fixed_size: 0
    .sgpr_count:     6
    .sgpr_spill_count: 0
    .symbol:         _ZN7rocprim17ROCPRIM_400000_NS6detail17trampoline_kernelINS0_14default_configENS1_33run_length_encode_config_selectorIjjNS0_4plusIjEEEEZZNS1_33reduce_by_key_impl_wrapped_configILNS1_25lookback_scan_determinismE0ES3_S7_PKjNS0_17constant_iteratorIjlEEPjPlSF_S6_NS0_8equal_toIjEEEE10hipError_tPvRmT2_T3_mT4_T5_T6_T7_T8_P12ihipStream_tbENKUlT_T0_E_clISt17integral_constantIbLb1EESY_IbLb0EEEEDaSU_SV_EUlSU_E_NS1_11comp_targetILNS1_3genE2ELNS1_11target_archE906ELNS1_3gpuE6ELNS1_3repE0EEENS1_30default_config_static_selectorELNS0_4arch9wavefront6targetE1EEEvT1_.kd
    .uniform_work_group_size: 1
    .uses_dynamic_stack: false
    .vgpr_count:     0
    .vgpr_spill_count: 0
    .wavefront_size: 64
  - .agpr_count:     0
    .args:
      - .offset:         0
        .size:           128
        .value_kind:     by_value
    .group_segment_fixed_size: 0
    .kernarg_segment_align: 8
    .kernarg_segment_size: 128
    .language:       OpenCL C
    .language_version:
      - 2
      - 0
    .max_flat_workgroup_size: 384
    .name:           _ZN7rocprim17ROCPRIM_400000_NS6detail17trampoline_kernelINS0_14default_configENS1_33run_length_encode_config_selectorIjjNS0_4plusIjEEEEZZNS1_33reduce_by_key_impl_wrapped_configILNS1_25lookback_scan_determinismE0ES3_S7_PKjNS0_17constant_iteratorIjlEEPjPlSF_S6_NS0_8equal_toIjEEEE10hipError_tPvRmT2_T3_mT4_T5_T6_T7_T8_P12ihipStream_tbENKUlT_T0_E_clISt17integral_constantIbLb1EESY_IbLb0EEEEDaSU_SV_EUlSU_E_NS1_11comp_targetILNS1_3genE10ELNS1_11target_archE1201ELNS1_3gpuE5ELNS1_3repE0EEENS1_30default_config_static_selectorELNS0_4arch9wavefront6targetE1EEEvT1_
    .private_segment_fixed_size: 0
    .sgpr_count:     6
    .sgpr_spill_count: 0
    .symbol:         _ZN7rocprim17ROCPRIM_400000_NS6detail17trampoline_kernelINS0_14default_configENS1_33run_length_encode_config_selectorIjjNS0_4plusIjEEEEZZNS1_33reduce_by_key_impl_wrapped_configILNS1_25lookback_scan_determinismE0ES3_S7_PKjNS0_17constant_iteratorIjlEEPjPlSF_S6_NS0_8equal_toIjEEEE10hipError_tPvRmT2_T3_mT4_T5_T6_T7_T8_P12ihipStream_tbENKUlT_T0_E_clISt17integral_constantIbLb1EESY_IbLb0EEEEDaSU_SV_EUlSU_E_NS1_11comp_targetILNS1_3genE10ELNS1_11target_archE1201ELNS1_3gpuE5ELNS1_3repE0EEENS1_30default_config_static_selectorELNS0_4arch9wavefront6targetE1EEEvT1_.kd
    .uniform_work_group_size: 1
    .uses_dynamic_stack: false
    .vgpr_count:     0
    .vgpr_spill_count: 0
    .wavefront_size: 64
  - .agpr_count:     0
    .args:
      - .offset:         0
        .size:           128
        .value_kind:     by_value
    .group_segment_fixed_size: 0
    .kernarg_segment_align: 8
    .kernarg_segment_size: 128
    .language:       OpenCL C
    .language_version:
      - 2
      - 0
    .max_flat_workgroup_size: 256
    .name:           _ZN7rocprim17ROCPRIM_400000_NS6detail17trampoline_kernelINS0_14default_configENS1_33run_length_encode_config_selectorIjjNS0_4plusIjEEEEZZNS1_33reduce_by_key_impl_wrapped_configILNS1_25lookback_scan_determinismE0ES3_S7_PKjNS0_17constant_iteratorIjlEEPjPlSF_S6_NS0_8equal_toIjEEEE10hipError_tPvRmT2_T3_mT4_T5_T6_T7_T8_P12ihipStream_tbENKUlT_T0_E_clISt17integral_constantIbLb1EESY_IbLb0EEEEDaSU_SV_EUlSU_E_NS1_11comp_targetILNS1_3genE10ELNS1_11target_archE1200ELNS1_3gpuE4ELNS1_3repE0EEENS1_30default_config_static_selectorELNS0_4arch9wavefront6targetE1EEEvT1_
    .private_segment_fixed_size: 0
    .sgpr_count:     6
    .sgpr_spill_count: 0
    .symbol:         _ZN7rocprim17ROCPRIM_400000_NS6detail17trampoline_kernelINS0_14default_configENS1_33run_length_encode_config_selectorIjjNS0_4plusIjEEEEZZNS1_33reduce_by_key_impl_wrapped_configILNS1_25lookback_scan_determinismE0ES3_S7_PKjNS0_17constant_iteratorIjlEEPjPlSF_S6_NS0_8equal_toIjEEEE10hipError_tPvRmT2_T3_mT4_T5_T6_T7_T8_P12ihipStream_tbENKUlT_T0_E_clISt17integral_constantIbLb1EESY_IbLb0EEEEDaSU_SV_EUlSU_E_NS1_11comp_targetILNS1_3genE10ELNS1_11target_archE1200ELNS1_3gpuE4ELNS1_3repE0EEENS1_30default_config_static_selectorELNS0_4arch9wavefront6targetE1EEEvT1_.kd
    .uniform_work_group_size: 1
    .uses_dynamic_stack: false
    .vgpr_count:     0
    .vgpr_spill_count: 0
    .wavefront_size: 64
  - .agpr_count:     0
    .args:
      - .offset:         0
        .size:           128
        .value_kind:     by_value
    .group_segment_fixed_size: 0
    .kernarg_segment_align: 8
    .kernarg_segment_size: 128
    .language:       OpenCL C
    .language_version:
      - 2
      - 0
    .max_flat_workgroup_size: 512
    .name:           _ZN7rocprim17ROCPRIM_400000_NS6detail17trampoline_kernelINS0_14default_configENS1_33run_length_encode_config_selectorIjjNS0_4plusIjEEEEZZNS1_33reduce_by_key_impl_wrapped_configILNS1_25lookback_scan_determinismE0ES3_S7_PKjNS0_17constant_iteratorIjlEEPjPlSF_S6_NS0_8equal_toIjEEEE10hipError_tPvRmT2_T3_mT4_T5_T6_T7_T8_P12ihipStream_tbENKUlT_T0_E_clISt17integral_constantIbLb1EESY_IbLb0EEEEDaSU_SV_EUlSU_E_NS1_11comp_targetILNS1_3genE9ELNS1_11target_archE1100ELNS1_3gpuE3ELNS1_3repE0EEENS1_30default_config_static_selectorELNS0_4arch9wavefront6targetE1EEEvT1_
    .private_segment_fixed_size: 0
    .sgpr_count:     6
    .sgpr_spill_count: 0
    .symbol:         _ZN7rocprim17ROCPRIM_400000_NS6detail17trampoline_kernelINS0_14default_configENS1_33run_length_encode_config_selectorIjjNS0_4plusIjEEEEZZNS1_33reduce_by_key_impl_wrapped_configILNS1_25lookback_scan_determinismE0ES3_S7_PKjNS0_17constant_iteratorIjlEEPjPlSF_S6_NS0_8equal_toIjEEEE10hipError_tPvRmT2_T3_mT4_T5_T6_T7_T8_P12ihipStream_tbENKUlT_T0_E_clISt17integral_constantIbLb1EESY_IbLb0EEEEDaSU_SV_EUlSU_E_NS1_11comp_targetILNS1_3genE9ELNS1_11target_archE1100ELNS1_3gpuE3ELNS1_3repE0EEENS1_30default_config_static_selectorELNS0_4arch9wavefront6targetE1EEEvT1_.kd
    .uniform_work_group_size: 1
    .uses_dynamic_stack: false
    .vgpr_count:     0
    .vgpr_spill_count: 0
    .wavefront_size: 64
  - .agpr_count:     0
    .args:
      - .offset:         0
        .size:           128
        .value_kind:     by_value
    .group_segment_fixed_size: 0
    .kernarg_segment_align: 8
    .kernarg_segment_size: 128
    .language:       OpenCL C
    .language_version:
      - 2
      - 0
    .max_flat_workgroup_size: 192
    .name:           _ZN7rocprim17ROCPRIM_400000_NS6detail17trampoline_kernelINS0_14default_configENS1_33run_length_encode_config_selectorIjjNS0_4plusIjEEEEZZNS1_33reduce_by_key_impl_wrapped_configILNS1_25lookback_scan_determinismE0ES3_S7_PKjNS0_17constant_iteratorIjlEEPjPlSF_S6_NS0_8equal_toIjEEEE10hipError_tPvRmT2_T3_mT4_T5_T6_T7_T8_P12ihipStream_tbENKUlT_T0_E_clISt17integral_constantIbLb1EESY_IbLb0EEEEDaSU_SV_EUlSU_E_NS1_11comp_targetILNS1_3genE8ELNS1_11target_archE1030ELNS1_3gpuE2ELNS1_3repE0EEENS1_30default_config_static_selectorELNS0_4arch9wavefront6targetE1EEEvT1_
    .private_segment_fixed_size: 0
    .sgpr_count:     6
    .sgpr_spill_count: 0
    .symbol:         _ZN7rocprim17ROCPRIM_400000_NS6detail17trampoline_kernelINS0_14default_configENS1_33run_length_encode_config_selectorIjjNS0_4plusIjEEEEZZNS1_33reduce_by_key_impl_wrapped_configILNS1_25lookback_scan_determinismE0ES3_S7_PKjNS0_17constant_iteratorIjlEEPjPlSF_S6_NS0_8equal_toIjEEEE10hipError_tPvRmT2_T3_mT4_T5_T6_T7_T8_P12ihipStream_tbENKUlT_T0_E_clISt17integral_constantIbLb1EESY_IbLb0EEEEDaSU_SV_EUlSU_E_NS1_11comp_targetILNS1_3genE8ELNS1_11target_archE1030ELNS1_3gpuE2ELNS1_3repE0EEENS1_30default_config_static_selectorELNS0_4arch9wavefront6targetE1EEEvT1_.kd
    .uniform_work_group_size: 1
    .uses_dynamic_stack: false
    .vgpr_count:     0
    .vgpr_spill_count: 0
    .wavefront_size: 64
  - .agpr_count:     0
    .args:
      - .offset:         0
        .size:           128
        .value_kind:     by_value
    .group_segment_fixed_size: 0
    .kernarg_segment_align: 8
    .kernarg_segment_size: 128
    .language:       OpenCL C
    .language_version:
      - 2
      - 0
    .max_flat_workgroup_size: 256
    .name:           _ZN7rocprim17ROCPRIM_400000_NS6detail17trampoline_kernelINS0_14default_configENS1_33run_length_encode_config_selectorIjjNS0_4plusIjEEEEZZNS1_33reduce_by_key_impl_wrapped_configILNS1_25lookback_scan_determinismE0ES3_S7_PKjNS0_17constant_iteratorIjlEEPjPlSF_S6_NS0_8equal_toIjEEEE10hipError_tPvRmT2_T3_mT4_T5_T6_T7_T8_P12ihipStream_tbENKUlT_T0_E_clISt17integral_constantIbLb0EESY_IbLb1EEEEDaSU_SV_EUlSU_E_NS1_11comp_targetILNS1_3genE0ELNS1_11target_archE4294967295ELNS1_3gpuE0ELNS1_3repE0EEENS1_30default_config_static_selectorELNS0_4arch9wavefront6targetE1EEEvT1_
    .private_segment_fixed_size: 0
    .sgpr_count:     6
    .sgpr_spill_count: 0
    .symbol:         _ZN7rocprim17ROCPRIM_400000_NS6detail17trampoline_kernelINS0_14default_configENS1_33run_length_encode_config_selectorIjjNS0_4plusIjEEEEZZNS1_33reduce_by_key_impl_wrapped_configILNS1_25lookback_scan_determinismE0ES3_S7_PKjNS0_17constant_iteratorIjlEEPjPlSF_S6_NS0_8equal_toIjEEEE10hipError_tPvRmT2_T3_mT4_T5_T6_T7_T8_P12ihipStream_tbENKUlT_T0_E_clISt17integral_constantIbLb0EESY_IbLb1EEEEDaSU_SV_EUlSU_E_NS1_11comp_targetILNS1_3genE0ELNS1_11target_archE4294967295ELNS1_3gpuE0ELNS1_3repE0EEENS1_30default_config_static_selectorELNS0_4arch9wavefront6targetE1EEEvT1_.kd
    .uniform_work_group_size: 1
    .uses_dynamic_stack: false
    .vgpr_count:     0
    .vgpr_spill_count: 0
    .wavefront_size: 64
  - .agpr_count:     0
    .args:
      - .offset:         0
        .size:           128
        .value_kind:     by_value
    .group_segment_fixed_size: 30720
    .kernarg_segment_align: 8
    .kernarg_segment_size: 128
    .language:       OpenCL C
    .language_version:
      - 2
      - 0
    .max_flat_workgroup_size: 512
    .name:           _ZN7rocprim17ROCPRIM_400000_NS6detail17trampoline_kernelINS0_14default_configENS1_33run_length_encode_config_selectorIjjNS0_4plusIjEEEEZZNS1_33reduce_by_key_impl_wrapped_configILNS1_25lookback_scan_determinismE0ES3_S7_PKjNS0_17constant_iteratorIjlEEPjPlSF_S6_NS0_8equal_toIjEEEE10hipError_tPvRmT2_T3_mT4_T5_T6_T7_T8_P12ihipStream_tbENKUlT_T0_E_clISt17integral_constantIbLb0EESY_IbLb1EEEEDaSU_SV_EUlSU_E_NS1_11comp_targetILNS1_3genE5ELNS1_11target_archE942ELNS1_3gpuE9ELNS1_3repE0EEENS1_30default_config_static_selectorELNS0_4arch9wavefront6targetE1EEEvT1_
    .private_segment_fixed_size: 0
    .sgpr_count:     72
    .sgpr_spill_count: 0
    .symbol:         _ZN7rocprim17ROCPRIM_400000_NS6detail17trampoline_kernelINS0_14default_configENS1_33run_length_encode_config_selectorIjjNS0_4plusIjEEEEZZNS1_33reduce_by_key_impl_wrapped_configILNS1_25lookback_scan_determinismE0ES3_S7_PKjNS0_17constant_iteratorIjlEEPjPlSF_S6_NS0_8equal_toIjEEEE10hipError_tPvRmT2_T3_mT4_T5_T6_T7_T8_P12ihipStream_tbENKUlT_T0_E_clISt17integral_constantIbLb0EESY_IbLb1EEEEDaSU_SV_EUlSU_E_NS1_11comp_targetILNS1_3genE5ELNS1_11target_archE942ELNS1_3gpuE9ELNS1_3repE0EEENS1_30default_config_static_selectorELNS0_4arch9wavefront6targetE1EEEvT1_.kd
    .uniform_work_group_size: 1
    .uses_dynamic_stack: false
    .vgpr_count:     104
    .vgpr_spill_count: 0
    .wavefront_size: 64
  - .agpr_count:     0
    .args:
      - .offset:         0
        .size:           128
        .value_kind:     by_value
    .group_segment_fixed_size: 0
    .kernarg_segment_align: 8
    .kernarg_segment_size: 128
    .language:       OpenCL C
    .language_version:
      - 2
      - 0
    .max_flat_workgroup_size: 256
    .name:           _ZN7rocprim17ROCPRIM_400000_NS6detail17trampoline_kernelINS0_14default_configENS1_33run_length_encode_config_selectorIjjNS0_4plusIjEEEEZZNS1_33reduce_by_key_impl_wrapped_configILNS1_25lookback_scan_determinismE0ES3_S7_PKjNS0_17constant_iteratorIjlEEPjPlSF_S6_NS0_8equal_toIjEEEE10hipError_tPvRmT2_T3_mT4_T5_T6_T7_T8_P12ihipStream_tbENKUlT_T0_E_clISt17integral_constantIbLb0EESY_IbLb1EEEEDaSU_SV_EUlSU_E_NS1_11comp_targetILNS1_3genE4ELNS1_11target_archE910ELNS1_3gpuE8ELNS1_3repE0EEENS1_30default_config_static_selectorELNS0_4arch9wavefront6targetE1EEEvT1_
    .private_segment_fixed_size: 0
    .sgpr_count:     6
    .sgpr_spill_count: 0
    .symbol:         _ZN7rocprim17ROCPRIM_400000_NS6detail17trampoline_kernelINS0_14default_configENS1_33run_length_encode_config_selectorIjjNS0_4plusIjEEEEZZNS1_33reduce_by_key_impl_wrapped_configILNS1_25lookback_scan_determinismE0ES3_S7_PKjNS0_17constant_iteratorIjlEEPjPlSF_S6_NS0_8equal_toIjEEEE10hipError_tPvRmT2_T3_mT4_T5_T6_T7_T8_P12ihipStream_tbENKUlT_T0_E_clISt17integral_constantIbLb0EESY_IbLb1EEEEDaSU_SV_EUlSU_E_NS1_11comp_targetILNS1_3genE4ELNS1_11target_archE910ELNS1_3gpuE8ELNS1_3repE0EEENS1_30default_config_static_selectorELNS0_4arch9wavefront6targetE1EEEvT1_.kd
    .uniform_work_group_size: 1
    .uses_dynamic_stack: false
    .vgpr_count:     0
    .vgpr_spill_count: 0
    .wavefront_size: 64
  - .agpr_count:     0
    .args:
      - .offset:         0
        .size:           128
        .value_kind:     by_value
    .group_segment_fixed_size: 0
    .kernarg_segment_align: 8
    .kernarg_segment_size: 128
    .language:       OpenCL C
    .language_version:
      - 2
      - 0
    .max_flat_workgroup_size: 256
    .name:           _ZN7rocprim17ROCPRIM_400000_NS6detail17trampoline_kernelINS0_14default_configENS1_33run_length_encode_config_selectorIjjNS0_4plusIjEEEEZZNS1_33reduce_by_key_impl_wrapped_configILNS1_25lookback_scan_determinismE0ES3_S7_PKjNS0_17constant_iteratorIjlEEPjPlSF_S6_NS0_8equal_toIjEEEE10hipError_tPvRmT2_T3_mT4_T5_T6_T7_T8_P12ihipStream_tbENKUlT_T0_E_clISt17integral_constantIbLb0EESY_IbLb1EEEEDaSU_SV_EUlSU_E_NS1_11comp_targetILNS1_3genE3ELNS1_11target_archE908ELNS1_3gpuE7ELNS1_3repE0EEENS1_30default_config_static_selectorELNS0_4arch9wavefront6targetE1EEEvT1_
    .private_segment_fixed_size: 0
    .sgpr_count:     6
    .sgpr_spill_count: 0
    .symbol:         _ZN7rocprim17ROCPRIM_400000_NS6detail17trampoline_kernelINS0_14default_configENS1_33run_length_encode_config_selectorIjjNS0_4plusIjEEEEZZNS1_33reduce_by_key_impl_wrapped_configILNS1_25lookback_scan_determinismE0ES3_S7_PKjNS0_17constant_iteratorIjlEEPjPlSF_S6_NS0_8equal_toIjEEEE10hipError_tPvRmT2_T3_mT4_T5_T6_T7_T8_P12ihipStream_tbENKUlT_T0_E_clISt17integral_constantIbLb0EESY_IbLb1EEEEDaSU_SV_EUlSU_E_NS1_11comp_targetILNS1_3genE3ELNS1_11target_archE908ELNS1_3gpuE7ELNS1_3repE0EEENS1_30default_config_static_selectorELNS0_4arch9wavefront6targetE1EEEvT1_.kd
    .uniform_work_group_size: 1
    .uses_dynamic_stack: false
    .vgpr_count:     0
    .vgpr_spill_count: 0
    .wavefront_size: 64
  - .agpr_count:     0
    .args:
      - .offset:         0
        .size:           128
        .value_kind:     by_value
    .group_segment_fixed_size: 0
    .kernarg_segment_align: 8
    .kernarg_segment_size: 128
    .language:       OpenCL C
    .language_version:
      - 2
      - 0
    .max_flat_workgroup_size: 256
    .name:           _ZN7rocprim17ROCPRIM_400000_NS6detail17trampoline_kernelINS0_14default_configENS1_33run_length_encode_config_selectorIjjNS0_4plusIjEEEEZZNS1_33reduce_by_key_impl_wrapped_configILNS1_25lookback_scan_determinismE0ES3_S7_PKjNS0_17constant_iteratorIjlEEPjPlSF_S6_NS0_8equal_toIjEEEE10hipError_tPvRmT2_T3_mT4_T5_T6_T7_T8_P12ihipStream_tbENKUlT_T0_E_clISt17integral_constantIbLb0EESY_IbLb1EEEEDaSU_SV_EUlSU_E_NS1_11comp_targetILNS1_3genE2ELNS1_11target_archE906ELNS1_3gpuE6ELNS1_3repE0EEENS1_30default_config_static_selectorELNS0_4arch9wavefront6targetE1EEEvT1_
    .private_segment_fixed_size: 0
    .sgpr_count:     6
    .sgpr_spill_count: 0
    .symbol:         _ZN7rocprim17ROCPRIM_400000_NS6detail17trampoline_kernelINS0_14default_configENS1_33run_length_encode_config_selectorIjjNS0_4plusIjEEEEZZNS1_33reduce_by_key_impl_wrapped_configILNS1_25lookback_scan_determinismE0ES3_S7_PKjNS0_17constant_iteratorIjlEEPjPlSF_S6_NS0_8equal_toIjEEEE10hipError_tPvRmT2_T3_mT4_T5_T6_T7_T8_P12ihipStream_tbENKUlT_T0_E_clISt17integral_constantIbLb0EESY_IbLb1EEEEDaSU_SV_EUlSU_E_NS1_11comp_targetILNS1_3genE2ELNS1_11target_archE906ELNS1_3gpuE6ELNS1_3repE0EEENS1_30default_config_static_selectorELNS0_4arch9wavefront6targetE1EEEvT1_.kd
    .uniform_work_group_size: 1
    .uses_dynamic_stack: false
    .vgpr_count:     0
    .vgpr_spill_count: 0
    .wavefront_size: 64
  - .agpr_count:     0
    .args:
      - .offset:         0
        .size:           128
        .value_kind:     by_value
    .group_segment_fixed_size: 0
    .kernarg_segment_align: 8
    .kernarg_segment_size: 128
    .language:       OpenCL C
    .language_version:
      - 2
      - 0
    .max_flat_workgroup_size: 384
    .name:           _ZN7rocprim17ROCPRIM_400000_NS6detail17trampoline_kernelINS0_14default_configENS1_33run_length_encode_config_selectorIjjNS0_4plusIjEEEEZZNS1_33reduce_by_key_impl_wrapped_configILNS1_25lookback_scan_determinismE0ES3_S7_PKjNS0_17constant_iteratorIjlEEPjPlSF_S6_NS0_8equal_toIjEEEE10hipError_tPvRmT2_T3_mT4_T5_T6_T7_T8_P12ihipStream_tbENKUlT_T0_E_clISt17integral_constantIbLb0EESY_IbLb1EEEEDaSU_SV_EUlSU_E_NS1_11comp_targetILNS1_3genE10ELNS1_11target_archE1201ELNS1_3gpuE5ELNS1_3repE0EEENS1_30default_config_static_selectorELNS0_4arch9wavefront6targetE1EEEvT1_
    .private_segment_fixed_size: 0
    .sgpr_count:     6
    .sgpr_spill_count: 0
    .symbol:         _ZN7rocprim17ROCPRIM_400000_NS6detail17trampoline_kernelINS0_14default_configENS1_33run_length_encode_config_selectorIjjNS0_4plusIjEEEEZZNS1_33reduce_by_key_impl_wrapped_configILNS1_25lookback_scan_determinismE0ES3_S7_PKjNS0_17constant_iteratorIjlEEPjPlSF_S6_NS0_8equal_toIjEEEE10hipError_tPvRmT2_T3_mT4_T5_T6_T7_T8_P12ihipStream_tbENKUlT_T0_E_clISt17integral_constantIbLb0EESY_IbLb1EEEEDaSU_SV_EUlSU_E_NS1_11comp_targetILNS1_3genE10ELNS1_11target_archE1201ELNS1_3gpuE5ELNS1_3repE0EEENS1_30default_config_static_selectorELNS0_4arch9wavefront6targetE1EEEvT1_.kd
    .uniform_work_group_size: 1
    .uses_dynamic_stack: false
    .vgpr_count:     0
    .vgpr_spill_count: 0
    .wavefront_size: 64
  - .agpr_count:     0
    .args:
      - .offset:         0
        .size:           128
        .value_kind:     by_value
    .group_segment_fixed_size: 0
    .kernarg_segment_align: 8
    .kernarg_segment_size: 128
    .language:       OpenCL C
    .language_version:
      - 2
      - 0
    .max_flat_workgroup_size: 256
    .name:           _ZN7rocprim17ROCPRIM_400000_NS6detail17trampoline_kernelINS0_14default_configENS1_33run_length_encode_config_selectorIjjNS0_4plusIjEEEEZZNS1_33reduce_by_key_impl_wrapped_configILNS1_25lookback_scan_determinismE0ES3_S7_PKjNS0_17constant_iteratorIjlEEPjPlSF_S6_NS0_8equal_toIjEEEE10hipError_tPvRmT2_T3_mT4_T5_T6_T7_T8_P12ihipStream_tbENKUlT_T0_E_clISt17integral_constantIbLb0EESY_IbLb1EEEEDaSU_SV_EUlSU_E_NS1_11comp_targetILNS1_3genE10ELNS1_11target_archE1200ELNS1_3gpuE4ELNS1_3repE0EEENS1_30default_config_static_selectorELNS0_4arch9wavefront6targetE1EEEvT1_
    .private_segment_fixed_size: 0
    .sgpr_count:     6
    .sgpr_spill_count: 0
    .symbol:         _ZN7rocprim17ROCPRIM_400000_NS6detail17trampoline_kernelINS0_14default_configENS1_33run_length_encode_config_selectorIjjNS0_4plusIjEEEEZZNS1_33reduce_by_key_impl_wrapped_configILNS1_25lookback_scan_determinismE0ES3_S7_PKjNS0_17constant_iteratorIjlEEPjPlSF_S6_NS0_8equal_toIjEEEE10hipError_tPvRmT2_T3_mT4_T5_T6_T7_T8_P12ihipStream_tbENKUlT_T0_E_clISt17integral_constantIbLb0EESY_IbLb1EEEEDaSU_SV_EUlSU_E_NS1_11comp_targetILNS1_3genE10ELNS1_11target_archE1200ELNS1_3gpuE4ELNS1_3repE0EEENS1_30default_config_static_selectorELNS0_4arch9wavefront6targetE1EEEvT1_.kd
    .uniform_work_group_size: 1
    .uses_dynamic_stack: false
    .vgpr_count:     0
    .vgpr_spill_count: 0
    .wavefront_size: 64
  - .agpr_count:     0
    .args:
      - .offset:         0
        .size:           128
        .value_kind:     by_value
    .group_segment_fixed_size: 0
    .kernarg_segment_align: 8
    .kernarg_segment_size: 128
    .language:       OpenCL C
    .language_version:
      - 2
      - 0
    .max_flat_workgroup_size: 512
    .name:           _ZN7rocprim17ROCPRIM_400000_NS6detail17trampoline_kernelINS0_14default_configENS1_33run_length_encode_config_selectorIjjNS0_4plusIjEEEEZZNS1_33reduce_by_key_impl_wrapped_configILNS1_25lookback_scan_determinismE0ES3_S7_PKjNS0_17constant_iteratorIjlEEPjPlSF_S6_NS0_8equal_toIjEEEE10hipError_tPvRmT2_T3_mT4_T5_T6_T7_T8_P12ihipStream_tbENKUlT_T0_E_clISt17integral_constantIbLb0EESY_IbLb1EEEEDaSU_SV_EUlSU_E_NS1_11comp_targetILNS1_3genE9ELNS1_11target_archE1100ELNS1_3gpuE3ELNS1_3repE0EEENS1_30default_config_static_selectorELNS0_4arch9wavefront6targetE1EEEvT1_
    .private_segment_fixed_size: 0
    .sgpr_count:     6
    .sgpr_spill_count: 0
    .symbol:         _ZN7rocprim17ROCPRIM_400000_NS6detail17trampoline_kernelINS0_14default_configENS1_33run_length_encode_config_selectorIjjNS0_4plusIjEEEEZZNS1_33reduce_by_key_impl_wrapped_configILNS1_25lookback_scan_determinismE0ES3_S7_PKjNS0_17constant_iteratorIjlEEPjPlSF_S6_NS0_8equal_toIjEEEE10hipError_tPvRmT2_T3_mT4_T5_T6_T7_T8_P12ihipStream_tbENKUlT_T0_E_clISt17integral_constantIbLb0EESY_IbLb1EEEEDaSU_SV_EUlSU_E_NS1_11comp_targetILNS1_3genE9ELNS1_11target_archE1100ELNS1_3gpuE3ELNS1_3repE0EEENS1_30default_config_static_selectorELNS0_4arch9wavefront6targetE1EEEvT1_.kd
    .uniform_work_group_size: 1
    .uses_dynamic_stack: false
    .vgpr_count:     0
    .vgpr_spill_count: 0
    .wavefront_size: 64
  - .agpr_count:     0
    .args:
      - .offset:         0
        .size:           128
        .value_kind:     by_value
    .group_segment_fixed_size: 0
    .kernarg_segment_align: 8
    .kernarg_segment_size: 128
    .language:       OpenCL C
    .language_version:
      - 2
      - 0
    .max_flat_workgroup_size: 192
    .name:           _ZN7rocprim17ROCPRIM_400000_NS6detail17trampoline_kernelINS0_14default_configENS1_33run_length_encode_config_selectorIjjNS0_4plusIjEEEEZZNS1_33reduce_by_key_impl_wrapped_configILNS1_25lookback_scan_determinismE0ES3_S7_PKjNS0_17constant_iteratorIjlEEPjPlSF_S6_NS0_8equal_toIjEEEE10hipError_tPvRmT2_T3_mT4_T5_T6_T7_T8_P12ihipStream_tbENKUlT_T0_E_clISt17integral_constantIbLb0EESY_IbLb1EEEEDaSU_SV_EUlSU_E_NS1_11comp_targetILNS1_3genE8ELNS1_11target_archE1030ELNS1_3gpuE2ELNS1_3repE0EEENS1_30default_config_static_selectorELNS0_4arch9wavefront6targetE1EEEvT1_
    .private_segment_fixed_size: 0
    .sgpr_count:     6
    .sgpr_spill_count: 0
    .symbol:         _ZN7rocprim17ROCPRIM_400000_NS6detail17trampoline_kernelINS0_14default_configENS1_33run_length_encode_config_selectorIjjNS0_4plusIjEEEEZZNS1_33reduce_by_key_impl_wrapped_configILNS1_25lookback_scan_determinismE0ES3_S7_PKjNS0_17constant_iteratorIjlEEPjPlSF_S6_NS0_8equal_toIjEEEE10hipError_tPvRmT2_T3_mT4_T5_T6_T7_T8_P12ihipStream_tbENKUlT_T0_E_clISt17integral_constantIbLb0EESY_IbLb1EEEEDaSU_SV_EUlSU_E_NS1_11comp_targetILNS1_3genE8ELNS1_11target_archE1030ELNS1_3gpuE2ELNS1_3repE0EEENS1_30default_config_static_selectorELNS0_4arch9wavefront6targetE1EEEvT1_.kd
    .uniform_work_group_size: 1
    .uses_dynamic_stack: false
    .vgpr_count:     0
    .vgpr_spill_count: 0
    .wavefront_size: 64
  - .agpr_count:     0
    .args:
      - .offset:         0
        .size:           8
        .value_kind:     by_value
      - .address_space:  global
        .offset:         8
        .size:           8
        .value_kind:     global_buffer
      - .address_space:  global
        .offset:         16
        .size:           8
        .value_kind:     global_buffer
      - .offset:         24
        .size:           4
        .value_kind:     hidden_block_count_x
      - .offset:         28
        .size:           4
        .value_kind:     hidden_block_count_y
      - .offset:         32
        .size:           4
        .value_kind:     hidden_block_count_z
      - .offset:         36
        .size:           2
        .value_kind:     hidden_group_size_x
      - .offset:         38
        .size:           2
        .value_kind:     hidden_group_size_y
      - .offset:         40
        .size:           2
        .value_kind:     hidden_group_size_z
      - .offset:         42
        .size:           2
        .value_kind:     hidden_remainder_x
      - .offset:         44
        .size:           2
        .value_kind:     hidden_remainder_y
      - .offset:         46
        .size:           2
        .value_kind:     hidden_remainder_z
      - .offset:         64
        .size:           8
        .value_kind:     hidden_global_offset_x
      - .offset:         72
        .size:           8
        .value_kind:     hidden_global_offset_y
      - .offset:         80
        .size:           8
        .value_kind:     hidden_global_offset_z
      - .offset:         88
        .size:           2
        .value_kind:     hidden_grid_dims
    .group_segment_fixed_size: 0
    .kernarg_segment_align: 8
    .kernarg_segment_size: 280
    .language:       OpenCL C
    .language_version:
      - 2
      - 0
    .max_flat_workgroup_size: 1024
    .name:           _ZN2at6native8internal12_GLOBAL__N_126adjacent_difference_kernelIPKmEEvlT_Pi
    .private_segment_fixed_size: 0
    .sgpr_count:     22
    .sgpr_spill_count: 0
    .symbol:         _ZN2at6native8internal12_GLOBAL__N_126adjacent_difference_kernelIPKmEEvlT_Pi.kd
    .uniform_work_group_size: 1
    .uses_dynamic_stack: false
    .vgpr_count:     14
    .vgpr_spill_count: 0
    .wavefront_size: 64
  - .agpr_count:     0
    .args:
      - .offset:         0
        .size:           112
        .value_kind:     by_value
    .group_segment_fixed_size: 0
    .kernarg_segment_align: 8
    .kernarg_segment_size: 112
    .language:       OpenCL C
    .language_version:
      - 2
      - 0
    .max_flat_workgroup_size: 512
    .name:           _ZN7rocprim17ROCPRIM_400000_NS6detail17trampoline_kernelINS0_14default_configENS1_25partition_config_selectorILNS1_17partition_subalgoE8EmNS0_10empty_typeEbEEZZNS1_14partition_implILS5_8ELb0ES3_jPKmPS6_PKS6_NS0_5tupleIJPmS6_EEENSE_IJSB_SB_EEENS0_18inequality_wrapperIN6hipcub16HIPCUB_304000_NS8EqualityEEEPlJS6_EEE10hipError_tPvRmT3_T4_T5_T6_T7_T9_mT8_P12ihipStream_tbDpT10_ENKUlT_T0_E_clISt17integral_constantIbLb0EES17_EEDaS12_S13_EUlS12_E_NS1_11comp_targetILNS1_3genE0ELNS1_11target_archE4294967295ELNS1_3gpuE0ELNS1_3repE0EEENS1_30default_config_static_selectorELNS0_4arch9wavefront6targetE1EEEvT1_
    .private_segment_fixed_size: 0
    .sgpr_count:     6
    .sgpr_spill_count: 0
    .symbol:         _ZN7rocprim17ROCPRIM_400000_NS6detail17trampoline_kernelINS0_14default_configENS1_25partition_config_selectorILNS1_17partition_subalgoE8EmNS0_10empty_typeEbEEZZNS1_14partition_implILS5_8ELb0ES3_jPKmPS6_PKS6_NS0_5tupleIJPmS6_EEENSE_IJSB_SB_EEENS0_18inequality_wrapperIN6hipcub16HIPCUB_304000_NS8EqualityEEEPlJS6_EEE10hipError_tPvRmT3_T4_T5_T6_T7_T9_mT8_P12ihipStream_tbDpT10_ENKUlT_T0_E_clISt17integral_constantIbLb0EES17_EEDaS12_S13_EUlS12_E_NS1_11comp_targetILNS1_3genE0ELNS1_11target_archE4294967295ELNS1_3gpuE0ELNS1_3repE0EEENS1_30default_config_static_selectorELNS0_4arch9wavefront6targetE1EEEvT1_.kd
    .uniform_work_group_size: 1
    .uses_dynamic_stack: false
    .vgpr_count:     0
    .vgpr_spill_count: 0
    .wavefront_size: 64
  - .agpr_count:     0
    .args:
      - .offset:         0
        .size:           112
        .value_kind:     by_value
    .group_segment_fixed_size: 28680
    .kernarg_segment_align: 8
    .kernarg_segment_size: 112
    .language:       OpenCL C
    .language_version:
      - 2
      - 0
    .max_flat_workgroup_size: 512
    .name:           _ZN7rocprim17ROCPRIM_400000_NS6detail17trampoline_kernelINS0_14default_configENS1_25partition_config_selectorILNS1_17partition_subalgoE8EmNS0_10empty_typeEbEEZZNS1_14partition_implILS5_8ELb0ES3_jPKmPS6_PKS6_NS0_5tupleIJPmS6_EEENSE_IJSB_SB_EEENS0_18inequality_wrapperIN6hipcub16HIPCUB_304000_NS8EqualityEEEPlJS6_EEE10hipError_tPvRmT3_T4_T5_T6_T7_T9_mT8_P12ihipStream_tbDpT10_ENKUlT_T0_E_clISt17integral_constantIbLb0EES17_EEDaS12_S13_EUlS12_E_NS1_11comp_targetILNS1_3genE5ELNS1_11target_archE942ELNS1_3gpuE9ELNS1_3repE0EEENS1_30default_config_static_selectorELNS0_4arch9wavefront6targetE1EEEvT1_
    .private_segment_fixed_size: 0
    .sgpr_count:     46
    .sgpr_spill_count: 0
    .symbol:         _ZN7rocprim17ROCPRIM_400000_NS6detail17trampoline_kernelINS0_14default_configENS1_25partition_config_selectorILNS1_17partition_subalgoE8EmNS0_10empty_typeEbEEZZNS1_14partition_implILS5_8ELb0ES3_jPKmPS6_PKS6_NS0_5tupleIJPmS6_EEENSE_IJSB_SB_EEENS0_18inequality_wrapperIN6hipcub16HIPCUB_304000_NS8EqualityEEEPlJS6_EEE10hipError_tPvRmT3_T4_T5_T6_T7_T9_mT8_P12ihipStream_tbDpT10_ENKUlT_T0_E_clISt17integral_constantIbLb0EES17_EEDaS12_S13_EUlS12_E_NS1_11comp_targetILNS1_3genE5ELNS1_11target_archE942ELNS1_3gpuE9ELNS1_3repE0EEENS1_30default_config_static_selectorELNS0_4arch9wavefront6targetE1EEEvT1_.kd
    .uniform_work_group_size: 1
    .uses_dynamic_stack: false
    .vgpr_count:     53
    .vgpr_spill_count: 0
    .wavefront_size: 64
  - .agpr_count:     0
    .args:
      - .offset:         0
        .size:           112
        .value_kind:     by_value
    .group_segment_fixed_size: 0
    .kernarg_segment_align: 8
    .kernarg_segment_size: 112
    .language:       OpenCL C
    .language_version:
      - 2
      - 0
    .max_flat_workgroup_size: 256
    .name:           _ZN7rocprim17ROCPRIM_400000_NS6detail17trampoline_kernelINS0_14default_configENS1_25partition_config_selectorILNS1_17partition_subalgoE8EmNS0_10empty_typeEbEEZZNS1_14partition_implILS5_8ELb0ES3_jPKmPS6_PKS6_NS0_5tupleIJPmS6_EEENSE_IJSB_SB_EEENS0_18inequality_wrapperIN6hipcub16HIPCUB_304000_NS8EqualityEEEPlJS6_EEE10hipError_tPvRmT3_T4_T5_T6_T7_T9_mT8_P12ihipStream_tbDpT10_ENKUlT_T0_E_clISt17integral_constantIbLb0EES17_EEDaS12_S13_EUlS12_E_NS1_11comp_targetILNS1_3genE4ELNS1_11target_archE910ELNS1_3gpuE8ELNS1_3repE0EEENS1_30default_config_static_selectorELNS0_4arch9wavefront6targetE1EEEvT1_
    .private_segment_fixed_size: 0
    .sgpr_count:     6
    .sgpr_spill_count: 0
    .symbol:         _ZN7rocprim17ROCPRIM_400000_NS6detail17trampoline_kernelINS0_14default_configENS1_25partition_config_selectorILNS1_17partition_subalgoE8EmNS0_10empty_typeEbEEZZNS1_14partition_implILS5_8ELb0ES3_jPKmPS6_PKS6_NS0_5tupleIJPmS6_EEENSE_IJSB_SB_EEENS0_18inequality_wrapperIN6hipcub16HIPCUB_304000_NS8EqualityEEEPlJS6_EEE10hipError_tPvRmT3_T4_T5_T6_T7_T9_mT8_P12ihipStream_tbDpT10_ENKUlT_T0_E_clISt17integral_constantIbLb0EES17_EEDaS12_S13_EUlS12_E_NS1_11comp_targetILNS1_3genE4ELNS1_11target_archE910ELNS1_3gpuE8ELNS1_3repE0EEENS1_30default_config_static_selectorELNS0_4arch9wavefront6targetE1EEEvT1_.kd
    .uniform_work_group_size: 1
    .uses_dynamic_stack: false
    .vgpr_count:     0
    .vgpr_spill_count: 0
    .wavefront_size: 64
  - .agpr_count:     0
    .args:
      - .offset:         0
        .size:           112
        .value_kind:     by_value
    .group_segment_fixed_size: 0
    .kernarg_segment_align: 8
    .kernarg_segment_size: 112
    .language:       OpenCL C
    .language_version:
      - 2
      - 0
    .max_flat_workgroup_size: 512
    .name:           _ZN7rocprim17ROCPRIM_400000_NS6detail17trampoline_kernelINS0_14default_configENS1_25partition_config_selectorILNS1_17partition_subalgoE8EmNS0_10empty_typeEbEEZZNS1_14partition_implILS5_8ELb0ES3_jPKmPS6_PKS6_NS0_5tupleIJPmS6_EEENSE_IJSB_SB_EEENS0_18inequality_wrapperIN6hipcub16HIPCUB_304000_NS8EqualityEEEPlJS6_EEE10hipError_tPvRmT3_T4_T5_T6_T7_T9_mT8_P12ihipStream_tbDpT10_ENKUlT_T0_E_clISt17integral_constantIbLb0EES17_EEDaS12_S13_EUlS12_E_NS1_11comp_targetILNS1_3genE3ELNS1_11target_archE908ELNS1_3gpuE7ELNS1_3repE0EEENS1_30default_config_static_selectorELNS0_4arch9wavefront6targetE1EEEvT1_
    .private_segment_fixed_size: 0
    .sgpr_count:     6
    .sgpr_spill_count: 0
    .symbol:         _ZN7rocprim17ROCPRIM_400000_NS6detail17trampoline_kernelINS0_14default_configENS1_25partition_config_selectorILNS1_17partition_subalgoE8EmNS0_10empty_typeEbEEZZNS1_14partition_implILS5_8ELb0ES3_jPKmPS6_PKS6_NS0_5tupleIJPmS6_EEENSE_IJSB_SB_EEENS0_18inequality_wrapperIN6hipcub16HIPCUB_304000_NS8EqualityEEEPlJS6_EEE10hipError_tPvRmT3_T4_T5_T6_T7_T9_mT8_P12ihipStream_tbDpT10_ENKUlT_T0_E_clISt17integral_constantIbLb0EES17_EEDaS12_S13_EUlS12_E_NS1_11comp_targetILNS1_3genE3ELNS1_11target_archE908ELNS1_3gpuE7ELNS1_3repE0EEENS1_30default_config_static_selectorELNS0_4arch9wavefront6targetE1EEEvT1_.kd
    .uniform_work_group_size: 1
    .uses_dynamic_stack: false
    .vgpr_count:     0
    .vgpr_spill_count: 0
    .wavefront_size: 64
  - .agpr_count:     0
    .args:
      - .offset:         0
        .size:           112
        .value_kind:     by_value
    .group_segment_fixed_size: 0
    .kernarg_segment_align: 8
    .kernarg_segment_size: 112
    .language:       OpenCL C
    .language_version:
      - 2
      - 0
    .max_flat_workgroup_size: 256
    .name:           _ZN7rocprim17ROCPRIM_400000_NS6detail17trampoline_kernelINS0_14default_configENS1_25partition_config_selectorILNS1_17partition_subalgoE8EmNS0_10empty_typeEbEEZZNS1_14partition_implILS5_8ELb0ES3_jPKmPS6_PKS6_NS0_5tupleIJPmS6_EEENSE_IJSB_SB_EEENS0_18inequality_wrapperIN6hipcub16HIPCUB_304000_NS8EqualityEEEPlJS6_EEE10hipError_tPvRmT3_T4_T5_T6_T7_T9_mT8_P12ihipStream_tbDpT10_ENKUlT_T0_E_clISt17integral_constantIbLb0EES17_EEDaS12_S13_EUlS12_E_NS1_11comp_targetILNS1_3genE2ELNS1_11target_archE906ELNS1_3gpuE6ELNS1_3repE0EEENS1_30default_config_static_selectorELNS0_4arch9wavefront6targetE1EEEvT1_
    .private_segment_fixed_size: 0
    .sgpr_count:     6
    .sgpr_spill_count: 0
    .symbol:         _ZN7rocprim17ROCPRIM_400000_NS6detail17trampoline_kernelINS0_14default_configENS1_25partition_config_selectorILNS1_17partition_subalgoE8EmNS0_10empty_typeEbEEZZNS1_14partition_implILS5_8ELb0ES3_jPKmPS6_PKS6_NS0_5tupleIJPmS6_EEENSE_IJSB_SB_EEENS0_18inequality_wrapperIN6hipcub16HIPCUB_304000_NS8EqualityEEEPlJS6_EEE10hipError_tPvRmT3_T4_T5_T6_T7_T9_mT8_P12ihipStream_tbDpT10_ENKUlT_T0_E_clISt17integral_constantIbLb0EES17_EEDaS12_S13_EUlS12_E_NS1_11comp_targetILNS1_3genE2ELNS1_11target_archE906ELNS1_3gpuE6ELNS1_3repE0EEENS1_30default_config_static_selectorELNS0_4arch9wavefront6targetE1EEEvT1_.kd
    .uniform_work_group_size: 1
    .uses_dynamic_stack: false
    .vgpr_count:     0
    .vgpr_spill_count: 0
    .wavefront_size: 64
  - .agpr_count:     0
    .args:
      - .offset:         0
        .size:           112
        .value_kind:     by_value
    .group_segment_fixed_size: 0
    .kernarg_segment_align: 8
    .kernarg_segment_size: 112
    .language:       OpenCL C
    .language_version:
      - 2
      - 0
    .max_flat_workgroup_size: 384
    .name:           _ZN7rocprim17ROCPRIM_400000_NS6detail17trampoline_kernelINS0_14default_configENS1_25partition_config_selectorILNS1_17partition_subalgoE8EmNS0_10empty_typeEbEEZZNS1_14partition_implILS5_8ELb0ES3_jPKmPS6_PKS6_NS0_5tupleIJPmS6_EEENSE_IJSB_SB_EEENS0_18inequality_wrapperIN6hipcub16HIPCUB_304000_NS8EqualityEEEPlJS6_EEE10hipError_tPvRmT3_T4_T5_T6_T7_T9_mT8_P12ihipStream_tbDpT10_ENKUlT_T0_E_clISt17integral_constantIbLb0EES17_EEDaS12_S13_EUlS12_E_NS1_11comp_targetILNS1_3genE10ELNS1_11target_archE1200ELNS1_3gpuE4ELNS1_3repE0EEENS1_30default_config_static_selectorELNS0_4arch9wavefront6targetE1EEEvT1_
    .private_segment_fixed_size: 0
    .sgpr_count:     6
    .sgpr_spill_count: 0
    .symbol:         _ZN7rocprim17ROCPRIM_400000_NS6detail17trampoline_kernelINS0_14default_configENS1_25partition_config_selectorILNS1_17partition_subalgoE8EmNS0_10empty_typeEbEEZZNS1_14partition_implILS5_8ELb0ES3_jPKmPS6_PKS6_NS0_5tupleIJPmS6_EEENSE_IJSB_SB_EEENS0_18inequality_wrapperIN6hipcub16HIPCUB_304000_NS8EqualityEEEPlJS6_EEE10hipError_tPvRmT3_T4_T5_T6_T7_T9_mT8_P12ihipStream_tbDpT10_ENKUlT_T0_E_clISt17integral_constantIbLb0EES17_EEDaS12_S13_EUlS12_E_NS1_11comp_targetILNS1_3genE10ELNS1_11target_archE1200ELNS1_3gpuE4ELNS1_3repE0EEENS1_30default_config_static_selectorELNS0_4arch9wavefront6targetE1EEEvT1_.kd
    .uniform_work_group_size: 1
    .uses_dynamic_stack: false
    .vgpr_count:     0
    .vgpr_spill_count: 0
    .wavefront_size: 64
  - .agpr_count:     0
    .args:
      - .offset:         0
        .size:           112
        .value_kind:     by_value
    .group_segment_fixed_size: 0
    .kernarg_segment_align: 8
    .kernarg_segment_size: 112
    .language:       OpenCL C
    .language_version:
      - 2
      - 0
    .max_flat_workgroup_size: 512
    .name:           _ZN7rocprim17ROCPRIM_400000_NS6detail17trampoline_kernelINS0_14default_configENS1_25partition_config_selectorILNS1_17partition_subalgoE8EmNS0_10empty_typeEbEEZZNS1_14partition_implILS5_8ELb0ES3_jPKmPS6_PKS6_NS0_5tupleIJPmS6_EEENSE_IJSB_SB_EEENS0_18inequality_wrapperIN6hipcub16HIPCUB_304000_NS8EqualityEEEPlJS6_EEE10hipError_tPvRmT3_T4_T5_T6_T7_T9_mT8_P12ihipStream_tbDpT10_ENKUlT_T0_E_clISt17integral_constantIbLb0EES17_EEDaS12_S13_EUlS12_E_NS1_11comp_targetILNS1_3genE9ELNS1_11target_archE1100ELNS1_3gpuE3ELNS1_3repE0EEENS1_30default_config_static_selectorELNS0_4arch9wavefront6targetE1EEEvT1_
    .private_segment_fixed_size: 0
    .sgpr_count:     6
    .sgpr_spill_count: 0
    .symbol:         _ZN7rocprim17ROCPRIM_400000_NS6detail17trampoline_kernelINS0_14default_configENS1_25partition_config_selectorILNS1_17partition_subalgoE8EmNS0_10empty_typeEbEEZZNS1_14partition_implILS5_8ELb0ES3_jPKmPS6_PKS6_NS0_5tupleIJPmS6_EEENSE_IJSB_SB_EEENS0_18inequality_wrapperIN6hipcub16HIPCUB_304000_NS8EqualityEEEPlJS6_EEE10hipError_tPvRmT3_T4_T5_T6_T7_T9_mT8_P12ihipStream_tbDpT10_ENKUlT_T0_E_clISt17integral_constantIbLb0EES17_EEDaS12_S13_EUlS12_E_NS1_11comp_targetILNS1_3genE9ELNS1_11target_archE1100ELNS1_3gpuE3ELNS1_3repE0EEENS1_30default_config_static_selectorELNS0_4arch9wavefront6targetE1EEEvT1_.kd
    .uniform_work_group_size: 1
    .uses_dynamic_stack: false
    .vgpr_count:     0
    .vgpr_spill_count: 0
    .wavefront_size: 64
  - .agpr_count:     0
    .args:
      - .offset:         0
        .size:           112
        .value_kind:     by_value
    .group_segment_fixed_size: 0
    .kernarg_segment_align: 8
    .kernarg_segment_size: 112
    .language:       OpenCL C
    .language_version:
      - 2
      - 0
    .max_flat_workgroup_size: 512
    .name:           _ZN7rocprim17ROCPRIM_400000_NS6detail17trampoline_kernelINS0_14default_configENS1_25partition_config_selectorILNS1_17partition_subalgoE8EmNS0_10empty_typeEbEEZZNS1_14partition_implILS5_8ELb0ES3_jPKmPS6_PKS6_NS0_5tupleIJPmS6_EEENSE_IJSB_SB_EEENS0_18inequality_wrapperIN6hipcub16HIPCUB_304000_NS8EqualityEEEPlJS6_EEE10hipError_tPvRmT3_T4_T5_T6_T7_T9_mT8_P12ihipStream_tbDpT10_ENKUlT_T0_E_clISt17integral_constantIbLb0EES17_EEDaS12_S13_EUlS12_E_NS1_11comp_targetILNS1_3genE8ELNS1_11target_archE1030ELNS1_3gpuE2ELNS1_3repE0EEENS1_30default_config_static_selectorELNS0_4arch9wavefront6targetE1EEEvT1_
    .private_segment_fixed_size: 0
    .sgpr_count:     6
    .sgpr_spill_count: 0
    .symbol:         _ZN7rocprim17ROCPRIM_400000_NS6detail17trampoline_kernelINS0_14default_configENS1_25partition_config_selectorILNS1_17partition_subalgoE8EmNS0_10empty_typeEbEEZZNS1_14partition_implILS5_8ELb0ES3_jPKmPS6_PKS6_NS0_5tupleIJPmS6_EEENSE_IJSB_SB_EEENS0_18inequality_wrapperIN6hipcub16HIPCUB_304000_NS8EqualityEEEPlJS6_EEE10hipError_tPvRmT3_T4_T5_T6_T7_T9_mT8_P12ihipStream_tbDpT10_ENKUlT_T0_E_clISt17integral_constantIbLb0EES17_EEDaS12_S13_EUlS12_E_NS1_11comp_targetILNS1_3genE8ELNS1_11target_archE1030ELNS1_3gpuE2ELNS1_3repE0EEENS1_30default_config_static_selectorELNS0_4arch9wavefront6targetE1EEEvT1_.kd
    .uniform_work_group_size: 1
    .uses_dynamic_stack: false
    .vgpr_count:     0
    .vgpr_spill_count: 0
    .wavefront_size: 64
  - .agpr_count:     0
    .args:
      - .offset:         0
        .size:           128
        .value_kind:     by_value
    .group_segment_fixed_size: 0
    .kernarg_segment_align: 8
    .kernarg_segment_size: 128
    .language:       OpenCL C
    .language_version:
      - 2
      - 0
    .max_flat_workgroup_size: 512
    .name:           _ZN7rocprim17ROCPRIM_400000_NS6detail17trampoline_kernelINS0_14default_configENS1_25partition_config_selectorILNS1_17partition_subalgoE8EmNS0_10empty_typeEbEEZZNS1_14partition_implILS5_8ELb0ES3_jPKmPS6_PKS6_NS0_5tupleIJPmS6_EEENSE_IJSB_SB_EEENS0_18inequality_wrapperIN6hipcub16HIPCUB_304000_NS8EqualityEEEPlJS6_EEE10hipError_tPvRmT3_T4_T5_T6_T7_T9_mT8_P12ihipStream_tbDpT10_ENKUlT_T0_E_clISt17integral_constantIbLb1EES17_EEDaS12_S13_EUlS12_E_NS1_11comp_targetILNS1_3genE0ELNS1_11target_archE4294967295ELNS1_3gpuE0ELNS1_3repE0EEENS1_30default_config_static_selectorELNS0_4arch9wavefront6targetE1EEEvT1_
    .private_segment_fixed_size: 0
    .sgpr_count:     6
    .sgpr_spill_count: 0
    .symbol:         _ZN7rocprim17ROCPRIM_400000_NS6detail17trampoline_kernelINS0_14default_configENS1_25partition_config_selectorILNS1_17partition_subalgoE8EmNS0_10empty_typeEbEEZZNS1_14partition_implILS5_8ELb0ES3_jPKmPS6_PKS6_NS0_5tupleIJPmS6_EEENSE_IJSB_SB_EEENS0_18inequality_wrapperIN6hipcub16HIPCUB_304000_NS8EqualityEEEPlJS6_EEE10hipError_tPvRmT3_T4_T5_T6_T7_T9_mT8_P12ihipStream_tbDpT10_ENKUlT_T0_E_clISt17integral_constantIbLb1EES17_EEDaS12_S13_EUlS12_E_NS1_11comp_targetILNS1_3genE0ELNS1_11target_archE4294967295ELNS1_3gpuE0ELNS1_3repE0EEENS1_30default_config_static_selectorELNS0_4arch9wavefront6targetE1EEEvT1_.kd
    .uniform_work_group_size: 1
    .uses_dynamic_stack: false
    .vgpr_count:     0
    .vgpr_spill_count: 0
    .wavefront_size: 64
  - .agpr_count:     0
    .args:
      - .offset:         0
        .size:           128
        .value_kind:     by_value
    .group_segment_fixed_size: 28680
    .kernarg_segment_align: 8
    .kernarg_segment_size: 128
    .language:       OpenCL C
    .language_version:
      - 2
      - 0
    .max_flat_workgroup_size: 512
    .name:           _ZN7rocprim17ROCPRIM_400000_NS6detail17trampoline_kernelINS0_14default_configENS1_25partition_config_selectorILNS1_17partition_subalgoE8EmNS0_10empty_typeEbEEZZNS1_14partition_implILS5_8ELb0ES3_jPKmPS6_PKS6_NS0_5tupleIJPmS6_EEENSE_IJSB_SB_EEENS0_18inequality_wrapperIN6hipcub16HIPCUB_304000_NS8EqualityEEEPlJS6_EEE10hipError_tPvRmT3_T4_T5_T6_T7_T9_mT8_P12ihipStream_tbDpT10_ENKUlT_T0_E_clISt17integral_constantIbLb1EES17_EEDaS12_S13_EUlS12_E_NS1_11comp_targetILNS1_3genE5ELNS1_11target_archE942ELNS1_3gpuE9ELNS1_3repE0EEENS1_30default_config_static_selectorELNS0_4arch9wavefront6targetE1EEEvT1_
    .private_segment_fixed_size: 0
    .sgpr_count:     48
    .sgpr_spill_count: 0
    .symbol:         _ZN7rocprim17ROCPRIM_400000_NS6detail17trampoline_kernelINS0_14default_configENS1_25partition_config_selectorILNS1_17partition_subalgoE8EmNS0_10empty_typeEbEEZZNS1_14partition_implILS5_8ELb0ES3_jPKmPS6_PKS6_NS0_5tupleIJPmS6_EEENSE_IJSB_SB_EEENS0_18inequality_wrapperIN6hipcub16HIPCUB_304000_NS8EqualityEEEPlJS6_EEE10hipError_tPvRmT3_T4_T5_T6_T7_T9_mT8_P12ihipStream_tbDpT10_ENKUlT_T0_E_clISt17integral_constantIbLb1EES17_EEDaS12_S13_EUlS12_E_NS1_11comp_targetILNS1_3genE5ELNS1_11target_archE942ELNS1_3gpuE9ELNS1_3repE0EEENS1_30default_config_static_selectorELNS0_4arch9wavefront6targetE1EEEvT1_.kd
    .uniform_work_group_size: 1
    .uses_dynamic_stack: false
    .vgpr_count:     53
    .vgpr_spill_count: 0
    .wavefront_size: 64
  - .agpr_count:     0
    .args:
      - .offset:         0
        .size:           128
        .value_kind:     by_value
    .group_segment_fixed_size: 0
    .kernarg_segment_align: 8
    .kernarg_segment_size: 128
    .language:       OpenCL C
    .language_version:
      - 2
      - 0
    .max_flat_workgroup_size: 256
    .name:           _ZN7rocprim17ROCPRIM_400000_NS6detail17trampoline_kernelINS0_14default_configENS1_25partition_config_selectorILNS1_17partition_subalgoE8EmNS0_10empty_typeEbEEZZNS1_14partition_implILS5_8ELb0ES3_jPKmPS6_PKS6_NS0_5tupleIJPmS6_EEENSE_IJSB_SB_EEENS0_18inequality_wrapperIN6hipcub16HIPCUB_304000_NS8EqualityEEEPlJS6_EEE10hipError_tPvRmT3_T4_T5_T6_T7_T9_mT8_P12ihipStream_tbDpT10_ENKUlT_T0_E_clISt17integral_constantIbLb1EES17_EEDaS12_S13_EUlS12_E_NS1_11comp_targetILNS1_3genE4ELNS1_11target_archE910ELNS1_3gpuE8ELNS1_3repE0EEENS1_30default_config_static_selectorELNS0_4arch9wavefront6targetE1EEEvT1_
    .private_segment_fixed_size: 0
    .sgpr_count:     6
    .sgpr_spill_count: 0
    .symbol:         _ZN7rocprim17ROCPRIM_400000_NS6detail17trampoline_kernelINS0_14default_configENS1_25partition_config_selectorILNS1_17partition_subalgoE8EmNS0_10empty_typeEbEEZZNS1_14partition_implILS5_8ELb0ES3_jPKmPS6_PKS6_NS0_5tupleIJPmS6_EEENSE_IJSB_SB_EEENS0_18inequality_wrapperIN6hipcub16HIPCUB_304000_NS8EqualityEEEPlJS6_EEE10hipError_tPvRmT3_T4_T5_T6_T7_T9_mT8_P12ihipStream_tbDpT10_ENKUlT_T0_E_clISt17integral_constantIbLb1EES17_EEDaS12_S13_EUlS12_E_NS1_11comp_targetILNS1_3genE4ELNS1_11target_archE910ELNS1_3gpuE8ELNS1_3repE0EEENS1_30default_config_static_selectorELNS0_4arch9wavefront6targetE1EEEvT1_.kd
    .uniform_work_group_size: 1
    .uses_dynamic_stack: false
    .vgpr_count:     0
    .vgpr_spill_count: 0
    .wavefront_size: 64
  - .agpr_count:     0
    .args:
      - .offset:         0
        .size:           128
        .value_kind:     by_value
    .group_segment_fixed_size: 0
    .kernarg_segment_align: 8
    .kernarg_segment_size: 128
    .language:       OpenCL C
    .language_version:
      - 2
      - 0
    .max_flat_workgroup_size: 512
    .name:           _ZN7rocprim17ROCPRIM_400000_NS6detail17trampoline_kernelINS0_14default_configENS1_25partition_config_selectorILNS1_17partition_subalgoE8EmNS0_10empty_typeEbEEZZNS1_14partition_implILS5_8ELb0ES3_jPKmPS6_PKS6_NS0_5tupleIJPmS6_EEENSE_IJSB_SB_EEENS0_18inequality_wrapperIN6hipcub16HIPCUB_304000_NS8EqualityEEEPlJS6_EEE10hipError_tPvRmT3_T4_T5_T6_T7_T9_mT8_P12ihipStream_tbDpT10_ENKUlT_T0_E_clISt17integral_constantIbLb1EES17_EEDaS12_S13_EUlS12_E_NS1_11comp_targetILNS1_3genE3ELNS1_11target_archE908ELNS1_3gpuE7ELNS1_3repE0EEENS1_30default_config_static_selectorELNS0_4arch9wavefront6targetE1EEEvT1_
    .private_segment_fixed_size: 0
    .sgpr_count:     6
    .sgpr_spill_count: 0
    .symbol:         _ZN7rocprim17ROCPRIM_400000_NS6detail17trampoline_kernelINS0_14default_configENS1_25partition_config_selectorILNS1_17partition_subalgoE8EmNS0_10empty_typeEbEEZZNS1_14partition_implILS5_8ELb0ES3_jPKmPS6_PKS6_NS0_5tupleIJPmS6_EEENSE_IJSB_SB_EEENS0_18inequality_wrapperIN6hipcub16HIPCUB_304000_NS8EqualityEEEPlJS6_EEE10hipError_tPvRmT3_T4_T5_T6_T7_T9_mT8_P12ihipStream_tbDpT10_ENKUlT_T0_E_clISt17integral_constantIbLb1EES17_EEDaS12_S13_EUlS12_E_NS1_11comp_targetILNS1_3genE3ELNS1_11target_archE908ELNS1_3gpuE7ELNS1_3repE0EEENS1_30default_config_static_selectorELNS0_4arch9wavefront6targetE1EEEvT1_.kd
    .uniform_work_group_size: 1
    .uses_dynamic_stack: false
    .vgpr_count:     0
    .vgpr_spill_count: 0
    .wavefront_size: 64
  - .agpr_count:     0
    .args:
      - .offset:         0
        .size:           128
        .value_kind:     by_value
    .group_segment_fixed_size: 0
    .kernarg_segment_align: 8
    .kernarg_segment_size: 128
    .language:       OpenCL C
    .language_version:
      - 2
      - 0
    .max_flat_workgroup_size: 256
    .name:           _ZN7rocprim17ROCPRIM_400000_NS6detail17trampoline_kernelINS0_14default_configENS1_25partition_config_selectorILNS1_17partition_subalgoE8EmNS0_10empty_typeEbEEZZNS1_14partition_implILS5_8ELb0ES3_jPKmPS6_PKS6_NS0_5tupleIJPmS6_EEENSE_IJSB_SB_EEENS0_18inequality_wrapperIN6hipcub16HIPCUB_304000_NS8EqualityEEEPlJS6_EEE10hipError_tPvRmT3_T4_T5_T6_T7_T9_mT8_P12ihipStream_tbDpT10_ENKUlT_T0_E_clISt17integral_constantIbLb1EES17_EEDaS12_S13_EUlS12_E_NS1_11comp_targetILNS1_3genE2ELNS1_11target_archE906ELNS1_3gpuE6ELNS1_3repE0EEENS1_30default_config_static_selectorELNS0_4arch9wavefront6targetE1EEEvT1_
    .private_segment_fixed_size: 0
    .sgpr_count:     6
    .sgpr_spill_count: 0
    .symbol:         _ZN7rocprim17ROCPRIM_400000_NS6detail17trampoline_kernelINS0_14default_configENS1_25partition_config_selectorILNS1_17partition_subalgoE8EmNS0_10empty_typeEbEEZZNS1_14partition_implILS5_8ELb0ES3_jPKmPS6_PKS6_NS0_5tupleIJPmS6_EEENSE_IJSB_SB_EEENS0_18inequality_wrapperIN6hipcub16HIPCUB_304000_NS8EqualityEEEPlJS6_EEE10hipError_tPvRmT3_T4_T5_T6_T7_T9_mT8_P12ihipStream_tbDpT10_ENKUlT_T0_E_clISt17integral_constantIbLb1EES17_EEDaS12_S13_EUlS12_E_NS1_11comp_targetILNS1_3genE2ELNS1_11target_archE906ELNS1_3gpuE6ELNS1_3repE0EEENS1_30default_config_static_selectorELNS0_4arch9wavefront6targetE1EEEvT1_.kd
    .uniform_work_group_size: 1
    .uses_dynamic_stack: false
    .vgpr_count:     0
    .vgpr_spill_count: 0
    .wavefront_size: 64
  - .agpr_count:     0
    .args:
      - .offset:         0
        .size:           128
        .value_kind:     by_value
    .group_segment_fixed_size: 0
    .kernarg_segment_align: 8
    .kernarg_segment_size: 128
    .language:       OpenCL C
    .language_version:
      - 2
      - 0
    .max_flat_workgroup_size: 384
    .name:           _ZN7rocprim17ROCPRIM_400000_NS6detail17trampoline_kernelINS0_14default_configENS1_25partition_config_selectorILNS1_17partition_subalgoE8EmNS0_10empty_typeEbEEZZNS1_14partition_implILS5_8ELb0ES3_jPKmPS6_PKS6_NS0_5tupleIJPmS6_EEENSE_IJSB_SB_EEENS0_18inequality_wrapperIN6hipcub16HIPCUB_304000_NS8EqualityEEEPlJS6_EEE10hipError_tPvRmT3_T4_T5_T6_T7_T9_mT8_P12ihipStream_tbDpT10_ENKUlT_T0_E_clISt17integral_constantIbLb1EES17_EEDaS12_S13_EUlS12_E_NS1_11comp_targetILNS1_3genE10ELNS1_11target_archE1200ELNS1_3gpuE4ELNS1_3repE0EEENS1_30default_config_static_selectorELNS0_4arch9wavefront6targetE1EEEvT1_
    .private_segment_fixed_size: 0
    .sgpr_count:     6
    .sgpr_spill_count: 0
    .symbol:         _ZN7rocprim17ROCPRIM_400000_NS6detail17trampoline_kernelINS0_14default_configENS1_25partition_config_selectorILNS1_17partition_subalgoE8EmNS0_10empty_typeEbEEZZNS1_14partition_implILS5_8ELb0ES3_jPKmPS6_PKS6_NS0_5tupleIJPmS6_EEENSE_IJSB_SB_EEENS0_18inequality_wrapperIN6hipcub16HIPCUB_304000_NS8EqualityEEEPlJS6_EEE10hipError_tPvRmT3_T4_T5_T6_T7_T9_mT8_P12ihipStream_tbDpT10_ENKUlT_T0_E_clISt17integral_constantIbLb1EES17_EEDaS12_S13_EUlS12_E_NS1_11comp_targetILNS1_3genE10ELNS1_11target_archE1200ELNS1_3gpuE4ELNS1_3repE0EEENS1_30default_config_static_selectorELNS0_4arch9wavefront6targetE1EEEvT1_.kd
    .uniform_work_group_size: 1
    .uses_dynamic_stack: false
    .vgpr_count:     0
    .vgpr_spill_count: 0
    .wavefront_size: 64
  - .agpr_count:     0
    .args:
      - .offset:         0
        .size:           128
        .value_kind:     by_value
    .group_segment_fixed_size: 0
    .kernarg_segment_align: 8
    .kernarg_segment_size: 128
    .language:       OpenCL C
    .language_version:
      - 2
      - 0
    .max_flat_workgroup_size: 512
    .name:           _ZN7rocprim17ROCPRIM_400000_NS6detail17trampoline_kernelINS0_14default_configENS1_25partition_config_selectorILNS1_17partition_subalgoE8EmNS0_10empty_typeEbEEZZNS1_14partition_implILS5_8ELb0ES3_jPKmPS6_PKS6_NS0_5tupleIJPmS6_EEENSE_IJSB_SB_EEENS0_18inequality_wrapperIN6hipcub16HIPCUB_304000_NS8EqualityEEEPlJS6_EEE10hipError_tPvRmT3_T4_T5_T6_T7_T9_mT8_P12ihipStream_tbDpT10_ENKUlT_T0_E_clISt17integral_constantIbLb1EES17_EEDaS12_S13_EUlS12_E_NS1_11comp_targetILNS1_3genE9ELNS1_11target_archE1100ELNS1_3gpuE3ELNS1_3repE0EEENS1_30default_config_static_selectorELNS0_4arch9wavefront6targetE1EEEvT1_
    .private_segment_fixed_size: 0
    .sgpr_count:     6
    .sgpr_spill_count: 0
    .symbol:         _ZN7rocprim17ROCPRIM_400000_NS6detail17trampoline_kernelINS0_14default_configENS1_25partition_config_selectorILNS1_17partition_subalgoE8EmNS0_10empty_typeEbEEZZNS1_14partition_implILS5_8ELb0ES3_jPKmPS6_PKS6_NS0_5tupleIJPmS6_EEENSE_IJSB_SB_EEENS0_18inequality_wrapperIN6hipcub16HIPCUB_304000_NS8EqualityEEEPlJS6_EEE10hipError_tPvRmT3_T4_T5_T6_T7_T9_mT8_P12ihipStream_tbDpT10_ENKUlT_T0_E_clISt17integral_constantIbLb1EES17_EEDaS12_S13_EUlS12_E_NS1_11comp_targetILNS1_3genE9ELNS1_11target_archE1100ELNS1_3gpuE3ELNS1_3repE0EEENS1_30default_config_static_selectorELNS0_4arch9wavefront6targetE1EEEvT1_.kd
    .uniform_work_group_size: 1
    .uses_dynamic_stack: false
    .vgpr_count:     0
    .vgpr_spill_count: 0
    .wavefront_size: 64
  - .agpr_count:     0
    .args:
      - .offset:         0
        .size:           128
        .value_kind:     by_value
    .group_segment_fixed_size: 0
    .kernarg_segment_align: 8
    .kernarg_segment_size: 128
    .language:       OpenCL C
    .language_version:
      - 2
      - 0
    .max_flat_workgroup_size: 512
    .name:           _ZN7rocprim17ROCPRIM_400000_NS6detail17trampoline_kernelINS0_14default_configENS1_25partition_config_selectorILNS1_17partition_subalgoE8EmNS0_10empty_typeEbEEZZNS1_14partition_implILS5_8ELb0ES3_jPKmPS6_PKS6_NS0_5tupleIJPmS6_EEENSE_IJSB_SB_EEENS0_18inequality_wrapperIN6hipcub16HIPCUB_304000_NS8EqualityEEEPlJS6_EEE10hipError_tPvRmT3_T4_T5_T6_T7_T9_mT8_P12ihipStream_tbDpT10_ENKUlT_T0_E_clISt17integral_constantIbLb1EES17_EEDaS12_S13_EUlS12_E_NS1_11comp_targetILNS1_3genE8ELNS1_11target_archE1030ELNS1_3gpuE2ELNS1_3repE0EEENS1_30default_config_static_selectorELNS0_4arch9wavefront6targetE1EEEvT1_
    .private_segment_fixed_size: 0
    .sgpr_count:     6
    .sgpr_spill_count: 0
    .symbol:         _ZN7rocprim17ROCPRIM_400000_NS6detail17trampoline_kernelINS0_14default_configENS1_25partition_config_selectorILNS1_17partition_subalgoE8EmNS0_10empty_typeEbEEZZNS1_14partition_implILS5_8ELb0ES3_jPKmPS6_PKS6_NS0_5tupleIJPmS6_EEENSE_IJSB_SB_EEENS0_18inequality_wrapperIN6hipcub16HIPCUB_304000_NS8EqualityEEEPlJS6_EEE10hipError_tPvRmT3_T4_T5_T6_T7_T9_mT8_P12ihipStream_tbDpT10_ENKUlT_T0_E_clISt17integral_constantIbLb1EES17_EEDaS12_S13_EUlS12_E_NS1_11comp_targetILNS1_3genE8ELNS1_11target_archE1030ELNS1_3gpuE2ELNS1_3repE0EEENS1_30default_config_static_selectorELNS0_4arch9wavefront6targetE1EEEvT1_.kd
    .uniform_work_group_size: 1
    .uses_dynamic_stack: false
    .vgpr_count:     0
    .vgpr_spill_count: 0
    .wavefront_size: 64
  - .agpr_count:     0
    .args:
      - .offset:         0
        .size:           112
        .value_kind:     by_value
    .group_segment_fixed_size: 0
    .kernarg_segment_align: 8
    .kernarg_segment_size: 112
    .language:       OpenCL C
    .language_version:
      - 2
      - 0
    .max_flat_workgroup_size: 512
    .name:           _ZN7rocprim17ROCPRIM_400000_NS6detail17trampoline_kernelINS0_14default_configENS1_25partition_config_selectorILNS1_17partition_subalgoE8EmNS0_10empty_typeEbEEZZNS1_14partition_implILS5_8ELb0ES3_jPKmPS6_PKS6_NS0_5tupleIJPmS6_EEENSE_IJSB_SB_EEENS0_18inequality_wrapperIN6hipcub16HIPCUB_304000_NS8EqualityEEEPlJS6_EEE10hipError_tPvRmT3_T4_T5_T6_T7_T9_mT8_P12ihipStream_tbDpT10_ENKUlT_T0_E_clISt17integral_constantIbLb1EES16_IbLb0EEEEDaS12_S13_EUlS12_E_NS1_11comp_targetILNS1_3genE0ELNS1_11target_archE4294967295ELNS1_3gpuE0ELNS1_3repE0EEENS1_30default_config_static_selectorELNS0_4arch9wavefront6targetE1EEEvT1_
    .private_segment_fixed_size: 0
    .sgpr_count:     6
    .sgpr_spill_count: 0
    .symbol:         _ZN7rocprim17ROCPRIM_400000_NS6detail17trampoline_kernelINS0_14default_configENS1_25partition_config_selectorILNS1_17partition_subalgoE8EmNS0_10empty_typeEbEEZZNS1_14partition_implILS5_8ELb0ES3_jPKmPS6_PKS6_NS0_5tupleIJPmS6_EEENSE_IJSB_SB_EEENS0_18inequality_wrapperIN6hipcub16HIPCUB_304000_NS8EqualityEEEPlJS6_EEE10hipError_tPvRmT3_T4_T5_T6_T7_T9_mT8_P12ihipStream_tbDpT10_ENKUlT_T0_E_clISt17integral_constantIbLb1EES16_IbLb0EEEEDaS12_S13_EUlS12_E_NS1_11comp_targetILNS1_3genE0ELNS1_11target_archE4294967295ELNS1_3gpuE0ELNS1_3repE0EEENS1_30default_config_static_selectorELNS0_4arch9wavefront6targetE1EEEvT1_.kd
    .uniform_work_group_size: 1
    .uses_dynamic_stack: false
    .vgpr_count:     0
    .vgpr_spill_count: 0
    .wavefront_size: 64
  - .agpr_count:     0
    .args:
      - .offset:         0
        .size:           112
        .value_kind:     by_value
    .group_segment_fixed_size: 28680
    .kernarg_segment_align: 8
    .kernarg_segment_size: 112
    .language:       OpenCL C
    .language_version:
      - 2
      - 0
    .max_flat_workgroup_size: 512
    .name:           _ZN7rocprim17ROCPRIM_400000_NS6detail17trampoline_kernelINS0_14default_configENS1_25partition_config_selectorILNS1_17partition_subalgoE8EmNS0_10empty_typeEbEEZZNS1_14partition_implILS5_8ELb0ES3_jPKmPS6_PKS6_NS0_5tupleIJPmS6_EEENSE_IJSB_SB_EEENS0_18inequality_wrapperIN6hipcub16HIPCUB_304000_NS8EqualityEEEPlJS6_EEE10hipError_tPvRmT3_T4_T5_T6_T7_T9_mT8_P12ihipStream_tbDpT10_ENKUlT_T0_E_clISt17integral_constantIbLb1EES16_IbLb0EEEEDaS12_S13_EUlS12_E_NS1_11comp_targetILNS1_3genE5ELNS1_11target_archE942ELNS1_3gpuE9ELNS1_3repE0EEENS1_30default_config_static_selectorELNS0_4arch9wavefront6targetE1EEEvT1_
    .private_segment_fixed_size: 0
    .sgpr_count:     46
    .sgpr_spill_count: 0
    .symbol:         _ZN7rocprim17ROCPRIM_400000_NS6detail17trampoline_kernelINS0_14default_configENS1_25partition_config_selectorILNS1_17partition_subalgoE8EmNS0_10empty_typeEbEEZZNS1_14partition_implILS5_8ELb0ES3_jPKmPS6_PKS6_NS0_5tupleIJPmS6_EEENSE_IJSB_SB_EEENS0_18inequality_wrapperIN6hipcub16HIPCUB_304000_NS8EqualityEEEPlJS6_EEE10hipError_tPvRmT3_T4_T5_T6_T7_T9_mT8_P12ihipStream_tbDpT10_ENKUlT_T0_E_clISt17integral_constantIbLb1EES16_IbLb0EEEEDaS12_S13_EUlS12_E_NS1_11comp_targetILNS1_3genE5ELNS1_11target_archE942ELNS1_3gpuE9ELNS1_3repE0EEENS1_30default_config_static_selectorELNS0_4arch9wavefront6targetE1EEEvT1_.kd
    .uniform_work_group_size: 1
    .uses_dynamic_stack: false
    .vgpr_count:     53
    .vgpr_spill_count: 0
    .wavefront_size: 64
  - .agpr_count:     0
    .args:
      - .offset:         0
        .size:           112
        .value_kind:     by_value
    .group_segment_fixed_size: 0
    .kernarg_segment_align: 8
    .kernarg_segment_size: 112
    .language:       OpenCL C
    .language_version:
      - 2
      - 0
    .max_flat_workgroup_size: 256
    .name:           _ZN7rocprim17ROCPRIM_400000_NS6detail17trampoline_kernelINS0_14default_configENS1_25partition_config_selectorILNS1_17partition_subalgoE8EmNS0_10empty_typeEbEEZZNS1_14partition_implILS5_8ELb0ES3_jPKmPS6_PKS6_NS0_5tupleIJPmS6_EEENSE_IJSB_SB_EEENS0_18inequality_wrapperIN6hipcub16HIPCUB_304000_NS8EqualityEEEPlJS6_EEE10hipError_tPvRmT3_T4_T5_T6_T7_T9_mT8_P12ihipStream_tbDpT10_ENKUlT_T0_E_clISt17integral_constantIbLb1EES16_IbLb0EEEEDaS12_S13_EUlS12_E_NS1_11comp_targetILNS1_3genE4ELNS1_11target_archE910ELNS1_3gpuE8ELNS1_3repE0EEENS1_30default_config_static_selectorELNS0_4arch9wavefront6targetE1EEEvT1_
    .private_segment_fixed_size: 0
    .sgpr_count:     6
    .sgpr_spill_count: 0
    .symbol:         _ZN7rocprim17ROCPRIM_400000_NS6detail17trampoline_kernelINS0_14default_configENS1_25partition_config_selectorILNS1_17partition_subalgoE8EmNS0_10empty_typeEbEEZZNS1_14partition_implILS5_8ELb0ES3_jPKmPS6_PKS6_NS0_5tupleIJPmS6_EEENSE_IJSB_SB_EEENS0_18inequality_wrapperIN6hipcub16HIPCUB_304000_NS8EqualityEEEPlJS6_EEE10hipError_tPvRmT3_T4_T5_T6_T7_T9_mT8_P12ihipStream_tbDpT10_ENKUlT_T0_E_clISt17integral_constantIbLb1EES16_IbLb0EEEEDaS12_S13_EUlS12_E_NS1_11comp_targetILNS1_3genE4ELNS1_11target_archE910ELNS1_3gpuE8ELNS1_3repE0EEENS1_30default_config_static_selectorELNS0_4arch9wavefront6targetE1EEEvT1_.kd
    .uniform_work_group_size: 1
    .uses_dynamic_stack: false
    .vgpr_count:     0
    .vgpr_spill_count: 0
    .wavefront_size: 64
  - .agpr_count:     0
    .args:
      - .offset:         0
        .size:           112
        .value_kind:     by_value
    .group_segment_fixed_size: 0
    .kernarg_segment_align: 8
    .kernarg_segment_size: 112
    .language:       OpenCL C
    .language_version:
      - 2
      - 0
    .max_flat_workgroup_size: 512
    .name:           _ZN7rocprim17ROCPRIM_400000_NS6detail17trampoline_kernelINS0_14default_configENS1_25partition_config_selectorILNS1_17partition_subalgoE8EmNS0_10empty_typeEbEEZZNS1_14partition_implILS5_8ELb0ES3_jPKmPS6_PKS6_NS0_5tupleIJPmS6_EEENSE_IJSB_SB_EEENS0_18inequality_wrapperIN6hipcub16HIPCUB_304000_NS8EqualityEEEPlJS6_EEE10hipError_tPvRmT3_T4_T5_T6_T7_T9_mT8_P12ihipStream_tbDpT10_ENKUlT_T0_E_clISt17integral_constantIbLb1EES16_IbLb0EEEEDaS12_S13_EUlS12_E_NS1_11comp_targetILNS1_3genE3ELNS1_11target_archE908ELNS1_3gpuE7ELNS1_3repE0EEENS1_30default_config_static_selectorELNS0_4arch9wavefront6targetE1EEEvT1_
    .private_segment_fixed_size: 0
    .sgpr_count:     6
    .sgpr_spill_count: 0
    .symbol:         _ZN7rocprim17ROCPRIM_400000_NS6detail17trampoline_kernelINS0_14default_configENS1_25partition_config_selectorILNS1_17partition_subalgoE8EmNS0_10empty_typeEbEEZZNS1_14partition_implILS5_8ELb0ES3_jPKmPS6_PKS6_NS0_5tupleIJPmS6_EEENSE_IJSB_SB_EEENS0_18inequality_wrapperIN6hipcub16HIPCUB_304000_NS8EqualityEEEPlJS6_EEE10hipError_tPvRmT3_T4_T5_T6_T7_T9_mT8_P12ihipStream_tbDpT10_ENKUlT_T0_E_clISt17integral_constantIbLb1EES16_IbLb0EEEEDaS12_S13_EUlS12_E_NS1_11comp_targetILNS1_3genE3ELNS1_11target_archE908ELNS1_3gpuE7ELNS1_3repE0EEENS1_30default_config_static_selectorELNS0_4arch9wavefront6targetE1EEEvT1_.kd
    .uniform_work_group_size: 1
    .uses_dynamic_stack: false
    .vgpr_count:     0
    .vgpr_spill_count: 0
    .wavefront_size: 64
  - .agpr_count:     0
    .args:
      - .offset:         0
        .size:           112
        .value_kind:     by_value
    .group_segment_fixed_size: 0
    .kernarg_segment_align: 8
    .kernarg_segment_size: 112
    .language:       OpenCL C
    .language_version:
      - 2
      - 0
    .max_flat_workgroup_size: 256
    .name:           _ZN7rocprim17ROCPRIM_400000_NS6detail17trampoline_kernelINS0_14default_configENS1_25partition_config_selectorILNS1_17partition_subalgoE8EmNS0_10empty_typeEbEEZZNS1_14partition_implILS5_8ELb0ES3_jPKmPS6_PKS6_NS0_5tupleIJPmS6_EEENSE_IJSB_SB_EEENS0_18inequality_wrapperIN6hipcub16HIPCUB_304000_NS8EqualityEEEPlJS6_EEE10hipError_tPvRmT3_T4_T5_T6_T7_T9_mT8_P12ihipStream_tbDpT10_ENKUlT_T0_E_clISt17integral_constantIbLb1EES16_IbLb0EEEEDaS12_S13_EUlS12_E_NS1_11comp_targetILNS1_3genE2ELNS1_11target_archE906ELNS1_3gpuE6ELNS1_3repE0EEENS1_30default_config_static_selectorELNS0_4arch9wavefront6targetE1EEEvT1_
    .private_segment_fixed_size: 0
    .sgpr_count:     6
    .sgpr_spill_count: 0
    .symbol:         _ZN7rocprim17ROCPRIM_400000_NS6detail17trampoline_kernelINS0_14default_configENS1_25partition_config_selectorILNS1_17partition_subalgoE8EmNS0_10empty_typeEbEEZZNS1_14partition_implILS5_8ELb0ES3_jPKmPS6_PKS6_NS0_5tupleIJPmS6_EEENSE_IJSB_SB_EEENS0_18inequality_wrapperIN6hipcub16HIPCUB_304000_NS8EqualityEEEPlJS6_EEE10hipError_tPvRmT3_T4_T5_T6_T7_T9_mT8_P12ihipStream_tbDpT10_ENKUlT_T0_E_clISt17integral_constantIbLb1EES16_IbLb0EEEEDaS12_S13_EUlS12_E_NS1_11comp_targetILNS1_3genE2ELNS1_11target_archE906ELNS1_3gpuE6ELNS1_3repE0EEENS1_30default_config_static_selectorELNS0_4arch9wavefront6targetE1EEEvT1_.kd
    .uniform_work_group_size: 1
    .uses_dynamic_stack: false
    .vgpr_count:     0
    .vgpr_spill_count: 0
    .wavefront_size: 64
  - .agpr_count:     0
    .args:
      - .offset:         0
        .size:           112
        .value_kind:     by_value
    .group_segment_fixed_size: 0
    .kernarg_segment_align: 8
    .kernarg_segment_size: 112
    .language:       OpenCL C
    .language_version:
      - 2
      - 0
    .max_flat_workgroup_size: 384
    .name:           _ZN7rocprim17ROCPRIM_400000_NS6detail17trampoline_kernelINS0_14default_configENS1_25partition_config_selectorILNS1_17partition_subalgoE8EmNS0_10empty_typeEbEEZZNS1_14partition_implILS5_8ELb0ES3_jPKmPS6_PKS6_NS0_5tupleIJPmS6_EEENSE_IJSB_SB_EEENS0_18inequality_wrapperIN6hipcub16HIPCUB_304000_NS8EqualityEEEPlJS6_EEE10hipError_tPvRmT3_T4_T5_T6_T7_T9_mT8_P12ihipStream_tbDpT10_ENKUlT_T0_E_clISt17integral_constantIbLb1EES16_IbLb0EEEEDaS12_S13_EUlS12_E_NS1_11comp_targetILNS1_3genE10ELNS1_11target_archE1200ELNS1_3gpuE4ELNS1_3repE0EEENS1_30default_config_static_selectorELNS0_4arch9wavefront6targetE1EEEvT1_
    .private_segment_fixed_size: 0
    .sgpr_count:     6
    .sgpr_spill_count: 0
    .symbol:         _ZN7rocprim17ROCPRIM_400000_NS6detail17trampoline_kernelINS0_14default_configENS1_25partition_config_selectorILNS1_17partition_subalgoE8EmNS0_10empty_typeEbEEZZNS1_14partition_implILS5_8ELb0ES3_jPKmPS6_PKS6_NS0_5tupleIJPmS6_EEENSE_IJSB_SB_EEENS0_18inequality_wrapperIN6hipcub16HIPCUB_304000_NS8EqualityEEEPlJS6_EEE10hipError_tPvRmT3_T4_T5_T6_T7_T9_mT8_P12ihipStream_tbDpT10_ENKUlT_T0_E_clISt17integral_constantIbLb1EES16_IbLb0EEEEDaS12_S13_EUlS12_E_NS1_11comp_targetILNS1_3genE10ELNS1_11target_archE1200ELNS1_3gpuE4ELNS1_3repE0EEENS1_30default_config_static_selectorELNS0_4arch9wavefront6targetE1EEEvT1_.kd
    .uniform_work_group_size: 1
    .uses_dynamic_stack: false
    .vgpr_count:     0
    .vgpr_spill_count: 0
    .wavefront_size: 64
  - .agpr_count:     0
    .args:
      - .offset:         0
        .size:           112
        .value_kind:     by_value
    .group_segment_fixed_size: 0
    .kernarg_segment_align: 8
    .kernarg_segment_size: 112
    .language:       OpenCL C
    .language_version:
      - 2
      - 0
    .max_flat_workgroup_size: 512
    .name:           _ZN7rocprim17ROCPRIM_400000_NS6detail17trampoline_kernelINS0_14default_configENS1_25partition_config_selectorILNS1_17partition_subalgoE8EmNS0_10empty_typeEbEEZZNS1_14partition_implILS5_8ELb0ES3_jPKmPS6_PKS6_NS0_5tupleIJPmS6_EEENSE_IJSB_SB_EEENS0_18inequality_wrapperIN6hipcub16HIPCUB_304000_NS8EqualityEEEPlJS6_EEE10hipError_tPvRmT3_T4_T5_T6_T7_T9_mT8_P12ihipStream_tbDpT10_ENKUlT_T0_E_clISt17integral_constantIbLb1EES16_IbLb0EEEEDaS12_S13_EUlS12_E_NS1_11comp_targetILNS1_3genE9ELNS1_11target_archE1100ELNS1_3gpuE3ELNS1_3repE0EEENS1_30default_config_static_selectorELNS0_4arch9wavefront6targetE1EEEvT1_
    .private_segment_fixed_size: 0
    .sgpr_count:     6
    .sgpr_spill_count: 0
    .symbol:         _ZN7rocprim17ROCPRIM_400000_NS6detail17trampoline_kernelINS0_14default_configENS1_25partition_config_selectorILNS1_17partition_subalgoE8EmNS0_10empty_typeEbEEZZNS1_14partition_implILS5_8ELb0ES3_jPKmPS6_PKS6_NS0_5tupleIJPmS6_EEENSE_IJSB_SB_EEENS0_18inequality_wrapperIN6hipcub16HIPCUB_304000_NS8EqualityEEEPlJS6_EEE10hipError_tPvRmT3_T4_T5_T6_T7_T9_mT8_P12ihipStream_tbDpT10_ENKUlT_T0_E_clISt17integral_constantIbLb1EES16_IbLb0EEEEDaS12_S13_EUlS12_E_NS1_11comp_targetILNS1_3genE9ELNS1_11target_archE1100ELNS1_3gpuE3ELNS1_3repE0EEENS1_30default_config_static_selectorELNS0_4arch9wavefront6targetE1EEEvT1_.kd
    .uniform_work_group_size: 1
    .uses_dynamic_stack: false
    .vgpr_count:     0
    .vgpr_spill_count: 0
    .wavefront_size: 64
  - .agpr_count:     0
    .args:
      - .offset:         0
        .size:           112
        .value_kind:     by_value
    .group_segment_fixed_size: 0
    .kernarg_segment_align: 8
    .kernarg_segment_size: 112
    .language:       OpenCL C
    .language_version:
      - 2
      - 0
    .max_flat_workgroup_size: 512
    .name:           _ZN7rocprim17ROCPRIM_400000_NS6detail17trampoline_kernelINS0_14default_configENS1_25partition_config_selectorILNS1_17partition_subalgoE8EmNS0_10empty_typeEbEEZZNS1_14partition_implILS5_8ELb0ES3_jPKmPS6_PKS6_NS0_5tupleIJPmS6_EEENSE_IJSB_SB_EEENS0_18inequality_wrapperIN6hipcub16HIPCUB_304000_NS8EqualityEEEPlJS6_EEE10hipError_tPvRmT3_T4_T5_T6_T7_T9_mT8_P12ihipStream_tbDpT10_ENKUlT_T0_E_clISt17integral_constantIbLb1EES16_IbLb0EEEEDaS12_S13_EUlS12_E_NS1_11comp_targetILNS1_3genE8ELNS1_11target_archE1030ELNS1_3gpuE2ELNS1_3repE0EEENS1_30default_config_static_selectorELNS0_4arch9wavefront6targetE1EEEvT1_
    .private_segment_fixed_size: 0
    .sgpr_count:     6
    .sgpr_spill_count: 0
    .symbol:         _ZN7rocprim17ROCPRIM_400000_NS6detail17trampoline_kernelINS0_14default_configENS1_25partition_config_selectorILNS1_17partition_subalgoE8EmNS0_10empty_typeEbEEZZNS1_14partition_implILS5_8ELb0ES3_jPKmPS6_PKS6_NS0_5tupleIJPmS6_EEENSE_IJSB_SB_EEENS0_18inequality_wrapperIN6hipcub16HIPCUB_304000_NS8EqualityEEEPlJS6_EEE10hipError_tPvRmT3_T4_T5_T6_T7_T9_mT8_P12ihipStream_tbDpT10_ENKUlT_T0_E_clISt17integral_constantIbLb1EES16_IbLb0EEEEDaS12_S13_EUlS12_E_NS1_11comp_targetILNS1_3genE8ELNS1_11target_archE1030ELNS1_3gpuE2ELNS1_3repE0EEENS1_30default_config_static_selectorELNS0_4arch9wavefront6targetE1EEEvT1_.kd
    .uniform_work_group_size: 1
    .uses_dynamic_stack: false
    .vgpr_count:     0
    .vgpr_spill_count: 0
    .wavefront_size: 64
  - .agpr_count:     0
    .args:
      - .offset:         0
        .size:           128
        .value_kind:     by_value
    .group_segment_fixed_size: 0
    .kernarg_segment_align: 8
    .kernarg_segment_size: 128
    .language:       OpenCL C
    .language_version:
      - 2
      - 0
    .max_flat_workgroup_size: 512
    .name:           _ZN7rocprim17ROCPRIM_400000_NS6detail17trampoline_kernelINS0_14default_configENS1_25partition_config_selectorILNS1_17partition_subalgoE8EmNS0_10empty_typeEbEEZZNS1_14partition_implILS5_8ELb0ES3_jPKmPS6_PKS6_NS0_5tupleIJPmS6_EEENSE_IJSB_SB_EEENS0_18inequality_wrapperIN6hipcub16HIPCUB_304000_NS8EqualityEEEPlJS6_EEE10hipError_tPvRmT3_T4_T5_T6_T7_T9_mT8_P12ihipStream_tbDpT10_ENKUlT_T0_E_clISt17integral_constantIbLb0EES16_IbLb1EEEEDaS12_S13_EUlS12_E_NS1_11comp_targetILNS1_3genE0ELNS1_11target_archE4294967295ELNS1_3gpuE0ELNS1_3repE0EEENS1_30default_config_static_selectorELNS0_4arch9wavefront6targetE1EEEvT1_
    .private_segment_fixed_size: 0
    .sgpr_count:     6
    .sgpr_spill_count: 0
    .symbol:         _ZN7rocprim17ROCPRIM_400000_NS6detail17trampoline_kernelINS0_14default_configENS1_25partition_config_selectorILNS1_17partition_subalgoE8EmNS0_10empty_typeEbEEZZNS1_14partition_implILS5_8ELb0ES3_jPKmPS6_PKS6_NS0_5tupleIJPmS6_EEENSE_IJSB_SB_EEENS0_18inequality_wrapperIN6hipcub16HIPCUB_304000_NS8EqualityEEEPlJS6_EEE10hipError_tPvRmT3_T4_T5_T6_T7_T9_mT8_P12ihipStream_tbDpT10_ENKUlT_T0_E_clISt17integral_constantIbLb0EES16_IbLb1EEEEDaS12_S13_EUlS12_E_NS1_11comp_targetILNS1_3genE0ELNS1_11target_archE4294967295ELNS1_3gpuE0ELNS1_3repE0EEENS1_30default_config_static_selectorELNS0_4arch9wavefront6targetE1EEEvT1_.kd
    .uniform_work_group_size: 1
    .uses_dynamic_stack: false
    .vgpr_count:     0
    .vgpr_spill_count: 0
    .wavefront_size: 64
  - .agpr_count:     0
    .args:
      - .offset:         0
        .size:           128
        .value_kind:     by_value
    .group_segment_fixed_size: 28680
    .kernarg_segment_align: 8
    .kernarg_segment_size: 128
    .language:       OpenCL C
    .language_version:
      - 2
      - 0
    .max_flat_workgroup_size: 512
    .name:           _ZN7rocprim17ROCPRIM_400000_NS6detail17trampoline_kernelINS0_14default_configENS1_25partition_config_selectorILNS1_17partition_subalgoE8EmNS0_10empty_typeEbEEZZNS1_14partition_implILS5_8ELb0ES3_jPKmPS6_PKS6_NS0_5tupleIJPmS6_EEENSE_IJSB_SB_EEENS0_18inequality_wrapperIN6hipcub16HIPCUB_304000_NS8EqualityEEEPlJS6_EEE10hipError_tPvRmT3_T4_T5_T6_T7_T9_mT8_P12ihipStream_tbDpT10_ENKUlT_T0_E_clISt17integral_constantIbLb0EES16_IbLb1EEEEDaS12_S13_EUlS12_E_NS1_11comp_targetILNS1_3genE5ELNS1_11target_archE942ELNS1_3gpuE9ELNS1_3repE0EEENS1_30default_config_static_selectorELNS0_4arch9wavefront6targetE1EEEvT1_
    .private_segment_fixed_size: 0
    .sgpr_count:     46
    .sgpr_spill_count: 0
    .symbol:         _ZN7rocprim17ROCPRIM_400000_NS6detail17trampoline_kernelINS0_14default_configENS1_25partition_config_selectorILNS1_17partition_subalgoE8EmNS0_10empty_typeEbEEZZNS1_14partition_implILS5_8ELb0ES3_jPKmPS6_PKS6_NS0_5tupleIJPmS6_EEENSE_IJSB_SB_EEENS0_18inequality_wrapperIN6hipcub16HIPCUB_304000_NS8EqualityEEEPlJS6_EEE10hipError_tPvRmT3_T4_T5_T6_T7_T9_mT8_P12ihipStream_tbDpT10_ENKUlT_T0_E_clISt17integral_constantIbLb0EES16_IbLb1EEEEDaS12_S13_EUlS12_E_NS1_11comp_targetILNS1_3genE5ELNS1_11target_archE942ELNS1_3gpuE9ELNS1_3repE0EEENS1_30default_config_static_selectorELNS0_4arch9wavefront6targetE1EEEvT1_.kd
    .uniform_work_group_size: 1
    .uses_dynamic_stack: false
    .vgpr_count:     53
    .vgpr_spill_count: 0
    .wavefront_size: 64
  - .agpr_count:     0
    .args:
      - .offset:         0
        .size:           128
        .value_kind:     by_value
    .group_segment_fixed_size: 0
    .kernarg_segment_align: 8
    .kernarg_segment_size: 128
    .language:       OpenCL C
    .language_version:
      - 2
      - 0
    .max_flat_workgroup_size: 256
    .name:           _ZN7rocprim17ROCPRIM_400000_NS6detail17trampoline_kernelINS0_14default_configENS1_25partition_config_selectorILNS1_17partition_subalgoE8EmNS0_10empty_typeEbEEZZNS1_14partition_implILS5_8ELb0ES3_jPKmPS6_PKS6_NS0_5tupleIJPmS6_EEENSE_IJSB_SB_EEENS0_18inequality_wrapperIN6hipcub16HIPCUB_304000_NS8EqualityEEEPlJS6_EEE10hipError_tPvRmT3_T4_T5_T6_T7_T9_mT8_P12ihipStream_tbDpT10_ENKUlT_T0_E_clISt17integral_constantIbLb0EES16_IbLb1EEEEDaS12_S13_EUlS12_E_NS1_11comp_targetILNS1_3genE4ELNS1_11target_archE910ELNS1_3gpuE8ELNS1_3repE0EEENS1_30default_config_static_selectorELNS0_4arch9wavefront6targetE1EEEvT1_
    .private_segment_fixed_size: 0
    .sgpr_count:     6
    .sgpr_spill_count: 0
    .symbol:         _ZN7rocprim17ROCPRIM_400000_NS6detail17trampoline_kernelINS0_14default_configENS1_25partition_config_selectorILNS1_17partition_subalgoE8EmNS0_10empty_typeEbEEZZNS1_14partition_implILS5_8ELb0ES3_jPKmPS6_PKS6_NS0_5tupleIJPmS6_EEENSE_IJSB_SB_EEENS0_18inequality_wrapperIN6hipcub16HIPCUB_304000_NS8EqualityEEEPlJS6_EEE10hipError_tPvRmT3_T4_T5_T6_T7_T9_mT8_P12ihipStream_tbDpT10_ENKUlT_T0_E_clISt17integral_constantIbLb0EES16_IbLb1EEEEDaS12_S13_EUlS12_E_NS1_11comp_targetILNS1_3genE4ELNS1_11target_archE910ELNS1_3gpuE8ELNS1_3repE0EEENS1_30default_config_static_selectorELNS0_4arch9wavefront6targetE1EEEvT1_.kd
    .uniform_work_group_size: 1
    .uses_dynamic_stack: false
    .vgpr_count:     0
    .vgpr_spill_count: 0
    .wavefront_size: 64
  - .agpr_count:     0
    .args:
      - .offset:         0
        .size:           128
        .value_kind:     by_value
    .group_segment_fixed_size: 0
    .kernarg_segment_align: 8
    .kernarg_segment_size: 128
    .language:       OpenCL C
    .language_version:
      - 2
      - 0
    .max_flat_workgroup_size: 512
    .name:           _ZN7rocprim17ROCPRIM_400000_NS6detail17trampoline_kernelINS0_14default_configENS1_25partition_config_selectorILNS1_17partition_subalgoE8EmNS0_10empty_typeEbEEZZNS1_14partition_implILS5_8ELb0ES3_jPKmPS6_PKS6_NS0_5tupleIJPmS6_EEENSE_IJSB_SB_EEENS0_18inequality_wrapperIN6hipcub16HIPCUB_304000_NS8EqualityEEEPlJS6_EEE10hipError_tPvRmT3_T4_T5_T6_T7_T9_mT8_P12ihipStream_tbDpT10_ENKUlT_T0_E_clISt17integral_constantIbLb0EES16_IbLb1EEEEDaS12_S13_EUlS12_E_NS1_11comp_targetILNS1_3genE3ELNS1_11target_archE908ELNS1_3gpuE7ELNS1_3repE0EEENS1_30default_config_static_selectorELNS0_4arch9wavefront6targetE1EEEvT1_
    .private_segment_fixed_size: 0
    .sgpr_count:     6
    .sgpr_spill_count: 0
    .symbol:         _ZN7rocprim17ROCPRIM_400000_NS6detail17trampoline_kernelINS0_14default_configENS1_25partition_config_selectorILNS1_17partition_subalgoE8EmNS0_10empty_typeEbEEZZNS1_14partition_implILS5_8ELb0ES3_jPKmPS6_PKS6_NS0_5tupleIJPmS6_EEENSE_IJSB_SB_EEENS0_18inequality_wrapperIN6hipcub16HIPCUB_304000_NS8EqualityEEEPlJS6_EEE10hipError_tPvRmT3_T4_T5_T6_T7_T9_mT8_P12ihipStream_tbDpT10_ENKUlT_T0_E_clISt17integral_constantIbLb0EES16_IbLb1EEEEDaS12_S13_EUlS12_E_NS1_11comp_targetILNS1_3genE3ELNS1_11target_archE908ELNS1_3gpuE7ELNS1_3repE0EEENS1_30default_config_static_selectorELNS0_4arch9wavefront6targetE1EEEvT1_.kd
    .uniform_work_group_size: 1
    .uses_dynamic_stack: false
    .vgpr_count:     0
    .vgpr_spill_count: 0
    .wavefront_size: 64
  - .agpr_count:     0
    .args:
      - .offset:         0
        .size:           128
        .value_kind:     by_value
    .group_segment_fixed_size: 0
    .kernarg_segment_align: 8
    .kernarg_segment_size: 128
    .language:       OpenCL C
    .language_version:
      - 2
      - 0
    .max_flat_workgroup_size: 256
    .name:           _ZN7rocprim17ROCPRIM_400000_NS6detail17trampoline_kernelINS0_14default_configENS1_25partition_config_selectorILNS1_17partition_subalgoE8EmNS0_10empty_typeEbEEZZNS1_14partition_implILS5_8ELb0ES3_jPKmPS6_PKS6_NS0_5tupleIJPmS6_EEENSE_IJSB_SB_EEENS0_18inequality_wrapperIN6hipcub16HIPCUB_304000_NS8EqualityEEEPlJS6_EEE10hipError_tPvRmT3_T4_T5_T6_T7_T9_mT8_P12ihipStream_tbDpT10_ENKUlT_T0_E_clISt17integral_constantIbLb0EES16_IbLb1EEEEDaS12_S13_EUlS12_E_NS1_11comp_targetILNS1_3genE2ELNS1_11target_archE906ELNS1_3gpuE6ELNS1_3repE0EEENS1_30default_config_static_selectorELNS0_4arch9wavefront6targetE1EEEvT1_
    .private_segment_fixed_size: 0
    .sgpr_count:     6
    .sgpr_spill_count: 0
    .symbol:         _ZN7rocprim17ROCPRIM_400000_NS6detail17trampoline_kernelINS0_14default_configENS1_25partition_config_selectorILNS1_17partition_subalgoE8EmNS0_10empty_typeEbEEZZNS1_14partition_implILS5_8ELb0ES3_jPKmPS6_PKS6_NS0_5tupleIJPmS6_EEENSE_IJSB_SB_EEENS0_18inequality_wrapperIN6hipcub16HIPCUB_304000_NS8EqualityEEEPlJS6_EEE10hipError_tPvRmT3_T4_T5_T6_T7_T9_mT8_P12ihipStream_tbDpT10_ENKUlT_T0_E_clISt17integral_constantIbLb0EES16_IbLb1EEEEDaS12_S13_EUlS12_E_NS1_11comp_targetILNS1_3genE2ELNS1_11target_archE906ELNS1_3gpuE6ELNS1_3repE0EEENS1_30default_config_static_selectorELNS0_4arch9wavefront6targetE1EEEvT1_.kd
    .uniform_work_group_size: 1
    .uses_dynamic_stack: false
    .vgpr_count:     0
    .vgpr_spill_count: 0
    .wavefront_size: 64
  - .agpr_count:     0
    .args:
      - .offset:         0
        .size:           128
        .value_kind:     by_value
    .group_segment_fixed_size: 0
    .kernarg_segment_align: 8
    .kernarg_segment_size: 128
    .language:       OpenCL C
    .language_version:
      - 2
      - 0
    .max_flat_workgroup_size: 384
    .name:           _ZN7rocprim17ROCPRIM_400000_NS6detail17trampoline_kernelINS0_14default_configENS1_25partition_config_selectorILNS1_17partition_subalgoE8EmNS0_10empty_typeEbEEZZNS1_14partition_implILS5_8ELb0ES3_jPKmPS6_PKS6_NS0_5tupleIJPmS6_EEENSE_IJSB_SB_EEENS0_18inequality_wrapperIN6hipcub16HIPCUB_304000_NS8EqualityEEEPlJS6_EEE10hipError_tPvRmT3_T4_T5_T6_T7_T9_mT8_P12ihipStream_tbDpT10_ENKUlT_T0_E_clISt17integral_constantIbLb0EES16_IbLb1EEEEDaS12_S13_EUlS12_E_NS1_11comp_targetILNS1_3genE10ELNS1_11target_archE1200ELNS1_3gpuE4ELNS1_3repE0EEENS1_30default_config_static_selectorELNS0_4arch9wavefront6targetE1EEEvT1_
    .private_segment_fixed_size: 0
    .sgpr_count:     6
    .sgpr_spill_count: 0
    .symbol:         _ZN7rocprim17ROCPRIM_400000_NS6detail17trampoline_kernelINS0_14default_configENS1_25partition_config_selectorILNS1_17partition_subalgoE8EmNS0_10empty_typeEbEEZZNS1_14partition_implILS5_8ELb0ES3_jPKmPS6_PKS6_NS0_5tupleIJPmS6_EEENSE_IJSB_SB_EEENS0_18inequality_wrapperIN6hipcub16HIPCUB_304000_NS8EqualityEEEPlJS6_EEE10hipError_tPvRmT3_T4_T5_T6_T7_T9_mT8_P12ihipStream_tbDpT10_ENKUlT_T0_E_clISt17integral_constantIbLb0EES16_IbLb1EEEEDaS12_S13_EUlS12_E_NS1_11comp_targetILNS1_3genE10ELNS1_11target_archE1200ELNS1_3gpuE4ELNS1_3repE0EEENS1_30default_config_static_selectorELNS0_4arch9wavefront6targetE1EEEvT1_.kd
    .uniform_work_group_size: 1
    .uses_dynamic_stack: false
    .vgpr_count:     0
    .vgpr_spill_count: 0
    .wavefront_size: 64
  - .agpr_count:     0
    .args:
      - .offset:         0
        .size:           128
        .value_kind:     by_value
    .group_segment_fixed_size: 0
    .kernarg_segment_align: 8
    .kernarg_segment_size: 128
    .language:       OpenCL C
    .language_version:
      - 2
      - 0
    .max_flat_workgroup_size: 512
    .name:           _ZN7rocprim17ROCPRIM_400000_NS6detail17trampoline_kernelINS0_14default_configENS1_25partition_config_selectorILNS1_17partition_subalgoE8EmNS0_10empty_typeEbEEZZNS1_14partition_implILS5_8ELb0ES3_jPKmPS6_PKS6_NS0_5tupleIJPmS6_EEENSE_IJSB_SB_EEENS0_18inequality_wrapperIN6hipcub16HIPCUB_304000_NS8EqualityEEEPlJS6_EEE10hipError_tPvRmT3_T4_T5_T6_T7_T9_mT8_P12ihipStream_tbDpT10_ENKUlT_T0_E_clISt17integral_constantIbLb0EES16_IbLb1EEEEDaS12_S13_EUlS12_E_NS1_11comp_targetILNS1_3genE9ELNS1_11target_archE1100ELNS1_3gpuE3ELNS1_3repE0EEENS1_30default_config_static_selectorELNS0_4arch9wavefront6targetE1EEEvT1_
    .private_segment_fixed_size: 0
    .sgpr_count:     6
    .sgpr_spill_count: 0
    .symbol:         _ZN7rocprim17ROCPRIM_400000_NS6detail17trampoline_kernelINS0_14default_configENS1_25partition_config_selectorILNS1_17partition_subalgoE8EmNS0_10empty_typeEbEEZZNS1_14partition_implILS5_8ELb0ES3_jPKmPS6_PKS6_NS0_5tupleIJPmS6_EEENSE_IJSB_SB_EEENS0_18inequality_wrapperIN6hipcub16HIPCUB_304000_NS8EqualityEEEPlJS6_EEE10hipError_tPvRmT3_T4_T5_T6_T7_T9_mT8_P12ihipStream_tbDpT10_ENKUlT_T0_E_clISt17integral_constantIbLb0EES16_IbLb1EEEEDaS12_S13_EUlS12_E_NS1_11comp_targetILNS1_3genE9ELNS1_11target_archE1100ELNS1_3gpuE3ELNS1_3repE0EEENS1_30default_config_static_selectorELNS0_4arch9wavefront6targetE1EEEvT1_.kd
    .uniform_work_group_size: 1
    .uses_dynamic_stack: false
    .vgpr_count:     0
    .vgpr_spill_count: 0
    .wavefront_size: 64
  - .agpr_count:     0
    .args:
      - .offset:         0
        .size:           128
        .value_kind:     by_value
    .group_segment_fixed_size: 0
    .kernarg_segment_align: 8
    .kernarg_segment_size: 128
    .language:       OpenCL C
    .language_version:
      - 2
      - 0
    .max_flat_workgroup_size: 512
    .name:           _ZN7rocprim17ROCPRIM_400000_NS6detail17trampoline_kernelINS0_14default_configENS1_25partition_config_selectorILNS1_17partition_subalgoE8EmNS0_10empty_typeEbEEZZNS1_14partition_implILS5_8ELb0ES3_jPKmPS6_PKS6_NS0_5tupleIJPmS6_EEENSE_IJSB_SB_EEENS0_18inequality_wrapperIN6hipcub16HIPCUB_304000_NS8EqualityEEEPlJS6_EEE10hipError_tPvRmT3_T4_T5_T6_T7_T9_mT8_P12ihipStream_tbDpT10_ENKUlT_T0_E_clISt17integral_constantIbLb0EES16_IbLb1EEEEDaS12_S13_EUlS12_E_NS1_11comp_targetILNS1_3genE8ELNS1_11target_archE1030ELNS1_3gpuE2ELNS1_3repE0EEENS1_30default_config_static_selectorELNS0_4arch9wavefront6targetE1EEEvT1_
    .private_segment_fixed_size: 0
    .sgpr_count:     6
    .sgpr_spill_count: 0
    .symbol:         _ZN7rocprim17ROCPRIM_400000_NS6detail17trampoline_kernelINS0_14default_configENS1_25partition_config_selectorILNS1_17partition_subalgoE8EmNS0_10empty_typeEbEEZZNS1_14partition_implILS5_8ELb0ES3_jPKmPS6_PKS6_NS0_5tupleIJPmS6_EEENSE_IJSB_SB_EEENS0_18inequality_wrapperIN6hipcub16HIPCUB_304000_NS8EqualityEEEPlJS6_EEE10hipError_tPvRmT3_T4_T5_T6_T7_T9_mT8_P12ihipStream_tbDpT10_ENKUlT_T0_E_clISt17integral_constantIbLb0EES16_IbLb1EEEEDaS12_S13_EUlS12_E_NS1_11comp_targetILNS1_3genE8ELNS1_11target_archE1030ELNS1_3gpuE2ELNS1_3repE0EEENS1_30default_config_static_selectorELNS0_4arch9wavefront6targetE1EEEvT1_.kd
    .uniform_work_group_size: 1
    .uses_dynamic_stack: false
    .vgpr_count:     0
    .vgpr_spill_count: 0
    .wavefront_size: 64
  - .agpr_count:     0
    .args:
      - .offset:         0
        .size:           128
        .value_kind:     by_value
    .group_segment_fixed_size: 0
    .kernarg_segment_align: 8
    .kernarg_segment_size: 128
    .language:       OpenCL C
    .language_version:
      - 2
      - 0
    .max_flat_workgroup_size: 256
    .name:           _ZN7rocprim17ROCPRIM_400000_NS6detail17trampoline_kernelINS0_14default_configENS1_33run_length_encode_config_selectorImjNS0_4plusIjEEEEZZNS1_33reduce_by_key_impl_wrapped_configILNS1_25lookback_scan_determinismE0ES3_S7_PKmNS0_17constant_iteratorIjlEEPmPlSF_S6_NS0_8equal_toImEEEE10hipError_tPvRmT2_T3_mT4_T5_T6_T7_T8_P12ihipStream_tbENKUlT_T0_E_clISt17integral_constantIbLb0EESZ_EEDaSU_SV_EUlSU_E_NS1_11comp_targetILNS1_3genE0ELNS1_11target_archE4294967295ELNS1_3gpuE0ELNS1_3repE0EEENS1_30default_config_static_selectorELNS0_4arch9wavefront6targetE1EEEvT1_
    .private_segment_fixed_size: 0
    .sgpr_count:     6
    .sgpr_spill_count: 0
    .symbol:         _ZN7rocprim17ROCPRIM_400000_NS6detail17trampoline_kernelINS0_14default_configENS1_33run_length_encode_config_selectorImjNS0_4plusIjEEEEZZNS1_33reduce_by_key_impl_wrapped_configILNS1_25lookback_scan_determinismE0ES3_S7_PKmNS0_17constant_iteratorIjlEEPmPlSF_S6_NS0_8equal_toImEEEE10hipError_tPvRmT2_T3_mT4_T5_T6_T7_T8_P12ihipStream_tbENKUlT_T0_E_clISt17integral_constantIbLb0EESZ_EEDaSU_SV_EUlSU_E_NS1_11comp_targetILNS1_3genE0ELNS1_11target_archE4294967295ELNS1_3gpuE0ELNS1_3repE0EEENS1_30default_config_static_selectorELNS0_4arch9wavefront6targetE1EEEvT1_.kd
    .uniform_work_group_size: 1
    .uses_dynamic_stack: false
    .vgpr_count:     0
    .vgpr_spill_count: 0
    .wavefront_size: 64
  - .agpr_count:     0
    .args:
      - .offset:         0
        .size:           128
        .value_kind:     by_value
    .group_segment_fixed_size: 61440
    .kernarg_segment_align: 8
    .kernarg_segment_size: 128
    .language:       OpenCL C
    .language_version:
      - 2
      - 0
    .max_flat_workgroup_size: 512
    .name:           _ZN7rocprim17ROCPRIM_400000_NS6detail17trampoline_kernelINS0_14default_configENS1_33run_length_encode_config_selectorImjNS0_4plusIjEEEEZZNS1_33reduce_by_key_impl_wrapped_configILNS1_25lookback_scan_determinismE0ES3_S7_PKmNS0_17constant_iteratorIjlEEPmPlSF_S6_NS0_8equal_toImEEEE10hipError_tPvRmT2_T3_mT4_T5_T6_T7_T8_P12ihipStream_tbENKUlT_T0_E_clISt17integral_constantIbLb0EESZ_EEDaSU_SV_EUlSU_E_NS1_11comp_targetILNS1_3genE5ELNS1_11target_archE942ELNS1_3gpuE9ELNS1_3repE0EEENS1_30default_config_static_selectorELNS0_4arch9wavefront6targetE1EEEvT1_
    .private_segment_fixed_size: 0
    .sgpr_count:     70
    .sgpr_spill_count: 0
    .symbol:         _ZN7rocprim17ROCPRIM_400000_NS6detail17trampoline_kernelINS0_14default_configENS1_33run_length_encode_config_selectorImjNS0_4plusIjEEEEZZNS1_33reduce_by_key_impl_wrapped_configILNS1_25lookback_scan_determinismE0ES3_S7_PKmNS0_17constant_iteratorIjlEEPmPlSF_S6_NS0_8equal_toImEEEE10hipError_tPvRmT2_T3_mT4_T5_T6_T7_T8_P12ihipStream_tbENKUlT_T0_E_clISt17integral_constantIbLb0EESZ_EEDaSU_SV_EUlSU_E_NS1_11comp_targetILNS1_3genE5ELNS1_11target_archE942ELNS1_3gpuE9ELNS1_3repE0EEENS1_30default_config_static_selectorELNS0_4arch9wavefront6targetE1EEEvT1_.kd
    .uniform_work_group_size: 1
    .uses_dynamic_stack: false
    .vgpr_count:     90
    .vgpr_spill_count: 0
    .wavefront_size: 64
  - .agpr_count:     0
    .args:
      - .offset:         0
        .size:           128
        .value_kind:     by_value
    .group_segment_fixed_size: 0
    .kernarg_segment_align: 8
    .kernarg_segment_size: 128
    .language:       OpenCL C
    .language_version:
      - 2
      - 0
    .max_flat_workgroup_size: 256
    .name:           _ZN7rocprim17ROCPRIM_400000_NS6detail17trampoline_kernelINS0_14default_configENS1_33run_length_encode_config_selectorImjNS0_4plusIjEEEEZZNS1_33reduce_by_key_impl_wrapped_configILNS1_25lookback_scan_determinismE0ES3_S7_PKmNS0_17constant_iteratorIjlEEPmPlSF_S6_NS0_8equal_toImEEEE10hipError_tPvRmT2_T3_mT4_T5_T6_T7_T8_P12ihipStream_tbENKUlT_T0_E_clISt17integral_constantIbLb0EESZ_EEDaSU_SV_EUlSU_E_NS1_11comp_targetILNS1_3genE4ELNS1_11target_archE910ELNS1_3gpuE8ELNS1_3repE0EEENS1_30default_config_static_selectorELNS0_4arch9wavefront6targetE1EEEvT1_
    .private_segment_fixed_size: 0
    .sgpr_count:     6
    .sgpr_spill_count: 0
    .symbol:         _ZN7rocprim17ROCPRIM_400000_NS6detail17trampoline_kernelINS0_14default_configENS1_33run_length_encode_config_selectorImjNS0_4plusIjEEEEZZNS1_33reduce_by_key_impl_wrapped_configILNS1_25lookback_scan_determinismE0ES3_S7_PKmNS0_17constant_iteratorIjlEEPmPlSF_S6_NS0_8equal_toImEEEE10hipError_tPvRmT2_T3_mT4_T5_T6_T7_T8_P12ihipStream_tbENKUlT_T0_E_clISt17integral_constantIbLb0EESZ_EEDaSU_SV_EUlSU_E_NS1_11comp_targetILNS1_3genE4ELNS1_11target_archE910ELNS1_3gpuE8ELNS1_3repE0EEENS1_30default_config_static_selectorELNS0_4arch9wavefront6targetE1EEEvT1_.kd
    .uniform_work_group_size: 1
    .uses_dynamic_stack: false
    .vgpr_count:     0
    .vgpr_spill_count: 0
    .wavefront_size: 64
  - .agpr_count:     0
    .args:
      - .offset:         0
        .size:           128
        .value_kind:     by_value
    .group_segment_fixed_size: 0
    .kernarg_segment_align: 8
    .kernarg_segment_size: 128
    .language:       OpenCL C
    .language_version:
      - 2
      - 0
    .max_flat_workgroup_size: 256
    .name:           _ZN7rocprim17ROCPRIM_400000_NS6detail17trampoline_kernelINS0_14default_configENS1_33run_length_encode_config_selectorImjNS0_4plusIjEEEEZZNS1_33reduce_by_key_impl_wrapped_configILNS1_25lookback_scan_determinismE0ES3_S7_PKmNS0_17constant_iteratorIjlEEPmPlSF_S6_NS0_8equal_toImEEEE10hipError_tPvRmT2_T3_mT4_T5_T6_T7_T8_P12ihipStream_tbENKUlT_T0_E_clISt17integral_constantIbLb0EESZ_EEDaSU_SV_EUlSU_E_NS1_11comp_targetILNS1_3genE3ELNS1_11target_archE908ELNS1_3gpuE7ELNS1_3repE0EEENS1_30default_config_static_selectorELNS0_4arch9wavefront6targetE1EEEvT1_
    .private_segment_fixed_size: 0
    .sgpr_count:     6
    .sgpr_spill_count: 0
    .symbol:         _ZN7rocprim17ROCPRIM_400000_NS6detail17trampoline_kernelINS0_14default_configENS1_33run_length_encode_config_selectorImjNS0_4plusIjEEEEZZNS1_33reduce_by_key_impl_wrapped_configILNS1_25lookback_scan_determinismE0ES3_S7_PKmNS0_17constant_iteratorIjlEEPmPlSF_S6_NS0_8equal_toImEEEE10hipError_tPvRmT2_T3_mT4_T5_T6_T7_T8_P12ihipStream_tbENKUlT_T0_E_clISt17integral_constantIbLb0EESZ_EEDaSU_SV_EUlSU_E_NS1_11comp_targetILNS1_3genE3ELNS1_11target_archE908ELNS1_3gpuE7ELNS1_3repE0EEENS1_30default_config_static_selectorELNS0_4arch9wavefront6targetE1EEEvT1_.kd
    .uniform_work_group_size: 1
    .uses_dynamic_stack: false
    .vgpr_count:     0
    .vgpr_spill_count: 0
    .wavefront_size: 64
  - .agpr_count:     0
    .args:
      - .offset:         0
        .size:           128
        .value_kind:     by_value
    .group_segment_fixed_size: 0
    .kernarg_segment_align: 8
    .kernarg_segment_size: 128
    .language:       OpenCL C
    .language_version:
      - 2
      - 0
    .max_flat_workgroup_size: 256
    .name:           _ZN7rocprim17ROCPRIM_400000_NS6detail17trampoline_kernelINS0_14default_configENS1_33run_length_encode_config_selectorImjNS0_4plusIjEEEEZZNS1_33reduce_by_key_impl_wrapped_configILNS1_25lookback_scan_determinismE0ES3_S7_PKmNS0_17constant_iteratorIjlEEPmPlSF_S6_NS0_8equal_toImEEEE10hipError_tPvRmT2_T3_mT4_T5_T6_T7_T8_P12ihipStream_tbENKUlT_T0_E_clISt17integral_constantIbLb0EESZ_EEDaSU_SV_EUlSU_E_NS1_11comp_targetILNS1_3genE2ELNS1_11target_archE906ELNS1_3gpuE6ELNS1_3repE0EEENS1_30default_config_static_selectorELNS0_4arch9wavefront6targetE1EEEvT1_
    .private_segment_fixed_size: 0
    .sgpr_count:     6
    .sgpr_spill_count: 0
    .symbol:         _ZN7rocprim17ROCPRIM_400000_NS6detail17trampoline_kernelINS0_14default_configENS1_33run_length_encode_config_selectorImjNS0_4plusIjEEEEZZNS1_33reduce_by_key_impl_wrapped_configILNS1_25lookback_scan_determinismE0ES3_S7_PKmNS0_17constant_iteratorIjlEEPmPlSF_S6_NS0_8equal_toImEEEE10hipError_tPvRmT2_T3_mT4_T5_T6_T7_T8_P12ihipStream_tbENKUlT_T0_E_clISt17integral_constantIbLb0EESZ_EEDaSU_SV_EUlSU_E_NS1_11comp_targetILNS1_3genE2ELNS1_11target_archE906ELNS1_3gpuE6ELNS1_3repE0EEENS1_30default_config_static_selectorELNS0_4arch9wavefront6targetE1EEEvT1_.kd
    .uniform_work_group_size: 1
    .uses_dynamic_stack: false
    .vgpr_count:     0
    .vgpr_spill_count: 0
    .wavefront_size: 64
  - .agpr_count:     0
    .args:
      - .offset:         0
        .size:           128
        .value_kind:     by_value
    .group_segment_fixed_size: 0
    .kernarg_segment_align: 8
    .kernarg_segment_size: 128
    .language:       OpenCL C
    .language_version:
      - 2
      - 0
    .max_flat_workgroup_size: 512
    .name:           _ZN7rocprim17ROCPRIM_400000_NS6detail17trampoline_kernelINS0_14default_configENS1_33run_length_encode_config_selectorImjNS0_4plusIjEEEEZZNS1_33reduce_by_key_impl_wrapped_configILNS1_25lookback_scan_determinismE0ES3_S7_PKmNS0_17constant_iteratorIjlEEPmPlSF_S6_NS0_8equal_toImEEEE10hipError_tPvRmT2_T3_mT4_T5_T6_T7_T8_P12ihipStream_tbENKUlT_T0_E_clISt17integral_constantIbLb0EESZ_EEDaSU_SV_EUlSU_E_NS1_11comp_targetILNS1_3genE10ELNS1_11target_archE1201ELNS1_3gpuE5ELNS1_3repE0EEENS1_30default_config_static_selectorELNS0_4arch9wavefront6targetE1EEEvT1_
    .private_segment_fixed_size: 0
    .sgpr_count:     6
    .sgpr_spill_count: 0
    .symbol:         _ZN7rocprim17ROCPRIM_400000_NS6detail17trampoline_kernelINS0_14default_configENS1_33run_length_encode_config_selectorImjNS0_4plusIjEEEEZZNS1_33reduce_by_key_impl_wrapped_configILNS1_25lookback_scan_determinismE0ES3_S7_PKmNS0_17constant_iteratorIjlEEPmPlSF_S6_NS0_8equal_toImEEEE10hipError_tPvRmT2_T3_mT4_T5_T6_T7_T8_P12ihipStream_tbENKUlT_T0_E_clISt17integral_constantIbLb0EESZ_EEDaSU_SV_EUlSU_E_NS1_11comp_targetILNS1_3genE10ELNS1_11target_archE1201ELNS1_3gpuE5ELNS1_3repE0EEENS1_30default_config_static_selectorELNS0_4arch9wavefront6targetE1EEEvT1_.kd
    .uniform_work_group_size: 1
    .uses_dynamic_stack: false
    .vgpr_count:     0
    .vgpr_spill_count: 0
    .wavefront_size: 64
  - .agpr_count:     0
    .args:
      - .offset:         0
        .size:           128
        .value_kind:     by_value
    .group_segment_fixed_size: 0
    .kernarg_segment_align: 8
    .kernarg_segment_size: 128
    .language:       OpenCL C
    .language_version:
      - 2
      - 0
    .max_flat_workgroup_size: 512
    .name:           _ZN7rocprim17ROCPRIM_400000_NS6detail17trampoline_kernelINS0_14default_configENS1_33run_length_encode_config_selectorImjNS0_4plusIjEEEEZZNS1_33reduce_by_key_impl_wrapped_configILNS1_25lookback_scan_determinismE0ES3_S7_PKmNS0_17constant_iteratorIjlEEPmPlSF_S6_NS0_8equal_toImEEEE10hipError_tPvRmT2_T3_mT4_T5_T6_T7_T8_P12ihipStream_tbENKUlT_T0_E_clISt17integral_constantIbLb0EESZ_EEDaSU_SV_EUlSU_E_NS1_11comp_targetILNS1_3genE10ELNS1_11target_archE1200ELNS1_3gpuE4ELNS1_3repE0EEENS1_30default_config_static_selectorELNS0_4arch9wavefront6targetE1EEEvT1_
    .private_segment_fixed_size: 0
    .sgpr_count:     6
    .sgpr_spill_count: 0
    .symbol:         _ZN7rocprim17ROCPRIM_400000_NS6detail17trampoline_kernelINS0_14default_configENS1_33run_length_encode_config_selectorImjNS0_4plusIjEEEEZZNS1_33reduce_by_key_impl_wrapped_configILNS1_25lookback_scan_determinismE0ES3_S7_PKmNS0_17constant_iteratorIjlEEPmPlSF_S6_NS0_8equal_toImEEEE10hipError_tPvRmT2_T3_mT4_T5_T6_T7_T8_P12ihipStream_tbENKUlT_T0_E_clISt17integral_constantIbLb0EESZ_EEDaSU_SV_EUlSU_E_NS1_11comp_targetILNS1_3genE10ELNS1_11target_archE1200ELNS1_3gpuE4ELNS1_3repE0EEENS1_30default_config_static_selectorELNS0_4arch9wavefront6targetE1EEEvT1_.kd
    .uniform_work_group_size: 1
    .uses_dynamic_stack: false
    .vgpr_count:     0
    .vgpr_spill_count: 0
    .wavefront_size: 64
  - .agpr_count:     0
    .args:
      - .offset:         0
        .size:           128
        .value_kind:     by_value
    .group_segment_fixed_size: 0
    .kernarg_segment_align: 8
    .kernarg_segment_size: 128
    .language:       OpenCL C
    .language_version:
      - 2
      - 0
    .max_flat_workgroup_size: 512
    .name:           _ZN7rocprim17ROCPRIM_400000_NS6detail17trampoline_kernelINS0_14default_configENS1_33run_length_encode_config_selectorImjNS0_4plusIjEEEEZZNS1_33reduce_by_key_impl_wrapped_configILNS1_25lookback_scan_determinismE0ES3_S7_PKmNS0_17constant_iteratorIjlEEPmPlSF_S6_NS0_8equal_toImEEEE10hipError_tPvRmT2_T3_mT4_T5_T6_T7_T8_P12ihipStream_tbENKUlT_T0_E_clISt17integral_constantIbLb0EESZ_EEDaSU_SV_EUlSU_E_NS1_11comp_targetILNS1_3genE9ELNS1_11target_archE1100ELNS1_3gpuE3ELNS1_3repE0EEENS1_30default_config_static_selectorELNS0_4arch9wavefront6targetE1EEEvT1_
    .private_segment_fixed_size: 0
    .sgpr_count:     6
    .sgpr_spill_count: 0
    .symbol:         _ZN7rocprim17ROCPRIM_400000_NS6detail17trampoline_kernelINS0_14default_configENS1_33run_length_encode_config_selectorImjNS0_4plusIjEEEEZZNS1_33reduce_by_key_impl_wrapped_configILNS1_25lookback_scan_determinismE0ES3_S7_PKmNS0_17constant_iteratorIjlEEPmPlSF_S6_NS0_8equal_toImEEEE10hipError_tPvRmT2_T3_mT4_T5_T6_T7_T8_P12ihipStream_tbENKUlT_T0_E_clISt17integral_constantIbLb0EESZ_EEDaSU_SV_EUlSU_E_NS1_11comp_targetILNS1_3genE9ELNS1_11target_archE1100ELNS1_3gpuE3ELNS1_3repE0EEENS1_30default_config_static_selectorELNS0_4arch9wavefront6targetE1EEEvT1_.kd
    .uniform_work_group_size: 1
    .uses_dynamic_stack: false
    .vgpr_count:     0
    .vgpr_spill_count: 0
    .wavefront_size: 64
  - .agpr_count:     0
    .args:
      - .offset:         0
        .size:           128
        .value_kind:     by_value
    .group_segment_fixed_size: 0
    .kernarg_segment_align: 8
    .kernarg_segment_size: 128
    .language:       OpenCL C
    .language_version:
      - 2
      - 0
    .max_flat_workgroup_size: 512
    .name:           _ZN7rocprim17ROCPRIM_400000_NS6detail17trampoline_kernelINS0_14default_configENS1_33run_length_encode_config_selectorImjNS0_4plusIjEEEEZZNS1_33reduce_by_key_impl_wrapped_configILNS1_25lookback_scan_determinismE0ES3_S7_PKmNS0_17constant_iteratorIjlEEPmPlSF_S6_NS0_8equal_toImEEEE10hipError_tPvRmT2_T3_mT4_T5_T6_T7_T8_P12ihipStream_tbENKUlT_T0_E_clISt17integral_constantIbLb0EESZ_EEDaSU_SV_EUlSU_E_NS1_11comp_targetILNS1_3genE8ELNS1_11target_archE1030ELNS1_3gpuE2ELNS1_3repE0EEENS1_30default_config_static_selectorELNS0_4arch9wavefront6targetE1EEEvT1_
    .private_segment_fixed_size: 0
    .sgpr_count:     6
    .sgpr_spill_count: 0
    .symbol:         _ZN7rocprim17ROCPRIM_400000_NS6detail17trampoline_kernelINS0_14default_configENS1_33run_length_encode_config_selectorImjNS0_4plusIjEEEEZZNS1_33reduce_by_key_impl_wrapped_configILNS1_25lookback_scan_determinismE0ES3_S7_PKmNS0_17constant_iteratorIjlEEPmPlSF_S6_NS0_8equal_toImEEEE10hipError_tPvRmT2_T3_mT4_T5_T6_T7_T8_P12ihipStream_tbENKUlT_T0_E_clISt17integral_constantIbLb0EESZ_EEDaSU_SV_EUlSU_E_NS1_11comp_targetILNS1_3genE8ELNS1_11target_archE1030ELNS1_3gpuE2ELNS1_3repE0EEENS1_30default_config_static_selectorELNS0_4arch9wavefront6targetE1EEEvT1_.kd
    .uniform_work_group_size: 1
    .uses_dynamic_stack: false
    .vgpr_count:     0
    .vgpr_spill_count: 0
    .wavefront_size: 64
  - .agpr_count:     0
    .args:
      - .offset:         0
        .size:           128
        .value_kind:     by_value
    .group_segment_fixed_size: 0
    .kernarg_segment_align: 8
    .kernarg_segment_size: 128
    .language:       OpenCL C
    .language_version:
      - 2
      - 0
    .max_flat_workgroup_size: 256
    .name:           _ZN7rocprim17ROCPRIM_400000_NS6detail17trampoline_kernelINS0_14default_configENS1_33run_length_encode_config_selectorImjNS0_4plusIjEEEEZZNS1_33reduce_by_key_impl_wrapped_configILNS1_25lookback_scan_determinismE0ES3_S7_PKmNS0_17constant_iteratorIjlEEPmPlSF_S6_NS0_8equal_toImEEEE10hipError_tPvRmT2_T3_mT4_T5_T6_T7_T8_P12ihipStream_tbENKUlT_T0_E_clISt17integral_constantIbLb1EESZ_EEDaSU_SV_EUlSU_E_NS1_11comp_targetILNS1_3genE0ELNS1_11target_archE4294967295ELNS1_3gpuE0ELNS1_3repE0EEENS1_30default_config_static_selectorELNS0_4arch9wavefront6targetE1EEEvT1_
    .private_segment_fixed_size: 0
    .sgpr_count:     6
    .sgpr_spill_count: 0
    .symbol:         _ZN7rocprim17ROCPRIM_400000_NS6detail17trampoline_kernelINS0_14default_configENS1_33run_length_encode_config_selectorImjNS0_4plusIjEEEEZZNS1_33reduce_by_key_impl_wrapped_configILNS1_25lookback_scan_determinismE0ES3_S7_PKmNS0_17constant_iteratorIjlEEPmPlSF_S6_NS0_8equal_toImEEEE10hipError_tPvRmT2_T3_mT4_T5_T6_T7_T8_P12ihipStream_tbENKUlT_T0_E_clISt17integral_constantIbLb1EESZ_EEDaSU_SV_EUlSU_E_NS1_11comp_targetILNS1_3genE0ELNS1_11target_archE4294967295ELNS1_3gpuE0ELNS1_3repE0EEENS1_30default_config_static_selectorELNS0_4arch9wavefront6targetE1EEEvT1_.kd
    .uniform_work_group_size: 1
    .uses_dynamic_stack: false
    .vgpr_count:     0
    .vgpr_spill_count: 0
    .wavefront_size: 64
  - .agpr_count:     0
    .args:
      - .offset:         0
        .size:           128
        .value_kind:     by_value
    .group_segment_fixed_size: 61440
    .kernarg_segment_align: 8
    .kernarg_segment_size: 128
    .language:       OpenCL C
    .language_version:
      - 2
      - 0
    .max_flat_workgroup_size: 512
    .name:           _ZN7rocprim17ROCPRIM_400000_NS6detail17trampoline_kernelINS0_14default_configENS1_33run_length_encode_config_selectorImjNS0_4plusIjEEEEZZNS1_33reduce_by_key_impl_wrapped_configILNS1_25lookback_scan_determinismE0ES3_S7_PKmNS0_17constant_iteratorIjlEEPmPlSF_S6_NS0_8equal_toImEEEE10hipError_tPvRmT2_T3_mT4_T5_T6_T7_T8_P12ihipStream_tbENKUlT_T0_E_clISt17integral_constantIbLb1EESZ_EEDaSU_SV_EUlSU_E_NS1_11comp_targetILNS1_3genE5ELNS1_11target_archE942ELNS1_3gpuE9ELNS1_3repE0EEENS1_30default_config_static_selectorELNS0_4arch9wavefront6targetE1EEEvT1_
    .private_segment_fixed_size: 0
    .sgpr_count:     72
    .sgpr_spill_count: 0
    .symbol:         _ZN7rocprim17ROCPRIM_400000_NS6detail17trampoline_kernelINS0_14default_configENS1_33run_length_encode_config_selectorImjNS0_4plusIjEEEEZZNS1_33reduce_by_key_impl_wrapped_configILNS1_25lookback_scan_determinismE0ES3_S7_PKmNS0_17constant_iteratorIjlEEPmPlSF_S6_NS0_8equal_toImEEEE10hipError_tPvRmT2_T3_mT4_T5_T6_T7_T8_P12ihipStream_tbENKUlT_T0_E_clISt17integral_constantIbLb1EESZ_EEDaSU_SV_EUlSU_E_NS1_11comp_targetILNS1_3genE5ELNS1_11target_archE942ELNS1_3gpuE9ELNS1_3repE0EEENS1_30default_config_static_selectorELNS0_4arch9wavefront6targetE1EEEvT1_.kd
    .uniform_work_group_size: 1
    .uses_dynamic_stack: false
    .vgpr_count:     90
    .vgpr_spill_count: 0
    .wavefront_size: 64
  - .agpr_count:     0
    .args:
      - .offset:         0
        .size:           128
        .value_kind:     by_value
    .group_segment_fixed_size: 0
    .kernarg_segment_align: 8
    .kernarg_segment_size: 128
    .language:       OpenCL C
    .language_version:
      - 2
      - 0
    .max_flat_workgroup_size: 256
    .name:           _ZN7rocprim17ROCPRIM_400000_NS6detail17trampoline_kernelINS0_14default_configENS1_33run_length_encode_config_selectorImjNS0_4plusIjEEEEZZNS1_33reduce_by_key_impl_wrapped_configILNS1_25lookback_scan_determinismE0ES3_S7_PKmNS0_17constant_iteratorIjlEEPmPlSF_S6_NS0_8equal_toImEEEE10hipError_tPvRmT2_T3_mT4_T5_T6_T7_T8_P12ihipStream_tbENKUlT_T0_E_clISt17integral_constantIbLb1EESZ_EEDaSU_SV_EUlSU_E_NS1_11comp_targetILNS1_3genE4ELNS1_11target_archE910ELNS1_3gpuE8ELNS1_3repE0EEENS1_30default_config_static_selectorELNS0_4arch9wavefront6targetE1EEEvT1_
    .private_segment_fixed_size: 0
    .sgpr_count:     6
    .sgpr_spill_count: 0
    .symbol:         _ZN7rocprim17ROCPRIM_400000_NS6detail17trampoline_kernelINS0_14default_configENS1_33run_length_encode_config_selectorImjNS0_4plusIjEEEEZZNS1_33reduce_by_key_impl_wrapped_configILNS1_25lookback_scan_determinismE0ES3_S7_PKmNS0_17constant_iteratorIjlEEPmPlSF_S6_NS0_8equal_toImEEEE10hipError_tPvRmT2_T3_mT4_T5_T6_T7_T8_P12ihipStream_tbENKUlT_T0_E_clISt17integral_constantIbLb1EESZ_EEDaSU_SV_EUlSU_E_NS1_11comp_targetILNS1_3genE4ELNS1_11target_archE910ELNS1_3gpuE8ELNS1_3repE0EEENS1_30default_config_static_selectorELNS0_4arch9wavefront6targetE1EEEvT1_.kd
    .uniform_work_group_size: 1
    .uses_dynamic_stack: false
    .vgpr_count:     0
    .vgpr_spill_count: 0
    .wavefront_size: 64
  - .agpr_count:     0
    .args:
      - .offset:         0
        .size:           128
        .value_kind:     by_value
    .group_segment_fixed_size: 0
    .kernarg_segment_align: 8
    .kernarg_segment_size: 128
    .language:       OpenCL C
    .language_version:
      - 2
      - 0
    .max_flat_workgroup_size: 256
    .name:           _ZN7rocprim17ROCPRIM_400000_NS6detail17trampoline_kernelINS0_14default_configENS1_33run_length_encode_config_selectorImjNS0_4plusIjEEEEZZNS1_33reduce_by_key_impl_wrapped_configILNS1_25lookback_scan_determinismE0ES3_S7_PKmNS0_17constant_iteratorIjlEEPmPlSF_S6_NS0_8equal_toImEEEE10hipError_tPvRmT2_T3_mT4_T5_T6_T7_T8_P12ihipStream_tbENKUlT_T0_E_clISt17integral_constantIbLb1EESZ_EEDaSU_SV_EUlSU_E_NS1_11comp_targetILNS1_3genE3ELNS1_11target_archE908ELNS1_3gpuE7ELNS1_3repE0EEENS1_30default_config_static_selectorELNS0_4arch9wavefront6targetE1EEEvT1_
    .private_segment_fixed_size: 0
    .sgpr_count:     6
    .sgpr_spill_count: 0
    .symbol:         _ZN7rocprim17ROCPRIM_400000_NS6detail17trampoline_kernelINS0_14default_configENS1_33run_length_encode_config_selectorImjNS0_4plusIjEEEEZZNS1_33reduce_by_key_impl_wrapped_configILNS1_25lookback_scan_determinismE0ES3_S7_PKmNS0_17constant_iteratorIjlEEPmPlSF_S6_NS0_8equal_toImEEEE10hipError_tPvRmT2_T3_mT4_T5_T6_T7_T8_P12ihipStream_tbENKUlT_T0_E_clISt17integral_constantIbLb1EESZ_EEDaSU_SV_EUlSU_E_NS1_11comp_targetILNS1_3genE3ELNS1_11target_archE908ELNS1_3gpuE7ELNS1_3repE0EEENS1_30default_config_static_selectorELNS0_4arch9wavefront6targetE1EEEvT1_.kd
    .uniform_work_group_size: 1
    .uses_dynamic_stack: false
    .vgpr_count:     0
    .vgpr_spill_count: 0
    .wavefront_size: 64
  - .agpr_count:     0
    .args:
      - .offset:         0
        .size:           128
        .value_kind:     by_value
    .group_segment_fixed_size: 0
    .kernarg_segment_align: 8
    .kernarg_segment_size: 128
    .language:       OpenCL C
    .language_version:
      - 2
      - 0
    .max_flat_workgroup_size: 256
    .name:           _ZN7rocprim17ROCPRIM_400000_NS6detail17trampoline_kernelINS0_14default_configENS1_33run_length_encode_config_selectorImjNS0_4plusIjEEEEZZNS1_33reduce_by_key_impl_wrapped_configILNS1_25lookback_scan_determinismE0ES3_S7_PKmNS0_17constant_iteratorIjlEEPmPlSF_S6_NS0_8equal_toImEEEE10hipError_tPvRmT2_T3_mT4_T5_T6_T7_T8_P12ihipStream_tbENKUlT_T0_E_clISt17integral_constantIbLb1EESZ_EEDaSU_SV_EUlSU_E_NS1_11comp_targetILNS1_3genE2ELNS1_11target_archE906ELNS1_3gpuE6ELNS1_3repE0EEENS1_30default_config_static_selectorELNS0_4arch9wavefront6targetE1EEEvT1_
    .private_segment_fixed_size: 0
    .sgpr_count:     6
    .sgpr_spill_count: 0
    .symbol:         _ZN7rocprim17ROCPRIM_400000_NS6detail17trampoline_kernelINS0_14default_configENS1_33run_length_encode_config_selectorImjNS0_4plusIjEEEEZZNS1_33reduce_by_key_impl_wrapped_configILNS1_25lookback_scan_determinismE0ES3_S7_PKmNS0_17constant_iteratorIjlEEPmPlSF_S6_NS0_8equal_toImEEEE10hipError_tPvRmT2_T3_mT4_T5_T6_T7_T8_P12ihipStream_tbENKUlT_T0_E_clISt17integral_constantIbLb1EESZ_EEDaSU_SV_EUlSU_E_NS1_11comp_targetILNS1_3genE2ELNS1_11target_archE906ELNS1_3gpuE6ELNS1_3repE0EEENS1_30default_config_static_selectorELNS0_4arch9wavefront6targetE1EEEvT1_.kd
    .uniform_work_group_size: 1
    .uses_dynamic_stack: false
    .vgpr_count:     0
    .vgpr_spill_count: 0
    .wavefront_size: 64
  - .agpr_count:     0
    .args:
      - .offset:         0
        .size:           128
        .value_kind:     by_value
    .group_segment_fixed_size: 0
    .kernarg_segment_align: 8
    .kernarg_segment_size: 128
    .language:       OpenCL C
    .language_version:
      - 2
      - 0
    .max_flat_workgroup_size: 512
    .name:           _ZN7rocprim17ROCPRIM_400000_NS6detail17trampoline_kernelINS0_14default_configENS1_33run_length_encode_config_selectorImjNS0_4plusIjEEEEZZNS1_33reduce_by_key_impl_wrapped_configILNS1_25lookback_scan_determinismE0ES3_S7_PKmNS0_17constant_iteratorIjlEEPmPlSF_S6_NS0_8equal_toImEEEE10hipError_tPvRmT2_T3_mT4_T5_T6_T7_T8_P12ihipStream_tbENKUlT_T0_E_clISt17integral_constantIbLb1EESZ_EEDaSU_SV_EUlSU_E_NS1_11comp_targetILNS1_3genE10ELNS1_11target_archE1201ELNS1_3gpuE5ELNS1_3repE0EEENS1_30default_config_static_selectorELNS0_4arch9wavefront6targetE1EEEvT1_
    .private_segment_fixed_size: 0
    .sgpr_count:     6
    .sgpr_spill_count: 0
    .symbol:         _ZN7rocprim17ROCPRIM_400000_NS6detail17trampoline_kernelINS0_14default_configENS1_33run_length_encode_config_selectorImjNS0_4plusIjEEEEZZNS1_33reduce_by_key_impl_wrapped_configILNS1_25lookback_scan_determinismE0ES3_S7_PKmNS0_17constant_iteratorIjlEEPmPlSF_S6_NS0_8equal_toImEEEE10hipError_tPvRmT2_T3_mT4_T5_T6_T7_T8_P12ihipStream_tbENKUlT_T0_E_clISt17integral_constantIbLb1EESZ_EEDaSU_SV_EUlSU_E_NS1_11comp_targetILNS1_3genE10ELNS1_11target_archE1201ELNS1_3gpuE5ELNS1_3repE0EEENS1_30default_config_static_selectorELNS0_4arch9wavefront6targetE1EEEvT1_.kd
    .uniform_work_group_size: 1
    .uses_dynamic_stack: false
    .vgpr_count:     0
    .vgpr_spill_count: 0
    .wavefront_size: 64
  - .agpr_count:     0
    .args:
      - .offset:         0
        .size:           128
        .value_kind:     by_value
    .group_segment_fixed_size: 0
    .kernarg_segment_align: 8
    .kernarg_segment_size: 128
    .language:       OpenCL C
    .language_version:
      - 2
      - 0
    .max_flat_workgroup_size: 512
    .name:           _ZN7rocprim17ROCPRIM_400000_NS6detail17trampoline_kernelINS0_14default_configENS1_33run_length_encode_config_selectorImjNS0_4plusIjEEEEZZNS1_33reduce_by_key_impl_wrapped_configILNS1_25lookback_scan_determinismE0ES3_S7_PKmNS0_17constant_iteratorIjlEEPmPlSF_S6_NS0_8equal_toImEEEE10hipError_tPvRmT2_T3_mT4_T5_T6_T7_T8_P12ihipStream_tbENKUlT_T0_E_clISt17integral_constantIbLb1EESZ_EEDaSU_SV_EUlSU_E_NS1_11comp_targetILNS1_3genE10ELNS1_11target_archE1200ELNS1_3gpuE4ELNS1_3repE0EEENS1_30default_config_static_selectorELNS0_4arch9wavefront6targetE1EEEvT1_
    .private_segment_fixed_size: 0
    .sgpr_count:     6
    .sgpr_spill_count: 0
    .symbol:         _ZN7rocprim17ROCPRIM_400000_NS6detail17trampoline_kernelINS0_14default_configENS1_33run_length_encode_config_selectorImjNS0_4plusIjEEEEZZNS1_33reduce_by_key_impl_wrapped_configILNS1_25lookback_scan_determinismE0ES3_S7_PKmNS0_17constant_iteratorIjlEEPmPlSF_S6_NS0_8equal_toImEEEE10hipError_tPvRmT2_T3_mT4_T5_T6_T7_T8_P12ihipStream_tbENKUlT_T0_E_clISt17integral_constantIbLb1EESZ_EEDaSU_SV_EUlSU_E_NS1_11comp_targetILNS1_3genE10ELNS1_11target_archE1200ELNS1_3gpuE4ELNS1_3repE0EEENS1_30default_config_static_selectorELNS0_4arch9wavefront6targetE1EEEvT1_.kd
    .uniform_work_group_size: 1
    .uses_dynamic_stack: false
    .vgpr_count:     0
    .vgpr_spill_count: 0
    .wavefront_size: 64
  - .agpr_count:     0
    .args:
      - .offset:         0
        .size:           128
        .value_kind:     by_value
    .group_segment_fixed_size: 0
    .kernarg_segment_align: 8
    .kernarg_segment_size: 128
    .language:       OpenCL C
    .language_version:
      - 2
      - 0
    .max_flat_workgroup_size: 512
    .name:           _ZN7rocprim17ROCPRIM_400000_NS6detail17trampoline_kernelINS0_14default_configENS1_33run_length_encode_config_selectorImjNS0_4plusIjEEEEZZNS1_33reduce_by_key_impl_wrapped_configILNS1_25lookback_scan_determinismE0ES3_S7_PKmNS0_17constant_iteratorIjlEEPmPlSF_S6_NS0_8equal_toImEEEE10hipError_tPvRmT2_T3_mT4_T5_T6_T7_T8_P12ihipStream_tbENKUlT_T0_E_clISt17integral_constantIbLb1EESZ_EEDaSU_SV_EUlSU_E_NS1_11comp_targetILNS1_3genE9ELNS1_11target_archE1100ELNS1_3gpuE3ELNS1_3repE0EEENS1_30default_config_static_selectorELNS0_4arch9wavefront6targetE1EEEvT1_
    .private_segment_fixed_size: 0
    .sgpr_count:     6
    .sgpr_spill_count: 0
    .symbol:         _ZN7rocprim17ROCPRIM_400000_NS6detail17trampoline_kernelINS0_14default_configENS1_33run_length_encode_config_selectorImjNS0_4plusIjEEEEZZNS1_33reduce_by_key_impl_wrapped_configILNS1_25lookback_scan_determinismE0ES3_S7_PKmNS0_17constant_iteratorIjlEEPmPlSF_S6_NS0_8equal_toImEEEE10hipError_tPvRmT2_T3_mT4_T5_T6_T7_T8_P12ihipStream_tbENKUlT_T0_E_clISt17integral_constantIbLb1EESZ_EEDaSU_SV_EUlSU_E_NS1_11comp_targetILNS1_3genE9ELNS1_11target_archE1100ELNS1_3gpuE3ELNS1_3repE0EEENS1_30default_config_static_selectorELNS0_4arch9wavefront6targetE1EEEvT1_.kd
    .uniform_work_group_size: 1
    .uses_dynamic_stack: false
    .vgpr_count:     0
    .vgpr_spill_count: 0
    .wavefront_size: 64
  - .agpr_count:     0
    .args:
      - .offset:         0
        .size:           128
        .value_kind:     by_value
    .group_segment_fixed_size: 0
    .kernarg_segment_align: 8
    .kernarg_segment_size: 128
    .language:       OpenCL C
    .language_version:
      - 2
      - 0
    .max_flat_workgroup_size: 512
    .name:           _ZN7rocprim17ROCPRIM_400000_NS6detail17trampoline_kernelINS0_14default_configENS1_33run_length_encode_config_selectorImjNS0_4plusIjEEEEZZNS1_33reduce_by_key_impl_wrapped_configILNS1_25lookback_scan_determinismE0ES3_S7_PKmNS0_17constant_iteratorIjlEEPmPlSF_S6_NS0_8equal_toImEEEE10hipError_tPvRmT2_T3_mT4_T5_T6_T7_T8_P12ihipStream_tbENKUlT_T0_E_clISt17integral_constantIbLb1EESZ_EEDaSU_SV_EUlSU_E_NS1_11comp_targetILNS1_3genE8ELNS1_11target_archE1030ELNS1_3gpuE2ELNS1_3repE0EEENS1_30default_config_static_selectorELNS0_4arch9wavefront6targetE1EEEvT1_
    .private_segment_fixed_size: 0
    .sgpr_count:     6
    .sgpr_spill_count: 0
    .symbol:         _ZN7rocprim17ROCPRIM_400000_NS6detail17trampoline_kernelINS0_14default_configENS1_33run_length_encode_config_selectorImjNS0_4plusIjEEEEZZNS1_33reduce_by_key_impl_wrapped_configILNS1_25lookback_scan_determinismE0ES3_S7_PKmNS0_17constant_iteratorIjlEEPmPlSF_S6_NS0_8equal_toImEEEE10hipError_tPvRmT2_T3_mT4_T5_T6_T7_T8_P12ihipStream_tbENKUlT_T0_E_clISt17integral_constantIbLb1EESZ_EEDaSU_SV_EUlSU_E_NS1_11comp_targetILNS1_3genE8ELNS1_11target_archE1030ELNS1_3gpuE2ELNS1_3repE0EEENS1_30default_config_static_selectorELNS0_4arch9wavefront6targetE1EEEvT1_.kd
    .uniform_work_group_size: 1
    .uses_dynamic_stack: false
    .vgpr_count:     0
    .vgpr_spill_count: 0
    .wavefront_size: 64
  - .agpr_count:     0
    .args:
      - .offset:         0
        .size:           128
        .value_kind:     by_value
    .group_segment_fixed_size: 0
    .kernarg_segment_align: 8
    .kernarg_segment_size: 128
    .language:       OpenCL C
    .language_version:
      - 2
      - 0
    .max_flat_workgroup_size: 256
    .name:           _ZN7rocprim17ROCPRIM_400000_NS6detail17trampoline_kernelINS0_14default_configENS1_33run_length_encode_config_selectorImjNS0_4plusIjEEEEZZNS1_33reduce_by_key_impl_wrapped_configILNS1_25lookback_scan_determinismE0ES3_S7_PKmNS0_17constant_iteratorIjlEEPmPlSF_S6_NS0_8equal_toImEEEE10hipError_tPvRmT2_T3_mT4_T5_T6_T7_T8_P12ihipStream_tbENKUlT_T0_E_clISt17integral_constantIbLb1EESY_IbLb0EEEEDaSU_SV_EUlSU_E_NS1_11comp_targetILNS1_3genE0ELNS1_11target_archE4294967295ELNS1_3gpuE0ELNS1_3repE0EEENS1_30default_config_static_selectorELNS0_4arch9wavefront6targetE1EEEvT1_
    .private_segment_fixed_size: 0
    .sgpr_count:     6
    .sgpr_spill_count: 0
    .symbol:         _ZN7rocprim17ROCPRIM_400000_NS6detail17trampoline_kernelINS0_14default_configENS1_33run_length_encode_config_selectorImjNS0_4plusIjEEEEZZNS1_33reduce_by_key_impl_wrapped_configILNS1_25lookback_scan_determinismE0ES3_S7_PKmNS0_17constant_iteratorIjlEEPmPlSF_S6_NS0_8equal_toImEEEE10hipError_tPvRmT2_T3_mT4_T5_T6_T7_T8_P12ihipStream_tbENKUlT_T0_E_clISt17integral_constantIbLb1EESY_IbLb0EEEEDaSU_SV_EUlSU_E_NS1_11comp_targetILNS1_3genE0ELNS1_11target_archE4294967295ELNS1_3gpuE0ELNS1_3repE0EEENS1_30default_config_static_selectorELNS0_4arch9wavefront6targetE1EEEvT1_.kd
    .uniform_work_group_size: 1
    .uses_dynamic_stack: false
    .vgpr_count:     0
    .vgpr_spill_count: 0
    .wavefront_size: 64
  - .agpr_count:     0
    .args:
      - .offset:         0
        .size:           128
        .value_kind:     by_value
    .group_segment_fixed_size: 61440
    .kernarg_segment_align: 8
    .kernarg_segment_size: 128
    .language:       OpenCL C
    .language_version:
      - 2
      - 0
    .max_flat_workgroup_size: 512
    .name:           _ZN7rocprim17ROCPRIM_400000_NS6detail17trampoline_kernelINS0_14default_configENS1_33run_length_encode_config_selectorImjNS0_4plusIjEEEEZZNS1_33reduce_by_key_impl_wrapped_configILNS1_25lookback_scan_determinismE0ES3_S7_PKmNS0_17constant_iteratorIjlEEPmPlSF_S6_NS0_8equal_toImEEEE10hipError_tPvRmT2_T3_mT4_T5_T6_T7_T8_P12ihipStream_tbENKUlT_T0_E_clISt17integral_constantIbLb1EESY_IbLb0EEEEDaSU_SV_EUlSU_E_NS1_11comp_targetILNS1_3genE5ELNS1_11target_archE942ELNS1_3gpuE9ELNS1_3repE0EEENS1_30default_config_static_selectorELNS0_4arch9wavefront6targetE1EEEvT1_
    .private_segment_fixed_size: 0
    .sgpr_count:     70
    .sgpr_spill_count: 0
    .symbol:         _ZN7rocprim17ROCPRIM_400000_NS6detail17trampoline_kernelINS0_14default_configENS1_33run_length_encode_config_selectorImjNS0_4plusIjEEEEZZNS1_33reduce_by_key_impl_wrapped_configILNS1_25lookback_scan_determinismE0ES3_S7_PKmNS0_17constant_iteratorIjlEEPmPlSF_S6_NS0_8equal_toImEEEE10hipError_tPvRmT2_T3_mT4_T5_T6_T7_T8_P12ihipStream_tbENKUlT_T0_E_clISt17integral_constantIbLb1EESY_IbLb0EEEEDaSU_SV_EUlSU_E_NS1_11comp_targetILNS1_3genE5ELNS1_11target_archE942ELNS1_3gpuE9ELNS1_3repE0EEENS1_30default_config_static_selectorELNS0_4arch9wavefront6targetE1EEEvT1_.kd
    .uniform_work_group_size: 1
    .uses_dynamic_stack: false
    .vgpr_count:     90
    .vgpr_spill_count: 0
    .wavefront_size: 64
  - .agpr_count:     0
    .args:
      - .offset:         0
        .size:           128
        .value_kind:     by_value
    .group_segment_fixed_size: 0
    .kernarg_segment_align: 8
    .kernarg_segment_size: 128
    .language:       OpenCL C
    .language_version:
      - 2
      - 0
    .max_flat_workgroup_size: 256
    .name:           _ZN7rocprim17ROCPRIM_400000_NS6detail17trampoline_kernelINS0_14default_configENS1_33run_length_encode_config_selectorImjNS0_4plusIjEEEEZZNS1_33reduce_by_key_impl_wrapped_configILNS1_25lookback_scan_determinismE0ES3_S7_PKmNS0_17constant_iteratorIjlEEPmPlSF_S6_NS0_8equal_toImEEEE10hipError_tPvRmT2_T3_mT4_T5_T6_T7_T8_P12ihipStream_tbENKUlT_T0_E_clISt17integral_constantIbLb1EESY_IbLb0EEEEDaSU_SV_EUlSU_E_NS1_11comp_targetILNS1_3genE4ELNS1_11target_archE910ELNS1_3gpuE8ELNS1_3repE0EEENS1_30default_config_static_selectorELNS0_4arch9wavefront6targetE1EEEvT1_
    .private_segment_fixed_size: 0
    .sgpr_count:     6
    .sgpr_spill_count: 0
    .symbol:         _ZN7rocprim17ROCPRIM_400000_NS6detail17trampoline_kernelINS0_14default_configENS1_33run_length_encode_config_selectorImjNS0_4plusIjEEEEZZNS1_33reduce_by_key_impl_wrapped_configILNS1_25lookback_scan_determinismE0ES3_S7_PKmNS0_17constant_iteratorIjlEEPmPlSF_S6_NS0_8equal_toImEEEE10hipError_tPvRmT2_T3_mT4_T5_T6_T7_T8_P12ihipStream_tbENKUlT_T0_E_clISt17integral_constantIbLb1EESY_IbLb0EEEEDaSU_SV_EUlSU_E_NS1_11comp_targetILNS1_3genE4ELNS1_11target_archE910ELNS1_3gpuE8ELNS1_3repE0EEENS1_30default_config_static_selectorELNS0_4arch9wavefront6targetE1EEEvT1_.kd
    .uniform_work_group_size: 1
    .uses_dynamic_stack: false
    .vgpr_count:     0
    .vgpr_spill_count: 0
    .wavefront_size: 64
  - .agpr_count:     0
    .args:
      - .offset:         0
        .size:           128
        .value_kind:     by_value
    .group_segment_fixed_size: 0
    .kernarg_segment_align: 8
    .kernarg_segment_size: 128
    .language:       OpenCL C
    .language_version:
      - 2
      - 0
    .max_flat_workgroup_size: 256
    .name:           _ZN7rocprim17ROCPRIM_400000_NS6detail17trampoline_kernelINS0_14default_configENS1_33run_length_encode_config_selectorImjNS0_4plusIjEEEEZZNS1_33reduce_by_key_impl_wrapped_configILNS1_25lookback_scan_determinismE0ES3_S7_PKmNS0_17constant_iteratorIjlEEPmPlSF_S6_NS0_8equal_toImEEEE10hipError_tPvRmT2_T3_mT4_T5_T6_T7_T8_P12ihipStream_tbENKUlT_T0_E_clISt17integral_constantIbLb1EESY_IbLb0EEEEDaSU_SV_EUlSU_E_NS1_11comp_targetILNS1_3genE3ELNS1_11target_archE908ELNS1_3gpuE7ELNS1_3repE0EEENS1_30default_config_static_selectorELNS0_4arch9wavefront6targetE1EEEvT1_
    .private_segment_fixed_size: 0
    .sgpr_count:     6
    .sgpr_spill_count: 0
    .symbol:         _ZN7rocprim17ROCPRIM_400000_NS6detail17trampoline_kernelINS0_14default_configENS1_33run_length_encode_config_selectorImjNS0_4plusIjEEEEZZNS1_33reduce_by_key_impl_wrapped_configILNS1_25lookback_scan_determinismE0ES3_S7_PKmNS0_17constant_iteratorIjlEEPmPlSF_S6_NS0_8equal_toImEEEE10hipError_tPvRmT2_T3_mT4_T5_T6_T7_T8_P12ihipStream_tbENKUlT_T0_E_clISt17integral_constantIbLb1EESY_IbLb0EEEEDaSU_SV_EUlSU_E_NS1_11comp_targetILNS1_3genE3ELNS1_11target_archE908ELNS1_3gpuE7ELNS1_3repE0EEENS1_30default_config_static_selectorELNS0_4arch9wavefront6targetE1EEEvT1_.kd
    .uniform_work_group_size: 1
    .uses_dynamic_stack: false
    .vgpr_count:     0
    .vgpr_spill_count: 0
    .wavefront_size: 64
  - .agpr_count:     0
    .args:
      - .offset:         0
        .size:           128
        .value_kind:     by_value
    .group_segment_fixed_size: 0
    .kernarg_segment_align: 8
    .kernarg_segment_size: 128
    .language:       OpenCL C
    .language_version:
      - 2
      - 0
    .max_flat_workgroup_size: 256
    .name:           _ZN7rocprim17ROCPRIM_400000_NS6detail17trampoline_kernelINS0_14default_configENS1_33run_length_encode_config_selectorImjNS0_4plusIjEEEEZZNS1_33reduce_by_key_impl_wrapped_configILNS1_25lookback_scan_determinismE0ES3_S7_PKmNS0_17constant_iteratorIjlEEPmPlSF_S6_NS0_8equal_toImEEEE10hipError_tPvRmT2_T3_mT4_T5_T6_T7_T8_P12ihipStream_tbENKUlT_T0_E_clISt17integral_constantIbLb1EESY_IbLb0EEEEDaSU_SV_EUlSU_E_NS1_11comp_targetILNS1_3genE2ELNS1_11target_archE906ELNS1_3gpuE6ELNS1_3repE0EEENS1_30default_config_static_selectorELNS0_4arch9wavefront6targetE1EEEvT1_
    .private_segment_fixed_size: 0
    .sgpr_count:     6
    .sgpr_spill_count: 0
    .symbol:         _ZN7rocprim17ROCPRIM_400000_NS6detail17trampoline_kernelINS0_14default_configENS1_33run_length_encode_config_selectorImjNS0_4plusIjEEEEZZNS1_33reduce_by_key_impl_wrapped_configILNS1_25lookback_scan_determinismE0ES3_S7_PKmNS0_17constant_iteratorIjlEEPmPlSF_S6_NS0_8equal_toImEEEE10hipError_tPvRmT2_T3_mT4_T5_T6_T7_T8_P12ihipStream_tbENKUlT_T0_E_clISt17integral_constantIbLb1EESY_IbLb0EEEEDaSU_SV_EUlSU_E_NS1_11comp_targetILNS1_3genE2ELNS1_11target_archE906ELNS1_3gpuE6ELNS1_3repE0EEENS1_30default_config_static_selectorELNS0_4arch9wavefront6targetE1EEEvT1_.kd
    .uniform_work_group_size: 1
    .uses_dynamic_stack: false
    .vgpr_count:     0
    .vgpr_spill_count: 0
    .wavefront_size: 64
  - .agpr_count:     0
    .args:
      - .offset:         0
        .size:           128
        .value_kind:     by_value
    .group_segment_fixed_size: 0
    .kernarg_segment_align: 8
    .kernarg_segment_size: 128
    .language:       OpenCL C
    .language_version:
      - 2
      - 0
    .max_flat_workgroup_size: 512
    .name:           _ZN7rocprim17ROCPRIM_400000_NS6detail17trampoline_kernelINS0_14default_configENS1_33run_length_encode_config_selectorImjNS0_4plusIjEEEEZZNS1_33reduce_by_key_impl_wrapped_configILNS1_25lookback_scan_determinismE0ES3_S7_PKmNS0_17constant_iteratorIjlEEPmPlSF_S6_NS0_8equal_toImEEEE10hipError_tPvRmT2_T3_mT4_T5_T6_T7_T8_P12ihipStream_tbENKUlT_T0_E_clISt17integral_constantIbLb1EESY_IbLb0EEEEDaSU_SV_EUlSU_E_NS1_11comp_targetILNS1_3genE10ELNS1_11target_archE1201ELNS1_3gpuE5ELNS1_3repE0EEENS1_30default_config_static_selectorELNS0_4arch9wavefront6targetE1EEEvT1_
    .private_segment_fixed_size: 0
    .sgpr_count:     6
    .sgpr_spill_count: 0
    .symbol:         _ZN7rocprim17ROCPRIM_400000_NS6detail17trampoline_kernelINS0_14default_configENS1_33run_length_encode_config_selectorImjNS0_4plusIjEEEEZZNS1_33reduce_by_key_impl_wrapped_configILNS1_25lookback_scan_determinismE0ES3_S7_PKmNS0_17constant_iteratorIjlEEPmPlSF_S6_NS0_8equal_toImEEEE10hipError_tPvRmT2_T3_mT4_T5_T6_T7_T8_P12ihipStream_tbENKUlT_T0_E_clISt17integral_constantIbLb1EESY_IbLb0EEEEDaSU_SV_EUlSU_E_NS1_11comp_targetILNS1_3genE10ELNS1_11target_archE1201ELNS1_3gpuE5ELNS1_3repE0EEENS1_30default_config_static_selectorELNS0_4arch9wavefront6targetE1EEEvT1_.kd
    .uniform_work_group_size: 1
    .uses_dynamic_stack: false
    .vgpr_count:     0
    .vgpr_spill_count: 0
    .wavefront_size: 64
  - .agpr_count:     0
    .args:
      - .offset:         0
        .size:           128
        .value_kind:     by_value
    .group_segment_fixed_size: 0
    .kernarg_segment_align: 8
    .kernarg_segment_size: 128
    .language:       OpenCL C
    .language_version:
      - 2
      - 0
    .max_flat_workgroup_size: 512
    .name:           _ZN7rocprim17ROCPRIM_400000_NS6detail17trampoline_kernelINS0_14default_configENS1_33run_length_encode_config_selectorImjNS0_4plusIjEEEEZZNS1_33reduce_by_key_impl_wrapped_configILNS1_25lookback_scan_determinismE0ES3_S7_PKmNS0_17constant_iteratorIjlEEPmPlSF_S6_NS0_8equal_toImEEEE10hipError_tPvRmT2_T3_mT4_T5_T6_T7_T8_P12ihipStream_tbENKUlT_T0_E_clISt17integral_constantIbLb1EESY_IbLb0EEEEDaSU_SV_EUlSU_E_NS1_11comp_targetILNS1_3genE10ELNS1_11target_archE1200ELNS1_3gpuE4ELNS1_3repE0EEENS1_30default_config_static_selectorELNS0_4arch9wavefront6targetE1EEEvT1_
    .private_segment_fixed_size: 0
    .sgpr_count:     6
    .sgpr_spill_count: 0
    .symbol:         _ZN7rocprim17ROCPRIM_400000_NS6detail17trampoline_kernelINS0_14default_configENS1_33run_length_encode_config_selectorImjNS0_4plusIjEEEEZZNS1_33reduce_by_key_impl_wrapped_configILNS1_25lookback_scan_determinismE0ES3_S7_PKmNS0_17constant_iteratorIjlEEPmPlSF_S6_NS0_8equal_toImEEEE10hipError_tPvRmT2_T3_mT4_T5_T6_T7_T8_P12ihipStream_tbENKUlT_T0_E_clISt17integral_constantIbLb1EESY_IbLb0EEEEDaSU_SV_EUlSU_E_NS1_11comp_targetILNS1_3genE10ELNS1_11target_archE1200ELNS1_3gpuE4ELNS1_3repE0EEENS1_30default_config_static_selectorELNS0_4arch9wavefront6targetE1EEEvT1_.kd
    .uniform_work_group_size: 1
    .uses_dynamic_stack: false
    .vgpr_count:     0
    .vgpr_spill_count: 0
    .wavefront_size: 64
  - .agpr_count:     0
    .args:
      - .offset:         0
        .size:           128
        .value_kind:     by_value
    .group_segment_fixed_size: 0
    .kernarg_segment_align: 8
    .kernarg_segment_size: 128
    .language:       OpenCL C
    .language_version:
      - 2
      - 0
    .max_flat_workgroup_size: 512
    .name:           _ZN7rocprim17ROCPRIM_400000_NS6detail17trampoline_kernelINS0_14default_configENS1_33run_length_encode_config_selectorImjNS0_4plusIjEEEEZZNS1_33reduce_by_key_impl_wrapped_configILNS1_25lookback_scan_determinismE0ES3_S7_PKmNS0_17constant_iteratorIjlEEPmPlSF_S6_NS0_8equal_toImEEEE10hipError_tPvRmT2_T3_mT4_T5_T6_T7_T8_P12ihipStream_tbENKUlT_T0_E_clISt17integral_constantIbLb1EESY_IbLb0EEEEDaSU_SV_EUlSU_E_NS1_11comp_targetILNS1_3genE9ELNS1_11target_archE1100ELNS1_3gpuE3ELNS1_3repE0EEENS1_30default_config_static_selectorELNS0_4arch9wavefront6targetE1EEEvT1_
    .private_segment_fixed_size: 0
    .sgpr_count:     6
    .sgpr_spill_count: 0
    .symbol:         _ZN7rocprim17ROCPRIM_400000_NS6detail17trampoline_kernelINS0_14default_configENS1_33run_length_encode_config_selectorImjNS0_4plusIjEEEEZZNS1_33reduce_by_key_impl_wrapped_configILNS1_25lookback_scan_determinismE0ES3_S7_PKmNS0_17constant_iteratorIjlEEPmPlSF_S6_NS0_8equal_toImEEEE10hipError_tPvRmT2_T3_mT4_T5_T6_T7_T8_P12ihipStream_tbENKUlT_T0_E_clISt17integral_constantIbLb1EESY_IbLb0EEEEDaSU_SV_EUlSU_E_NS1_11comp_targetILNS1_3genE9ELNS1_11target_archE1100ELNS1_3gpuE3ELNS1_3repE0EEENS1_30default_config_static_selectorELNS0_4arch9wavefront6targetE1EEEvT1_.kd
    .uniform_work_group_size: 1
    .uses_dynamic_stack: false
    .vgpr_count:     0
    .vgpr_spill_count: 0
    .wavefront_size: 64
  - .agpr_count:     0
    .args:
      - .offset:         0
        .size:           128
        .value_kind:     by_value
    .group_segment_fixed_size: 0
    .kernarg_segment_align: 8
    .kernarg_segment_size: 128
    .language:       OpenCL C
    .language_version:
      - 2
      - 0
    .max_flat_workgroup_size: 512
    .name:           _ZN7rocprim17ROCPRIM_400000_NS6detail17trampoline_kernelINS0_14default_configENS1_33run_length_encode_config_selectorImjNS0_4plusIjEEEEZZNS1_33reduce_by_key_impl_wrapped_configILNS1_25lookback_scan_determinismE0ES3_S7_PKmNS0_17constant_iteratorIjlEEPmPlSF_S6_NS0_8equal_toImEEEE10hipError_tPvRmT2_T3_mT4_T5_T6_T7_T8_P12ihipStream_tbENKUlT_T0_E_clISt17integral_constantIbLb1EESY_IbLb0EEEEDaSU_SV_EUlSU_E_NS1_11comp_targetILNS1_3genE8ELNS1_11target_archE1030ELNS1_3gpuE2ELNS1_3repE0EEENS1_30default_config_static_selectorELNS0_4arch9wavefront6targetE1EEEvT1_
    .private_segment_fixed_size: 0
    .sgpr_count:     6
    .sgpr_spill_count: 0
    .symbol:         _ZN7rocprim17ROCPRIM_400000_NS6detail17trampoline_kernelINS0_14default_configENS1_33run_length_encode_config_selectorImjNS0_4plusIjEEEEZZNS1_33reduce_by_key_impl_wrapped_configILNS1_25lookback_scan_determinismE0ES3_S7_PKmNS0_17constant_iteratorIjlEEPmPlSF_S6_NS0_8equal_toImEEEE10hipError_tPvRmT2_T3_mT4_T5_T6_T7_T8_P12ihipStream_tbENKUlT_T0_E_clISt17integral_constantIbLb1EESY_IbLb0EEEEDaSU_SV_EUlSU_E_NS1_11comp_targetILNS1_3genE8ELNS1_11target_archE1030ELNS1_3gpuE2ELNS1_3repE0EEENS1_30default_config_static_selectorELNS0_4arch9wavefront6targetE1EEEvT1_.kd
    .uniform_work_group_size: 1
    .uses_dynamic_stack: false
    .vgpr_count:     0
    .vgpr_spill_count: 0
    .wavefront_size: 64
  - .agpr_count:     0
    .args:
      - .offset:         0
        .size:           128
        .value_kind:     by_value
    .group_segment_fixed_size: 0
    .kernarg_segment_align: 8
    .kernarg_segment_size: 128
    .language:       OpenCL C
    .language_version:
      - 2
      - 0
    .max_flat_workgroup_size: 256
    .name:           _ZN7rocprim17ROCPRIM_400000_NS6detail17trampoline_kernelINS0_14default_configENS1_33run_length_encode_config_selectorImjNS0_4plusIjEEEEZZNS1_33reduce_by_key_impl_wrapped_configILNS1_25lookback_scan_determinismE0ES3_S7_PKmNS0_17constant_iteratorIjlEEPmPlSF_S6_NS0_8equal_toImEEEE10hipError_tPvRmT2_T3_mT4_T5_T6_T7_T8_P12ihipStream_tbENKUlT_T0_E_clISt17integral_constantIbLb0EESY_IbLb1EEEEDaSU_SV_EUlSU_E_NS1_11comp_targetILNS1_3genE0ELNS1_11target_archE4294967295ELNS1_3gpuE0ELNS1_3repE0EEENS1_30default_config_static_selectorELNS0_4arch9wavefront6targetE1EEEvT1_
    .private_segment_fixed_size: 0
    .sgpr_count:     6
    .sgpr_spill_count: 0
    .symbol:         _ZN7rocprim17ROCPRIM_400000_NS6detail17trampoline_kernelINS0_14default_configENS1_33run_length_encode_config_selectorImjNS0_4plusIjEEEEZZNS1_33reduce_by_key_impl_wrapped_configILNS1_25lookback_scan_determinismE0ES3_S7_PKmNS0_17constant_iteratorIjlEEPmPlSF_S6_NS0_8equal_toImEEEE10hipError_tPvRmT2_T3_mT4_T5_T6_T7_T8_P12ihipStream_tbENKUlT_T0_E_clISt17integral_constantIbLb0EESY_IbLb1EEEEDaSU_SV_EUlSU_E_NS1_11comp_targetILNS1_3genE0ELNS1_11target_archE4294967295ELNS1_3gpuE0ELNS1_3repE0EEENS1_30default_config_static_selectorELNS0_4arch9wavefront6targetE1EEEvT1_.kd
    .uniform_work_group_size: 1
    .uses_dynamic_stack: false
    .vgpr_count:     0
    .vgpr_spill_count: 0
    .wavefront_size: 64
  - .agpr_count:     0
    .args:
      - .offset:         0
        .size:           128
        .value_kind:     by_value
    .group_segment_fixed_size: 61440
    .kernarg_segment_align: 8
    .kernarg_segment_size: 128
    .language:       OpenCL C
    .language_version:
      - 2
      - 0
    .max_flat_workgroup_size: 512
    .name:           _ZN7rocprim17ROCPRIM_400000_NS6detail17trampoline_kernelINS0_14default_configENS1_33run_length_encode_config_selectorImjNS0_4plusIjEEEEZZNS1_33reduce_by_key_impl_wrapped_configILNS1_25lookback_scan_determinismE0ES3_S7_PKmNS0_17constant_iteratorIjlEEPmPlSF_S6_NS0_8equal_toImEEEE10hipError_tPvRmT2_T3_mT4_T5_T6_T7_T8_P12ihipStream_tbENKUlT_T0_E_clISt17integral_constantIbLb0EESY_IbLb1EEEEDaSU_SV_EUlSU_E_NS1_11comp_targetILNS1_3genE5ELNS1_11target_archE942ELNS1_3gpuE9ELNS1_3repE0EEENS1_30default_config_static_selectorELNS0_4arch9wavefront6targetE1EEEvT1_
    .private_segment_fixed_size: 0
    .sgpr_count:     72
    .sgpr_spill_count: 0
    .symbol:         _ZN7rocprim17ROCPRIM_400000_NS6detail17trampoline_kernelINS0_14default_configENS1_33run_length_encode_config_selectorImjNS0_4plusIjEEEEZZNS1_33reduce_by_key_impl_wrapped_configILNS1_25lookback_scan_determinismE0ES3_S7_PKmNS0_17constant_iteratorIjlEEPmPlSF_S6_NS0_8equal_toImEEEE10hipError_tPvRmT2_T3_mT4_T5_T6_T7_T8_P12ihipStream_tbENKUlT_T0_E_clISt17integral_constantIbLb0EESY_IbLb1EEEEDaSU_SV_EUlSU_E_NS1_11comp_targetILNS1_3genE5ELNS1_11target_archE942ELNS1_3gpuE9ELNS1_3repE0EEENS1_30default_config_static_selectorELNS0_4arch9wavefront6targetE1EEEvT1_.kd
    .uniform_work_group_size: 1
    .uses_dynamic_stack: false
    .vgpr_count:     90
    .vgpr_spill_count: 0
    .wavefront_size: 64
  - .agpr_count:     0
    .args:
      - .offset:         0
        .size:           128
        .value_kind:     by_value
    .group_segment_fixed_size: 0
    .kernarg_segment_align: 8
    .kernarg_segment_size: 128
    .language:       OpenCL C
    .language_version:
      - 2
      - 0
    .max_flat_workgroup_size: 256
    .name:           _ZN7rocprim17ROCPRIM_400000_NS6detail17trampoline_kernelINS0_14default_configENS1_33run_length_encode_config_selectorImjNS0_4plusIjEEEEZZNS1_33reduce_by_key_impl_wrapped_configILNS1_25lookback_scan_determinismE0ES3_S7_PKmNS0_17constant_iteratorIjlEEPmPlSF_S6_NS0_8equal_toImEEEE10hipError_tPvRmT2_T3_mT4_T5_T6_T7_T8_P12ihipStream_tbENKUlT_T0_E_clISt17integral_constantIbLb0EESY_IbLb1EEEEDaSU_SV_EUlSU_E_NS1_11comp_targetILNS1_3genE4ELNS1_11target_archE910ELNS1_3gpuE8ELNS1_3repE0EEENS1_30default_config_static_selectorELNS0_4arch9wavefront6targetE1EEEvT1_
    .private_segment_fixed_size: 0
    .sgpr_count:     6
    .sgpr_spill_count: 0
    .symbol:         _ZN7rocprim17ROCPRIM_400000_NS6detail17trampoline_kernelINS0_14default_configENS1_33run_length_encode_config_selectorImjNS0_4plusIjEEEEZZNS1_33reduce_by_key_impl_wrapped_configILNS1_25lookback_scan_determinismE0ES3_S7_PKmNS0_17constant_iteratorIjlEEPmPlSF_S6_NS0_8equal_toImEEEE10hipError_tPvRmT2_T3_mT4_T5_T6_T7_T8_P12ihipStream_tbENKUlT_T0_E_clISt17integral_constantIbLb0EESY_IbLb1EEEEDaSU_SV_EUlSU_E_NS1_11comp_targetILNS1_3genE4ELNS1_11target_archE910ELNS1_3gpuE8ELNS1_3repE0EEENS1_30default_config_static_selectorELNS0_4arch9wavefront6targetE1EEEvT1_.kd
    .uniform_work_group_size: 1
    .uses_dynamic_stack: false
    .vgpr_count:     0
    .vgpr_spill_count: 0
    .wavefront_size: 64
  - .agpr_count:     0
    .args:
      - .offset:         0
        .size:           128
        .value_kind:     by_value
    .group_segment_fixed_size: 0
    .kernarg_segment_align: 8
    .kernarg_segment_size: 128
    .language:       OpenCL C
    .language_version:
      - 2
      - 0
    .max_flat_workgroup_size: 256
    .name:           _ZN7rocprim17ROCPRIM_400000_NS6detail17trampoline_kernelINS0_14default_configENS1_33run_length_encode_config_selectorImjNS0_4plusIjEEEEZZNS1_33reduce_by_key_impl_wrapped_configILNS1_25lookback_scan_determinismE0ES3_S7_PKmNS0_17constant_iteratorIjlEEPmPlSF_S6_NS0_8equal_toImEEEE10hipError_tPvRmT2_T3_mT4_T5_T6_T7_T8_P12ihipStream_tbENKUlT_T0_E_clISt17integral_constantIbLb0EESY_IbLb1EEEEDaSU_SV_EUlSU_E_NS1_11comp_targetILNS1_3genE3ELNS1_11target_archE908ELNS1_3gpuE7ELNS1_3repE0EEENS1_30default_config_static_selectorELNS0_4arch9wavefront6targetE1EEEvT1_
    .private_segment_fixed_size: 0
    .sgpr_count:     6
    .sgpr_spill_count: 0
    .symbol:         _ZN7rocprim17ROCPRIM_400000_NS6detail17trampoline_kernelINS0_14default_configENS1_33run_length_encode_config_selectorImjNS0_4plusIjEEEEZZNS1_33reduce_by_key_impl_wrapped_configILNS1_25lookback_scan_determinismE0ES3_S7_PKmNS0_17constant_iteratorIjlEEPmPlSF_S6_NS0_8equal_toImEEEE10hipError_tPvRmT2_T3_mT4_T5_T6_T7_T8_P12ihipStream_tbENKUlT_T0_E_clISt17integral_constantIbLb0EESY_IbLb1EEEEDaSU_SV_EUlSU_E_NS1_11comp_targetILNS1_3genE3ELNS1_11target_archE908ELNS1_3gpuE7ELNS1_3repE0EEENS1_30default_config_static_selectorELNS0_4arch9wavefront6targetE1EEEvT1_.kd
    .uniform_work_group_size: 1
    .uses_dynamic_stack: false
    .vgpr_count:     0
    .vgpr_spill_count: 0
    .wavefront_size: 64
  - .agpr_count:     0
    .args:
      - .offset:         0
        .size:           128
        .value_kind:     by_value
    .group_segment_fixed_size: 0
    .kernarg_segment_align: 8
    .kernarg_segment_size: 128
    .language:       OpenCL C
    .language_version:
      - 2
      - 0
    .max_flat_workgroup_size: 256
    .name:           _ZN7rocprim17ROCPRIM_400000_NS6detail17trampoline_kernelINS0_14default_configENS1_33run_length_encode_config_selectorImjNS0_4plusIjEEEEZZNS1_33reduce_by_key_impl_wrapped_configILNS1_25lookback_scan_determinismE0ES3_S7_PKmNS0_17constant_iteratorIjlEEPmPlSF_S6_NS0_8equal_toImEEEE10hipError_tPvRmT2_T3_mT4_T5_T6_T7_T8_P12ihipStream_tbENKUlT_T0_E_clISt17integral_constantIbLb0EESY_IbLb1EEEEDaSU_SV_EUlSU_E_NS1_11comp_targetILNS1_3genE2ELNS1_11target_archE906ELNS1_3gpuE6ELNS1_3repE0EEENS1_30default_config_static_selectorELNS0_4arch9wavefront6targetE1EEEvT1_
    .private_segment_fixed_size: 0
    .sgpr_count:     6
    .sgpr_spill_count: 0
    .symbol:         _ZN7rocprim17ROCPRIM_400000_NS6detail17trampoline_kernelINS0_14default_configENS1_33run_length_encode_config_selectorImjNS0_4plusIjEEEEZZNS1_33reduce_by_key_impl_wrapped_configILNS1_25lookback_scan_determinismE0ES3_S7_PKmNS0_17constant_iteratorIjlEEPmPlSF_S6_NS0_8equal_toImEEEE10hipError_tPvRmT2_T3_mT4_T5_T6_T7_T8_P12ihipStream_tbENKUlT_T0_E_clISt17integral_constantIbLb0EESY_IbLb1EEEEDaSU_SV_EUlSU_E_NS1_11comp_targetILNS1_3genE2ELNS1_11target_archE906ELNS1_3gpuE6ELNS1_3repE0EEENS1_30default_config_static_selectorELNS0_4arch9wavefront6targetE1EEEvT1_.kd
    .uniform_work_group_size: 1
    .uses_dynamic_stack: false
    .vgpr_count:     0
    .vgpr_spill_count: 0
    .wavefront_size: 64
  - .agpr_count:     0
    .args:
      - .offset:         0
        .size:           128
        .value_kind:     by_value
    .group_segment_fixed_size: 0
    .kernarg_segment_align: 8
    .kernarg_segment_size: 128
    .language:       OpenCL C
    .language_version:
      - 2
      - 0
    .max_flat_workgroup_size: 512
    .name:           _ZN7rocprim17ROCPRIM_400000_NS6detail17trampoline_kernelINS0_14default_configENS1_33run_length_encode_config_selectorImjNS0_4plusIjEEEEZZNS1_33reduce_by_key_impl_wrapped_configILNS1_25lookback_scan_determinismE0ES3_S7_PKmNS0_17constant_iteratorIjlEEPmPlSF_S6_NS0_8equal_toImEEEE10hipError_tPvRmT2_T3_mT4_T5_T6_T7_T8_P12ihipStream_tbENKUlT_T0_E_clISt17integral_constantIbLb0EESY_IbLb1EEEEDaSU_SV_EUlSU_E_NS1_11comp_targetILNS1_3genE10ELNS1_11target_archE1201ELNS1_3gpuE5ELNS1_3repE0EEENS1_30default_config_static_selectorELNS0_4arch9wavefront6targetE1EEEvT1_
    .private_segment_fixed_size: 0
    .sgpr_count:     6
    .sgpr_spill_count: 0
    .symbol:         _ZN7rocprim17ROCPRIM_400000_NS6detail17trampoline_kernelINS0_14default_configENS1_33run_length_encode_config_selectorImjNS0_4plusIjEEEEZZNS1_33reduce_by_key_impl_wrapped_configILNS1_25lookback_scan_determinismE0ES3_S7_PKmNS0_17constant_iteratorIjlEEPmPlSF_S6_NS0_8equal_toImEEEE10hipError_tPvRmT2_T3_mT4_T5_T6_T7_T8_P12ihipStream_tbENKUlT_T0_E_clISt17integral_constantIbLb0EESY_IbLb1EEEEDaSU_SV_EUlSU_E_NS1_11comp_targetILNS1_3genE10ELNS1_11target_archE1201ELNS1_3gpuE5ELNS1_3repE0EEENS1_30default_config_static_selectorELNS0_4arch9wavefront6targetE1EEEvT1_.kd
    .uniform_work_group_size: 1
    .uses_dynamic_stack: false
    .vgpr_count:     0
    .vgpr_spill_count: 0
    .wavefront_size: 64
  - .agpr_count:     0
    .args:
      - .offset:         0
        .size:           128
        .value_kind:     by_value
    .group_segment_fixed_size: 0
    .kernarg_segment_align: 8
    .kernarg_segment_size: 128
    .language:       OpenCL C
    .language_version:
      - 2
      - 0
    .max_flat_workgroup_size: 512
    .name:           _ZN7rocprim17ROCPRIM_400000_NS6detail17trampoline_kernelINS0_14default_configENS1_33run_length_encode_config_selectorImjNS0_4plusIjEEEEZZNS1_33reduce_by_key_impl_wrapped_configILNS1_25lookback_scan_determinismE0ES3_S7_PKmNS0_17constant_iteratorIjlEEPmPlSF_S6_NS0_8equal_toImEEEE10hipError_tPvRmT2_T3_mT4_T5_T6_T7_T8_P12ihipStream_tbENKUlT_T0_E_clISt17integral_constantIbLb0EESY_IbLb1EEEEDaSU_SV_EUlSU_E_NS1_11comp_targetILNS1_3genE10ELNS1_11target_archE1200ELNS1_3gpuE4ELNS1_3repE0EEENS1_30default_config_static_selectorELNS0_4arch9wavefront6targetE1EEEvT1_
    .private_segment_fixed_size: 0
    .sgpr_count:     6
    .sgpr_spill_count: 0
    .symbol:         _ZN7rocprim17ROCPRIM_400000_NS6detail17trampoline_kernelINS0_14default_configENS1_33run_length_encode_config_selectorImjNS0_4plusIjEEEEZZNS1_33reduce_by_key_impl_wrapped_configILNS1_25lookback_scan_determinismE0ES3_S7_PKmNS0_17constant_iteratorIjlEEPmPlSF_S6_NS0_8equal_toImEEEE10hipError_tPvRmT2_T3_mT4_T5_T6_T7_T8_P12ihipStream_tbENKUlT_T0_E_clISt17integral_constantIbLb0EESY_IbLb1EEEEDaSU_SV_EUlSU_E_NS1_11comp_targetILNS1_3genE10ELNS1_11target_archE1200ELNS1_3gpuE4ELNS1_3repE0EEENS1_30default_config_static_selectorELNS0_4arch9wavefront6targetE1EEEvT1_.kd
    .uniform_work_group_size: 1
    .uses_dynamic_stack: false
    .vgpr_count:     0
    .vgpr_spill_count: 0
    .wavefront_size: 64
  - .agpr_count:     0
    .args:
      - .offset:         0
        .size:           128
        .value_kind:     by_value
    .group_segment_fixed_size: 0
    .kernarg_segment_align: 8
    .kernarg_segment_size: 128
    .language:       OpenCL C
    .language_version:
      - 2
      - 0
    .max_flat_workgroup_size: 512
    .name:           _ZN7rocprim17ROCPRIM_400000_NS6detail17trampoline_kernelINS0_14default_configENS1_33run_length_encode_config_selectorImjNS0_4plusIjEEEEZZNS1_33reduce_by_key_impl_wrapped_configILNS1_25lookback_scan_determinismE0ES3_S7_PKmNS0_17constant_iteratorIjlEEPmPlSF_S6_NS0_8equal_toImEEEE10hipError_tPvRmT2_T3_mT4_T5_T6_T7_T8_P12ihipStream_tbENKUlT_T0_E_clISt17integral_constantIbLb0EESY_IbLb1EEEEDaSU_SV_EUlSU_E_NS1_11comp_targetILNS1_3genE9ELNS1_11target_archE1100ELNS1_3gpuE3ELNS1_3repE0EEENS1_30default_config_static_selectorELNS0_4arch9wavefront6targetE1EEEvT1_
    .private_segment_fixed_size: 0
    .sgpr_count:     6
    .sgpr_spill_count: 0
    .symbol:         _ZN7rocprim17ROCPRIM_400000_NS6detail17trampoline_kernelINS0_14default_configENS1_33run_length_encode_config_selectorImjNS0_4plusIjEEEEZZNS1_33reduce_by_key_impl_wrapped_configILNS1_25lookback_scan_determinismE0ES3_S7_PKmNS0_17constant_iteratorIjlEEPmPlSF_S6_NS0_8equal_toImEEEE10hipError_tPvRmT2_T3_mT4_T5_T6_T7_T8_P12ihipStream_tbENKUlT_T0_E_clISt17integral_constantIbLb0EESY_IbLb1EEEEDaSU_SV_EUlSU_E_NS1_11comp_targetILNS1_3genE9ELNS1_11target_archE1100ELNS1_3gpuE3ELNS1_3repE0EEENS1_30default_config_static_selectorELNS0_4arch9wavefront6targetE1EEEvT1_.kd
    .uniform_work_group_size: 1
    .uses_dynamic_stack: false
    .vgpr_count:     0
    .vgpr_spill_count: 0
    .wavefront_size: 64
  - .agpr_count:     0
    .args:
      - .offset:         0
        .size:           128
        .value_kind:     by_value
    .group_segment_fixed_size: 0
    .kernarg_segment_align: 8
    .kernarg_segment_size: 128
    .language:       OpenCL C
    .language_version:
      - 2
      - 0
    .max_flat_workgroup_size: 512
    .name:           _ZN7rocprim17ROCPRIM_400000_NS6detail17trampoline_kernelINS0_14default_configENS1_33run_length_encode_config_selectorImjNS0_4plusIjEEEEZZNS1_33reduce_by_key_impl_wrapped_configILNS1_25lookback_scan_determinismE0ES3_S7_PKmNS0_17constant_iteratorIjlEEPmPlSF_S6_NS0_8equal_toImEEEE10hipError_tPvRmT2_T3_mT4_T5_T6_T7_T8_P12ihipStream_tbENKUlT_T0_E_clISt17integral_constantIbLb0EESY_IbLb1EEEEDaSU_SV_EUlSU_E_NS1_11comp_targetILNS1_3genE8ELNS1_11target_archE1030ELNS1_3gpuE2ELNS1_3repE0EEENS1_30default_config_static_selectorELNS0_4arch9wavefront6targetE1EEEvT1_
    .private_segment_fixed_size: 0
    .sgpr_count:     6
    .sgpr_spill_count: 0
    .symbol:         _ZN7rocprim17ROCPRIM_400000_NS6detail17trampoline_kernelINS0_14default_configENS1_33run_length_encode_config_selectorImjNS0_4plusIjEEEEZZNS1_33reduce_by_key_impl_wrapped_configILNS1_25lookback_scan_determinismE0ES3_S7_PKmNS0_17constant_iteratorIjlEEPmPlSF_S6_NS0_8equal_toImEEEE10hipError_tPvRmT2_T3_mT4_T5_T6_T7_T8_P12ihipStream_tbENKUlT_T0_E_clISt17integral_constantIbLb0EESY_IbLb1EEEEDaSU_SV_EUlSU_E_NS1_11comp_targetILNS1_3genE8ELNS1_11target_archE1030ELNS1_3gpuE2ELNS1_3repE0EEENS1_30default_config_static_selectorELNS0_4arch9wavefront6targetE1EEEvT1_.kd
    .uniform_work_group_size: 1
    .uses_dynamic_stack: false
    .vgpr_count:     0
    .vgpr_spill_count: 0
    .wavefront_size: 64
  - .agpr_count:     0
    .args:
      - .offset:         0
        .size:           8
        .value_kind:     by_value
      - .address_space:  global
        .offset:         8
        .size:           8
        .value_kind:     global_buffer
      - .address_space:  global
        .offset:         16
        .size:           8
        .value_kind:     global_buffer
      - .offset:         24
        .size:           4
        .value_kind:     hidden_block_count_x
      - .offset:         28
        .size:           4
        .value_kind:     hidden_block_count_y
      - .offset:         32
        .size:           4
        .value_kind:     hidden_block_count_z
      - .offset:         36
        .size:           2
        .value_kind:     hidden_group_size_x
      - .offset:         38
        .size:           2
        .value_kind:     hidden_group_size_y
      - .offset:         40
        .size:           2
        .value_kind:     hidden_group_size_z
      - .offset:         42
        .size:           2
        .value_kind:     hidden_remainder_x
      - .offset:         44
        .size:           2
        .value_kind:     hidden_remainder_y
      - .offset:         46
        .size:           2
        .value_kind:     hidden_remainder_z
      - .offset:         64
        .size:           8
        .value_kind:     hidden_global_offset_x
      - .offset:         72
        .size:           8
        .value_kind:     hidden_global_offset_y
      - .offset:         80
        .size:           8
        .value_kind:     hidden_global_offset_z
      - .offset:         88
        .size:           2
        .value_kind:     hidden_grid_dims
    .group_segment_fixed_size: 0
    .kernarg_segment_align: 8
    .kernarg_segment_size: 280
    .language:       OpenCL C
    .language_version:
      - 2
      - 0
    .max_flat_workgroup_size: 1024
    .name:           _ZN2at6native8internal12_GLOBAL__N_126adjacent_difference_kernelIPKtEEvlT_Pi
    .private_segment_fixed_size: 0
    .sgpr_count:     22
    .sgpr_spill_count: 0
    .symbol:         _ZN2at6native8internal12_GLOBAL__N_126adjacent_difference_kernelIPKtEEvlT_Pi.kd
    .uniform_work_group_size: 1
    .uses_dynamic_stack: false
    .vgpr_count:     10
    .vgpr_spill_count: 0
    .wavefront_size: 64
  - .agpr_count:     0
    .args:
      - .offset:         0
        .size:           112
        .value_kind:     by_value
    .group_segment_fixed_size: 0
    .kernarg_segment_align: 8
    .kernarg_segment_size: 112
    .language:       OpenCL C
    .language_version:
      - 2
      - 0
    .max_flat_workgroup_size: 256
    .name:           _ZN7rocprim17ROCPRIM_400000_NS6detail17trampoline_kernelINS0_14default_configENS1_25partition_config_selectorILNS1_17partition_subalgoE8EtNS0_10empty_typeEbEEZZNS1_14partition_implILS5_8ELb0ES3_jPKtPS6_PKS6_NS0_5tupleIJPtS6_EEENSE_IJSB_SB_EEENS0_18inequality_wrapperIN6hipcub16HIPCUB_304000_NS8EqualityEEEPlJS6_EEE10hipError_tPvRmT3_T4_T5_T6_T7_T9_mT8_P12ihipStream_tbDpT10_ENKUlT_T0_E_clISt17integral_constantIbLb0EES17_EEDaS12_S13_EUlS12_E_NS1_11comp_targetILNS1_3genE0ELNS1_11target_archE4294967295ELNS1_3gpuE0ELNS1_3repE0EEENS1_30default_config_static_selectorELNS0_4arch9wavefront6targetE1EEEvT1_
    .private_segment_fixed_size: 0
    .sgpr_count:     6
    .sgpr_spill_count: 0
    .symbol:         _ZN7rocprim17ROCPRIM_400000_NS6detail17trampoline_kernelINS0_14default_configENS1_25partition_config_selectorILNS1_17partition_subalgoE8EtNS0_10empty_typeEbEEZZNS1_14partition_implILS5_8ELb0ES3_jPKtPS6_PKS6_NS0_5tupleIJPtS6_EEENSE_IJSB_SB_EEENS0_18inequality_wrapperIN6hipcub16HIPCUB_304000_NS8EqualityEEEPlJS6_EEE10hipError_tPvRmT3_T4_T5_T6_T7_T9_mT8_P12ihipStream_tbDpT10_ENKUlT_T0_E_clISt17integral_constantIbLb0EES17_EEDaS12_S13_EUlS12_E_NS1_11comp_targetILNS1_3genE0ELNS1_11target_archE4294967295ELNS1_3gpuE0ELNS1_3repE0EEENS1_30default_config_static_selectorELNS0_4arch9wavefront6targetE1EEEvT1_.kd
    .uniform_work_group_size: 1
    .uses_dynamic_stack: false
    .vgpr_count:     0
    .vgpr_spill_count: 0
    .wavefront_size: 64
  - .agpr_count:     0
    .args:
      - .offset:         0
        .size:           112
        .value_kind:     by_value
    .group_segment_fixed_size: 30728
    .kernarg_segment_align: 8
    .kernarg_segment_size: 112
    .language:       OpenCL C
    .language_version:
      - 2
      - 0
    .max_flat_workgroup_size: 512
    .name:           _ZN7rocprim17ROCPRIM_400000_NS6detail17trampoline_kernelINS0_14default_configENS1_25partition_config_selectorILNS1_17partition_subalgoE8EtNS0_10empty_typeEbEEZZNS1_14partition_implILS5_8ELb0ES3_jPKtPS6_PKS6_NS0_5tupleIJPtS6_EEENSE_IJSB_SB_EEENS0_18inequality_wrapperIN6hipcub16HIPCUB_304000_NS8EqualityEEEPlJS6_EEE10hipError_tPvRmT3_T4_T5_T6_T7_T9_mT8_P12ihipStream_tbDpT10_ENKUlT_T0_E_clISt17integral_constantIbLb0EES17_EEDaS12_S13_EUlS12_E_NS1_11comp_targetILNS1_3genE5ELNS1_11target_archE942ELNS1_3gpuE9ELNS1_3repE0EEENS1_30default_config_static_selectorELNS0_4arch9wavefront6targetE1EEEvT1_
    .private_segment_fixed_size: 0
    .sgpr_count:     84
    .sgpr_spill_count: 0
    .symbol:         _ZN7rocprim17ROCPRIM_400000_NS6detail17trampoline_kernelINS0_14default_configENS1_25partition_config_selectorILNS1_17partition_subalgoE8EtNS0_10empty_typeEbEEZZNS1_14partition_implILS5_8ELb0ES3_jPKtPS6_PKS6_NS0_5tupleIJPtS6_EEENSE_IJSB_SB_EEENS0_18inequality_wrapperIN6hipcub16HIPCUB_304000_NS8EqualityEEEPlJS6_EEE10hipError_tPvRmT3_T4_T5_T6_T7_T9_mT8_P12ihipStream_tbDpT10_ENKUlT_T0_E_clISt17integral_constantIbLb0EES17_EEDaS12_S13_EUlS12_E_NS1_11comp_targetILNS1_3genE5ELNS1_11target_archE942ELNS1_3gpuE9ELNS1_3repE0EEENS1_30default_config_static_selectorELNS0_4arch9wavefront6targetE1EEEvT1_.kd
    .uniform_work_group_size: 1
    .uses_dynamic_stack: false
    .vgpr_count:     128
    .vgpr_spill_count: 0
    .wavefront_size: 64
  - .agpr_count:     0
    .args:
      - .offset:         0
        .size:           112
        .value_kind:     by_value
    .group_segment_fixed_size: 0
    .kernarg_segment_align: 8
    .kernarg_segment_size: 112
    .language:       OpenCL C
    .language_version:
      - 2
      - 0
    .max_flat_workgroup_size: 256
    .name:           _ZN7rocprim17ROCPRIM_400000_NS6detail17trampoline_kernelINS0_14default_configENS1_25partition_config_selectorILNS1_17partition_subalgoE8EtNS0_10empty_typeEbEEZZNS1_14partition_implILS5_8ELb0ES3_jPKtPS6_PKS6_NS0_5tupleIJPtS6_EEENSE_IJSB_SB_EEENS0_18inequality_wrapperIN6hipcub16HIPCUB_304000_NS8EqualityEEEPlJS6_EEE10hipError_tPvRmT3_T4_T5_T6_T7_T9_mT8_P12ihipStream_tbDpT10_ENKUlT_T0_E_clISt17integral_constantIbLb0EES17_EEDaS12_S13_EUlS12_E_NS1_11comp_targetILNS1_3genE4ELNS1_11target_archE910ELNS1_3gpuE8ELNS1_3repE0EEENS1_30default_config_static_selectorELNS0_4arch9wavefront6targetE1EEEvT1_
    .private_segment_fixed_size: 0
    .sgpr_count:     6
    .sgpr_spill_count: 0
    .symbol:         _ZN7rocprim17ROCPRIM_400000_NS6detail17trampoline_kernelINS0_14default_configENS1_25partition_config_selectorILNS1_17partition_subalgoE8EtNS0_10empty_typeEbEEZZNS1_14partition_implILS5_8ELb0ES3_jPKtPS6_PKS6_NS0_5tupleIJPtS6_EEENSE_IJSB_SB_EEENS0_18inequality_wrapperIN6hipcub16HIPCUB_304000_NS8EqualityEEEPlJS6_EEE10hipError_tPvRmT3_T4_T5_T6_T7_T9_mT8_P12ihipStream_tbDpT10_ENKUlT_T0_E_clISt17integral_constantIbLb0EES17_EEDaS12_S13_EUlS12_E_NS1_11comp_targetILNS1_3genE4ELNS1_11target_archE910ELNS1_3gpuE8ELNS1_3repE0EEENS1_30default_config_static_selectorELNS0_4arch9wavefront6targetE1EEEvT1_.kd
    .uniform_work_group_size: 1
    .uses_dynamic_stack: false
    .vgpr_count:     0
    .vgpr_spill_count: 0
    .wavefront_size: 64
  - .agpr_count:     0
    .args:
      - .offset:         0
        .size:           112
        .value_kind:     by_value
    .group_segment_fixed_size: 0
    .kernarg_segment_align: 8
    .kernarg_segment_size: 112
    .language:       OpenCL C
    .language_version:
      - 2
      - 0
    .max_flat_workgroup_size: 256
    .name:           _ZN7rocprim17ROCPRIM_400000_NS6detail17trampoline_kernelINS0_14default_configENS1_25partition_config_selectorILNS1_17partition_subalgoE8EtNS0_10empty_typeEbEEZZNS1_14partition_implILS5_8ELb0ES3_jPKtPS6_PKS6_NS0_5tupleIJPtS6_EEENSE_IJSB_SB_EEENS0_18inequality_wrapperIN6hipcub16HIPCUB_304000_NS8EqualityEEEPlJS6_EEE10hipError_tPvRmT3_T4_T5_T6_T7_T9_mT8_P12ihipStream_tbDpT10_ENKUlT_T0_E_clISt17integral_constantIbLb0EES17_EEDaS12_S13_EUlS12_E_NS1_11comp_targetILNS1_3genE3ELNS1_11target_archE908ELNS1_3gpuE7ELNS1_3repE0EEENS1_30default_config_static_selectorELNS0_4arch9wavefront6targetE1EEEvT1_
    .private_segment_fixed_size: 0
    .sgpr_count:     6
    .sgpr_spill_count: 0
    .symbol:         _ZN7rocprim17ROCPRIM_400000_NS6detail17trampoline_kernelINS0_14default_configENS1_25partition_config_selectorILNS1_17partition_subalgoE8EtNS0_10empty_typeEbEEZZNS1_14partition_implILS5_8ELb0ES3_jPKtPS6_PKS6_NS0_5tupleIJPtS6_EEENSE_IJSB_SB_EEENS0_18inequality_wrapperIN6hipcub16HIPCUB_304000_NS8EqualityEEEPlJS6_EEE10hipError_tPvRmT3_T4_T5_T6_T7_T9_mT8_P12ihipStream_tbDpT10_ENKUlT_T0_E_clISt17integral_constantIbLb0EES17_EEDaS12_S13_EUlS12_E_NS1_11comp_targetILNS1_3genE3ELNS1_11target_archE908ELNS1_3gpuE7ELNS1_3repE0EEENS1_30default_config_static_selectorELNS0_4arch9wavefront6targetE1EEEvT1_.kd
    .uniform_work_group_size: 1
    .uses_dynamic_stack: false
    .vgpr_count:     0
    .vgpr_spill_count: 0
    .wavefront_size: 64
  - .agpr_count:     0
    .args:
      - .offset:         0
        .size:           112
        .value_kind:     by_value
    .group_segment_fixed_size: 0
    .kernarg_segment_align: 8
    .kernarg_segment_size: 112
    .language:       OpenCL C
    .language_version:
      - 2
      - 0
    .max_flat_workgroup_size: 192
    .name:           _ZN7rocprim17ROCPRIM_400000_NS6detail17trampoline_kernelINS0_14default_configENS1_25partition_config_selectorILNS1_17partition_subalgoE8EtNS0_10empty_typeEbEEZZNS1_14partition_implILS5_8ELb0ES3_jPKtPS6_PKS6_NS0_5tupleIJPtS6_EEENSE_IJSB_SB_EEENS0_18inequality_wrapperIN6hipcub16HIPCUB_304000_NS8EqualityEEEPlJS6_EEE10hipError_tPvRmT3_T4_T5_T6_T7_T9_mT8_P12ihipStream_tbDpT10_ENKUlT_T0_E_clISt17integral_constantIbLb0EES17_EEDaS12_S13_EUlS12_E_NS1_11comp_targetILNS1_3genE2ELNS1_11target_archE906ELNS1_3gpuE6ELNS1_3repE0EEENS1_30default_config_static_selectorELNS0_4arch9wavefront6targetE1EEEvT1_
    .private_segment_fixed_size: 0
    .sgpr_count:     6
    .sgpr_spill_count: 0
    .symbol:         _ZN7rocprim17ROCPRIM_400000_NS6detail17trampoline_kernelINS0_14default_configENS1_25partition_config_selectorILNS1_17partition_subalgoE8EtNS0_10empty_typeEbEEZZNS1_14partition_implILS5_8ELb0ES3_jPKtPS6_PKS6_NS0_5tupleIJPtS6_EEENSE_IJSB_SB_EEENS0_18inequality_wrapperIN6hipcub16HIPCUB_304000_NS8EqualityEEEPlJS6_EEE10hipError_tPvRmT3_T4_T5_T6_T7_T9_mT8_P12ihipStream_tbDpT10_ENKUlT_T0_E_clISt17integral_constantIbLb0EES17_EEDaS12_S13_EUlS12_E_NS1_11comp_targetILNS1_3genE2ELNS1_11target_archE906ELNS1_3gpuE6ELNS1_3repE0EEENS1_30default_config_static_selectorELNS0_4arch9wavefront6targetE1EEEvT1_.kd
    .uniform_work_group_size: 1
    .uses_dynamic_stack: false
    .vgpr_count:     0
    .vgpr_spill_count: 0
    .wavefront_size: 64
  - .agpr_count:     0
    .args:
      - .offset:         0
        .size:           112
        .value_kind:     by_value
    .group_segment_fixed_size: 0
    .kernarg_segment_align: 8
    .kernarg_segment_size: 112
    .language:       OpenCL C
    .language_version:
      - 2
      - 0
    .max_flat_workgroup_size: 256
    .name:           _ZN7rocprim17ROCPRIM_400000_NS6detail17trampoline_kernelINS0_14default_configENS1_25partition_config_selectorILNS1_17partition_subalgoE8EtNS0_10empty_typeEbEEZZNS1_14partition_implILS5_8ELb0ES3_jPKtPS6_PKS6_NS0_5tupleIJPtS6_EEENSE_IJSB_SB_EEENS0_18inequality_wrapperIN6hipcub16HIPCUB_304000_NS8EqualityEEEPlJS6_EEE10hipError_tPvRmT3_T4_T5_T6_T7_T9_mT8_P12ihipStream_tbDpT10_ENKUlT_T0_E_clISt17integral_constantIbLb0EES17_EEDaS12_S13_EUlS12_E_NS1_11comp_targetILNS1_3genE10ELNS1_11target_archE1200ELNS1_3gpuE4ELNS1_3repE0EEENS1_30default_config_static_selectorELNS0_4arch9wavefront6targetE1EEEvT1_
    .private_segment_fixed_size: 0
    .sgpr_count:     6
    .sgpr_spill_count: 0
    .symbol:         _ZN7rocprim17ROCPRIM_400000_NS6detail17trampoline_kernelINS0_14default_configENS1_25partition_config_selectorILNS1_17partition_subalgoE8EtNS0_10empty_typeEbEEZZNS1_14partition_implILS5_8ELb0ES3_jPKtPS6_PKS6_NS0_5tupleIJPtS6_EEENSE_IJSB_SB_EEENS0_18inequality_wrapperIN6hipcub16HIPCUB_304000_NS8EqualityEEEPlJS6_EEE10hipError_tPvRmT3_T4_T5_T6_T7_T9_mT8_P12ihipStream_tbDpT10_ENKUlT_T0_E_clISt17integral_constantIbLb0EES17_EEDaS12_S13_EUlS12_E_NS1_11comp_targetILNS1_3genE10ELNS1_11target_archE1200ELNS1_3gpuE4ELNS1_3repE0EEENS1_30default_config_static_selectorELNS0_4arch9wavefront6targetE1EEEvT1_.kd
    .uniform_work_group_size: 1
    .uses_dynamic_stack: false
    .vgpr_count:     0
    .vgpr_spill_count: 0
    .wavefront_size: 64
  - .agpr_count:     0
    .args:
      - .offset:         0
        .size:           112
        .value_kind:     by_value
    .group_segment_fixed_size: 0
    .kernarg_segment_align: 8
    .kernarg_segment_size: 112
    .language:       OpenCL C
    .language_version:
      - 2
      - 0
    .max_flat_workgroup_size: 128
    .name:           _ZN7rocprim17ROCPRIM_400000_NS6detail17trampoline_kernelINS0_14default_configENS1_25partition_config_selectorILNS1_17partition_subalgoE8EtNS0_10empty_typeEbEEZZNS1_14partition_implILS5_8ELb0ES3_jPKtPS6_PKS6_NS0_5tupleIJPtS6_EEENSE_IJSB_SB_EEENS0_18inequality_wrapperIN6hipcub16HIPCUB_304000_NS8EqualityEEEPlJS6_EEE10hipError_tPvRmT3_T4_T5_T6_T7_T9_mT8_P12ihipStream_tbDpT10_ENKUlT_T0_E_clISt17integral_constantIbLb0EES17_EEDaS12_S13_EUlS12_E_NS1_11comp_targetILNS1_3genE9ELNS1_11target_archE1100ELNS1_3gpuE3ELNS1_3repE0EEENS1_30default_config_static_selectorELNS0_4arch9wavefront6targetE1EEEvT1_
    .private_segment_fixed_size: 0
    .sgpr_count:     6
    .sgpr_spill_count: 0
    .symbol:         _ZN7rocprim17ROCPRIM_400000_NS6detail17trampoline_kernelINS0_14default_configENS1_25partition_config_selectorILNS1_17partition_subalgoE8EtNS0_10empty_typeEbEEZZNS1_14partition_implILS5_8ELb0ES3_jPKtPS6_PKS6_NS0_5tupleIJPtS6_EEENSE_IJSB_SB_EEENS0_18inequality_wrapperIN6hipcub16HIPCUB_304000_NS8EqualityEEEPlJS6_EEE10hipError_tPvRmT3_T4_T5_T6_T7_T9_mT8_P12ihipStream_tbDpT10_ENKUlT_T0_E_clISt17integral_constantIbLb0EES17_EEDaS12_S13_EUlS12_E_NS1_11comp_targetILNS1_3genE9ELNS1_11target_archE1100ELNS1_3gpuE3ELNS1_3repE0EEENS1_30default_config_static_selectorELNS0_4arch9wavefront6targetE1EEEvT1_.kd
    .uniform_work_group_size: 1
    .uses_dynamic_stack: false
    .vgpr_count:     0
    .vgpr_spill_count: 0
    .wavefront_size: 64
  - .agpr_count:     0
    .args:
      - .offset:         0
        .size:           112
        .value_kind:     by_value
    .group_segment_fixed_size: 0
    .kernarg_segment_align: 8
    .kernarg_segment_size: 112
    .language:       OpenCL C
    .language_version:
      - 2
      - 0
    .max_flat_workgroup_size: 384
    .name:           _ZN7rocprim17ROCPRIM_400000_NS6detail17trampoline_kernelINS0_14default_configENS1_25partition_config_selectorILNS1_17partition_subalgoE8EtNS0_10empty_typeEbEEZZNS1_14partition_implILS5_8ELb0ES3_jPKtPS6_PKS6_NS0_5tupleIJPtS6_EEENSE_IJSB_SB_EEENS0_18inequality_wrapperIN6hipcub16HIPCUB_304000_NS8EqualityEEEPlJS6_EEE10hipError_tPvRmT3_T4_T5_T6_T7_T9_mT8_P12ihipStream_tbDpT10_ENKUlT_T0_E_clISt17integral_constantIbLb0EES17_EEDaS12_S13_EUlS12_E_NS1_11comp_targetILNS1_3genE8ELNS1_11target_archE1030ELNS1_3gpuE2ELNS1_3repE0EEENS1_30default_config_static_selectorELNS0_4arch9wavefront6targetE1EEEvT1_
    .private_segment_fixed_size: 0
    .sgpr_count:     6
    .sgpr_spill_count: 0
    .symbol:         _ZN7rocprim17ROCPRIM_400000_NS6detail17trampoline_kernelINS0_14default_configENS1_25partition_config_selectorILNS1_17partition_subalgoE8EtNS0_10empty_typeEbEEZZNS1_14partition_implILS5_8ELb0ES3_jPKtPS6_PKS6_NS0_5tupleIJPtS6_EEENSE_IJSB_SB_EEENS0_18inequality_wrapperIN6hipcub16HIPCUB_304000_NS8EqualityEEEPlJS6_EEE10hipError_tPvRmT3_T4_T5_T6_T7_T9_mT8_P12ihipStream_tbDpT10_ENKUlT_T0_E_clISt17integral_constantIbLb0EES17_EEDaS12_S13_EUlS12_E_NS1_11comp_targetILNS1_3genE8ELNS1_11target_archE1030ELNS1_3gpuE2ELNS1_3repE0EEENS1_30default_config_static_selectorELNS0_4arch9wavefront6targetE1EEEvT1_.kd
    .uniform_work_group_size: 1
    .uses_dynamic_stack: false
    .vgpr_count:     0
    .vgpr_spill_count: 0
    .wavefront_size: 64
  - .agpr_count:     0
    .args:
      - .offset:         0
        .size:           128
        .value_kind:     by_value
    .group_segment_fixed_size: 0
    .kernarg_segment_align: 8
    .kernarg_segment_size: 128
    .language:       OpenCL C
    .language_version:
      - 2
      - 0
    .max_flat_workgroup_size: 256
    .name:           _ZN7rocprim17ROCPRIM_400000_NS6detail17trampoline_kernelINS0_14default_configENS1_25partition_config_selectorILNS1_17partition_subalgoE8EtNS0_10empty_typeEbEEZZNS1_14partition_implILS5_8ELb0ES3_jPKtPS6_PKS6_NS0_5tupleIJPtS6_EEENSE_IJSB_SB_EEENS0_18inequality_wrapperIN6hipcub16HIPCUB_304000_NS8EqualityEEEPlJS6_EEE10hipError_tPvRmT3_T4_T5_T6_T7_T9_mT8_P12ihipStream_tbDpT10_ENKUlT_T0_E_clISt17integral_constantIbLb1EES17_EEDaS12_S13_EUlS12_E_NS1_11comp_targetILNS1_3genE0ELNS1_11target_archE4294967295ELNS1_3gpuE0ELNS1_3repE0EEENS1_30default_config_static_selectorELNS0_4arch9wavefront6targetE1EEEvT1_
    .private_segment_fixed_size: 0
    .sgpr_count:     6
    .sgpr_spill_count: 0
    .symbol:         _ZN7rocprim17ROCPRIM_400000_NS6detail17trampoline_kernelINS0_14default_configENS1_25partition_config_selectorILNS1_17partition_subalgoE8EtNS0_10empty_typeEbEEZZNS1_14partition_implILS5_8ELb0ES3_jPKtPS6_PKS6_NS0_5tupleIJPtS6_EEENSE_IJSB_SB_EEENS0_18inequality_wrapperIN6hipcub16HIPCUB_304000_NS8EqualityEEEPlJS6_EEE10hipError_tPvRmT3_T4_T5_T6_T7_T9_mT8_P12ihipStream_tbDpT10_ENKUlT_T0_E_clISt17integral_constantIbLb1EES17_EEDaS12_S13_EUlS12_E_NS1_11comp_targetILNS1_3genE0ELNS1_11target_archE4294967295ELNS1_3gpuE0ELNS1_3repE0EEENS1_30default_config_static_selectorELNS0_4arch9wavefront6targetE1EEEvT1_.kd
    .uniform_work_group_size: 1
    .uses_dynamic_stack: false
    .vgpr_count:     0
    .vgpr_spill_count: 0
    .wavefront_size: 64
  - .agpr_count:     0
    .args:
      - .offset:         0
        .size:           128
        .value_kind:     by_value
    .group_segment_fixed_size: 30728
    .kernarg_segment_align: 8
    .kernarg_segment_size: 128
    .language:       OpenCL C
    .language_version:
      - 2
      - 0
    .max_flat_workgroup_size: 512
    .name:           _ZN7rocprim17ROCPRIM_400000_NS6detail17trampoline_kernelINS0_14default_configENS1_25partition_config_selectorILNS1_17partition_subalgoE8EtNS0_10empty_typeEbEEZZNS1_14partition_implILS5_8ELb0ES3_jPKtPS6_PKS6_NS0_5tupleIJPtS6_EEENSE_IJSB_SB_EEENS0_18inequality_wrapperIN6hipcub16HIPCUB_304000_NS8EqualityEEEPlJS6_EEE10hipError_tPvRmT3_T4_T5_T6_T7_T9_mT8_P12ihipStream_tbDpT10_ENKUlT_T0_E_clISt17integral_constantIbLb1EES17_EEDaS12_S13_EUlS12_E_NS1_11comp_targetILNS1_3genE5ELNS1_11target_archE942ELNS1_3gpuE9ELNS1_3repE0EEENS1_30default_config_static_selectorELNS0_4arch9wavefront6targetE1EEEvT1_
    .private_segment_fixed_size: 0
    .sgpr_count:     87
    .sgpr_spill_count: 0
    .symbol:         _ZN7rocprim17ROCPRIM_400000_NS6detail17trampoline_kernelINS0_14default_configENS1_25partition_config_selectorILNS1_17partition_subalgoE8EtNS0_10empty_typeEbEEZZNS1_14partition_implILS5_8ELb0ES3_jPKtPS6_PKS6_NS0_5tupleIJPtS6_EEENSE_IJSB_SB_EEENS0_18inequality_wrapperIN6hipcub16HIPCUB_304000_NS8EqualityEEEPlJS6_EEE10hipError_tPvRmT3_T4_T5_T6_T7_T9_mT8_P12ihipStream_tbDpT10_ENKUlT_T0_E_clISt17integral_constantIbLb1EES17_EEDaS12_S13_EUlS12_E_NS1_11comp_targetILNS1_3genE5ELNS1_11target_archE942ELNS1_3gpuE9ELNS1_3repE0EEENS1_30default_config_static_selectorELNS0_4arch9wavefront6targetE1EEEvT1_.kd
    .uniform_work_group_size: 1
    .uses_dynamic_stack: false
    .vgpr_count:     132
    .vgpr_spill_count: 0
    .wavefront_size: 64
  - .agpr_count:     0
    .args:
      - .offset:         0
        .size:           128
        .value_kind:     by_value
    .group_segment_fixed_size: 0
    .kernarg_segment_align: 8
    .kernarg_segment_size: 128
    .language:       OpenCL C
    .language_version:
      - 2
      - 0
    .max_flat_workgroup_size: 256
    .name:           _ZN7rocprim17ROCPRIM_400000_NS6detail17trampoline_kernelINS0_14default_configENS1_25partition_config_selectorILNS1_17partition_subalgoE8EtNS0_10empty_typeEbEEZZNS1_14partition_implILS5_8ELb0ES3_jPKtPS6_PKS6_NS0_5tupleIJPtS6_EEENSE_IJSB_SB_EEENS0_18inequality_wrapperIN6hipcub16HIPCUB_304000_NS8EqualityEEEPlJS6_EEE10hipError_tPvRmT3_T4_T5_T6_T7_T9_mT8_P12ihipStream_tbDpT10_ENKUlT_T0_E_clISt17integral_constantIbLb1EES17_EEDaS12_S13_EUlS12_E_NS1_11comp_targetILNS1_3genE4ELNS1_11target_archE910ELNS1_3gpuE8ELNS1_3repE0EEENS1_30default_config_static_selectorELNS0_4arch9wavefront6targetE1EEEvT1_
    .private_segment_fixed_size: 0
    .sgpr_count:     6
    .sgpr_spill_count: 0
    .symbol:         _ZN7rocprim17ROCPRIM_400000_NS6detail17trampoline_kernelINS0_14default_configENS1_25partition_config_selectorILNS1_17partition_subalgoE8EtNS0_10empty_typeEbEEZZNS1_14partition_implILS5_8ELb0ES3_jPKtPS6_PKS6_NS0_5tupleIJPtS6_EEENSE_IJSB_SB_EEENS0_18inequality_wrapperIN6hipcub16HIPCUB_304000_NS8EqualityEEEPlJS6_EEE10hipError_tPvRmT3_T4_T5_T6_T7_T9_mT8_P12ihipStream_tbDpT10_ENKUlT_T0_E_clISt17integral_constantIbLb1EES17_EEDaS12_S13_EUlS12_E_NS1_11comp_targetILNS1_3genE4ELNS1_11target_archE910ELNS1_3gpuE8ELNS1_3repE0EEENS1_30default_config_static_selectorELNS0_4arch9wavefront6targetE1EEEvT1_.kd
    .uniform_work_group_size: 1
    .uses_dynamic_stack: false
    .vgpr_count:     0
    .vgpr_spill_count: 0
    .wavefront_size: 64
  - .agpr_count:     0
    .args:
      - .offset:         0
        .size:           128
        .value_kind:     by_value
    .group_segment_fixed_size: 0
    .kernarg_segment_align: 8
    .kernarg_segment_size: 128
    .language:       OpenCL C
    .language_version:
      - 2
      - 0
    .max_flat_workgroup_size: 256
    .name:           _ZN7rocprim17ROCPRIM_400000_NS6detail17trampoline_kernelINS0_14default_configENS1_25partition_config_selectorILNS1_17partition_subalgoE8EtNS0_10empty_typeEbEEZZNS1_14partition_implILS5_8ELb0ES3_jPKtPS6_PKS6_NS0_5tupleIJPtS6_EEENSE_IJSB_SB_EEENS0_18inequality_wrapperIN6hipcub16HIPCUB_304000_NS8EqualityEEEPlJS6_EEE10hipError_tPvRmT3_T4_T5_T6_T7_T9_mT8_P12ihipStream_tbDpT10_ENKUlT_T0_E_clISt17integral_constantIbLb1EES17_EEDaS12_S13_EUlS12_E_NS1_11comp_targetILNS1_3genE3ELNS1_11target_archE908ELNS1_3gpuE7ELNS1_3repE0EEENS1_30default_config_static_selectorELNS0_4arch9wavefront6targetE1EEEvT1_
    .private_segment_fixed_size: 0
    .sgpr_count:     6
    .sgpr_spill_count: 0
    .symbol:         _ZN7rocprim17ROCPRIM_400000_NS6detail17trampoline_kernelINS0_14default_configENS1_25partition_config_selectorILNS1_17partition_subalgoE8EtNS0_10empty_typeEbEEZZNS1_14partition_implILS5_8ELb0ES3_jPKtPS6_PKS6_NS0_5tupleIJPtS6_EEENSE_IJSB_SB_EEENS0_18inequality_wrapperIN6hipcub16HIPCUB_304000_NS8EqualityEEEPlJS6_EEE10hipError_tPvRmT3_T4_T5_T6_T7_T9_mT8_P12ihipStream_tbDpT10_ENKUlT_T0_E_clISt17integral_constantIbLb1EES17_EEDaS12_S13_EUlS12_E_NS1_11comp_targetILNS1_3genE3ELNS1_11target_archE908ELNS1_3gpuE7ELNS1_3repE0EEENS1_30default_config_static_selectorELNS0_4arch9wavefront6targetE1EEEvT1_.kd
    .uniform_work_group_size: 1
    .uses_dynamic_stack: false
    .vgpr_count:     0
    .vgpr_spill_count: 0
    .wavefront_size: 64
  - .agpr_count:     0
    .args:
      - .offset:         0
        .size:           128
        .value_kind:     by_value
    .group_segment_fixed_size: 0
    .kernarg_segment_align: 8
    .kernarg_segment_size: 128
    .language:       OpenCL C
    .language_version:
      - 2
      - 0
    .max_flat_workgroup_size: 192
    .name:           _ZN7rocprim17ROCPRIM_400000_NS6detail17trampoline_kernelINS0_14default_configENS1_25partition_config_selectorILNS1_17partition_subalgoE8EtNS0_10empty_typeEbEEZZNS1_14partition_implILS5_8ELb0ES3_jPKtPS6_PKS6_NS0_5tupleIJPtS6_EEENSE_IJSB_SB_EEENS0_18inequality_wrapperIN6hipcub16HIPCUB_304000_NS8EqualityEEEPlJS6_EEE10hipError_tPvRmT3_T4_T5_T6_T7_T9_mT8_P12ihipStream_tbDpT10_ENKUlT_T0_E_clISt17integral_constantIbLb1EES17_EEDaS12_S13_EUlS12_E_NS1_11comp_targetILNS1_3genE2ELNS1_11target_archE906ELNS1_3gpuE6ELNS1_3repE0EEENS1_30default_config_static_selectorELNS0_4arch9wavefront6targetE1EEEvT1_
    .private_segment_fixed_size: 0
    .sgpr_count:     6
    .sgpr_spill_count: 0
    .symbol:         _ZN7rocprim17ROCPRIM_400000_NS6detail17trampoline_kernelINS0_14default_configENS1_25partition_config_selectorILNS1_17partition_subalgoE8EtNS0_10empty_typeEbEEZZNS1_14partition_implILS5_8ELb0ES3_jPKtPS6_PKS6_NS0_5tupleIJPtS6_EEENSE_IJSB_SB_EEENS0_18inequality_wrapperIN6hipcub16HIPCUB_304000_NS8EqualityEEEPlJS6_EEE10hipError_tPvRmT3_T4_T5_T6_T7_T9_mT8_P12ihipStream_tbDpT10_ENKUlT_T0_E_clISt17integral_constantIbLb1EES17_EEDaS12_S13_EUlS12_E_NS1_11comp_targetILNS1_3genE2ELNS1_11target_archE906ELNS1_3gpuE6ELNS1_3repE0EEENS1_30default_config_static_selectorELNS0_4arch9wavefront6targetE1EEEvT1_.kd
    .uniform_work_group_size: 1
    .uses_dynamic_stack: false
    .vgpr_count:     0
    .vgpr_spill_count: 0
    .wavefront_size: 64
  - .agpr_count:     0
    .args:
      - .offset:         0
        .size:           128
        .value_kind:     by_value
    .group_segment_fixed_size: 0
    .kernarg_segment_align: 8
    .kernarg_segment_size: 128
    .language:       OpenCL C
    .language_version:
      - 2
      - 0
    .max_flat_workgroup_size: 256
    .name:           _ZN7rocprim17ROCPRIM_400000_NS6detail17trampoline_kernelINS0_14default_configENS1_25partition_config_selectorILNS1_17partition_subalgoE8EtNS0_10empty_typeEbEEZZNS1_14partition_implILS5_8ELb0ES3_jPKtPS6_PKS6_NS0_5tupleIJPtS6_EEENSE_IJSB_SB_EEENS0_18inequality_wrapperIN6hipcub16HIPCUB_304000_NS8EqualityEEEPlJS6_EEE10hipError_tPvRmT3_T4_T5_T6_T7_T9_mT8_P12ihipStream_tbDpT10_ENKUlT_T0_E_clISt17integral_constantIbLb1EES17_EEDaS12_S13_EUlS12_E_NS1_11comp_targetILNS1_3genE10ELNS1_11target_archE1200ELNS1_3gpuE4ELNS1_3repE0EEENS1_30default_config_static_selectorELNS0_4arch9wavefront6targetE1EEEvT1_
    .private_segment_fixed_size: 0
    .sgpr_count:     6
    .sgpr_spill_count: 0
    .symbol:         _ZN7rocprim17ROCPRIM_400000_NS6detail17trampoline_kernelINS0_14default_configENS1_25partition_config_selectorILNS1_17partition_subalgoE8EtNS0_10empty_typeEbEEZZNS1_14partition_implILS5_8ELb0ES3_jPKtPS6_PKS6_NS0_5tupleIJPtS6_EEENSE_IJSB_SB_EEENS0_18inequality_wrapperIN6hipcub16HIPCUB_304000_NS8EqualityEEEPlJS6_EEE10hipError_tPvRmT3_T4_T5_T6_T7_T9_mT8_P12ihipStream_tbDpT10_ENKUlT_T0_E_clISt17integral_constantIbLb1EES17_EEDaS12_S13_EUlS12_E_NS1_11comp_targetILNS1_3genE10ELNS1_11target_archE1200ELNS1_3gpuE4ELNS1_3repE0EEENS1_30default_config_static_selectorELNS0_4arch9wavefront6targetE1EEEvT1_.kd
    .uniform_work_group_size: 1
    .uses_dynamic_stack: false
    .vgpr_count:     0
    .vgpr_spill_count: 0
    .wavefront_size: 64
  - .agpr_count:     0
    .args:
      - .offset:         0
        .size:           128
        .value_kind:     by_value
    .group_segment_fixed_size: 0
    .kernarg_segment_align: 8
    .kernarg_segment_size: 128
    .language:       OpenCL C
    .language_version:
      - 2
      - 0
    .max_flat_workgroup_size: 128
    .name:           _ZN7rocprim17ROCPRIM_400000_NS6detail17trampoline_kernelINS0_14default_configENS1_25partition_config_selectorILNS1_17partition_subalgoE8EtNS0_10empty_typeEbEEZZNS1_14partition_implILS5_8ELb0ES3_jPKtPS6_PKS6_NS0_5tupleIJPtS6_EEENSE_IJSB_SB_EEENS0_18inequality_wrapperIN6hipcub16HIPCUB_304000_NS8EqualityEEEPlJS6_EEE10hipError_tPvRmT3_T4_T5_T6_T7_T9_mT8_P12ihipStream_tbDpT10_ENKUlT_T0_E_clISt17integral_constantIbLb1EES17_EEDaS12_S13_EUlS12_E_NS1_11comp_targetILNS1_3genE9ELNS1_11target_archE1100ELNS1_3gpuE3ELNS1_3repE0EEENS1_30default_config_static_selectorELNS0_4arch9wavefront6targetE1EEEvT1_
    .private_segment_fixed_size: 0
    .sgpr_count:     6
    .sgpr_spill_count: 0
    .symbol:         _ZN7rocprim17ROCPRIM_400000_NS6detail17trampoline_kernelINS0_14default_configENS1_25partition_config_selectorILNS1_17partition_subalgoE8EtNS0_10empty_typeEbEEZZNS1_14partition_implILS5_8ELb0ES3_jPKtPS6_PKS6_NS0_5tupleIJPtS6_EEENSE_IJSB_SB_EEENS0_18inequality_wrapperIN6hipcub16HIPCUB_304000_NS8EqualityEEEPlJS6_EEE10hipError_tPvRmT3_T4_T5_T6_T7_T9_mT8_P12ihipStream_tbDpT10_ENKUlT_T0_E_clISt17integral_constantIbLb1EES17_EEDaS12_S13_EUlS12_E_NS1_11comp_targetILNS1_3genE9ELNS1_11target_archE1100ELNS1_3gpuE3ELNS1_3repE0EEENS1_30default_config_static_selectorELNS0_4arch9wavefront6targetE1EEEvT1_.kd
    .uniform_work_group_size: 1
    .uses_dynamic_stack: false
    .vgpr_count:     0
    .vgpr_spill_count: 0
    .wavefront_size: 64
  - .agpr_count:     0
    .args:
      - .offset:         0
        .size:           128
        .value_kind:     by_value
    .group_segment_fixed_size: 0
    .kernarg_segment_align: 8
    .kernarg_segment_size: 128
    .language:       OpenCL C
    .language_version:
      - 2
      - 0
    .max_flat_workgroup_size: 384
    .name:           _ZN7rocprim17ROCPRIM_400000_NS6detail17trampoline_kernelINS0_14default_configENS1_25partition_config_selectorILNS1_17partition_subalgoE8EtNS0_10empty_typeEbEEZZNS1_14partition_implILS5_8ELb0ES3_jPKtPS6_PKS6_NS0_5tupleIJPtS6_EEENSE_IJSB_SB_EEENS0_18inequality_wrapperIN6hipcub16HIPCUB_304000_NS8EqualityEEEPlJS6_EEE10hipError_tPvRmT3_T4_T5_T6_T7_T9_mT8_P12ihipStream_tbDpT10_ENKUlT_T0_E_clISt17integral_constantIbLb1EES17_EEDaS12_S13_EUlS12_E_NS1_11comp_targetILNS1_3genE8ELNS1_11target_archE1030ELNS1_3gpuE2ELNS1_3repE0EEENS1_30default_config_static_selectorELNS0_4arch9wavefront6targetE1EEEvT1_
    .private_segment_fixed_size: 0
    .sgpr_count:     6
    .sgpr_spill_count: 0
    .symbol:         _ZN7rocprim17ROCPRIM_400000_NS6detail17trampoline_kernelINS0_14default_configENS1_25partition_config_selectorILNS1_17partition_subalgoE8EtNS0_10empty_typeEbEEZZNS1_14partition_implILS5_8ELb0ES3_jPKtPS6_PKS6_NS0_5tupleIJPtS6_EEENSE_IJSB_SB_EEENS0_18inequality_wrapperIN6hipcub16HIPCUB_304000_NS8EqualityEEEPlJS6_EEE10hipError_tPvRmT3_T4_T5_T6_T7_T9_mT8_P12ihipStream_tbDpT10_ENKUlT_T0_E_clISt17integral_constantIbLb1EES17_EEDaS12_S13_EUlS12_E_NS1_11comp_targetILNS1_3genE8ELNS1_11target_archE1030ELNS1_3gpuE2ELNS1_3repE0EEENS1_30default_config_static_selectorELNS0_4arch9wavefront6targetE1EEEvT1_.kd
    .uniform_work_group_size: 1
    .uses_dynamic_stack: false
    .vgpr_count:     0
    .vgpr_spill_count: 0
    .wavefront_size: 64
  - .agpr_count:     0
    .args:
      - .offset:         0
        .size:           112
        .value_kind:     by_value
    .group_segment_fixed_size: 0
    .kernarg_segment_align: 8
    .kernarg_segment_size: 112
    .language:       OpenCL C
    .language_version:
      - 2
      - 0
    .max_flat_workgroup_size: 256
    .name:           _ZN7rocprim17ROCPRIM_400000_NS6detail17trampoline_kernelINS0_14default_configENS1_25partition_config_selectorILNS1_17partition_subalgoE8EtNS0_10empty_typeEbEEZZNS1_14partition_implILS5_8ELb0ES3_jPKtPS6_PKS6_NS0_5tupleIJPtS6_EEENSE_IJSB_SB_EEENS0_18inequality_wrapperIN6hipcub16HIPCUB_304000_NS8EqualityEEEPlJS6_EEE10hipError_tPvRmT3_T4_T5_T6_T7_T9_mT8_P12ihipStream_tbDpT10_ENKUlT_T0_E_clISt17integral_constantIbLb1EES16_IbLb0EEEEDaS12_S13_EUlS12_E_NS1_11comp_targetILNS1_3genE0ELNS1_11target_archE4294967295ELNS1_3gpuE0ELNS1_3repE0EEENS1_30default_config_static_selectorELNS0_4arch9wavefront6targetE1EEEvT1_
    .private_segment_fixed_size: 0
    .sgpr_count:     6
    .sgpr_spill_count: 0
    .symbol:         _ZN7rocprim17ROCPRIM_400000_NS6detail17trampoline_kernelINS0_14default_configENS1_25partition_config_selectorILNS1_17partition_subalgoE8EtNS0_10empty_typeEbEEZZNS1_14partition_implILS5_8ELb0ES3_jPKtPS6_PKS6_NS0_5tupleIJPtS6_EEENSE_IJSB_SB_EEENS0_18inequality_wrapperIN6hipcub16HIPCUB_304000_NS8EqualityEEEPlJS6_EEE10hipError_tPvRmT3_T4_T5_T6_T7_T9_mT8_P12ihipStream_tbDpT10_ENKUlT_T0_E_clISt17integral_constantIbLb1EES16_IbLb0EEEEDaS12_S13_EUlS12_E_NS1_11comp_targetILNS1_3genE0ELNS1_11target_archE4294967295ELNS1_3gpuE0ELNS1_3repE0EEENS1_30default_config_static_selectorELNS0_4arch9wavefront6targetE1EEEvT1_.kd
    .uniform_work_group_size: 1
    .uses_dynamic_stack: false
    .vgpr_count:     0
    .vgpr_spill_count: 0
    .wavefront_size: 64
  - .agpr_count:     0
    .args:
      - .offset:         0
        .size:           112
        .value_kind:     by_value
    .group_segment_fixed_size: 30728
    .kernarg_segment_align: 8
    .kernarg_segment_size: 112
    .language:       OpenCL C
    .language_version:
      - 2
      - 0
    .max_flat_workgroup_size: 512
    .name:           _ZN7rocprim17ROCPRIM_400000_NS6detail17trampoline_kernelINS0_14default_configENS1_25partition_config_selectorILNS1_17partition_subalgoE8EtNS0_10empty_typeEbEEZZNS1_14partition_implILS5_8ELb0ES3_jPKtPS6_PKS6_NS0_5tupleIJPtS6_EEENSE_IJSB_SB_EEENS0_18inequality_wrapperIN6hipcub16HIPCUB_304000_NS8EqualityEEEPlJS6_EEE10hipError_tPvRmT3_T4_T5_T6_T7_T9_mT8_P12ihipStream_tbDpT10_ENKUlT_T0_E_clISt17integral_constantIbLb1EES16_IbLb0EEEEDaS12_S13_EUlS12_E_NS1_11comp_targetILNS1_3genE5ELNS1_11target_archE942ELNS1_3gpuE9ELNS1_3repE0EEENS1_30default_config_static_selectorELNS0_4arch9wavefront6targetE1EEEvT1_
    .private_segment_fixed_size: 0
    .sgpr_count:     84
    .sgpr_spill_count: 0
    .symbol:         _ZN7rocprim17ROCPRIM_400000_NS6detail17trampoline_kernelINS0_14default_configENS1_25partition_config_selectorILNS1_17partition_subalgoE8EtNS0_10empty_typeEbEEZZNS1_14partition_implILS5_8ELb0ES3_jPKtPS6_PKS6_NS0_5tupleIJPtS6_EEENSE_IJSB_SB_EEENS0_18inequality_wrapperIN6hipcub16HIPCUB_304000_NS8EqualityEEEPlJS6_EEE10hipError_tPvRmT3_T4_T5_T6_T7_T9_mT8_P12ihipStream_tbDpT10_ENKUlT_T0_E_clISt17integral_constantIbLb1EES16_IbLb0EEEEDaS12_S13_EUlS12_E_NS1_11comp_targetILNS1_3genE5ELNS1_11target_archE942ELNS1_3gpuE9ELNS1_3repE0EEENS1_30default_config_static_selectorELNS0_4arch9wavefront6targetE1EEEvT1_.kd
    .uniform_work_group_size: 1
    .uses_dynamic_stack: false
    .vgpr_count:     128
    .vgpr_spill_count: 0
    .wavefront_size: 64
  - .agpr_count:     0
    .args:
      - .offset:         0
        .size:           112
        .value_kind:     by_value
    .group_segment_fixed_size: 0
    .kernarg_segment_align: 8
    .kernarg_segment_size: 112
    .language:       OpenCL C
    .language_version:
      - 2
      - 0
    .max_flat_workgroup_size: 256
    .name:           _ZN7rocprim17ROCPRIM_400000_NS6detail17trampoline_kernelINS0_14default_configENS1_25partition_config_selectorILNS1_17partition_subalgoE8EtNS0_10empty_typeEbEEZZNS1_14partition_implILS5_8ELb0ES3_jPKtPS6_PKS6_NS0_5tupleIJPtS6_EEENSE_IJSB_SB_EEENS0_18inequality_wrapperIN6hipcub16HIPCUB_304000_NS8EqualityEEEPlJS6_EEE10hipError_tPvRmT3_T4_T5_T6_T7_T9_mT8_P12ihipStream_tbDpT10_ENKUlT_T0_E_clISt17integral_constantIbLb1EES16_IbLb0EEEEDaS12_S13_EUlS12_E_NS1_11comp_targetILNS1_3genE4ELNS1_11target_archE910ELNS1_3gpuE8ELNS1_3repE0EEENS1_30default_config_static_selectorELNS0_4arch9wavefront6targetE1EEEvT1_
    .private_segment_fixed_size: 0
    .sgpr_count:     6
    .sgpr_spill_count: 0
    .symbol:         _ZN7rocprim17ROCPRIM_400000_NS6detail17trampoline_kernelINS0_14default_configENS1_25partition_config_selectorILNS1_17partition_subalgoE8EtNS0_10empty_typeEbEEZZNS1_14partition_implILS5_8ELb0ES3_jPKtPS6_PKS6_NS0_5tupleIJPtS6_EEENSE_IJSB_SB_EEENS0_18inequality_wrapperIN6hipcub16HIPCUB_304000_NS8EqualityEEEPlJS6_EEE10hipError_tPvRmT3_T4_T5_T6_T7_T9_mT8_P12ihipStream_tbDpT10_ENKUlT_T0_E_clISt17integral_constantIbLb1EES16_IbLb0EEEEDaS12_S13_EUlS12_E_NS1_11comp_targetILNS1_3genE4ELNS1_11target_archE910ELNS1_3gpuE8ELNS1_3repE0EEENS1_30default_config_static_selectorELNS0_4arch9wavefront6targetE1EEEvT1_.kd
    .uniform_work_group_size: 1
    .uses_dynamic_stack: false
    .vgpr_count:     0
    .vgpr_spill_count: 0
    .wavefront_size: 64
  - .agpr_count:     0
    .args:
      - .offset:         0
        .size:           112
        .value_kind:     by_value
    .group_segment_fixed_size: 0
    .kernarg_segment_align: 8
    .kernarg_segment_size: 112
    .language:       OpenCL C
    .language_version:
      - 2
      - 0
    .max_flat_workgroup_size: 256
    .name:           _ZN7rocprim17ROCPRIM_400000_NS6detail17trampoline_kernelINS0_14default_configENS1_25partition_config_selectorILNS1_17partition_subalgoE8EtNS0_10empty_typeEbEEZZNS1_14partition_implILS5_8ELb0ES3_jPKtPS6_PKS6_NS0_5tupleIJPtS6_EEENSE_IJSB_SB_EEENS0_18inequality_wrapperIN6hipcub16HIPCUB_304000_NS8EqualityEEEPlJS6_EEE10hipError_tPvRmT3_T4_T5_T6_T7_T9_mT8_P12ihipStream_tbDpT10_ENKUlT_T0_E_clISt17integral_constantIbLb1EES16_IbLb0EEEEDaS12_S13_EUlS12_E_NS1_11comp_targetILNS1_3genE3ELNS1_11target_archE908ELNS1_3gpuE7ELNS1_3repE0EEENS1_30default_config_static_selectorELNS0_4arch9wavefront6targetE1EEEvT1_
    .private_segment_fixed_size: 0
    .sgpr_count:     6
    .sgpr_spill_count: 0
    .symbol:         _ZN7rocprim17ROCPRIM_400000_NS6detail17trampoline_kernelINS0_14default_configENS1_25partition_config_selectorILNS1_17partition_subalgoE8EtNS0_10empty_typeEbEEZZNS1_14partition_implILS5_8ELb0ES3_jPKtPS6_PKS6_NS0_5tupleIJPtS6_EEENSE_IJSB_SB_EEENS0_18inequality_wrapperIN6hipcub16HIPCUB_304000_NS8EqualityEEEPlJS6_EEE10hipError_tPvRmT3_T4_T5_T6_T7_T9_mT8_P12ihipStream_tbDpT10_ENKUlT_T0_E_clISt17integral_constantIbLb1EES16_IbLb0EEEEDaS12_S13_EUlS12_E_NS1_11comp_targetILNS1_3genE3ELNS1_11target_archE908ELNS1_3gpuE7ELNS1_3repE0EEENS1_30default_config_static_selectorELNS0_4arch9wavefront6targetE1EEEvT1_.kd
    .uniform_work_group_size: 1
    .uses_dynamic_stack: false
    .vgpr_count:     0
    .vgpr_spill_count: 0
    .wavefront_size: 64
  - .agpr_count:     0
    .args:
      - .offset:         0
        .size:           112
        .value_kind:     by_value
    .group_segment_fixed_size: 0
    .kernarg_segment_align: 8
    .kernarg_segment_size: 112
    .language:       OpenCL C
    .language_version:
      - 2
      - 0
    .max_flat_workgroup_size: 192
    .name:           _ZN7rocprim17ROCPRIM_400000_NS6detail17trampoline_kernelINS0_14default_configENS1_25partition_config_selectorILNS1_17partition_subalgoE8EtNS0_10empty_typeEbEEZZNS1_14partition_implILS5_8ELb0ES3_jPKtPS6_PKS6_NS0_5tupleIJPtS6_EEENSE_IJSB_SB_EEENS0_18inequality_wrapperIN6hipcub16HIPCUB_304000_NS8EqualityEEEPlJS6_EEE10hipError_tPvRmT3_T4_T5_T6_T7_T9_mT8_P12ihipStream_tbDpT10_ENKUlT_T0_E_clISt17integral_constantIbLb1EES16_IbLb0EEEEDaS12_S13_EUlS12_E_NS1_11comp_targetILNS1_3genE2ELNS1_11target_archE906ELNS1_3gpuE6ELNS1_3repE0EEENS1_30default_config_static_selectorELNS0_4arch9wavefront6targetE1EEEvT1_
    .private_segment_fixed_size: 0
    .sgpr_count:     6
    .sgpr_spill_count: 0
    .symbol:         _ZN7rocprim17ROCPRIM_400000_NS6detail17trampoline_kernelINS0_14default_configENS1_25partition_config_selectorILNS1_17partition_subalgoE8EtNS0_10empty_typeEbEEZZNS1_14partition_implILS5_8ELb0ES3_jPKtPS6_PKS6_NS0_5tupleIJPtS6_EEENSE_IJSB_SB_EEENS0_18inequality_wrapperIN6hipcub16HIPCUB_304000_NS8EqualityEEEPlJS6_EEE10hipError_tPvRmT3_T4_T5_T6_T7_T9_mT8_P12ihipStream_tbDpT10_ENKUlT_T0_E_clISt17integral_constantIbLb1EES16_IbLb0EEEEDaS12_S13_EUlS12_E_NS1_11comp_targetILNS1_3genE2ELNS1_11target_archE906ELNS1_3gpuE6ELNS1_3repE0EEENS1_30default_config_static_selectorELNS0_4arch9wavefront6targetE1EEEvT1_.kd
    .uniform_work_group_size: 1
    .uses_dynamic_stack: false
    .vgpr_count:     0
    .vgpr_spill_count: 0
    .wavefront_size: 64
  - .agpr_count:     0
    .args:
      - .offset:         0
        .size:           112
        .value_kind:     by_value
    .group_segment_fixed_size: 0
    .kernarg_segment_align: 8
    .kernarg_segment_size: 112
    .language:       OpenCL C
    .language_version:
      - 2
      - 0
    .max_flat_workgroup_size: 256
    .name:           _ZN7rocprim17ROCPRIM_400000_NS6detail17trampoline_kernelINS0_14default_configENS1_25partition_config_selectorILNS1_17partition_subalgoE8EtNS0_10empty_typeEbEEZZNS1_14partition_implILS5_8ELb0ES3_jPKtPS6_PKS6_NS0_5tupleIJPtS6_EEENSE_IJSB_SB_EEENS0_18inequality_wrapperIN6hipcub16HIPCUB_304000_NS8EqualityEEEPlJS6_EEE10hipError_tPvRmT3_T4_T5_T6_T7_T9_mT8_P12ihipStream_tbDpT10_ENKUlT_T0_E_clISt17integral_constantIbLb1EES16_IbLb0EEEEDaS12_S13_EUlS12_E_NS1_11comp_targetILNS1_3genE10ELNS1_11target_archE1200ELNS1_3gpuE4ELNS1_3repE0EEENS1_30default_config_static_selectorELNS0_4arch9wavefront6targetE1EEEvT1_
    .private_segment_fixed_size: 0
    .sgpr_count:     6
    .sgpr_spill_count: 0
    .symbol:         _ZN7rocprim17ROCPRIM_400000_NS6detail17trampoline_kernelINS0_14default_configENS1_25partition_config_selectorILNS1_17partition_subalgoE8EtNS0_10empty_typeEbEEZZNS1_14partition_implILS5_8ELb0ES3_jPKtPS6_PKS6_NS0_5tupleIJPtS6_EEENSE_IJSB_SB_EEENS0_18inequality_wrapperIN6hipcub16HIPCUB_304000_NS8EqualityEEEPlJS6_EEE10hipError_tPvRmT3_T4_T5_T6_T7_T9_mT8_P12ihipStream_tbDpT10_ENKUlT_T0_E_clISt17integral_constantIbLb1EES16_IbLb0EEEEDaS12_S13_EUlS12_E_NS1_11comp_targetILNS1_3genE10ELNS1_11target_archE1200ELNS1_3gpuE4ELNS1_3repE0EEENS1_30default_config_static_selectorELNS0_4arch9wavefront6targetE1EEEvT1_.kd
    .uniform_work_group_size: 1
    .uses_dynamic_stack: false
    .vgpr_count:     0
    .vgpr_spill_count: 0
    .wavefront_size: 64
  - .agpr_count:     0
    .args:
      - .offset:         0
        .size:           112
        .value_kind:     by_value
    .group_segment_fixed_size: 0
    .kernarg_segment_align: 8
    .kernarg_segment_size: 112
    .language:       OpenCL C
    .language_version:
      - 2
      - 0
    .max_flat_workgroup_size: 128
    .name:           _ZN7rocprim17ROCPRIM_400000_NS6detail17trampoline_kernelINS0_14default_configENS1_25partition_config_selectorILNS1_17partition_subalgoE8EtNS0_10empty_typeEbEEZZNS1_14partition_implILS5_8ELb0ES3_jPKtPS6_PKS6_NS0_5tupleIJPtS6_EEENSE_IJSB_SB_EEENS0_18inequality_wrapperIN6hipcub16HIPCUB_304000_NS8EqualityEEEPlJS6_EEE10hipError_tPvRmT3_T4_T5_T6_T7_T9_mT8_P12ihipStream_tbDpT10_ENKUlT_T0_E_clISt17integral_constantIbLb1EES16_IbLb0EEEEDaS12_S13_EUlS12_E_NS1_11comp_targetILNS1_3genE9ELNS1_11target_archE1100ELNS1_3gpuE3ELNS1_3repE0EEENS1_30default_config_static_selectorELNS0_4arch9wavefront6targetE1EEEvT1_
    .private_segment_fixed_size: 0
    .sgpr_count:     6
    .sgpr_spill_count: 0
    .symbol:         _ZN7rocprim17ROCPRIM_400000_NS6detail17trampoline_kernelINS0_14default_configENS1_25partition_config_selectorILNS1_17partition_subalgoE8EtNS0_10empty_typeEbEEZZNS1_14partition_implILS5_8ELb0ES3_jPKtPS6_PKS6_NS0_5tupleIJPtS6_EEENSE_IJSB_SB_EEENS0_18inequality_wrapperIN6hipcub16HIPCUB_304000_NS8EqualityEEEPlJS6_EEE10hipError_tPvRmT3_T4_T5_T6_T7_T9_mT8_P12ihipStream_tbDpT10_ENKUlT_T0_E_clISt17integral_constantIbLb1EES16_IbLb0EEEEDaS12_S13_EUlS12_E_NS1_11comp_targetILNS1_3genE9ELNS1_11target_archE1100ELNS1_3gpuE3ELNS1_3repE0EEENS1_30default_config_static_selectorELNS0_4arch9wavefront6targetE1EEEvT1_.kd
    .uniform_work_group_size: 1
    .uses_dynamic_stack: false
    .vgpr_count:     0
    .vgpr_spill_count: 0
    .wavefront_size: 64
  - .agpr_count:     0
    .args:
      - .offset:         0
        .size:           112
        .value_kind:     by_value
    .group_segment_fixed_size: 0
    .kernarg_segment_align: 8
    .kernarg_segment_size: 112
    .language:       OpenCL C
    .language_version:
      - 2
      - 0
    .max_flat_workgroup_size: 384
    .name:           _ZN7rocprim17ROCPRIM_400000_NS6detail17trampoline_kernelINS0_14default_configENS1_25partition_config_selectorILNS1_17partition_subalgoE8EtNS0_10empty_typeEbEEZZNS1_14partition_implILS5_8ELb0ES3_jPKtPS6_PKS6_NS0_5tupleIJPtS6_EEENSE_IJSB_SB_EEENS0_18inequality_wrapperIN6hipcub16HIPCUB_304000_NS8EqualityEEEPlJS6_EEE10hipError_tPvRmT3_T4_T5_T6_T7_T9_mT8_P12ihipStream_tbDpT10_ENKUlT_T0_E_clISt17integral_constantIbLb1EES16_IbLb0EEEEDaS12_S13_EUlS12_E_NS1_11comp_targetILNS1_3genE8ELNS1_11target_archE1030ELNS1_3gpuE2ELNS1_3repE0EEENS1_30default_config_static_selectorELNS0_4arch9wavefront6targetE1EEEvT1_
    .private_segment_fixed_size: 0
    .sgpr_count:     6
    .sgpr_spill_count: 0
    .symbol:         _ZN7rocprim17ROCPRIM_400000_NS6detail17trampoline_kernelINS0_14default_configENS1_25partition_config_selectorILNS1_17partition_subalgoE8EtNS0_10empty_typeEbEEZZNS1_14partition_implILS5_8ELb0ES3_jPKtPS6_PKS6_NS0_5tupleIJPtS6_EEENSE_IJSB_SB_EEENS0_18inequality_wrapperIN6hipcub16HIPCUB_304000_NS8EqualityEEEPlJS6_EEE10hipError_tPvRmT3_T4_T5_T6_T7_T9_mT8_P12ihipStream_tbDpT10_ENKUlT_T0_E_clISt17integral_constantIbLb1EES16_IbLb0EEEEDaS12_S13_EUlS12_E_NS1_11comp_targetILNS1_3genE8ELNS1_11target_archE1030ELNS1_3gpuE2ELNS1_3repE0EEENS1_30default_config_static_selectorELNS0_4arch9wavefront6targetE1EEEvT1_.kd
    .uniform_work_group_size: 1
    .uses_dynamic_stack: false
    .vgpr_count:     0
    .vgpr_spill_count: 0
    .wavefront_size: 64
  - .agpr_count:     0
    .args:
      - .offset:         0
        .size:           128
        .value_kind:     by_value
    .group_segment_fixed_size: 0
    .kernarg_segment_align: 8
    .kernarg_segment_size: 128
    .language:       OpenCL C
    .language_version:
      - 2
      - 0
    .max_flat_workgroup_size: 256
    .name:           _ZN7rocprim17ROCPRIM_400000_NS6detail17trampoline_kernelINS0_14default_configENS1_25partition_config_selectorILNS1_17partition_subalgoE8EtNS0_10empty_typeEbEEZZNS1_14partition_implILS5_8ELb0ES3_jPKtPS6_PKS6_NS0_5tupleIJPtS6_EEENSE_IJSB_SB_EEENS0_18inequality_wrapperIN6hipcub16HIPCUB_304000_NS8EqualityEEEPlJS6_EEE10hipError_tPvRmT3_T4_T5_T6_T7_T9_mT8_P12ihipStream_tbDpT10_ENKUlT_T0_E_clISt17integral_constantIbLb0EES16_IbLb1EEEEDaS12_S13_EUlS12_E_NS1_11comp_targetILNS1_3genE0ELNS1_11target_archE4294967295ELNS1_3gpuE0ELNS1_3repE0EEENS1_30default_config_static_selectorELNS0_4arch9wavefront6targetE1EEEvT1_
    .private_segment_fixed_size: 0
    .sgpr_count:     6
    .sgpr_spill_count: 0
    .symbol:         _ZN7rocprim17ROCPRIM_400000_NS6detail17trampoline_kernelINS0_14default_configENS1_25partition_config_selectorILNS1_17partition_subalgoE8EtNS0_10empty_typeEbEEZZNS1_14partition_implILS5_8ELb0ES3_jPKtPS6_PKS6_NS0_5tupleIJPtS6_EEENSE_IJSB_SB_EEENS0_18inequality_wrapperIN6hipcub16HIPCUB_304000_NS8EqualityEEEPlJS6_EEE10hipError_tPvRmT3_T4_T5_T6_T7_T9_mT8_P12ihipStream_tbDpT10_ENKUlT_T0_E_clISt17integral_constantIbLb0EES16_IbLb1EEEEDaS12_S13_EUlS12_E_NS1_11comp_targetILNS1_3genE0ELNS1_11target_archE4294967295ELNS1_3gpuE0ELNS1_3repE0EEENS1_30default_config_static_selectorELNS0_4arch9wavefront6targetE1EEEvT1_.kd
    .uniform_work_group_size: 1
    .uses_dynamic_stack: false
    .vgpr_count:     0
    .vgpr_spill_count: 0
    .wavefront_size: 64
  - .agpr_count:     0
    .args:
      - .offset:         0
        .size:           128
        .value_kind:     by_value
    .group_segment_fixed_size: 30728
    .kernarg_segment_align: 8
    .kernarg_segment_size: 128
    .language:       OpenCL C
    .language_version:
      - 2
      - 0
    .max_flat_workgroup_size: 512
    .name:           _ZN7rocprim17ROCPRIM_400000_NS6detail17trampoline_kernelINS0_14default_configENS1_25partition_config_selectorILNS1_17partition_subalgoE8EtNS0_10empty_typeEbEEZZNS1_14partition_implILS5_8ELb0ES3_jPKtPS6_PKS6_NS0_5tupleIJPtS6_EEENSE_IJSB_SB_EEENS0_18inequality_wrapperIN6hipcub16HIPCUB_304000_NS8EqualityEEEPlJS6_EEE10hipError_tPvRmT3_T4_T5_T6_T7_T9_mT8_P12ihipStream_tbDpT10_ENKUlT_T0_E_clISt17integral_constantIbLb0EES16_IbLb1EEEEDaS12_S13_EUlS12_E_NS1_11comp_targetILNS1_3genE5ELNS1_11target_archE942ELNS1_3gpuE9ELNS1_3repE0EEENS1_30default_config_static_selectorELNS0_4arch9wavefront6targetE1EEEvT1_
    .private_segment_fixed_size: 0
    .sgpr_count:     87
    .sgpr_spill_count: 0
    .symbol:         _ZN7rocprim17ROCPRIM_400000_NS6detail17trampoline_kernelINS0_14default_configENS1_25partition_config_selectorILNS1_17partition_subalgoE8EtNS0_10empty_typeEbEEZZNS1_14partition_implILS5_8ELb0ES3_jPKtPS6_PKS6_NS0_5tupleIJPtS6_EEENSE_IJSB_SB_EEENS0_18inequality_wrapperIN6hipcub16HIPCUB_304000_NS8EqualityEEEPlJS6_EEE10hipError_tPvRmT3_T4_T5_T6_T7_T9_mT8_P12ihipStream_tbDpT10_ENKUlT_T0_E_clISt17integral_constantIbLb0EES16_IbLb1EEEEDaS12_S13_EUlS12_E_NS1_11comp_targetILNS1_3genE5ELNS1_11target_archE942ELNS1_3gpuE9ELNS1_3repE0EEENS1_30default_config_static_selectorELNS0_4arch9wavefront6targetE1EEEvT1_.kd
    .uniform_work_group_size: 1
    .uses_dynamic_stack: false
    .vgpr_count:     132
    .vgpr_spill_count: 0
    .wavefront_size: 64
  - .agpr_count:     0
    .args:
      - .offset:         0
        .size:           128
        .value_kind:     by_value
    .group_segment_fixed_size: 0
    .kernarg_segment_align: 8
    .kernarg_segment_size: 128
    .language:       OpenCL C
    .language_version:
      - 2
      - 0
    .max_flat_workgroup_size: 256
    .name:           _ZN7rocprim17ROCPRIM_400000_NS6detail17trampoline_kernelINS0_14default_configENS1_25partition_config_selectorILNS1_17partition_subalgoE8EtNS0_10empty_typeEbEEZZNS1_14partition_implILS5_8ELb0ES3_jPKtPS6_PKS6_NS0_5tupleIJPtS6_EEENSE_IJSB_SB_EEENS0_18inequality_wrapperIN6hipcub16HIPCUB_304000_NS8EqualityEEEPlJS6_EEE10hipError_tPvRmT3_T4_T5_T6_T7_T9_mT8_P12ihipStream_tbDpT10_ENKUlT_T0_E_clISt17integral_constantIbLb0EES16_IbLb1EEEEDaS12_S13_EUlS12_E_NS1_11comp_targetILNS1_3genE4ELNS1_11target_archE910ELNS1_3gpuE8ELNS1_3repE0EEENS1_30default_config_static_selectorELNS0_4arch9wavefront6targetE1EEEvT1_
    .private_segment_fixed_size: 0
    .sgpr_count:     6
    .sgpr_spill_count: 0
    .symbol:         _ZN7rocprim17ROCPRIM_400000_NS6detail17trampoline_kernelINS0_14default_configENS1_25partition_config_selectorILNS1_17partition_subalgoE8EtNS0_10empty_typeEbEEZZNS1_14partition_implILS5_8ELb0ES3_jPKtPS6_PKS6_NS0_5tupleIJPtS6_EEENSE_IJSB_SB_EEENS0_18inequality_wrapperIN6hipcub16HIPCUB_304000_NS8EqualityEEEPlJS6_EEE10hipError_tPvRmT3_T4_T5_T6_T7_T9_mT8_P12ihipStream_tbDpT10_ENKUlT_T0_E_clISt17integral_constantIbLb0EES16_IbLb1EEEEDaS12_S13_EUlS12_E_NS1_11comp_targetILNS1_3genE4ELNS1_11target_archE910ELNS1_3gpuE8ELNS1_3repE0EEENS1_30default_config_static_selectorELNS0_4arch9wavefront6targetE1EEEvT1_.kd
    .uniform_work_group_size: 1
    .uses_dynamic_stack: false
    .vgpr_count:     0
    .vgpr_spill_count: 0
    .wavefront_size: 64
  - .agpr_count:     0
    .args:
      - .offset:         0
        .size:           128
        .value_kind:     by_value
    .group_segment_fixed_size: 0
    .kernarg_segment_align: 8
    .kernarg_segment_size: 128
    .language:       OpenCL C
    .language_version:
      - 2
      - 0
    .max_flat_workgroup_size: 256
    .name:           _ZN7rocprim17ROCPRIM_400000_NS6detail17trampoline_kernelINS0_14default_configENS1_25partition_config_selectorILNS1_17partition_subalgoE8EtNS0_10empty_typeEbEEZZNS1_14partition_implILS5_8ELb0ES3_jPKtPS6_PKS6_NS0_5tupleIJPtS6_EEENSE_IJSB_SB_EEENS0_18inequality_wrapperIN6hipcub16HIPCUB_304000_NS8EqualityEEEPlJS6_EEE10hipError_tPvRmT3_T4_T5_T6_T7_T9_mT8_P12ihipStream_tbDpT10_ENKUlT_T0_E_clISt17integral_constantIbLb0EES16_IbLb1EEEEDaS12_S13_EUlS12_E_NS1_11comp_targetILNS1_3genE3ELNS1_11target_archE908ELNS1_3gpuE7ELNS1_3repE0EEENS1_30default_config_static_selectorELNS0_4arch9wavefront6targetE1EEEvT1_
    .private_segment_fixed_size: 0
    .sgpr_count:     6
    .sgpr_spill_count: 0
    .symbol:         _ZN7rocprim17ROCPRIM_400000_NS6detail17trampoline_kernelINS0_14default_configENS1_25partition_config_selectorILNS1_17partition_subalgoE8EtNS0_10empty_typeEbEEZZNS1_14partition_implILS5_8ELb0ES3_jPKtPS6_PKS6_NS0_5tupleIJPtS6_EEENSE_IJSB_SB_EEENS0_18inequality_wrapperIN6hipcub16HIPCUB_304000_NS8EqualityEEEPlJS6_EEE10hipError_tPvRmT3_T4_T5_T6_T7_T9_mT8_P12ihipStream_tbDpT10_ENKUlT_T0_E_clISt17integral_constantIbLb0EES16_IbLb1EEEEDaS12_S13_EUlS12_E_NS1_11comp_targetILNS1_3genE3ELNS1_11target_archE908ELNS1_3gpuE7ELNS1_3repE0EEENS1_30default_config_static_selectorELNS0_4arch9wavefront6targetE1EEEvT1_.kd
    .uniform_work_group_size: 1
    .uses_dynamic_stack: false
    .vgpr_count:     0
    .vgpr_spill_count: 0
    .wavefront_size: 64
  - .agpr_count:     0
    .args:
      - .offset:         0
        .size:           128
        .value_kind:     by_value
    .group_segment_fixed_size: 0
    .kernarg_segment_align: 8
    .kernarg_segment_size: 128
    .language:       OpenCL C
    .language_version:
      - 2
      - 0
    .max_flat_workgroup_size: 192
    .name:           _ZN7rocprim17ROCPRIM_400000_NS6detail17trampoline_kernelINS0_14default_configENS1_25partition_config_selectorILNS1_17partition_subalgoE8EtNS0_10empty_typeEbEEZZNS1_14partition_implILS5_8ELb0ES3_jPKtPS6_PKS6_NS0_5tupleIJPtS6_EEENSE_IJSB_SB_EEENS0_18inequality_wrapperIN6hipcub16HIPCUB_304000_NS8EqualityEEEPlJS6_EEE10hipError_tPvRmT3_T4_T5_T6_T7_T9_mT8_P12ihipStream_tbDpT10_ENKUlT_T0_E_clISt17integral_constantIbLb0EES16_IbLb1EEEEDaS12_S13_EUlS12_E_NS1_11comp_targetILNS1_3genE2ELNS1_11target_archE906ELNS1_3gpuE6ELNS1_3repE0EEENS1_30default_config_static_selectorELNS0_4arch9wavefront6targetE1EEEvT1_
    .private_segment_fixed_size: 0
    .sgpr_count:     6
    .sgpr_spill_count: 0
    .symbol:         _ZN7rocprim17ROCPRIM_400000_NS6detail17trampoline_kernelINS0_14default_configENS1_25partition_config_selectorILNS1_17partition_subalgoE8EtNS0_10empty_typeEbEEZZNS1_14partition_implILS5_8ELb0ES3_jPKtPS6_PKS6_NS0_5tupleIJPtS6_EEENSE_IJSB_SB_EEENS0_18inequality_wrapperIN6hipcub16HIPCUB_304000_NS8EqualityEEEPlJS6_EEE10hipError_tPvRmT3_T4_T5_T6_T7_T9_mT8_P12ihipStream_tbDpT10_ENKUlT_T0_E_clISt17integral_constantIbLb0EES16_IbLb1EEEEDaS12_S13_EUlS12_E_NS1_11comp_targetILNS1_3genE2ELNS1_11target_archE906ELNS1_3gpuE6ELNS1_3repE0EEENS1_30default_config_static_selectorELNS0_4arch9wavefront6targetE1EEEvT1_.kd
    .uniform_work_group_size: 1
    .uses_dynamic_stack: false
    .vgpr_count:     0
    .vgpr_spill_count: 0
    .wavefront_size: 64
  - .agpr_count:     0
    .args:
      - .offset:         0
        .size:           128
        .value_kind:     by_value
    .group_segment_fixed_size: 0
    .kernarg_segment_align: 8
    .kernarg_segment_size: 128
    .language:       OpenCL C
    .language_version:
      - 2
      - 0
    .max_flat_workgroup_size: 256
    .name:           _ZN7rocprim17ROCPRIM_400000_NS6detail17trampoline_kernelINS0_14default_configENS1_25partition_config_selectorILNS1_17partition_subalgoE8EtNS0_10empty_typeEbEEZZNS1_14partition_implILS5_8ELb0ES3_jPKtPS6_PKS6_NS0_5tupleIJPtS6_EEENSE_IJSB_SB_EEENS0_18inequality_wrapperIN6hipcub16HIPCUB_304000_NS8EqualityEEEPlJS6_EEE10hipError_tPvRmT3_T4_T5_T6_T7_T9_mT8_P12ihipStream_tbDpT10_ENKUlT_T0_E_clISt17integral_constantIbLb0EES16_IbLb1EEEEDaS12_S13_EUlS12_E_NS1_11comp_targetILNS1_3genE10ELNS1_11target_archE1200ELNS1_3gpuE4ELNS1_3repE0EEENS1_30default_config_static_selectorELNS0_4arch9wavefront6targetE1EEEvT1_
    .private_segment_fixed_size: 0
    .sgpr_count:     6
    .sgpr_spill_count: 0
    .symbol:         _ZN7rocprim17ROCPRIM_400000_NS6detail17trampoline_kernelINS0_14default_configENS1_25partition_config_selectorILNS1_17partition_subalgoE8EtNS0_10empty_typeEbEEZZNS1_14partition_implILS5_8ELb0ES3_jPKtPS6_PKS6_NS0_5tupleIJPtS6_EEENSE_IJSB_SB_EEENS0_18inequality_wrapperIN6hipcub16HIPCUB_304000_NS8EqualityEEEPlJS6_EEE10hipError_tPvRmT3_T4_T5_T6_T7_T9_mT8_P12ihipStream_tbDpT10_ENKUlT_T0_E_clISt17integral_constantIbLb0EES16_IbLb1EEEEDaS12_S13_EUlS12_E_NS1_11comp_targetILNS1_3genE10ELNS1_11target_archE1200ELNS1_3gpuE4ELNS1_3repE0EEENS1_30default_config_static_selectorELNS0_4arch9wavefront6targetE1EEEvT1_.kd
    .uniform_work_group_size: 1
    .uses_dynamic_stack: false
    .vgpr_count:     0
    .vgpr_spill_count: 0
    .wavefront_size: 64
  - .agpr_count:     0
    .args:
      - .offset:         0
        .size:           128
        .value_kind:     by_value
    .group_segment_fixed_size: 0
    .kernarg_segment_align: 8
    .kernarg_segment_size: 128
    .language:       OpenCL C
    .language_version:
      - 2
      - 0
    .max_flat_workgroup_size: 128
    .name:           _ZN7rocprim17ROCPRIM_400000_NS6detail17trampoline_kernelINS0_14default_configENS1_25partition_config_selectorILNS1_17partition_subalgoE8EtNS0_10empty_typeEbEEZZNS1_14partition_implILS5_8ELb0ES3_jPKtPS6_PKS6_NS0_5tupleIJPtS6_EEENSE_IJSB_SB_EEENS0_18inequality_wrapperIN6hipcub16HIPCUB_304000_NS8EqualityEEEPlJS6_EEE10hipError_tPvRmT3_T4_T5_T6_T7_T9_mT8_P12ihipStream_tbDpT10_ENKUlT_T0_E_clISt17integral_constantIbLb0EES16_IbLb1EEEEDaS12_S13_EUlS12_E_NS1_11comp_targetILNS1_3genE9ELNS1_11target_archE1100ELNS1_3gpuE3ELNS1_3repE0EEENS1_30default_config_static_selectorELNS0_4arch9wavefront6targetE1EEEvT1_
    .private_segment_fixed_size: 0
    .sgpr_count:     6
    .sgpr_spill_count: 0
    .symbol:         _ZN7rocprim17ROCPRIM_400000_NS6detail17trampoline_kernelINS0_14default_configENS1_25partition_config_selectorILNS1_17partition_subalgoE8EtNS0_10empty_typeEbEEZZNS1_14partition_implILS5_8ELb0ES3_jPKtPS6_PKS6_NS0_5tupleIJPtS6_EEENSE_IJSB_SB_EEENS0_18inequality_wrapperIN6hipcub16HIPCUB_304000_NS8EqualityEEEPlJS6_EEE10hipError_tPvRmT3_T4_T5_T6_T7_T9_mT8_P12ihipStream_tbDpT10_ENKUlT_T0_E_clISt17integral_constantIbLb0EES16_IbLb1EEEEDaS12_S13_EUlS12_E_NS1_11comp_targetILNS1_3genE9ELNS1_11target_archE1100ELNS1_3gpuE3ELNS1_3repE0EEENS1_30default_config_static_selectorELNS0_4arch9wavefront6targetE1EEEvT1_.kd
    .uniform_work_group_size: 1
    .uses_dynamic_stack: false
    .vgpr_count:     0
    .vgpr_spill_count: 0
    .wavefront_size: 64
  - .agpr_count:     0
    .args:
      - .offset:         0
        .size:           128
        .value_kind:     by_value
    .group_segment_fixed_size: 0
    .kernarg_segment_align: 8
    .kernarg_segment_size: 128
    .language:       OpenCL C
    .language_version:
      - 2
      - 0
    .max_flat_workgroup_size: 384
    .name:           _ZN7rocprim17ROCPRIM_400000_NS6detail17trampoline_kernelINS0_14default_configENS1_25partition_config_selectorILNS1_17partition_subalgoE8EtNS0_10empty_typeEbEEZZNS1_14partition_implILS5_8ELb0ES3_jPKtPS6_PKS6_NS0_5tupleIJPtS6_EEENSE_IJSB_SB_EEENS0_18inequality_wrapperIN6hipcub16HIPCUB_304000_NS8EqualityEEEPlJS6_EEE10hipError_tPvRmT3_T4_T5_T6_T7_T9_mT8_P12ihipStream_tbDpT10_ENKUlT_T0_E_clISt17integral_constantIbLb0EES16_IbLb1EEEEDaS12_S13_EUlS12_E_NS1_11comp_targetILNS1_3genE8ELNS1_11target_archE1030ELNS1_3gpuE2ELNS1_3repE0EEENS1_30default_config_static_selectorELNS0_4arch9wavefront6targetE1EEEvT1_
    .private_segment_fixed_size: 0
    .sgpr_count:     6
    .sgpr_spill_count: 0
    .symbol:         _ZN7rocprim17ROCPRIM_400000_NS6detail17trampoline_kernelINS0_14default_configENS1_25partition_config_selectorILNS1_17partition_subalgoE8EtNS0_10empty_typeEbEEZZNS1_14partition_implILS5_8ELb0ES3_jPKtPS6_PKS6_NS0_5tupleIJPtS6_EEENSE_IJSB_SB_EEENS0_18inequality_wrapperIN6hipcub16HIPCUB_304000_NS8EqualityEEEPlJS6_EEE10hipError_tPvRmT3_T4_T5_T6_T7_T9_mT8_P12ihipStream_tbDpT10_ENKUlT_T0_E_clISt17integral_constantIbLb0EES16_IbLb1EEEEDaS12_S13_EUlS12_E_NS1_11comp_targetILNS1_3genE8ELNS1_11target_archE1030ELNS1_3gpuE2ELNS1_3repE0EEENS1_30default_config_static_selectorELNS0_4arch9wavefront6targetE1EEEvT1_.kd
    .uniform_work_group_size: 1
    .uses_dynamic_stack: false
    .vgpr_count:     0
    .vgpr_spill_count: 0
    .wavefront_size: 64
  - .agpr_count:     0
    .args:
      - .offset:         0
        .size:           128
        .value_kind:     by_value
    .group_segment_fixed_size: 0
    .kernarg_segment_align: 8
    .kernarg_segment_size: 128
    .language:       OpenCL C
    .language_version:
      - 2
      - 0
    .max_flat_workgroup_size: 512
    .name:           _ZN7rocprim17ROCPRIM_400000_NS6detail17trampoline_kernelINS0_14default_configENS1_33run_length_encode_config_selectorItjNS0_4plusIjEEEEZZNS1_33reduce_by_key_impl_wrapped_configILNS1_25lookback_scan_determinismE0ES3_S7_PKtNS0_17constant_iteratorIjlEEPtPlSF_S6_NS0_8equal_toItEEEE10hipError_tPvRmT2_T3_mT4_T5_T6_T7_T8_P12ihipStream_tbENKUlT_T0_E_clISt17integral_constantIbLb0EESZ_EEDaSU_SV_EUlSU_E_NS1_11comp_targetILNS1_3genE0ELNS1_11target_archE4294967295ELNS1_3gpuE0ELNS1_3repE0EEENS1_30default_config_static_selectorELNS0_4arch9wavefront6targetE1EEEvT1_
    .private_segment_fixed_size: 0
    .sgpr_count:     6
    .sgpr_spill_count: 0
    .symbol:         _ZN7rocprim17ROCPRIM_400000_NS6detail17trampoline_kernelINS0_14default_configENS1_33run_length_encode_config_selectorItjNS0_4plusIjEEEEZZNS1_33reduce_by_key_impl_wrapped_configILNS1_25lookback_scan_determinismE0ES3_S7_PKtNS0_17constant_iteratorIjlEEPtPlSF_S6_NS0_8equal_toItEEEE10hipError_tPvRmT2_T3_mT4_T5_T6_T7_T8_P12ihipStream_tbENKUlT_T0_E_clISt17integral_constantIbLb0EESZ_EEDaSU_SV_EUlSU_E_NS1_11comp_targetILNS1_3genE0ELNS1_11target_archE4294967295ELNS1_3gpuE0ELNS1_3repE0EEENS1_30default_config_static_selectorELNS0_4arch9wavefront6targetE1EEEvT1_.kd
    .uniform_work_group_size: 1
    .uses_dynamic_stack: false
    .vgpr_count:     0
    .vgpr_spill_count: 0
    .wavefront_size: 64
  - .agpr_count:     0
    .args:
      - .offset:         0
        .size:           128
        .value_kind:     by_value
    .group_segment_fixed_size: 28672
    .kernarg_segment_align: 8
    .kernarg_segment_size: 128
    .language:       OpenCL C
    .language_version:
      - 2
      - 0
    .max_flat_workgroup_size: 512
    .name:           _ZN7rocprim17ROCPRIM_400000_NS6detail17trampoline_kernelINS0_14default_configENS1_33run_length_encode_config_selectorItjNS0_4plusIjEEEEZZNS1_33reduce_by_key_impl_wrapped_configILNS1_25lookback_scan_determinismE0ES3_S7_PKtNS0_17constant_iteratorIjlEEPtPlSF_S6_NS0_8equal_toItEEEE10hipError_tPvRmT2_T3_mT4_T5_T6_T7_T8_P12ihipStream_tbENKUlT_T0_E_clISt17integral_constantIbLb0EESZ_EEDaSU_SV_EUlSU_E_NS1_11comp_targetILNS1_3genE5ELNS1_11target_archE942ELNS1_3gpuE9ELNS1_3repE0EEENS1_30default_config_static_selectorELNS0_4arch9wavefront6targetE1EEEvT1_
    .private_segment_fixed_size: 0
    .sgpr_count:     68
    .sgpr_spill_count: 0
    .symbol:         _ZN7rocprim17ROCPRIM_400000_NS6detail17trampoline_kernelINS0_14default_configENS1_33run_length_encode_config_selectorItjNS0_4plusIjEEEEZZNS1_33reduce_by_key_impl_wrapped_configILNS1_25lookback_scan_determinismE0ES3_S7_PKtNS0_17constant_iteratorIjlEEPtPlSF_S6_NS0_8equal_toItEEEE10hipError_tPvRmT2_T3_mT4_T5_T6_T7_T8_P12ihipStream_tbENKUlT_T0_E_clISt17integral_constantIbLb0EESZ_EEDaSU_SV_EUlSU_E_NS1_11comp_targetILNS1_3genE5ELNS1_11target_archE942ELNS1_3gpuE9ELNS1_3repE0EEENS1_30default_config_static_selectorELNS0_4arch9wavefront6targetE1EEEvT1_.kd
    .uniform_work_group_size: 1
    .uses_dynamic_stack: false
    .vgpr_count:     105
    .vgpr_spill_count: 0
    .wavefront_size: 64
  - .agpr_count:     0
    .args:
      - .offset:         0
        .size:           128
        .value_kind:     by_value
    .group_segment_fixed_size: 0
    .kernarg_segment_align: 8
    .kernarg_segment_size: 128
    .language:       OpenCL C
    .language_version:
      - 2
      - 0
    .max_flat_workgroup_size: 192
    .name:           _ZN7rocprim17ROCPRIM_400000_NS6detail17trampoline_kernelINS0_14default_configENS1_33run_length_encode_config_selectorItjNS0_4plusIjEEEEZZNS1_33reduce_by_key_impl_wrapped_configILNS1_25lookback_scan_determinismE0ES3_S7_PKtNS0_17constant_iteratorIjlEEPtPlSF_S6_NS0_8equal_toItEEEE10hipError_tPvRmT2_T3_mT4_T5_T6_T7_T8_P12ihipStream_tbENKUlT_T0_E_clISt17integral_constantIbLb0EESZ_EEDaSU_SV_EUlSU_E_NS1_11comp_targetILNS1_3genE4ELNS1_11target_archE910ELNS1_3gpuE8ELNS1_3repE0EEENS1_30default_config_static_selectorELNS0_4arch9wavefront6targetE1EEEvT1_
    .private_segment_fixed_size: 0
    .sgpr_count:     6
    .sgpr_spill_count: 0
    .symbol:         _ZN7rocprim17ROCPRIM_400000_NS6detail17trampoline_kernelINS0_14default_configENS1_33run_length_encode_config_selectorItjNS0_4plusIjEEEEZZNS1_33reduce_by_key_impl_wrapped_configILNS1_25lookback_scan_determinismE0ES3_S7_PKtNS0_17constant_iteratorIjlEEPtPlSF_S6_NS0_8equal_toItEEEE10hipError_tPvRmT2_T3_mT4_T5_T6_T7_T8_P12ihipStream_tbENKUlT_T0_E_clISt17integral_constantIbLb0EESZ_EEDaSU_SV_EUlSU_E_NS1_11comp_targetILNS1_3genE4ELNS1_11target_archE910ELNS1_3gpuE8ELNS1_3repE0EEENS1_30default_config_static_selectorELNS0_4arch9wavefront6targetE1EEEvT1_.kd
    .uniform_work_group_size: 1
    .uses_dynamic_stack: false
    .vgpr_count:     0
    .vgpr_spill_count: 0
    .wavefront_size: 64
  - .agpr_count:     0
    .args:
      - .offset:         0
        .size:           128
        .value_kind:     by_value
    .group_segment_fixed_size: 0
    .kernarg_segment_align: 8
    .kernarg_segment_size: 128
    .language:       OpenCL C
    .language_version:
      - 2
      - 0
    .max_flat_workgroup_size: 512
    .name:           _ZN7rocprim17ROCPRIM_400000_NS6detail17trampoline_kernelINS0_14default_configENS1_33run_length_encode_config_selectorItjNS0_4plusIjEEEEZZNS1_33reduce_by_key_impl_wrapped_configILNS1_25lookback_scan_determinismE0ES3_S7_PKtNS0_17constant_iteratorIjlEEPtPlSF_S6_NS0_8equal_toItEEEE10hipError_tPvRmT2_T3_mT4_T5_T6_T7_T8_P12ihipStream_tbENKUlT_T0_E_clISt17integral_constantIbLb0EESZ_EEDaSU_SV_EUlSU_E_NS1_11comp_targetILNS1_3genE3ELNS1_11target_archE908ELNS1_3gpuE7ELNS1_3repE0EEENS1_30default_config_static_selectorELNS0_4arch9wavefront6targetE1EEEvT1_
    .private_segment_fixed_size: 0
    .sgpr_count:     6
    .sgpr_spill_count: 0
    .symbol:         _ZN7rocprim17ROCPRIM_400000_NS6detail17trampoline_kernelINS0_14default_configENS1_33run_length_encode_config_selectorItjNS0_4plusIjEEEEZZNS1_33reduce_by_key_impl_wrapped_configILNS1_25lookback_scan_determinismE0ES3_S7_PKtNS0_17constant_iteratorIjlEEPtPlSF_S6_NS0_8equal_toItEEEE10hipError_tPvRmT2_T3_mT4_T5_T6_T7_T8_P12ihipStream_tbENKUlT_T0_E_clISt17integral_constantIbLb0EESZ_EEDaSU_SV_EUlSU_E_NS1_11comp_targetILNS1_3genE3ELNS1_11target_archE908ELNS1_3gpuE7ELNS1_3repE0EEENS1_30default_config_static_selectorELNS0_4arch9wavefront6targetE1EEEvT1_.kd
    .uniform_work_group_size: 1
    .uses_dynamic_stack: false
    .vgpr_count:     0
    .vgpr_spill_count: 0
    .wavefront_size: 64
  - .agpr_count:     0
    .args:
      - .offset:         0
        .size:           128
        .value_kind:     by_value
    .group_segment_fixed_size: 0
    .kernarg_segment_align: 8
    .kernarg_segment_size: 128
    .language:       OpenCL C
    .language_version:
      - 2
      - 0
    .max_flat_workgroup_size: 256
    .name:           _ZN7rocprim17ROCPRIM_400000_NS6detail17trampoline_kernelINS0_14default_configENS1_33run_length_encode_config_selectorItjNS0_4plusIjEEEEZZNS1_33reduce_by_key_impl_wrapped_configILNS1_25lookback_scan_determinismE0ES3_S7_PKtNS0_17constant_iteratorIjlEEPtPlSF_S6_NS0_8equal_toItEEEE10hipError_tPvRmT2_T3_mT4_T5_T6_T7_T8_P12ihipStream_tbENKUlT_T0_E_clISt17integral_constantIbLb0EESZ_EEDaSU_SV_EUlSU_E_NS1_11comp_targetILNS1_3genE2ELNS1_11target_archE906ELNS1_3gpuE6ELNS1_3repE0EEENS1_30default_config_static_selectorELNS0_4arch9wavefront6targetE1EEEvT1_
    .private_segment_fixed_size: 0
    .sgpr_count:     6
    .sgpr_spill_count: 0
    .symbol:         _ZN7rocprim17ROCPRIM_400000_NS6detail17trampoline_kernelINS0_14default_configENS1_33run_length_encode_config_selectorItjNS0_4plusIjEEEEZZNS1_33reduce_by_key_impl_wrapped_configILNS1_25lookback_scan_determinismE0ES3_S7_PKtNS0_17constant_iteratorIjlEEPtPlSF_S6_NS0_8equal_toItEEEE10hipError_tPvRmT2_T3_mT4_T5_T6_T7_T8_P12ihipStream_tbENKUlT_T0_E_clISt17integral_constantIbLb0EESZ_EEDaSU_SV_EUlSU_E_NS1_11comp_targetILNS1_3genE2ELNS1_11target_archE906ELNS1_3gpuE6ELNS1_3repE0EEENS1_30default_config_static_selectorELNS0_4arch9wavefront6targetE1EEEvT1_.kd
    .uniform_work_group_size: 1
    .uses_dynamic_stack: false
    .vgpr_count:     0
    .vgpr_spill_count: 0
    .wavefront_size: 64
  - .agpr_count:     0
    .args:
      - .offset:         0
        .size:           128
        .value_kind:     by_value
    .group_segment_fixed_size: 0
    .kernarg_segment_align: 8
    .kernarg_segment_size: 128
    .language:       OpenCL C
    .language_version:
      - 2
      - 0
    .max_flat_workgroup_size: 512
    .name:           _ZN7rocprim17ROCPRIM_400000_NS6detail17trampoline_kernelINS0_14default_configENS1_33run_length_encode_config_selectorItjNS0_4plusIjEEEEZZNS1_33reduce_by_key_impl_wrapped_configILNS1_25lookback_scan_determinismE0ES3_S7_PKtNS0_17constant_iteratorIjlEEPtPlSF_S6_NS0_8equal_toItEEEE10hipError_tPvRmT2_T3_mT4_T5_T6_T7_T8_P12ihipStream_tbENKUlT_T0_E_clISt17integral_constantIbLb0EESZ_EEDaSU_SV_EUlSU_E_NS1_11comp_targetILNS1_3genE10ELNS1_11target_archE1201ELNS1_3gpuE5ELNS1_3repE0EEENS1_30default_config_static_selectorELNS0_4arch9wavefront6targetE1EEEvT1_
    .private_segment_fixed_size: 0
    .sgpr_count:     6
    .sgpr_spill_count: 0
    .symbol:         _ZN7rocprim17ROCPRIM_400000_NS6detail17trampoline_kernelINS0_14default_configENS1_33run_length_encode_config_selectorItjNS0_4plusIjEEEEZZNS1_33reduce_by_key_impl_wrapped_configILNS1_25lookback_scan_determinismE0ES3_S7_PKtNS0_17constant_iteratorIjlEEPtPlSF_S6_NS0_8equal_toItEEEE10hipError_tPvRmT2_T3_mT4_T5_T6_T7_T8_P12ihipStream_tbENKUlT_T0_E_clISt17integral_constantIbLb0EESZ_EEDaSU_SV_EUlSU_E_NS1_11comp_targetILNS1_3genE10ELNS1_11target_archE1201ELNS1_3gpuE5ELNS1_3repE0EEENS1_30default_config_static_selectorELNS0_4arch9wavefront6targetE1EEEvT1_.kd
    .uniform_work_group_size: 1
    .uses_dynamic_stack: false
    .vgpr_count:     0
    .vgpr_spill_count: 0
    .wavefront_size: 64
  - .agpr_count:     0
    .args:
      - .offset:         0
        .size:           128
        .value_kind:     by_value
    .group_segment_fixed_size: 0
    .kernarg_segment_align: 8
    .kernarg_segment_size: 128
    .language:       OpenCL C
    .language_version:
      - 2
      - 0
    .max_flat_workgroup_size: 384
    .name:           _ZN7rocprim17ROCPRIM_400000_NS6detail17trampoline_kernelINS0_14default_configENS1_33run_length_encode_config_selectorItjNS0_4plusIjEEEEZZNS1_33reduce_by_key_impl_wrapped_configILNS1_25lookback_scan_determinismE0ES3_S7_PKtNS0_17constant_iteratorIjlEEPtPlSF_S6_NS0_8equal_toItEEEE10hipError_tPvRmT2_T3_mT4_T5_T6_T7_T8_P12ihipStream_tbENKUlT_T0_E_clISt17integral_constantIbLb0EESZ_EEDaSU_SV_EUlSU_E_NS1_11comp_targetILNS1_3genE10ELNS1_11target_archE1200ELNS1_3gpuE4ELNS1_3repE0EEENS1_30default_config_static_selectorELNS0_4arch9wavefront6targetE1EEEvT1_
    .private_segment_fixed_size: 0
    .sgpr_count:     6
    .sgpr_spill_count: 0
    .symbol:         _ZN7rocprim17ROCPRIM_400000_NS6detail17trampoline_kernelINS0_14default_configENS1_33run_length_encode_config_selectorItjNS0_4plusIjEEEEZZNS1_33reduce_by_key_impl_wrapped_configILNS1_25lookback_scan_determinismE0ES3_S7_PKtNS0_17constant_iteratorIjlEEPtPlSF_S6_NS0_8equal_toItEEEE10hipError_tPvRmT2_T3_mT4_T5_T6_T7_T8_P12ihipStream_tbENKUlT_T0_E_clISt17integral_constantIbLb0EESZ_EEDaSU_SV_EUlSU_E_NS1_11comp_targetILNS1_3genE10ELNS1_11target_archE1200ELNS1_3gpuE4ELNS1_3repE0EEENS1_30default_config_static_selectorELNS0_4arch9wavefront6targetE1EEEvT1_.kd
    .uniform_work_group_size: 1
    .uses_dynamic_stack: false
    .vgpr_count:     0
    .vgpr_spill_count: 0
    .wavefront_size: 64
  - .agpr_count:     0
    .args:
      - .offset:         0
        .size:           128
        .value_kind:     by_value
    .group_segment_fixed_size: 0
    .kernarg_segment_align: 8
    .kernarg_segment_size: 128
    .language:       OpenCL C
    .language_version:
      - 2
      - 0
    .max_flat_workgroup_size: 512
    .name:           _ZN7rocprim17ROCPRIM_400000_NS6detail17trampoline_kernelINS0_14default_configENS1_33run_length_encode_config_selectorItjNS0_4plusIjEEEEZZNS1_33reduce_by_key_impl_wrapped_configILNS1_25lookback_scan_determinismE0ES3_S7_PKtNS0_17constant_iteratorIjlEEPtPlSF_S6_NS0_8equal_toItEEEE10hipError_tPvRmT2_T3_mT4_T5_T6_T7_T8_P12ihipStream_tbENKUlT_T0_E_clISt17integral_constantIbLb0EESZ_EEDaSU_SV_EUlSU_E_NS1_11comp_targetILNS1_3genE9ELNS1_11target_archE1100ELNS1_3gpuE3ELNS1_3repE0EEENS1_30default_config_static_selectorELNS0_4arch9wavefront6targetE1EEEvT1_
    .private_segment_fixed_size: 0
    .sgpr_count:     6
    .sgpr_spill_count: 0
    .symbol:         _ZN7rocprim17ROCPRIM_400000_NS6detail17trampoline_kernelINS0_14default_configENS1_33run_length_encode_config_selectorItjNS0_4plusIjEEEEZZNS1_33reduce_by_key_impl_wrapped_configILNS1_25lookback_scan_determinismE0ES3_S7_PKtNS0_17constant_iteratorIjlEEPtPlSF_S6_NS0_8equal_toItEEEE10hipError_tPvRmT2_T3_mT4_T5_T6_T7_T8_P12ihipStream_tbENKUlT_T0_E_clISt17integral_constantIbLb0EESZ_EEDaSU_SV_EUlSU_E_NS1_11comp_targetILNS1_3genE9ELNS1_11target_archE1100ELNS1_3gpuE3ELNS1_3repE0EEENS1_30default_config_static_selectorELNS0_4arch9wavefront6targetE1EEEvT1_.kd
    .uniform_work_group_size: 1
    .uses_dynamic_stack: false
    .vgpr_count:     0
    .vgpr_spill_count: 0
    .wavefront_size: 64
  - .agpr_count:     0
    .args:
      - .offset:         0
        .size:           128
        .value_kind:     by_value
    .group_segment_fixed_size: 0
    .kernarg_segment_align: 8
    .kernarg_segment_size: 128
    .language:       OpenCL C
    .language_version:
      - 2
      - 0
    .max_flat_workgroup_size: 384
    .name:           _ZN7rocprim17ROCPRIM_400000_NS6detail17trampoline_kernelINS0_14default_configENS1_33run_length_encode_config_selectorItjNS0_4plusIjEEEEZZNS1_33reduce_by_key_impl_wrapped_configILNS1_25lookback_scan_determinismE0ES3_S7_PKtNS0_17constant_iteratorIjlEEPtPlSF_S6_NS0_8equal_toItEEEE10hipError_tPvRmT2_T3_mT4_T5_T6_T7_T8_P12ihipStream_tbENKUlT_T0_E_clISt17integral_constantIbLb0EESZ_EEDaSU_SV_EUlSU_E_NS1_11comp_targetILNS1_3genE8ELNS1_11target_archE1030ELNS1_3gpuE2ELNS1_3repE0EEENS1_30default_config_static_selectorELNS0_4arch9wavefront6targetE1EEEvT1_
    .private_segment_fixed_size: 0
    .sgpr_count:     6
    .sgpr_spill_count: 0
    .symbol:         _ZN7rocprim17ROCPRIM_400000_NS6detail17trampoline_kernelINS0_14default_configENS1_33run_length_encode_config_selectorItjNS0_4plusIjEEEEZZNS1_33reduce_by_key_impl_wrapped_configILNS1_25lookback_scan_determinismE0ES3_S7_PKtNS0_17constant_iteratorIjlEEPtPlSF_S6_NS0_8equal_toItEEEE10hipError_tPvRmT2_T3_mT4_T5_T6_T7_T8_P12ihipStream_tbENKUlT_T0_E_clISt17integral_constantIbLb0EESZ_EEDaSU_SV_EUlSU_E_NS1_11comp_targetILNS1_3genE8ELNS1_11target_archE1030ELNS1_3gpuE2ELNS1_3repE0EEENS1_30default_config_static_selectorELNS0_4arch9wavefront6targetE1EEEvT1_.kd
    .uniform_work_group_size: 1
    .uses_dynamic_stack: false
    .vgpr_count:     0
    .vgpr_spill_count: 0
    .wavefront_size: 64
  - .agpr_count:     0
    .args:
      - .offset:         0
        .size:           128
        .value_kind:     by_value
    .group_segment_fixed_size: 0
    .kernarg_segment_align: 8
    .kernarg_segment_size: 128
    .language:       OpenCL C
    .language_version:
      - 2
      - 0
    .max_flat_workgroup_size: 512
    .name:           _ZN7rocprim17ROCPRIM_400000_NS6detail17trampoline_kernelINS0_14default_configENS1_33run_length_encode_config_selectorItjNS0_4plusIjEEEEZZNS1_33reduce_by_key_impl_wrapped_configILNS1_25lookback_scan_determinismE0ES3_S7_PKtNS0_17constant_iteratorIjlEEPtPlSF_S6_NS0_8equal_toItEEEE10hipError_tPvRmT2_T3_mT4_T5_T6_T7_T8_P12ihipStream_tbENKUlT_T0_E_clISt17integral_constantIbLb1EESZ_EEDaSU_SV_EUlSU_E_NS1_11comp_targetILNS1_3genE0ELNS1_11target_archE4294967295ELNS1_3gpuE0ELNS1_3repE0EEENS1_30default_config_static_selectorELNS0_4arch9wavefront6targetE1EEEvT1_
    .private_segment_fixed_size: 0
    .sgpr_count:     6
    .sgpr_spill_count: 0
    .symbol:         _ZN7rocprim17ROCPRIM_400000_NS6detail17trampoline_kernelINS0_14default_configENS1_33run_length_encode_config_selectorItjNS0_4plusIjEEEEZZNS1_33reduce_by_key_impl_wrapped_configILNS1_25lookback_scan_determinismE0ES3_S7_PKtNS0_17constant_iteratorIjlEEPtPlSF_S6_NS0_8equal_toItEEEE10hipError_tPvRmT2_T3_mT4_T5_T6_T7_T8_P12ihipStream_tbENKUlT_T0_E_clISt17integral_constantIbLb1EESZ_EEDaSU_SV_EUlSU_E_NS1_11comp_targetILNS1_3genE0ELNS1_11target_archE4294967295ELNS1_3gpuE0ELNS1_3repE0EEENS1_30default_config_static_selectorELNS0_4arch9wavefront6targetE1EEEvT1_.kd
    .uniform_work_group_size: 1
    .uses_dynamic_stack: false
    .vgpr_count:     0
    .vgpr_spill_count: 0
    .wavefront_size: 64
  - .agpr_count:     0
    .args:
      - .offset:         0
        .size:           128
        .value_kind:     by_value
    .group_segment_fixed_size: 28672
    .kernarg_segment_align: 8
    .kernarg_segment_size: 128
    .language:       OpenCL C
    .language_version:
      - 2
      - 0
    .max_flat_workgroup_size: 512
    .name:           _ZN7rocprim17ROCPRIM_400000_NS6detail17trampoline_kernelINS0_14default_configENS1_33run_length_encode_config_selectorItjNS0_4plusIjEEEEZZNS1_33reduce_by_key_impl_wrapped_configILNS1_25lookback_scan_determinismE0ES3_S7_PKtNS0_17constant_iteratorIjlEEPtPlSF_S6_NS0_8equal_toItEEEE10hipError_tPvRmT2_T3_mT4_T5_T6_T7_T8_P12ihipStream_tbENKUlT_T0_E_clISt17integral_constantIbLb1EESZ_EEDaSU_SV_EUlSU_E_NS1_11comp_targetILNS1_3genE5ELNS1_11target_archE942ELNS1_3gpuE9ELNS1_3repE0EEENS1_30default_config_static_selectorELNS0_4arch9wavefront6targetE1EEEvT1_
    .private_segment_fixed_size: 0
    .sgpr_count:     70
    .sgpr_spill_count: 0
    .symbol:         _ZN7rocprim17ROCPRIM_400000_NS6detail17trampoline_kernelINS0_14default_configENS1_33run_length_encode_config_selectorItjNS0_4plusIjEEEEZZNS1_33reduce_by_key_impl_wrapped_configILNS1_25lookback_scan_determinismE0ES3_S7_PKtNS0_17constant_iteratorIjlEEPtPlSF_S6_NS0_8equal_toItEEEE10hipError_tPvRmT2_T3_mT4_T5_T6_T7_T8_P12ihipStream_tbENKUlT_T0_E_clISt17integral_constantIbLb1EESZ_EEDaSU_SV_EUlSU_E_NS1_11comp_targetILNS1_3genE5ELNS1_11target_archE942ELNS1_3gpuE9ELNS1_3repE0EEENS1_30default_config_static_selectorELNS0_4arch9wavefront6targetE1EEEvT1_.kd
    .uniform_work_group_size: 1
    .uses_dynamic_stack: false
    .vgpr_count:     105
    .vgpr_spill_count: 0
    .wavefront_size: 64
  - .agpr_count:     0
    .args:
      - .offset:         0
        .size:           128
        .value_kind:     by_value
    .group_segment_fixed_size: 0
    .kernarg_segment_align: 8
    .kernarg_segment_size: 128
    .language:       OpenCL C
    .language_version:
      - 2
      - 0
    .max_flat_workgroup_size: 192
    .name:           _ZN7rocprim17ROCPRIM_400000_NS6detail17trampoline_kernelINS0_14default_configENS1_33run_length_encode_config_selectorItjNS0_4plusIjEEEEZZNS1_33reduce_by_key_impl_wrapped_configILNS1_25lookback_scan_determinismE0ES3_S7_PKtNS0_17constant_iteratorIjlEEPtPlSF_S6_NS0_8equal_toItEEEE10hipError_tPvRmT2_T3_mT4_T5_T6_T7_T8_P12ihipStream_tbENKUlT_T0_E_clISt17integral_constantIbLb1EESZ_EEDaSU_SV_EUlSU_E_NS1_11comp_targetILNS1_3genE4ELNS1_11target_archE910ELNS1_3gpuE8ELNS1_3repE0EEENS1_30default_config_static_selectorELNS0_4arch9wavefront6targetE1EEEvT1_
    .private_segment_fixed_size: 0
    .sgpr_count:     6
    .sgpr_spill_count: 0
    .symbol:         _ZN7rocprim17ROCPRIM_400000_NS6detail17trampoline_kernelINS0_14default_configENS1_33run_length_encode_config_selectorItjNS0_4plusIjEEEEZZNS1_33reduce_by_key_impl_wrapped_configILNS1_25lookback_scan_determinismE0ES3_S7_PKtNS0_17constant_iteratorIjlEEPtPlSF_S6_NS0_8equal_toItEEEE10hipError_tPvRmT2_T3_mT4_T5_T6_T7_T8_P12ihipStream_tbENKUlT_T0_E_clISt17integral_constantIbLb1EESZ_EEDaSU_SV_EUlSU_E_NS1_11comp_targetILNS1_3genE4ELNS1_11target_archE910ELNS1_3gpuE8ELNS1_3repE0EEENS1_30default_config_static_selectorELNS0_4arch9wavefront6targetE1EEEvT1_.kd
    .uniform_work_group_size: 1
    .uses_dynamic_stack: false
    .vgpr_count:     0
    .vgpr_spill_count: 0
    .wavefront_size: 64
  - .agpr_count:     0
    .args:
      - .offset:         0
        .size:           128
        .value_kind:     by_value
    .group_segment_fixed_size: 0
    .kernarg_segment_align: 8
    .kernarg_segment_size: 128
    .language:       OpenCL C
    .language_version:
      - 2
      - 0
    .max_flat_workgroup_size: 512
    .name:           _ZN7rocprim17ROCPRIM_400000_NS6detail17trampoline_kernelINS0_14default_configENS1_33run_length_encode_config_selectorItjNS0_4plusIjEEEEZZNS1_33reduce_by_key_impl_wrapped_configILNS1_25lookback_scan_determinismE0ES3_S7_PKtNS0_17constant_iteratorIjlEEPtPlSF_S6_NS0_8equal_toItEEEE10hipError_tPvRmT2_T3_mT4_T5_T6_T7_T8_P12ihipStream_tbENKUlT_T0_E_clISt17integral_constantIbLb1EESZ_EEDaSU_SV_EUlSU_E_NS1_11comp_targetILNS1_3genE3ELNS1_11target_archE908ELNS1_3gpuE7ELNS1_3repE0EEENS1_30default_config_static_selectorELNS0_4arch9wavefront6targetE1EEEvT1_
    .private_segment_fixed_size: 0
    .sgpr_count:     6
    .sgpr_spill_count: 0
    .symbol:         _ZN7rocprim17ROCPRIM_400000_NS6detail17trampoline_kernelINS0_14default_configENS1_33run_length_encode_config_selectorItjNS0_4plusIjEEEEZZNS1_33reduce_by_key_impl_wrapped_configILNS1_25lookback_scan_determinismE0ES3_S7_PKtNS0_17constant_iteratorIjlEEPtPlSF_S6_NS0_8equal_toItEEEE10hipError_tPvRmT2_T3_mT4_T5_T6_T7_T8_P12ihipStream_tbENKUlT_T0_E_clISt17integral_constantIbLb1EESZ_EEDaSU_SV_EUlSU_E_NS1_11comp_targetILNS1_3genE3ELNS1_11target_archE908ELNS1_3gpuE7ELNS1_3repE0EEENS1_30default_config_static_selectorELNS0_4arch9wavefront6targetE1EEEvT1_.kd
    .uniform_work_group_size: 1
    .uses_dynamic_stack: false
    .vgpr_count:     0
    .vgpr_spill_count: 0
    .wavefront_size: 64
  - .agpr_count:     0
    .args:
      - .offset:         0
        .size:           128
        .value_kind:     by_value
    .group_segment_fixed_size: 0
    .kernarg_segment_align: 8
    .kernarg_segment_size: 128
    .language:       OpenCL C
    .language_version:
      - 2
      - 0
    .max_flat_workgroup_size: 256
    .name:           _ZN7rocprim17ROCPRIM_400000_NS6detail17trampoline_kernelINS0_14default_configENS1_33run_length_encode_config_selectorItjNS0_4plusIjEEEEZZNS1_33reduce_by_key_impl_wrapped_configILNS1_25lookback_scan_determinismE0ES3_S7_PKtNS0_17constant_iteratorIjlEEPtPlSF_S6_NS0_8equal_toItEEEE10hipError_tPvRmT2_T3_mT4_T5_T6_T7_T8_P12ihipStream_tbENKUlT_T0_E_clISt17integral_constantIbLb1EESZ_EEDaSU_SV_EUlSU_E_NS1_11comp_targetILNS1_3genE2ELNS1_11target_archE906ELNS1_3gpuE6ELNS1_3repE0EEENS1_30default_config_static_selectorELNS0_4arch9wavefront6targetE1EEEvT1_
    .private_segment_fixed_size: 0
    .sgpr_count:     6
    .sgpr_spill_count: 0
    .symbol:         _ZN7rocprim17ROCPRIM_400000_NS6detail17trampoline_kernelINS0_14default_configENS1_33run_length_encode_config_selectorItjNS0_4plusIjEEEEZZNS1_33reduce_by_key_impl_wrapped_configILNS1_25lookback_scan_determinismE0ES3_S7_PKtNS0_17constant_iteratorIjlEEPtPlSF_S6_NS0_8equal_toItEEEE10hipError_tPvRmT2_T3_mT4_T5_T6_T7_T8_P12ihipStream_tbENKUlT_T0_E_clISt17integral_constantIbLb1EESZ_EEDaSU_SV_EUlSU_E_NS1_11comp_targetILNS1_3genE2ELNS1_11target_archE906ELNS1_3gpuE6ELNS1_3repE0EEENS1_30default_config_static_selectorELNS0_4arch9wavefront6targetE1EEEvT1_.kd
    .uniform_work_group_size: 1
    .uses_dynamic_stack: false
    .vgpr_count:     0
    .vgpr_spill_count: 0
    .wavefront_size: 64
  - .agpr_count:     0
    .args:
      - .offset:         0
        .size:           128
        .value_kind:     by_value
    .group_segment_fixed_size: 0
    .kernarg_segment_align: 8
    .kernarg_segment_size: 128
    .language:       OpenCL C
    .language_version:
      - 2
      - 0
    .max_flat_workgroup_size: 512
    .name:           _ZN7rocprim17ROCPRIM_400000_NS6detail17trampoline_kernelINS0_14default_configENS1_33run_length_encode_config_selectorItjNS0_4plusIjEEEEZZNS1_33reduce_by_key_impl_wrapped_configILNS1_25lookback_scan_determinismE0ES3_S7_PKtNS0_17constant_iteratorIjlEEPtPlSF_S6_NS0_8equal_toItEEEE10hipError_tPvRmT2_T3_mT4_T5_T6_T7_T8_P12ihipStream_tbENKUlT_T0_E_clISt17integral_constantIbLb1EESZ_EEDaSU_SV_EUlSU_E_NS1_11comp_targetILNS1_3genE10ELNS1_11target_archE1201ELNS1_3gpuE5ELNS1_3repE0EEENS1_30default_config_static_selectorELNS0_4arch9wavefront6targetE1EEEvT1_
    .private_segment_fixed_size: 0
    .sgpr_count:     6
    .sgpr_spill_count: 0
    .symbol:         _ZN7rocprim17ROCPRIM_400000_NS6detail17trampoline_kernelINS0_14default_configENS1_33run_length_encode_config_selectorItjNS0_4plusIjEEEEZZNS1_33reduce_by_key_impl_wrapped_configILNS1_25lookback_scan_determinismE0ES3_S7_PKtNS0_17constant_iteratorIjlEEPtPlSF_S6_NS0_8equal_toItEEEE10hipError_tPvRmT2_T3_mT4_T5_T6_T7_T8_P12ihipStream_tbENKUlT_T0_E_clISt17integral_constantIbLb1EESZ_EEDaSU_SV_EUlSU_E_NS1_11comp_targetILNS1_3genE10ELNS1_11target_archE1201ELNS1_3gpuE5ELNS1_3repE0EEENS1_30default_config_static_selectorELNS0_4arch9wavefront6targetE1EEEvT1_.kd
    .uniform_work_group_size: 1
    .uses_dynamic_stack: false
    .vgpr_count:     0
    .vgpr_spill_count: 0
    .wavefront_size: 64
  - .agpr_count:     0
    .args:
      - .offset:         0
        .size:           128
        .value_kind:     by_value
    .group_segment_fixed_size: 0
    .kernarg_segment_align: 8
    .kernarg_segment_size: 128
    .language:       OpenCL C
    .language_version:
      - 2
      - 0
    .max_flat_workgroup_size: 384
    .name:           _ZN7rocprim17ROCPRIM_400000_NS6detail17trampoline_kernelINS0_14default_configENS1_33run_length_encode_config_selectorItjNS0_4plusIjEEEEZZNS1_33reduce_by_key_impl_wrapped_configILNS1_25lookback_scan_determinismE0ES3_S7_PKtNS0_17constant_iteratorIjlEEPtPlSF_S6_NS0_8equal_toItEEEE10hipError_tPvRmT2_T3_mT4_T5_T6_T7_T8_P12ihipStream_tbENKUlT_T0_E_clISt17integral_constantIbLb1EESZ_EEDaSU_SV_EUlSU_E_NS1_11comp_targetILNS1_3genE10ELNS1_11target_archE1200ELNS1_3gpuE4ELNS1_3repE0EEENS1_30default_config_static_selectorELNS0_4arch9wavefront6targetE1EEEvT1_
    .private_segment_fixed_size: 0
    .sgpr_count:     6
    .sgpr_spill_count: 0
    .symbol:         _ZN7rocprim17ROCPRIM_400000_NS6detail17trampoline_kernelINS0_14default_configENS1_33run_length_encode_config_selectorItjNS0_4plusIjEEEEZZNS1_33reduce_by_key_impl_wrapped_configILNS1_25lookback_scan_determinismE0ES3_S7_PKtNS0_17constant_iteratorIjlEEPtPlSF_S6_NS0_8equal_toItEEEE10hipError_tPvRmT2_T3_mT4_T5_T6_T7_T8_P12ihipStream_tbENKUlT_T0_E_clISt17integral_constantIbLb1EESZ_EEDaSU_SV_EUlSU_E_NS1_11comp_targetILNS1_3genE10ELNS1_11target_archE1200ELNS1_3gpuE4ELNS1_3repE0EEENS1_30default_config_static_selectorELNS0_4arch9wavefront6targetE1EEEvT1_.kd
    .uniform_work_group_size: 1
    .uses_dynamic_stack: false
    .vgpr_count:     0
    .vgpr_spill_count: 0
    .wavefront_size: 64
  - .agpr_count:     0
    .args:
      - .offset:         0
        .size:           128
        .value_kind:     by_value
    .group_segment_fixed_size: 0
    .kernarg_segment_align: 8
    .kernarg_segment_size: 128
    .language:       OpenCL C
    .language_version:
      - 2
      - 0
    .max_flat_workgroup_size: 512
    .name:           _ZN7rocprim17ROCPRIM_400000_NS6detail17trampoline_kernelINS0_14default_configENS1_33run_length_encode_config_selectorItjNS0_4plusIjEEEEZZNS1_33reduce_by_key_impl_wrapped_configILNS1_25lookback_scan_determinismE0ES3_S7_PKtNS0_17constant_iteratorIjlEEPtPlSF_S6_NS0_8equal_toItEEEE10hipError_tPvRmT2_T3_mT4_T5_T6_T7_T8_P12ihipStream_tbENKUlT_T0_E_clISt17integral_constantIbLb1EESZ_EEDaSU_SV_EUlSU_E_NS1_11comp_targetILNS1_3genE9ELNS1_11target_archE1100ELNS1_3gpuE3ELNS1_3repE0EEENS1_30default_config_static_selectorELNS0_4arch9wavefront6targetE1EEEvT1_
    .private_segment_fixed_size: 0
    .sgpr_count:     6
    .sgpr_spill_count: 0
    .symbol:         _ZN7rocprim17ROCPRIM_400000_NS6detail17trampoline_kernelINS0_14default_configENS1_33run_length_encode_config_selectorItjNS0_4plusIjEEEEZZNS1_33reduce_by_key_impl_wrapped_configILNS1_25lookback_scan_determinismE0ES3_S7_PKtNS0_17constant_iteratorIjlEEPtPlSF_S6_NS0_8equal_toItEEEE10hipError_tPvRmT2_T3_mT4_T5_T6_T7_T8_P12ihipStream_tbENKUlT_T0_E_clISt17integral_constantIbLb1EESZ_EEDaSU_SV_EUlSU_E_NS1_11comp_targetILNS1_3genE9ELNS1_11target_archE1100ELNS1_3gpuE3ELNS1_3repE0EEENS1_30default_config_static_selectorELNS0_4arch9wavefront6targetE1EEEvT1_.kd
    .uniform_work_group_size: 1
    .uses_dynamic_stack: false
    .vgpr_count:     0
    .vgpr_spill_count: 0
    .wavefront_size: 64
  - .agpr_count:     0
    .args:
      - .offset:         0
        .size:           128
        .value_kind:     by_value
    .group_segment_fixed_size: 0
    .kernarg_segment_align: 8
    .kernarg_segment_size: 128
    .language:       OpenCL C
    .language_version:
      - 2
      - 0
    .max_flat_workgroup_size: 384
    .name:           _ZN7rocprim17ROCPRIM_400000_NS6detail17trampoline_kernelINS0_14default_configENS1_33run_length_encode_config_selectorItjNS0_4plusIjEEEEZZNS1_33reduce_by_key_impl_wrapped_configILNS1_25lookback_scan_determinismE0ES3_S7_PKtNS0_17constant_iteratorIjlEEPtPlSF_S6_NS0_8equal_toItEEEE10hipError_tPvRmT2_T3_mT4_T5_T6_T7_T8_P12ihipStream_tbENKUlT_T0_E_clISt17integral_constantIbLb1EESZ_EEDaSU_SV_EUlSU_E_NS1_11comp_targetILNS1_3genE8ELNS1_11target_archE1030ELNS1_3gpuE2ELNS1_3repE0EEENS1_30default_config_static_selectorELNS0_4arch9wavefront6targetE1EEEvT1_
    .private_segment_fixed_size: 0
    .sgpr_count:     6
    .sgpr_spill_count: 0
    .symbol:         _ZN7rocprim17ROCPRIM_400000_NS6detail17trampoline_kernelINS0_14default_configENS1_33run_length_encode_config_selectorItjNS0_4plusIjEEEEZZNS1_33reduce_by_key_impl_wrapped_configILNS1_25lookback_scan_determinismE0ES3_S7_PKtNS0_17constant_iteratorIjlEEPtPlSF_S6_NS0_8equal_toItEEEE10hipError_tPvRmT2_T3_mT4_T5_T6_T7_T8_P12ihipStream_tbENKUlT_T0_E_clISt17integral_constantIbLb1EESZ_EEDaSU_SV_EUlSU_E_NS1_11comp_targetILNS1_3genE8ELNS1_11target_archE1030ELNS1_3gpuE2ELNS1_3repE0EEENS1_30default_config_static_selectorELNS0_4arch9wavefront6targetE1EEEvT1_.kd
    .uniform_work_group_size: 1
    .uses_dynamic_stack: false
    .vgpr_count:     0
    .vgpr_spill_count: 0
    .wavefront_size: 64
  - .agpr_count:     0
    .args:
      - .offset:         0
        .size:           128
        .value_kind:     by_value
    .group_segment_fixed_size: 0
    .kernarg_segment_align: 8
    .kernarg_segment_size: 128
    .language:       OpenCL C
    .language_version:
      - 2
      - 0
    .max_flat_workgroup_size: 512
    .name:           _ZN7rocprim17ROCPRIM_400000_NS6detail17trampoline_kernelINS0_14default_configENS1_33run_length_encode_config_selectorItjNS0_4plusIjEEEEZZNS1_33reduce_by_key_impl_wrapped_configILNS1_25lookback_scan_determinismE0ES3_S7_PKtNS0_17constant_iteratorIjlEEPtPlSF_S6_NS0_8equal_toItEEEE10hipError_tPvRmT2_T3_mT4_T5_T6_T7_T8_P12ihipStream_tbENKUlT_T0_E_clISt17integral_constantIbLb1EESY_IbLb0EEEEDaSU_SV_EUlSU_E_NS1_11comp_targetILNS1_3genE0ELNS1_11target_archE4294967295ELNS1_3gpuE0ELNS1_3repE0EEENS1_30default_config_static_selectorELNS0_4arch9wavefront6targetE1EEEvT1_
    .private_segment_fixed_size: 0
    .sgpr_count:     6
    .sgpr_spill_count: 0
    .symbol:         _ZN7rocprim17ROCPRIM_400000_NS6detail17trampoline_kernelINS0_14default_configENS1_33run_length_encode_config_selectorItjNS0_4plusIjEEEEZZNS1_33reduce_by_key_impl_wrapped_configILNS1_25lookback_scan_determinismE0ES3_S7_PKtNS0_17constant_iteratorIjlEEPtPlSF_S6_NS0_8equal_toItEEEE10hipError_tPvRmT2_T3_mT4_T5_T6_T7_T8_P12ihipStream_tbENKUlT_T0_E_clISt17integral_constantIbLb1EESY_IbLb0EEEEDaSU_SV_EUlSU_E_NS1_11comp_targetILNS1_3genE0ELNS1_11target_archE4294967295ELNS1_3gpuE0ELNS1_3repE0EEENS1_30default_config_static_selectorELNS0_4arch9wavefront6targetE1EEEvT1_.kd
    .uniform_work_group_size: 1
    .uses_dynamic_stack: false
    .vgpr_count:     0
    .vgpr_spill_count: 0
    .wavefront_size: 64
  - .agpr_count:     0
    .args:
      - .offset:         0
        .size:           128
        .value_kind:     by_value
    .group_segment_fixed_size: 28672
    .kernarg_segment_align: 8
    .kernarg_segment_size: 128
    .language:       OpenCL C
    .language_version:
      - 2
      - 0
    .max_flat_workgroup_size: 512
    .name:           _ZN7rocprim17ROCPRIM_400000_NS6detail17trampoline_kernelINS0_14default_configENS1_33run_length_encode_config_selectorItjNS0_4plusIjEEEEZZNS1_33reduce_by_key_impl_wrapped_configILNS1_25lookback_scan_determinismE0ES3_S7_PKtNS0_17constant_iteratorIjlEEPtPlSF_S6_NS0_8equal_toItEEEE10hipError_tPvRmT2_T3_mT4_T5_T6_T7_T8_P12ihipStream_tbENKUlT_T0_E_clISt17integral_constantIbLb1EESY_IbLb0EEEEDaSU_SV_EUlSU_E_NS1_11comp_targetILNS1_3genE5ELNS1_11target_archE942ELNS1_3gpuE9ELNS1_3repE0EEENS1_30default_config_static_selectorELNS0_4arch9wavefront6targetE1EEEvT1_
    .private_segment_fixed_size: 0
    .sgpr_count:     68
    .sgpr_spill_count: 0
    .symbol:         _ZN7rocprim17ROCPRIM_400000_NS6detail17trampoline_kernelINS0_14default_configENS1_33run_length_encode_config_selectorItjNS0_4plusIjEEEEZZNS1_33reduce_by_key_impl_wrapped_configILNS1_25lookback_scan_determinismE0ES3_S7_PKtNS0_17constant_iteratorIjlEEPtPlSF_S6_NS0_8equal_toItEEEE10hipError_tPvRmT2_T3_mT4_T5_T6_T7_T8_P12ihipStream_tbENKUlT_T0_E_clISt17integral_constantIbLb1EESY_IbLb0EEEEDaSU_SV_EUlSU_E_NS1_11comp_targetILNS1_3genE5ELNS1_11target_archE942ELNS1_3gpuE9ELNS1_3repE0EEENS1_30default_config_static_selectorELNS0_4arch9wavefront6targetE1EEEvT1_.kd
    .uniform_work_group_size: 1
    .uses_dynamic_stack: false
    .vgpr_count:     105
    .vgpr_spill_count: 0
    .wavefront_size: 64
  - .agpr_count:     0
    .args:
      - .offset:         0
        .size:           128
        .value_kind:     by_value
    .group_segment_fixed_size: 0
    .kernarg_segment_align: 8
    .kernarg_segment_size: 128
    .language:       OpenCL C
    .language_version:
      - 2
      - 0
    .max_flat_workgroup_size: 192
    .name:           _ZN7rocprim17ROCPRIM_400000_NS6detail17trampoline_kernelINS0_14default_configENS1_33run_length_encode_config_selectorItjNS0_4plusIjEEEEZZNS1_33reduce_by_key_impl_wrapped_configILNS1_25lookback_scan_determinismE0ES3_S7_PKtNS0_17constant_iteratorIjlEEPtPlSF_S6_NS0_8equal_toItEEEE10hipError_tPvRmT2_T3_mT4_T5_T6_T7_T8_P12ihipStream_tbENKUlT_T0_E_clISt17integral_constantIbLb1EESY_IbLb0EEEEDaSU_SV_EUlSU_E_NS1_11comp_targetILNS1_3genE4ELNS1_11target_archE910ELNS1_3gpuE8ELNS1_3repE0EEENS1_30default_config_static_selectorELNS0_4arch9wavefront6targetE1EEEvT1_
    .private_segment_fixed_size: 0
    .sgpr_count:     6
    .sgpr_spill_count: 0
    .symbol:         _ZN7rocprim17ROCPRIM_400000_NS6detail17trampoline_kernelINS0_14default_configENS1_33run_length_encode_config_selectorItjNS0_4plusIjEEEEZZNS1_33reduce_by_key_impl_wrapped_configILNS1_25lookback_scan_determinismE0ES3_S7_PKtNS0_17constant_iteratorIjlEEPtPlSF_S6_NS0_8equal_toItEEEE10hipError_tPvRmT2_T3_mT4_T5_T6_T7_T8_P12ihipStream_tbENKUlT_T0_E_clISt17integral_constantIbLb1EESY_IbLb0EEEEDaSU_SV_EUlSU_E_NS1_11comp_targetILNS1_3genE4ELNS1_11target_archE910ELNS1_3gpuE8ELNS1_3repE0EEENS1_30default_config_static_selectorELNS0_4arch9wavefront6targetE1EEEvT1_.kd
    .uniform_work_group_size: 1
    .uses_dynamic_stack: false
    .vgpr_count:     0
    .vgpr_spill_count: 0
    .wavefront_size: 64
  - .agpr_count:     0
    .args:
      - .offset:         0
        .size:           128
        .value_kind:     by_value
    .group_segment_fixed_size: 0
    .kernarg_segment_align: 8
    .kernarg_segment_size: 128
    .language:       OpenCL C
    .language_version:
      - 2
      - 0
    .max_flat_workgroup_size: 512
    .name:           _ZN7rocprim17ROCPRIM_400000_NS6detail17trampoline_kernelINS0_14default_configENS1_33run_length_encode_config_selectorItjNS0_4plusIjEEEEZZNS1_33reduce_by_key_impl_wrapped_configILNS1_25lookback_scan_determinismE0ES3_S7_PKtNS0_17constant_iteratorIjlEEPtPlSF_S6_NS0_8equal_toItEEEE10hipError_tPvRmT2_T3_mT4_T5_T6_T7_T8_P12ihipStream_tbENKUlT_T0_E_clISt17integral_constantIbLb1EESY_IbLb0EEEEDaSU_SV_EUlSU_E_NS1_11comp_targetILNS1_3genE3ELNS1_11target_archE908ELNS1_3gpuE7ELNS1_3repE0EEENS1_30default_config_static_selectorELNS0_4arch9wavefront6targetE1EEEvT1_
    .private_segment_fixed_size: 0
    .sgpr_count:     6
    .sgpr_spill_count: 0
    .symbol:         _ZN7rocprim17ROCPRIM_400000_NS6detail17trampoline_kernelINS0_14default_configENS1_33run_length_encode_config_selectorItjNS0_4plusIjEEEEZZNS1_33reduce_by_key_impl_wrapped_configILNS1_25lookback_scan_determinismE0ES3_S7_PKtNS0_17constant_iteratorIjlEEPtPlSF_S6_NS0_8equal_toItEEEE10hipError_tPvRmT2_T3_mT4_T5_T6_T7_T8_P12ihipStream_tbENKUlT_T0_E_clISt17integral_constantIbLb1EESY_IbLb0EEEEDaSU_SV_EUlSU_E_NS1_11comp_targetILNS1_3genE3ELNS1_11target_archE908ELNS1_3gpuE7ELNS1_3repE0EEENS1_30default_config_static_selectorELNS0_4arch9wavefront6targetE1EEEvT1_.kd
    .uniform_work_group_size: 1
    .uses_dynamic_stack: false
    .vgpr_count:     0
    .vgpr_spill_count: 0
    .wavefront_size: 64
  - .agpr_count:     0
    .args:
      - .offset:         0
        .size:           128
        .value_kind:     by_value
    .group_segment_fixed_size: 0
    .kernarg_segment_align: 8
    .kernarg_segment_size: 128
    .language:       OpenCL C
    .language_version:
      - 2
      - 0
    .max_flat_workgroup_size: 256
    .name:           _ZN7rocprim17ROCPRIM_400000_NS6detail17trampoline_kernelINS0_14default_configENS1_33run_length_encode_config_selectorItjNS0_4plusIjEEEEZZNS1_33reduce_by_key_impl_wrapped_configILNS1_25lookback_scan_determinismE0ES3_S7_PKtNS0_17constant_iteratorIjlEEPtPlSF_S6_NS0_8equal_toItEEEE10hipError_tPvRmT2_T3_mT4_T5_T6_T7_T8_P12ihipStream_tbENKUlT_T0_E_clISt17integral_constantIbLb1EESY_IbLb0EEEEDaSU_SV_EUlSU_E_NS1_11comp_targetILNS1_3genE2ELNS1_11target_archE906ELNS1_3gpuE6ELNS1_3repE0EEENS1_30default_config_static_selectorELNS0_4arch9wavefront6targetE1EEEvT1_
    .private_segment_fixed_size: 0
    .sgpr_count:     6
    .sgpr_spill_count: 0
    .symbol:         _ZN7rocprim17ROCPRIM_400000_NS6detail17trampoline_kernelINS0_14default_configENS1_33run_length_encode_config_selectorItjNS0_4plusIjEEEEZZNS1_33reduce_by_key_impl_wrapped_configILNS1_25lookback_scan_determinismE0ES3_S7_PKtNS0_17constant_iteratorIjlEEPtPlSF_S6_NS0_8equal_toItEEEE10hipError_tPvRmT2_T3_mT4_T5_T6_T7_T8_P12ihipStream_tbENKUlT_T0_E_clISt17integral_constantIbLb1EESY_IbLb0EEEEDaSU_SV_EUlSU_E_NS1_11comp_targetILNS1_3genE2ELNS1_11target_archE906ELNS1_3gpuE6ELNS1_3repE0EEENS1_30default_config_static_selectorELNS0_4arch9wavefront6targetE1EEEvT1_.kd
    .uniform_work_group_size: 1
    .uses_dynamic_stack: false
    .vgpr_count:     0
    .vgpr_spill_count: 0
    .wavefront_size: 64
  - .agpr_count:     0
    .args:
      - .offset:         0
        .size:           128
        .value_kind:     by_value
    .group_segment_fixed_size: 0
    .kernarg_segment_align: 8
    .kernarg_segment_size: 128
    .language:       OpenCL C
    .language_version:
      - 2
      - 0
    .max_flat_workgroup_size: 512
    .name:           _ZN7rocprim17ROCPRIM_400000_NS6detail17trampoline_kernelINS0_14default_configENS1_33run_length_encode_config_selectorItjNS0_4plusIjEEEEZZNS1_33reduce_by_key_impl_wrapped_configILNS1_25lookback_scan_determinismE0ES3_S7_PKtNS0_17constant_iteratorIjlEEPtPlSF_S6_NS0_8equal_toItEEEE10hipError_tPvRmT2_T3_mT4_T5_T6_T7_T8_P12ihipStream_tbENKUlT_T0_E_clISt17integral_constantIbLb1EESY_IbLb0EEEEDaSU_SV_EUlSU_E_NS1_11comp_targetILNS1_3genE10ELNS1_11target_archE1201ELNS1_3gpuE5ELNS1_3repE0EEENS1_30default_config_static_selectorELNS0_4arch9wavefront6targetE1EEEvT1_
    .private_segment_fixed_size: 0
    .sgpr_count:     6
    .sgpr_spill_count: 0
    .symbol:         _ZN7rocprim17ROCPRIM_400000_NS6detail17trampoline_kernelINS0_14default_configENS1_33run_length_encode_config_selectorItjNS0_4plusIjEEEEZZNS1_33reduce_by_key_impl_wrapped_configILNS1_25lookback_scan_determinismE0ES3_S7_PKtNS0_17constant_iteratorIjlEEPtPlSF_S6_NS0_8equal_toItEEEE10hipError_tPvRmT2_T3_mT4_T5_T6_T7_T8_P12ihipStream_tbENKUlT_T0_E_clISt17integral_constantIbLb1EESY_IbLb0EEEEDaSU_SV_EUlSU_E_NS1_11comp_targetILNS1_3genE10ELNS1_11target_archE1201ELNS1_3gpuE5ELNS1_3repE0EEENS1_30default_config_static_selectorELNS0_4arch9wavefront6targetE1EEEvT1_.kd
    .uniform_work_group_size: 1
    .uses_dynamic_stack: false
    .vgpr_count:     0
    .vgpr_spill_count: 0
    .wavefront_size: 64
  - .agpr_count:     0
    .args:
      - .offset:         0
        .size:           128
        .value_kind:     by_value
    .group_segment_fixed_size: 0
    .kernarg_segment_align: 8
    .kernarg_segment_size: 128
    .language:       OpenCL C
    .language_version:
      - 2
      - 0
    .max_flat_workgroup_size: 384
    .name:           _ZN7rocprim17ROCPRIM_400000_NS6detail17trampoline_kernelINS0_14default_configENS1_33run_length_encode_config_selectorItjNS0_4plusIjEEEEZZNS1_33reduce_by_key_impl_wrapped_configILNS1_25lookback_scan_determinismE0ES3_S7_PKtNS0_17constant_iteratorIjlEEPtPlSF_S6_NS0_8equal_toItEEEE10hipError_tPvRmT2_T3_mT4_T5_T6_T7_T8_P12ihipStream_tbENKUlT_T0_E_clISt17integral_constantIbLb1EESY_IbLb0EEEEDaSU_SV_EUlSU_E_NS1_11comp_targetILNS1_3genE10ELNS1_11target_archE1200ELNS1_3gpuE4ELNS1_3repE0EEENS1_30default_config_static_selectorELNS0_4arch9wavefront6targetE1EEEvT1_
    .private_segment_fixed_size: 0
    .sgpr_count:     6
    .sgpr_spill_count: 0
    .symbol:         _ZN7rocprim17ROCPRIM_400000_NS6detail17trampoline_kernelINS0_14default_configENS1_33run_length_encode_config_selectorItjNS0_4plusIjEEEEZZNS1_33reduce_by_key_impl_wrapped_configILNS1_25lookback_scan_determinismE0ES3_S7_PKtNS0_17constant_iteratorIjlEEPtPlSF_S6_NS0_8equal_toItEEEE10hipError_tPvRmT2_T3_mT4_T5_T6_T7_T8_P12ihipStream_tbENKUlT_T0_E_clISt17integral_constantIbLb1EESY_IbLb0EEEEDaSU_SV_EUlSU_E_NS1_11comp_targetILNS1_3genE10ELNS1_11target_archE1200ELNS1_3gpuE4ELNS1_3repE0EEENS1_30default_config_static_selectorELNS0_4arch9wavefront6targetE1EEEvT1_.kd
    .uniform_work_group_size: 1
    .uses_dynamic_stack: false
    .vgpr_count:     0
    .vgpr_spill_count: 0
    .wavefront_size: 64
  - .agpr_count:     0
    .args:
      - .offset:         0
        .size:           128
        .value_kind:     by_value
    .group_segment_fixed_size: 0
    .kernarg_segment_align: 8
    .kernarg_segment_size: 128
    .language:       OpenCL C
    .language_version:
      - 2
      - 0
    .max_flat_workgroup_size: 512
    .name:           _ZN7rocprim17ROCPRIM_400000_NS6detail17trampoline_kernelINS0_14default_configENS1_33run_length_encode_config_selectorItjNS0_4plusIjEEEEZZNS1_33reduce_by_key_impl_wrapped_configILNS1_25lookback_scan_determinismE0ES3_S7_PKtNS0_17constant_iteratorIjlEEPtPlSF_S6_NS0_8equal_toItEEEE10hipError_tPvRmT2_T3_mT4_T5_T6_T7_T8_P12ihipStream_tbENKUlT_T0_E_clISt17integral_constantIbLb1EESY_IbLb0EEEEDaSU_SV_EUlSU_E_NS1_11comp_targetILNS1_3genE9ELNS1_11target_archE1100ELNS1_3gpuE3ELNS1_3repE0EEENS1_30default_config_static_selectorELNS0_4arch9wavefront6targetE1EEEvT1_
    .private_segment_fixed_size: 0
    .sgpr_count:     6
    .sgpr_spill_count: 0
    .symbol:         _ZN7rocprim17ROCPRIM_400000_NS6detail17trampoline_kernelINS0_14default_configENS1_33run_length_encode_config_selectorItjNS0_4plusIjEEEEZZNS1_33reduce_by_key_impl_wrapped_configILNS1_25lookback_scan_determinismE0ES3_S7_PKtNS0_17constant_iteratorIjlEEPtPlSF_S6_NS0_8equal_toItEEEE10hipError_tPvRmT2_T3_mT4_T5_T6_T7_T8_P12ihipStream_tbENKUlT_T0_E_clISt17integral_constantIbLb1EESY_IbLb0EEEEDaSU_SV_EUlSU_E_NS1_11comp_targetILNS1_3genE9ELNS1_11target_archE1100ELNS1_3gpuE3ELNS1_3repE0EEENS1_30default_config_static_selectorELNS0_4arch9wavefront6targetE1EEEvT1_.kd
    .uniform_work_group_size: 1
    .uses_dynamic_stack: false
    .vgpr_count:     0
    .vgpr_spill_count: 0
    .wavefront_size: 64
  - .agpr_count:     0
    .args:
      - .offset:         0
        .size:           128
        .value_kind:     by_value
    .group_segment_fixed_size: 0
    .kernarg_segment_align: 8
    .kernarg_segment_size: 128
    .language:       OpenCL C
    .language_version:
      - 2
      - 0
    .max_flat_workgroup_size: 384
    .name:           _ZN7rocprim17ROCPRIM_400000_NS6detail17trampoline_kernelINS0_14default_configENS1_33run_length_encode_config_selectorItjNS0_4plusIjEEEEZZNS1_33reduce_by_key_impl_wrapped_configILNS1_25lookback_scan_determinismE0ES3_S7_PKtNS0_17constant_iteratorIjlEEPtPlSF_S6_NS0_8equal_toItEEEE10hipError_tPvRmT2_T3_mT4_T5_T6_T7_T8_P12ihipStream_tbENKUlT_T0_E_clISt17integral_constantIbLb1EESY_IbLb0EEEEDaSU_SV_EUlSU_E_NS1_11comp_targetILNS1_3genE8ELNS1_11target_archE1030ELNS1_3gpuE2ELNS1_3repE0EEENS1_30default_config_static_selectorELNS0_4arch9wavefront6targetE1EEEvT1_
    .private_segment_fixed_size: 0
    .sgpr_count:     6
    .sgpr_spill_count: 0
    .symbol:         _ZN7rocprim17ROCPRIM_400000_NS6detail17trampoline_kernelINS0_14default_configENS1_33run_length_encode_config_selectorItjNS0_4plusIjEEEEZZNS1_33reduce_by_key_impl_wrapped_configILNS1_25lookback_scan_determinismE0ES3_S7_PKtNS0_17constant_iteratorIjlEEPtPlSF_S6_NS0_8equal_toItEEEE10hipError_tPvRmT2_T3_mT4_T5_T6_T7_T8_P12ihipStream_tbENKUlT_T0_E_clISt17integral_constantIbLb1EESY_IbLb0EEEEDaSU_SV_EUlSU_E_NS1_11comp_targetILNS1_3genE8ELNS1_11target_archE1030ELNS1_3gpuE2ELNS1_3repE0EEENS1_30default_config_static_selectorELNS0_4arch9wavefront6targetE1EEEvT1_.kd
    .uniform_work_group_size: 1
    .uses_dynamic_stack: false
    .vgpr_count:     0
    .vgpr_spill_count: 0
    .wavefront_size: 64
  - .agpr_count:     0
    .args:
      - .offset:         0
        .size:           128
        .value_kind:     by_value
    .group_segment_fixed_size: 0
    .kernarg_segment_align: 8
    .kernarg_segment_size: 128
    .language:       OpenCL C
    .language_version:
      - 2
      - 0
    .max_flat_workgroup_size: 512
    .name:           _ZN7rocprim17ROCPRIM_400000_NS6detail17trampoline_kernelINS0_14default_configENS1_33run_length_encode_config_selectorItjNS0_4plusIjEEEEZZNS1_33reduce_by_key_impl_wrapped_configILNS1_25lookback_scan_determinismE0ES3_S7_PKtNS0_17constant_iteratorIjlEEPtPlSF_S6_NS0_8equal_toItEEEE10hipError_tPvRmT2_T3_mT4_T5_T6_T7_T8_P12ihipStream_tbENKUlT_T0_E_clISt17integral_constantIbLb0EESY_IbLb1EEEEDaSU_SV_EUlSU_E_NS1_11comp_targetILNS1_3genE0ELNS1_11target_archE4294967295ELNS1_3gpuE0ELNS1_3repE0EEENS1_30default_config_static_selectorELNS0_4arch9wavefront6targetE1EEEvT1_
    .private_segment_fixed_size: 0
    .sgpr_count:     6
    .sgpr_spill_count: 0
    .symbol:         _ZN7rocprim17ROCPRIM_400000_NS6detail17trampoline_kernelINS0_14default_configENS1_33run_length_encode_config_selectorItjNS0_4plusIjEEEEZZNS1_33reduce_by_key_impl_wrapped_configILNS1_25lookback_scan_determinismE0ES3_S7_PKtNS0_17constant_iteratorIjlEEPtPlSF_S6_NS0_8equal_toItEEEE10hipError_tPvRmT2_T3_mT4_T5_T6_T7_T8_P12ihipStream_tbENKUlT_T0_E_clISt17integral_constantIbLb0EESY_IbLb1EEEEDaSU_SV_EUlSU_E_NS1_11comp_targetILNS1_3genE0ELNS1_11target_archE4294967295ELNS1_3gpuE0ELNS1_3repE0EEENS1_30default_config_static_selectorELNS0_4arch9wavefront6targetE1EEEvT1_.kd
    .uniform_work_group_size: 1
    .uses_dynamic_stack: false
    .vgpr_count:     0
    .vgpr_spill_count: 0
    .wavefront_size: 64
  - .agpr_count:     0
    .args:
      - .offset:         0
        .size:           128
        .value_kind:     by_value
    .group_segment_fixed_size: 28672
    .kernarg_segment_align: 8
    .kernarg_segment_size: 128
    .language:       OpenCL C
    .language_version:
      - 2
      - 0
    .max_flat_workgroup_size: 512
    .name:           _ZN7rocprim17ROCPRIM_400000_NS6detail17trampoline_kernelINS0_14default_configENS1_33run_length_encode_config_selectorItjNS0_4plusIjEEEEZZNS1_33reduce_by_key_impl_wrapped_configILNS1_25lookback_scan_determinismE0ES3_S7_PKtNS0_17constant_iteratorIjlEEPtPlSF_S6_NS0_8equal_toItEEEE10hipError_tPvRmT2_T3_mT4_T5_T6_T7_T8_P12ihipStream_tbENKUlT_T0_E_clISt17integral_constantIbLb0EESY_IbLb1EEEEDaSU_SV_EUlSU_E_NS1_11comp_targetILNS1_3genE5ELNS1_11target_archE942ELNS1_3gpuE9ELNS1_3repE0EEENS1_30default_config_static_selectorELNS0_4arch9wavefront6targetE1EEEvT1_
    .private_segment_fixed_size: 0
    .sgpr_count:     70
    .sgpr_spill_count: 0
    .symbol:         _ZN7rocprim17ROCPRIM_400000_NS6detail17trampoline_kernelINS0_14default_configENS1_33run_length_encode_config_selectorItjNS0_4plusIjEEEEZZNS1_33reduce_by_key_impl_wrapped_configILNS1_25lookback_scan_determinismE0ES3_S7_PKtNS0_17constant_iteratorIjlEEPtPlSF_S6_NS0_8equal_toItEEEE10hipError_tPvRmT2_T3_mT4_T5_T6_T7_T8_P12ihipStream_tbENKUlT_T0_E_clISt17integral_constantIbLb0EESY_IbLb1EEEEDaSU_SV_EUlSU_E_NS1_11comp_targetILNS1_3genE5ELNS1_11target_archE942ELNS1_3gpuE9ELNS1_3repE0EEENS1_30default_config_static_selectorELNS0_4arch9wavefront6targetE1EEEvT1_.kd
    .uniform_work_group_size: 1
    .uses_dynamic_stack: false
    .vgpr_count:     105
    .vgpr_spill_count: 0
    .wavefront_size: 64
  - .agpr_count:     0
    .args:
      - .offset:         0
        .size:           128
        .value_kind:     by_value
    .group_segment_fixed_size: 0
    .kernarg_segment_align: 8
    .kernarg_segment_size: 128
    .language:       OpenCL C
    .language_version:
      - 2
      - 0
    .max_flat_workgroup_size: 192
    .name:           _ZN7rocprim17ROCPRIM_400000_NS6detail17trampoline_kernelINS0_14default_configENS1_33run_length_encode_config_selectorItjNS0_4plusIjEEEEZZNS1_33reduce_by_key_impl_wrapped_configILNS1_25lookback_scan_determinismE0ES3_S7_PKtNS0_17constant_iteratorIjlEEPtPlSF_S6_NS0_8equal_toItEEEE10hipError_tPvRmT2_T3_mT4_T5_T6_T7_T8_P12ihipStream_tbENKUlT_T0_E_clISt17integral_constantIbLb0EESY_IbLb1EEEEDaSU_SV_EUlSU_E_NS1_11comp_targetILNS1_3genE4ELNS1_11target_archE910ELNS1_3gpuE8ELNS1_3repE0EEENS1_30default_config_static_selectorELNS0_4arch9wavefront6targetE1EEEvT1_
    .private_segment_fixed_size: 0
    .sgpr_count:     6
    .sgpr_spill_count: 0
    .symbol:         _ZN7rocprim17ROCPRIM_400000_NS6detail17trampoline_kernelINS0_14default_configENS1_33run_length_encode_config_selectorItjNS0_4plusIjEEEEZZNS1_33reduce_by_key_impl_wrapped_configILNS1_25lookback_scan_determinismE0ES3_S7_PKtNS0_17constant_iteratorIjlEEPtPlSF_S6_NS0_8equal_toItEEEE10hipError_tPvRmT2_T3_mT4_T5_T6_T7_T8_P12ihipStream_tbENKUlT_T0_E_clISt17integral_constantIbLb0EESY_IbLb1EEEEDaSU_SV_EUlSU_E_NS1_11comp_targetILNS1_3genE4ELNS1_11target_archE910ELNS1_3gpuE8ELNS1_3repE0EEENS1_30default_config_static_selectorELNS0_4arch9wavefront6targetE1EEEvT1_.kd
    .uniform_work_group_size: 1
    .uses_dynamic_stack: false
    .vgpr_count:     0
    .vgpr_spill_count: 0
    .wavefront_size: 64
  - .agpr_count:     0
    .args:
      - .offset:         0
        .size:           128
        .value_kind:     by_value
    .group_segment_fixed_size: 0
    .kernarg_segment_align: 8
    .kernarg_segment_size: 128
    .language:       OpenCL C
    .language_version:
      - 2
      - 0
    .max_flat_workgroup_size: 512
    .name:           _ZN7rocprim17ROCPRIM_400000_NS6detail17trampoline_kernelINS0_14default_configENS1_33run_length_encode_config_selectorItjNS0_4plusIjEEEEZZNS1_33reduce_by_key_impl_wrapped_configILNS1_25lookback_scan_determinismE0ES3_S7_PKtNS0_17constant_iteratorIjlEEPtPlSF_S6_NS0_8equal_toItEEEE10hipError_tPvRmT2_T3_mT4_T5_T6_T7_T8_P12ihipStream_tbENKUlT_T0_E_clISt17integral_constantIbLb0EESY_IbLb1EEEEDaSU_SV_EUlSU_E_NS1_11comp_targetILNS1_3genE3ELNS1_11target_archE908ELNS1_3gpuE7ELNS1_3repE0EEENS1_30default_config_static_selectorELNS0_4arch9wavefront6targetE1EEEvT1_
    .private_segment_fixed_size: 0
    .sgpr_count:     6
    .sgpr_spill_count: 0
    .symbol:         _ZN7rocprim17ROCPRIM_400000_NS6detail17trampoline_kernelINS0_14default_configENS1_33run_length_encode_config_selectorItjNS0_4plusIjEEEEZZNS1_33reduce_by_key_impl_wrapped_configILNS1_25lookback_scan_determinismE0ES3_S7_PKtNS0_17constant_iteratorIjlEEPtPlSF_S6_NS0_8equal_toItEEEE10hipError_tPvRmT2_T3_mT4_T5_T6_T7_T8_P12ihipStream_tbENKUlT_T0_E_clISt17integral_constantIbLb0EESY_IbLb1EEEEDaSU_SV_EUlSU_E_NS1_11comp_targetILNS1_3genE3ELNS1_11target_archE908ELNS1_3gpuE7ELNS1_3repE0EEENS1_30default_config_static_selectorELNS0_4arch9wavefront6targetE1EEEvT1_.kd
    .uniform_work_group_size: 1
    .uses_dynamic_stack: false
    .vgpr_count:     0
    .vgpr_spill_count: 0
    .wavefront_size: 64
  - .agpr_count:     0
    .args:
      - .offset:         0
        .size:           128
        .value_kind:     by_value
    .group_segment_fixed_size: 0
    .kernarg_segment_align: 8
    .kernarg_segment_size: 128
    .language:       OpenCL C
    .language_version:
      - 2
      - 0
    .max_flat_workgroup_size: 256
    .name:           _ZN7rocprim17ROCPRIM_400000_NS6detail17trampoline_kernelINS0_14default_configENS1_33run_length_encode_config_selectorItjNS0_4plusIjEEEEZZNS1_33reduce_by_key_impl_wrapped_configILNS1_25lookback_scan_determinismE0ES3_S7_PKtNS0_17constant_iteratorIjlEEPtPlSF_S6_NS0_8equal_toItEEEE10hipError_tPvRmT2_T3_mT4_T5_T6_T7_T8_P12ihipStream_tbENKUlT_T0_E_clISt17integral_constantIbLb0EESY_IbLb1EEEEDaSU_SV_EUlSU_E_NS1_11comp_targetILNS1_3genE2ELNS1_11target_archE906ELNS1_3gpuE6ELNS1_3repE0EEENS1_30default_config_static_selectorELNS0_4arch9wavefront6targetE1EEEvT1_
    .private_segment_fixed_size: 0
    .sgpr_count:     6
    .sgpr_spill_count: 0
    .symbol:         _ZN7rocprim17ROCPRIM_400000_NS6detail17trampoline_kernelINS0_14default_configENS1_33run_length_encode_config_selectorItjNS0_4plusIjEEEEZZNS1_33reduce_by_key_impl_wrapped_configILNS1_25lookback_scan_determinismE0ES3_S7_PKtNS0_17constant_iteratorIjlEEPtPlSF_S6_NS0_8equal_toItEEEE10hipError_tPvRmT2_T3_mT4_T5_T6_T7_T8_P12ihipStream_tbENKUlT_T0_E_clISt17integral_constantIbLb0EESY_IbLb1EEEEDaSU_SV_EUlSU_E_NS1_11comp_targetILNS1_3genE2ELNS1_11target_archE906ELNS1_3gpuE6ELNS1_3repE0EEENS1_30default_config_static_selectorELNS0_4arch9wavefront6targetE1EEEvT1_.kd
    .uniform_work_group_size: 1
    .uses_dynamic_stack: false
    .vgpr_count:     0
    .vgpr_spill_count: 0
    .wavefront_size: 64
  - .agpr_count:     0
    .args:
      - .offset:         0
        .size:           128
        .value_kind:     by_value
    .group_segment_fixed_size: 0
    .kernarg_segment_align: 8
    .kernarg_segment_size: 128
    .language:       OpenCL C
    .language_version:
      - 2
      - 0
    .max_flat_workgroup_size: 512
    .name:           _ZN7rocprim17ROCPRIM_400000_NS6detail17trampoline_kernelINS0_14default_configENS1_33run_length_encode_config_selectorItjNS0_4plusIjEEEEZZNS1_33reduce_by_key_impl_wrapped_configILNS1_25lookback_scan_determinismE0ES3_S7_PKtNS0_17constant_iteratorIjlEEPtPlSF_S6_NS0_8equal_toItEEEE10hipError_tPvRmT2_T3_mT4_T5_T6_T7_T8_P12ihipStream_tbENKUlT_T0_E_clISt17integral_constantIbLb0EESY_IbLb1EEEEDaSU_SV_EUlSU_E_NS1_11comp_targetILNS1_3genE10ELNS1_11target_archE1201ELNS1_3gpuE5ELNS1_3repE0EEENS1_30default_config_static_selectorELNS0_4arch9wavefront6targetE1EEEvT1_
    .private_segment_fixed_size: 0
    .sgpr_count:     6
    .sgpr_spill_count: 0
    .symbol:         _ZN7rocprim17ROCPRIM_400000_NS6detail17trampoline_kernelINS0_14default_configENS1_33run_length_encode_config_selectorItjNS0_4plusIjEEEEZZNS1_33reduce_by_key_impl_wrapped_configILNS1_25lookback_scan_determinismE0ES3_S7_PKtNS0_17constant_iteratorIjlEEPtPlSF_S6_NS0_8equal_toItEEEE10hipError_tPvRmT2_T3_mT4_T5_T6_T7_T8_P12ihipStream_tbENKUlT_T0_E_clISt17integral_constantIbLb0EESY_IbLb1EEEEDaSU_SV_EUlSU_E_NS1_11comp_targetILNS1_3genE10ELNS1_11target_archE1201ELNS1_3gpuE5ELNS1_3repE0EEENS1_30default_config_static_selectorELNS0_4arch9wavefront6targetE1EEEvT1_.kd
    .uniform_work_group_size: 1
    .uses_dynamic_stack: false
    .vgpr_count:     0
    .vgpr_spill_count: 0
    .wavefront_size: 64
  - .agpr_count:     0
    .args:
      - .offset:         0
        .size:           128
        .value_kind:     by_value
    .group_segment_fixed_size: 0
    .kernarg_segment_align: 8
    .kernarg_segment_size: 128
    .language:       OpenCL C
    .language_version:
      - 2
      - 0
    .max_flat_workgroup_size: 384
    .name:           _ZN7rocprim17ROCPRIM_400000_NS6detail17trampoline_kernelINS0_14default_configENS1_33run_length_encode_config_selectorItjNS0_4plusIjEEEEZZNS1_33reduce_by_key_impl_wrapped_configILNS1_25lookback_scan_determinismE0ES3_S7_PKtNS0_17constant_iteratorIjlEEPtPlSF_S6_NS0_8equal_toItEEEE10hipError_tPvRmT2_T3_mT4_T5_T6_T7_T8_P12ihipStream_tbENKUlT_T0_E_clISt17integral_constantIbLb0EESY_IbLb1EEEEDaSU_SV_EUlSU_E_NS1_11comp_targetILNS1_3genE10ELNS1_11target_archE1200ELNS1_3gpuE4ELNS1_3repE0EEENS1_30default_config_static_selectorELNS0_4arch9wavefront6targetE1EEEvT1_
    .private_segment_fixed_size: 0
    .sgpr_count:     6
    .sgpr_spill_count: 0
    .symbol:         _ZN7rocprim17ROCPRIM_400000_NS6detail17trampoline_kernelINS0_14default_configENS1_33run_length_encode_config_selectorItjNS0_4plusIjEEEEZZNS1_33reduce_by_key_impl_wrapped_configILNS1_25lookback_scan_determinismE0ES3_S7_PKtNS0_17constant_iteratorIjlEEPtPlSF_S6_NS0_8equal_toItEEEE10hipError_tPvRmT2_T3_mT4_T5_T6_T7_T8_P12ihipStream_tbENKUlT_T0_E_clISt17integral_constantIbLb0EESY_IbLb1EEEEDaSU_SV_EUlSU_E_NS1_11comp_targetILNS1_3genE10ELNS1_11target_archE1200ELNS1_3gpuE4ELNS1_3repE0EEENS1_30default_config_static_selectorELNS0_4arch9wavefront6targetE1EEEvT1_.kd
    .uniform_work_group_size: 1
    .uses_dynamic_stack: false
    .vgpr_count:     0
    .vgpr_spill_count: 0
    .wavefront_size: 64
  - .agpr_count:     0
    .args:
      - .offset:         0
        .size:           128
        .value_kind:     by_value
    .group_segment_fixed_size: 0
    .kernarg_segment_align: 8
    .kernarg_segment_size: 128
    .language:       OpenCL C
    .language_version:
      - 2
      - 0
    .max_flat_workgroup_size: 512
    .name:           _ZN7rocprim17ROCPRIM_400000_NS6detail17trampoline_kernelINS0_14default_configENS1_33run_length_encode_config_selectorItjNS0_4plusIjEEEEZZNS1_33reduce_by_key_impl_wrapped_configILNS1_25lookback_scan_determinismE0ES3_S7_PKtNS0_17constant_iteratorIjlEEPtPlSF_S6_NS0_8equal_toItEEEE10hipError_tPvRmT2_T3_mT4_T5_T6_T7_T8_P12ihipStream_tbENKUlT_T0_E_clISt17integral_constantIbLb0EESY_IbLb1EEEEDaSU_SV_EUlSU_E_NS1_11comp_targetILNS1_3genE9ELNS1_11target_archE1100ELNS1_3gpuE3ELNS1_3repE0EEENS1_30default_config_static_selectorELNS0_4arch9wavefront6targetE1EEEvT1_
    .private_segment_fixed_size: 0
    .sgpr_count:     6
    .sgpr_spill_count: 0
    .symbol:         _ZN7rocprim17ROCPRIM_400000_NS6detail17trampoline_kernelINS0_14default_configENS1_33run_length_encode_config_selectorItjNS0_4plusIjEEEEZZNS1_33reduce_by_key_impl_wrapped_configILNS1_25lookback_scan_determinismE0ES3_S7_PKtNS0_17constant_iteratorIjlEEPtPlSF_S6_NS0_8equal_toItEEEE10hipError_tPvRmT2_T3_mT4_T5_T6_T7_T8_P12ihipStream_tbENKUlT_T0_E_clISt17integral_constantIbLb0EESY_IbLb1EEEEDaSU_SV_EUlSU_E_NS1_11comp_targetILNS1_3genE9ELNS1_11target_archE1100ELNS1_3gpuE3ELNS1_3repE0EEENS1_30default_config_static_selectorELNS0_4arch9wavefront6targetE1EEEvT1_.kd
    .uniform_work_group_size: 1
    .uses_dynamic_stack: false
    .vgpr_count:     0
    .vgpr_spill_count: 0
    .wavefront_size: 64
  - .agpr_count:     0
    .args:
      - .offset:         0
        .size:           128
        .value_kind:     by_value
    .group_segment_fixed_size: 0
    .kernarg_segment_align: 8
    .kernarg_segment_size: 128
    .language:       OpenCL C
    .language_version:
      - 2
      - 0
    .max_flat_workgroup_size: 384
    .name:           _ZN7rocprim17ROCPRIM_400000_NS6detail17trampoline_kernelINS0_14default_configENS1_33run_length_encode_config_selectorItjNS0_4plusIjEEEEZZNS1_33reduce_by_key_impl_wrapped_configILNS1_25lookback_scan_determinismE0ES3_S7_PKtNS0_17constant_iteratorIjlEEPtPlSF_S6_NS0_8equal_toItEEEE10hipError_tPvRmT2_T3_mT4_T5_T6_T7_T8_P12ihipStream_tbENKUlT_T0_E_clISt17integral_constantIbLb0EESY_IbLb1EEEEDaSU_SV_EUlSU_E_NS1_11comp_targetILNS1_3genE8ELNS1_11target_archE1030ELNS1_3gpuE2ELNS1_3repE0EEENS1_30default_config_static_selectorELNS0_4arch9wavefront6targetE1EEEvT1_
    .private_segment_fixed_size: 0
    .sgpr_count:     6
    .sgpr_spill_count: 0
    .symbol:         _ZN7rocprim17ROCPRIM_400000_NS6detail17trampoline_kernelINS0_14default_configENS1_33run_length_encode_config_selectorItjNS0_4plusIjEEEEZZNS1_33reduce_by_key_impl_wrapped_configILNS1_25lookback_scan_determinismE0ES3_S7_PKtNS0_17constant_iteratorIjlEEPtPlSF_S6_NS0_8equal_toItEEEE10hipError_tPvRmT2_T3_mT4_T5_T6_T7_T8_P12ihipStream_tbENKUlT_T0_E_clISt17integral_constantIbLb0EESY_IbLb1EEEEDaSU_SV_EUlSU_E_NS1_11comp_targetILNS1_3genE8ELNS1_11target_archE1030ELNS1_3gpuE2ELNS1_3repE0EEENS1_30default_config_static_selectorELNS0_4arch9wavefront6targetE1EEEvT1_.kd
    .uniform_work_group_size: 1
    .uses_dynamic_stack: false
    .vgpr_count:     0
    .vgpr_spill_count: 0
    .wavefront_size: 64
  - .agpr_count:     0
    .args:
      - .offset:         0
        .size:           8
        .value_kind:     by_value
      - .address_space:  global
        .offset:         8
        .size:           8
        .value_kind:     global_buffer
      - .address_space:  global
        .offset:         16
        .size:           8
        .value_kind:     global_buffer
      - .offset:         24
        .size:           4
        .value_kind:     hidden_block_count_x
      - .offset:         28
        .size:           4
        .value_kind:     hidden_block_count_y
      - .offset:         32
        .size:           4
        .value_kind:     hidden_block_count_z
      - .offset:         36
        .size:           2
        .value_kind:     hidden_group_size_x
      - .offset:         38
        .size:           2
        .value_kind:     hidden_group_size_y
      - .offset:         40
        .size:           2
        .value_kind:     hidden_group_size_z
      - .offset:         42
        .size:           2
        .value_kind:     hidden_remainder_x
      - .offset:         44
        .size:           2
        .value_kind:     hidden_remainder_y
      - .offset:         46
        .size:           2
        .value_kind:     hidden_remainder_z
      - .offset:         64
        .size:           8
        .value_kind:     hidden_global_offset_x
      - .offset:         72
        .size:           8
        .value_kind:     hidden_global_offset_y
      - .offset:         80
        .size:           8
        .value_kind:     hidden_global_offset_z
      - .offset:         88
        .size:           2
        .value_kind:     hidden_grid_dims
    .group_segment_fixed_size: 0
    .kernarg_segment_align: 8
    .kernarg_segment_size: 280
    .language:       OpenCL C
    .language_version:
      - 2
      - 0
    .max_flat_workgroup_size: 1024
    .name:           _ZN2at6native8internal12_GLOBAL__N_126adjacent_difference_kernelIPKN3c108BFloat16EEEvlT_Pi
    .private_segment_fixed_size: 0
    .sgpr_count:     22
    .sgpr_spill_count: 0
    .symbol:         _ZN2at6native8internal12_GLOBAL__N_126adjacent_difference_kernelIPKN3c108BFloat16EEEvlT_Pi.kd
    .uniform_work_group_size: 1
    .uses_dynamic_stack: false
    .vgpr_count:     10
    .vgpr_spill_count: 0
    .wavefront_size: 64
  - .agpr_count:     0
    .args:
      - .offset:         0
        .size:           112
        .value_kind:     by_value
    .group_segment_fixed_size: 0
    .kernarg_segment_align: 8
    .kernarg_segment_size: 112
    .language:       OpenCL C
    .language_version:
      - 2
      - 0
    .max_flat_workgroup_size: 256
    .name:           _ZN7rocprim17ROCPRIM_400000_NS6detail17trampoline_kernelINS0_14default_configENS1_25partition_config_selectorILNS1_17partition_subalgoE8EN3c108BFloat16ENS0_10empty_typeEbEEZZNS1_14partition_implILS5_8ELb0ES3_jPKS7_PS8_PKS8_NS0_5tupleIJPS7_S8_EEENSG_IJSD_SD_EEENS0_18inequality_wrapperIN6hipcub16HIPCUB_304000_NS8EqualityEEEPlJS8_EEE10hipError_tPvRmT3_T4_T5_T6_T7_T9_mT8_P12ihipStream_tbDpT10_ENKUlT_T0_E_clISt17integral_constantIbLb0EES19_EEDaS14_S15_EUlS14_E_NS1_11comp_targetILNS1_3genE0ELNS1_11target_archE4294967295ELNS1_3gpuE0ELNS1_3repE0EEENS1_30default_config_static_selectorELNS0_4arch9wavefront6targetE1EEEvT1_
    .private_segment_fixed_size: 0
    .sgpr_count:     6
    .sgpr_spill_count: 0
    .symbol:         _ZN7rocprim17ROCPRIM_400000_NS6detail17trampoline_kernelINS0_14default_configENS1_25partition_config_selectorILNS1_17partition_subalgoE8EN3c108BFloat16ENS0_10empty_typeEbEEZZNS1_14partition_implILS5_8ELb0ES3_jPKS7_PS8_PKS8_NS0_5tupleIJPS7_S8_EEENSG_IJSD_SD_EEENS0_18inequality_wrapperIN6hipcub16HIPCUB_304000_NS8EqualityEEEPlJS8_EEE10hipError_tPvRmT3_T4_T5_T6_T7_T9_mT8_P12ihipStream_tbDpT10_ENKUlT_T0_E_clISt17integral_constantIbLb0EES19_EEDaS14_S15_EUlS14_E_NS1_11comp_targetILNS1_3genE0ELNS1_11target_archE4294967295ELNS1_3gpuE0ELNS1_3repE0EEENS1_30default_config_static_selectorELNS0_4arch9wavefront6targetE1EEEvT1_.kd
    .uniform_work_group_size: 1
    .uses_dynamic_stack: false
    .vgpr_count:     0
    .vgpr_spill_count: 0
    .wavefront_size: 64
  - .agpr_count:     0
    .args:
      - .offset:         0
        .size:           112
        .value_kind:     by_value
    .group_segment_fixed_size: 30728
    .kernarg_segment_align: 8
    .kernarg_segment_size: 112
    .language:       OpenCL C
    .language_version:
      - 2
      - 0
    .max_flat_workgroup_size: 512
    .name:           _ZN7rocprim17ROCPRIM_400000_NS6detail17trampoline_kernelINS0_14default_configENS1_25partition_config_selectorILNS1_17partition_subalgoE8EN3c108BFloat16ENS0_10empty_typeEbEEZZNS1_14partition_implILS5_8ELb0ES3_jPKS7_PS8_PKS8_NS0_5tupleIJPS7_S8_EEENSG_IJSD_SD_EEENS0_18inequality_wrapperIN6hipcub16HIPCUB_304000_NS8EqualityEEEPlJS8_EEE10hipError_tPvRmT3_T4_T5_T6_T7_T9_mT8_P12ihipStream_tbDpT10_ENKUlT_T0_E_clISt17integral_constantIbLb0EES19_EEDaS14_S15_EUlS14_E_NS1_11comp_targetILNS1_3genE5ELNS1_11target_archE942ELNS1_3gpuE9ELNS1_3repE0EEENS1_30default_config_static_selectorELNS0_4arch9wavefront6targetE1EEEvT1_
    .private_segment_fixed_size: 0
    .sgpr_count:     46
    .sgpr_spill_count: 0
    .symbol:         _ZN7rocprim17ROCPRIM_400000_NS6detail17trampoline_kernelINS0_14default_configENS1_25partition_config_selectorILNS1_17partition_subalgoE8EN3c108BFloat16ENS0_10empty_typeEbEEZZNS1_14partition_implILS5_8ELb0ES3_jPKS7_PS8_PKS8_NS0_5tupleIJPS7_S8_EEENSG_IJSD_SD_EEENS0_18inequality_wrapperIN6hipcub16HIPCUB_304000_NS8EqualityEEEPlJS8_EEE10hipError_tPvRmT3_T4_T5_T6_T7_T9_mT8_P12ihipStream_tbDpT10_ENKUlT_T0_E_clISt17integral_constantIbLb0EES19_EEDaS14_S15_EUlS14_E_NS1_11comp_targetILNS1_3genE5ELNS1_11target_archE942ELNS1_3gpuE9ELNS1_3repE0EEENS1_30default_config_static_selectorELNS0_4arch9wavefront6targetE1EEEvT1_.kd
    .uniform_work_group_size: 1
    .uses_dynamic_stack: false
    .vgpr_count:     112
    .vgpr_spill_count: 0
    .wavefront_size: 64
  - .agpr_count:     0
    .args:
      - .offset:         0
        .size:           112
        .value_kind:     by_value
    .group_segment_fixed_size: 0
    .kernarg_segment_align: 8
    .kernarg_segment_size: 112
    .language:       OpenCL C
    .language_version:
      - 2
      - 0
    .max_flat_workgroup_size: 256
    .name:           _ZN7rocprim17ROCPRIM_400000_NS6detail17trampoline_kernelINS0_14default_configENS1_25partition_config_selectorILNS1_17partition_subalgoE8EN3c108BFloat16ENS0_10empty_typeEbEEZZNS1_14partition_implILS5_8ELb0ES3_jPKS7_PS8_PKS8_NS0_5tupleIJPS7_S8_EEENSG_IJSD_SD_EEENS0_18inequality_wrapperIN6hipcub16HIPCUB_304000_NS8EqualityEEEPlJS8_EEE10hipError_tPvRmT3_T4_T5_T6_T7_T9_mT8_P12ihipStream_tbDpT10_ENKUlT_T0_E_clISt17integral_constantIbLb0EES19_EEDaS14_S15_EUlS14_E_NS1_11comp_targetILNS1_3genE4ELNS1_11target_archE910ELNS1_3gpuE8ELNS1_3repE0EEENS1_30default_config_static_selectorELNS0_4arch9wavefront6targetE1EEEvT1_
    .private_segment_fixed_size: 0
    .sgpr_count:     6
    .sgpr_spill_count: 0
    .symbol:         _ZN7rocprim17ROCPRIM_400000_NS6detail17trampoline_kernelINS0_14default_configENS1_25partition_config_selectorILNS1_17partition_subalgoE8EN3c108BFloat16ENS0_10empty_typeEbEEZZNS1_14partition_implILS5_8ELb0ES3_jPKS7_PS8_PKS8_NS0_5tupleIJPS7_S8_EEENSG_IJSD_SD_EEENS0_18inequality_wrapperIN6hipcub16HIPCUB_304000_NS8EqualityEEEPlJS8_EEE10hipError_tPvRmT3_T4_T5_T6_T7_T9_mT8_P12ihipStream_tbDpT10_ENKUlT_T0_E_clISt17integral_constantIbLb0EES19_EEDaS14_S15_EUlS14_E_NS1_11comp_targetILNS1_3genE4ELNS1_11target_archE910ELNS1_3gpuE8ELNS1_3repE0EEENS1_30default_config_static_selectorELNS0_4arch9wavefront6targetE1EEEvT1_.kd
    .uniform_work_group_size: 1
    .uses_dynamic_stack: false
    .vgpr_count:     0
    .vgpr_spill_count: 0
    .wavefront_size: 64
  - .agpr_count:     0
    .args:
      - .offset:         0
        .size:           112
        .value_kind:     by_value
    .group_segment_fixed_size: 0
    .kernarg_segment_align: 8
    .kernarg_segment_size: 112
    .language:       OpenCL C
    .language_version:
      - 2
      - 0
    .max_flat_workgroup_size: 256
    .name:           _ZN7rocprim17ROCPRIM_400000_NS6detail17trampoline_kernelINS0_14default_configENS1_25partition_config_selectorILNS1_17partition_subalgoE8EN3c108BFloat16ENS0_10empty_typeEbEEZZNS1_14partition_implILS5_8ELb0ES3_jPKS7_PS8_PKS8_NS0_5tupleIJPS7_S8_EEENSG_IJSD_SD_EEENS0_18inequality_wrapperIN6hipcub16HIPCUB_304000_NS8EqualityEEEPlJS8_EEE10hipError_tPvRmT3_T4_T5_T6_T7_T9_mT8_P12ihipStream_tbDpT10_ENKUlT_T0_E_clISt17integral_constantIbLb0EES19_EEDaS14_S15_EUlS14_E_NS1_11comp_targetILNS1_3genE3ELNS1_11target_archE908ELNS1_3gpuE7ELNS1_3repE0EEENS1_30default_config_static_selectorELNS0_4arch9wavefront6targetE1EEEvT1_
    .private_segment_fixed_size: 0
    .sgpr_count:     6
    .sgpr_spill_count: 0
    .symbol:         _ZN7rocprim17ROCPRIM_400000_NS6detail17trampoline_kernelINS0_14default_configENS1_25partition_config_selectorILNS1_17partition_subalgoE8EN3c108BFloat16ENS0_10empty_typeEbEEZZNS1_14partition_implILS5_8ELb0ES3_jPKS7_PS8_PKS8_NS0_5tupleIJPS7_S8_EEENSG_IJSD_SD_EEENS0_18inequality_wrapperIN6hipcub16HIPCUB_304000_NS8EqualityEEEPlJS8_EEE10hipError_tPvRmT3_T4_T5_T6_T7_T9_mT8_P12ihipStream_tbDpT10_ENKUlT_T0_E_clISt17integral_constantIbLb0EES19_EEDaS14_S15_EUlS14_E_NS1_11comp_targetILNS1_3genE3ELNS1_11target_archE908ELNS1_3gpuE7ELNS1_3repE0EEENS1_30default_config_static_selectorELNS0_4arch9wavefront6targetE1EEEvT1_.kd
    .uniform_work_group_size: 1
    .uses_dynamic_stack: false
    .vgpr_count:     0
    .vgpr_spill_count: 0
    .wavefront_size: 64
  - .agpr_count:     0
    .args:
      - .offset:         0
        .size:           112
        .value_kind:     by_value
    .group_segment_fixed_size: 0
    .kernarg_segment_align: 8
    .kernarg_segment_size: 112
    .language:       OpenCL C
    .language_version:
      - 2
      - 0
    .max_flat_workgroup_size: 192
    .name:           _ZN7rocprim17ROCPRIM_400000_NS6detail17trampoline_kernelINS0_14default_configENS1_25partition_config_selectorILNS1_17partition_subalgoE8EN3c108BFloat16ENS0_10empty_typeEbEEZZNS1_14partition_implILS5_8ELb0ES3_jPKS7_PS8_PKS8_NS0_5tupleIJPS7_S8_EEENSG_IJSD_SD_EEENS0_18inequality_wrapperIN6hipcub16HIPCUB_304000_NS8EqualityEEEPlJS8_EEE10hipError_tPvRmT3_T4_T5_T6_T7_T9_mT8_P12ihipStream_tbDpT10_ENKUlT_T0_E_clISt17integral_constantIbLb0EES19_EEDaS14_S15_EUlS14_E_NS1_11comp_targetILNS1_3genE2ELNS1_11target_archE906ELNS1_3gpuE6ELNS1_3repE0EEENS1_30default_config_static_selectorELNS0_4arch9wavefront6targetE1EEEvT1_
    .private_segment_fixed_size: 0
    .sgpr_count:     6
    .sgpr_spill_count: 0
    .symbol:         _ZN7rocprim17ROCPRIM_400000_NS6detail17trampoline_kernelINS0_14default_configENS1_25partition_config_selectorILNS1_17partition_subalgoE8EN3c108BFloat16ENS0_10empty_typeEbEEZZNS1_14partition_implILS5_8ELb0ES3_jPKS7_PS8_PKS8_NS0_5tupleIJPS7_S8_EEENSG_IJSD_SD_EEENS0_18inequality_wrapperIN6hipcub16HIPCUB_304000_NS8EqualityEEEPlJS8_EEE10hipError_tPvRmT3_T4_T5_T6_T7_T9_mT8_P12ihipStream_tbDpT10_ENKUlT_T0_E_clISt17integral_constantIbLb0EES19_EEDaS14_S15_EUlS14_E_NS1_11comp_targetILNS1_3genE2ELNS1_11target_archE906ELNS1_3gpuE6ELNS1_3repE0EEENS1_30default_config_static_selectorELNS0_4arch9wavefront6targetE1EEEvT1_.kd
    .uniform_work_group_size: 1
    .uses_dynamic_stack: false
    .vgpr_count:     0
    .vgpr_spill_count: 0
    .wavefront_size: 64
  - .agpr_count:     0
    .args:
      - .offset:         0
        .size:           112
        .value_kind:     by_value
    .group_segment_fixed_size: 0
    .kernarg_segment_align: 8
    .kernarg_segment_size: 112
    .language:       OpenCL C
    .language_version:
      - 2
      - 0
    .max_flat_workgroup_size: 256
    .name:           _ZN7rocprim17ROCPRIM_400000_NS6detail17trampoline_kernelINS0_14default_configENS1_25partition_config_selectorILNS1_17partition_subalgoE8EN3c108BFloat16ENS0_10empty_typeEbEEZZNS1_14partition_implILS5_8ELb0ES3_jPKS7_PS8_PKS8_NS0_5tupleIJPS7_S8_EEENSG_IJSD_SD_EEENS0_18inequality_wrapperIN6hipcub16HIPCUB_304000_NS8EqualityEEEPlJS8_EEE10hipError_tPvRmT3_T4_T5_T6_T7_T9_mT8_P12ihipStream_tbDpT10_ENKUlT_T0_E_clISt17integral_constantIbLb0EES19_EEDaS14_S15_EUlS14_E_NS1_11comp_targetILNS1_3genE10ELNS1_11target_archE1200ELNS1_3gpuE4ELNS1_3repE0EEENS1_30default_config_static_selectorELNS0_4arch9wavefront6targetE1EEEvT1_
    .private_segment_fixed_size: 0
    .sgpr_count:     6
    .sgpr_spill_count: 0
    .symbol:         _ZN7rocprim17ROCPRIM_400000_NS6detail17trampoline_kernelINS0_14default_configENS1_25partition_config_selectorILNS1_17partition_subalgoE8EN3c108BFloat16ENS0_10empty_typeEbEEZZNS1_14partition_implILS5_8ELb0ES3_jPKS7_PS8_PKS8_NS0_5tupleIJPS7_S8_EEENSG_IJSD_SD_EEENS0_18inequality_wrapperIN6hipcub16HIPCUB_304000_NS8EqualityEEEPlJS8_EEE10hipError_tPvRmT3_T4_T5_T6_T7_T9_mT8_P12ihipStream_tbDpT10_ENKUlT_T0_E_clISt17integral_constantIbLb0EES19_EEDaS14_S15_EUlS14_E_NS1_11comp_targetILNS1_3genE10ELNS1_11target_archE1200ELNS1_3gpuE4ELNS1_3repE0EEENS1_30default_config_static_selectorELNS0_4arch9wavefront6targetE1EEEvT1_.kd
    .uniform_work_group_size: 1
    .uses_dynamic_stack: false
    .vgpr_count:     0
    .vgpr_spill_count: 0
    .wavefront_size: 64
  - .agpr_count:     0
    .args:
      - .offset:         0
        .size:           112
        .value_kind:     by_value
    .group_segment_fixed_size: 0
    .kernarg_segment_align: 8
    .kernarg_segment_size: 112
    .language:       OpenCL C
    .language_version:
      - 2
      - 0
    .max_flat_workgroup_size: 128
    .name:           _ZN7rocprim17ROCPRIM_400000_NS6detail17trampoline_kernelINS0_14default_configENS1_25partition_config_selectorILNS1_17partition_subalgoE8EN3c108BFloat16ENS0_10empty_typeEbEEZZNS1_14partition_implILS5_8ELb0ES3_jPKS7_PS8_PKS8_NS0_5tupleIJPS7_S8_EEENSG_IJSD_SD_EEENS0_18inequality_wrapperIN6hipcub16HIPCUB_304000_NS8EqualityEEEPlJS8_EEE10hipError_tPvRmT3_T4_T5_T6_T7_T9_mT8_P12ihipStream_tbDpT10_ENKUlT_T0_E_clISt17integral_constantIbLb0EES19_EEDaS14_S15_EUlS14_E_NS1_11comp_targetILNS1_3genE9ELNS1_11target_archE1100ELNS1_3gpuE3ELNS1_3repE0EEENS1_30default_config_static_selectorELNS0_4arch9wavefront6targetE1EEEvT1_
    .private_segment_fixed_size: 0
    .sgpr_count:     6
    .sgpr_spill_count: 0
    .symbol:         _ZN7rocprim17ROCPRIM_400000_NS6detail17trampoline_kernelINS0_14default_configENS1_25partition_config_selectorILNS1_17partition_subalgoE8EN3c108BFloat16ENS0_10empty_typeEbEEZZNS1_14partition_implILS5_8ELb0ES3_jPKS7_PS8_PKS8_NS0_5tupleIJPS7_S8_EEENSG_IJSD_SD_EEENS0_18inequality_wrapperIN6hipcub16HIPCUB_304000_NS8EqualityEEEPlJS8_EEE10hipError_tPvRmT3_T4_T5_T6_T7_T9_mT8_P12ihipStream_tbDpT10_ENKUlT_T0_E_clISt17integral_constantIbLb0EES19_EEDaS14_S15_EUlS14_E_NS1_11comp_targetILNS1_3genE9ELNS1_11target_archE1100ELNS1_3gpuE3ELNS1_3repE0EEENS1_30default_config_static_selectorELNS0_4arch9wavefront6targetE1EEEvT1_.kd
    .uniform_work_group_size: 1
    .uses_dynamic_stack: false
    .vgpr_count:     0
    .vgpr_spill_count: 0
    .wavefront_size: 64
  - .agpr_count:     0
    .args:
      - .offset:         0
        .size:           112
        .value_kind:     by_value
    .group_segment_fixed_size: 0
    .kernarg_segment_align: 8
    .kernarg_segment_size: 112
    .language:       OpenCL C
    .language_version:
      - 2
      - 0
    .max_flat_workgroup_size: 384
    .name:           _ZN7rocprim17ROCPRIM_400000_NS6detail17trampoline_kernelINS0_14default_configENS1_25partition_config_selectorILNS1_17partition_subalgoE8EN3c108BFloat16ENS0_10empty_typeEbEEZZNS1_14partition_implILS5_8ELb0ES3_jPKS7_PS8_PKS8_NS0_5tupleIJPS7_S8_EEENSG_IJSD_SD_EEENS0_18inequality_wrapperIN6hipcub16HIPCUB_304000_NS8EqualityEEEPlJS8_EEE10hipError_tPvRmT3_T4_T5_T6_T7_T9_mT8_P12ihipStream_tbDpT10_ENKUlT_T0_E_clISt17integral_constantIbLb0EES19_EEDaS14_S15_EUlS14_E_NS1_11comp_targetILNS1_3genE8ELNS1_11target_archE1030ELNS1_3gpuE2ELNS1_3repE0EEENS1_30default_config_static_selectorELNS0_4arch9wavefront6targetE1EEEvT1_
    .private_segment_fixed_size: 0
    .sgpr_count:     6
    .sgpr_spill_count: 0
    .symbol:         _ZN7rocprim17ROCPRIM_400000_NS6detail17trampoline_kernelINS0_14default_configENS1_25partition_config_selectorILNS1_17partition_subalgoE8EN3c108BFloat16ENS0_10empty_typeEbEEZZNS1_14partition_implILS5_8ELb0ES3_jPKS7_PS8_PKS8_NS0_5tupleIJPS7_S8_EEENSG_IJSD_SD_EEENS0_18inequality_wrapperIN6hipcub16HIPCUB_304000_NS8EqualityEEEPlJS8_EEE10hipError_tPvRmT3_T4_T5_T6_T7_T9_mT8_P12ihipStream_tbDpT10_ENKUlT_T0_E_clISt17integral_constantIbLb0EES19_EEDaS14_S15_EUlS14_E_NS1_11comp_targetILNS1_3genE8ELNS1_11target_archE1030ELNS1_3gpuE2ELNS1_3repE0EEENS1_30default_config_static_selectorELNS0_4arch9wavefront6targetE1EEEvT1_.kd
    .uniform_work_group_size: 1
    .uses_dynamic_stack: false
    .vgpr_count:     0
    .vgpr_spill_count: 0
    .wavefront_size: 64
  - .agpr_count:     0
    .args:
      - .offset:         0
        .size:           128
        .value_kind:     by_value
    .group_segment_fixed_size: 0
    .kernarg_segment_align: 8
    .kernarg_segment_size: 128
    .language:       OpenCL C
    .language_version:
      - 2
      - 0
    .max_flat_workgroup_size: 256
    .name:           _ZN7rocprim17ROCPRIM_400000_NS6detail17trampoline_kernelINS0_14default_configENS1_25partition_config_selectorILNS1_17partition_subalgoE8EN3c108BFloat16ENS0_10empty_typeEbEEZZNS1_14partition_implILS5_8ELb0ES3_jPKS7_PS8_PKS8_NS0_5tupleIJPS7_S8_EEENSG_IJSD_SD_EEENS0_18inequality_wrapperIN6hipcub16HIPCUB_304000_NS8EqualityEEEPlJS8_EEE10hipError_tPvRmT3_T4_T5_T6_T7_T9_mT8_P12ihipStream_tbDpT10_ENKUlT_T0_E_clISt17integral_constantIbLb1EES19_EEDaS14_S15_EUlS14_E_NS1_11comp_targetILNS1_3genE0ELNS1_11target_archE4294967295ELNS1_3gpuE0ELNS1_3repE0EEENS1_30default_config_static_selectorELNS0_4arch9wavefront6targetE1EEEvT1_
    .private_segment_fixed_size: 0
    .sgpr_count:     6
    .sgpr_spill_count: 0
    .symbol:         _ZN7rocprim17ROCPRIM_400000_NS6detail17trampoline_kernelINS0_14default_configENS1_25partition_config_selectorILNS1_17partition_subalgoE8EN3c108BFloat16ENS0_10empty_typeEbEEZZNS1_14partition_implILS5_8ELb0ES3_jPKS7_PS8_PKS8_NS0_5tupleIJPS7_S8_EEENSG_IJSD_SD_EEENS0_18inequality_wrapperIN6hipcub16HIPCUB_304000_NS8EqualityEEEPlJS8_EEE10hipError_tPvRmT3_T4_T5_T6_T7_T9_mT8_P12ihipStream_tbDpT10_ENKUlT_T0_E_clISt17integral_constantIbLb1EES19_EEDaS14_S15_EUlS14_E_NS1_11comp_targetILNS1_3genE0ELNS1_11target_archE4294967295ELNS1_3gpuE0ELNS1_3repE0EEENS1_30default_config_static_selectorELNS0_4arch9wavefront6targetE1EEEvT1_.kd
    .uniform_work_group_size: 1
    .uses_dynamic_stack: false
    .vgpr_count:     0
    .vgpr_spill_count: 0
    .wavefront_size: 64
  - .agpr_count:     0
    .args:
      - .offset:         0
        .size:           128
        .value_kind:     by_value
    .group_segment_fixed_size: 30728
    .kernarg_segment_align: 8
    .kernarg_segment_size: 128
    .language:       OpenCL C
    .language_version:
      - 2
      - 0
    .max_flat_workgroup_size: 512
    .name:           _ZN7rocprim17ROCPRIM_400000_NS6detail17trampoline_kernelINS0_14default_configENS1_25partition_config_selectorILNS1_17partition_subalgoE8EN3c108BFloat16ENS0_10empty_typeEbEEZZNS1_14partition_implILS5_8ELb0ES3_jPKS7_PS8_PKS8_NS0_5tupleIJPS7_S8_EEENSG_IJSD_SD_EEENS0_18inequality_wrapperIN6hipcub16HIPCUB_304000_NS8EqualityEEEPlJS8_EEE10hipError_tPvRmT3_T4_T5_T6_T7_T9_mT8_P12ihipStream_tbDpT10_ENKUlT_T0_E_clISt17integral_constantIbLb1EES19_EEDaS14_S15_EUlS14_E_NS1_11comp_targetILNS1_3genE5ELNS1_11target_archE942ELNS1_3gpuE9ELNS1_3repE0EEENS1_30default_config_static_selectorELNS0_4arch9wavefront6targetE1EEEvT1_
    .private_segment_fixed_size: 0
    .sgpr_count:     46
    .sgpr_spill_count: 0
    .symbol:         _ZN7rocprim17ROCPRIM_400000_NS6detail17trampoline_kernelINS0_14default_configENS1_25partition_config_selectorILNS1_17partition_subalgoE8EN3c108BFloat16ENS0_10empty_typeEbEEZZNS1_14partition_implILS5_8ELb0ES3_jPKS7_PS8_PKS8_NS0_5tupleIJPS7_S8_EEENSG_IJSD_SD_EEENS0_18inequality_wrapperIN6hipcub16HIPCUB_304000_NS8EqualityEEEPlJS8_EEE10hipError_tPvRmT3_T4_T5_T6_T7_T9_mT8_P12ihipStream_tbDpT10_ENKUlT_T0_E_clISt17integral_constantIbLb1EES19_EEDaS14_S15_EUlS14_E_NS1_11comp_targetILNS1_3genE5ELNS1_11target_archE942ELNS1_3gpuE9ELNS1_3repE0EEENS1_30default_config_static_selectorELNS0_4arch9wavefront6targetE1EEEvT1_.kd
    .uniform_work_group_size: 1
    .uses_dynamic_stack: false
    .vgpr_count:     116
    .vgpr_spill_count: 0
    .wavefront_size: 64
  - .agpr_count:     0
    .args:
      - .offset:         0
        .size:           128
        .value_kind:     by_value
    .group_segment_fixed_size: 0
    .kernarg_segment_align: 8
    .kernarg_segment_size: 128
    .language:       OpenCL C
    .language_version:
      - 2
      - 0
    .max_flat_workgroup_size: 256
    .name:           _ZN7rocprim17ROCPRIM_400000_NS6detail17trampoline_kernelINS0_14default_configENS1_25partition_config_selectorILNS1_17partition_subalgoE8EN3c108BFloat16ENS0_10empty_typeEbEEZZNS1_14partition_implILS5_8ELb0ES3_jPKS7_PS8_PKS8_NS0_5tupleIJPS7_S8_EEENSG_IJSD_SD_EEENS0_18inequality_wrapperIN6hipcub16HIPCUB_304000_NS8EqualityEEEPlJS8_EEE10hipError_tPvRmT3_T4_T5_T6_T7_T9_mT8_P12ihipStream_tbDpT10_ENKUlT_T0_E_clISt17integral_constantIbLb1EES19_EEDaS14_S15_EUlS14_E_NS1_11comp_targetILNS1_3genE4ELNS1_11target_archE910ELNS1_3gpuE8ELNS1_3repE0EEENS1_30default_config_static_selectorELNS0_4arch9wavefront6targetE1EEEvT1_
    .private_segment_fixed_size: 0
    .sgpr_count:     6
    .sgpr_spill_count: 0
    .symbol:         _ZN7rocprim17ROCPRIM_400000_NS6detail17trampoline_kernelINS0_14default_configENS1_25partition_config_selectorILNS1_17partition_subalgoE8EN3c108BFloat16ENS0_10empty_typeEbEEZZNS1_14partition_implILS5_8ELb0ES3_jPKS7_PS8_PKS8_NS0_5tupleIJPS7_S8_EEENSG_IJSD_SD_EEENS0_18inequality_wrapperIN6hipcub16HIPCUB_304000_NS8EqualityEEEPlJS8_EEE10hipError_tPvRmT3_T4_T5_T6_T7_T9_mT8_P12ihipStream_tbDpT10_ENKUlT_T0_E_clISt17integral_constantIbLb1EES19_EEDaS14_S15_EUlS14_E_NS1_11comp_targetILNS1_3genE4ELNS1_11target_archE910ELNS1_3gpuE8ELNS1_3repE0EEENS1_30default_config_static_selectorELNS0_4arch9wavefront6targetE1EEEvT1_.kd
    .uniform_work_group_size: 1
    .uses_dynamic_stack: false
    .vgpr_count:     0
    .vgpr_spill_count: 0
    .wavefront_size: 64
  - .agpr_count:     0
    .args:
      - .offset:         0
        .size:           128
        .value_kind:     by_value
    .group_segment_fixed_size: 0
    .kernarg_segment_align: 8
    .kernarg_segment_size: 128
    .language:       OpenCL C
    .language_version:
      - 2
      - 0
    .max_flat_workgroup_size: 256
    .name:           _ZN7rocprim17ROCPRIM_400000_NS6detail17trampoline_kernelINS0_14default_configENS1_25partition_config_selectorILNS1_17partition_subalgoE8EN3c108BFloat16ENS0_10empty_typeEbEEZZNS1_14partition_implILS5_8ELb0ES3_jPKS7_PS8_PKS8_NS0_5tupleIJPS7_S8_EEENSG_IJSD_SD_EEENS0_18inequality_wrapperIN6hipcub16HIPCUB_304000_NS8EqualityEEEPlJS8_EEE10hipError_tPvRmT3_T4_T5_T6_T7_T9_mT8_P12ihipStream_tbDpT10_ENKUlT_T0_E_clISt17integral_constantIbLb1EES19_EEDaS14_S15_EUlS14_E_NS1_11comp_targetILNS1_3genE3ELNS1_11target_archE908ELNS1_3gpuE7ELNS1_3repE0EEENS1_30default_config_static_selectorELNS0_4arch9wavefront6targetE1EEEvT1_
    .private_segment_fixed_size: 0
    .sgpr_count:     6
    .sgpr_spill_count: 0
    .symbol:         _ZN7rocprim17ROCPRIM_400000_NS6detail17trampoline_kernelINS0_14default_configENS1_25partition_config_selectorILNS1_17partition_subalgoE8EN3c108BFloat16ENS0_10empty_typeEbEEZZNS1_14partition_implILS5_8ELb0ES3_jPKS7_PS8_PKS8_NS0_5tupleIJPS7_S8_EEENSG_IJSD_SD_EEENS0_18inequality_wrapperIN6hipcub16HIPCUB_304000_NS8EqualityEEEPlJS8_EEE10hipError_tPvRmT3_T4_T5_T6_T7_T9_mT8_P12ihipStream_tbDpT10_ENKUlT_T0_E_clISt17integral_constantIbLb1EES19_EEDaS14_S15_EUlS14_E_NS1_11comp_targetILNS1_3genE3ELNS1_11target_archE908ELNS1_3gpuE7ELNS1_3repE0EEENS1_30default_config_static_selectorELNS0_4arch9wavefront6targetE1EEEvT1_.kd
    .uniform_work_group_size: 1
    .uses_dynamic_stack: false
    .vgpr_count:     0
    .vgpr_spill_count: 0
    .wavefront_size: 64
  - .agpr_count:     0
    .args:
      - .offset:         0
        .size:           128
        .value_kind:     by_value
    .group_segment_fixed_size: 0
    .kernarg_segment_align: 8
    .kernarg_segment_size: 128
    .language:       OpenCL C
    .language_version:
      - 2
      - 0
    .max_flat_workgroup_size: 192
    .name:           _ZN7rocprim17ROCPRIM_400000_NS6detail17trampoline_kernelINS0_14default_configENS1_25partition_config_selectorILNS1_17partition_subalgoE8EN3c108BFloat16ENS0_10empty_typeEbEEZZNS1_14partition_implILS5_8ELb0ES3_jPKS7_PS8_PKS8_NS0_5tupleIJPS7_S8_EEENSG_IJSD_SD_EEENS0_18inequality_wrapperIN6hipcub16HIPCUB_304000_NS8EqualityEEEPlJS8_EEE10hipError_tPvRmT3_T4_T5_T6_T7_T9_mT8_P12ihipStream_tbDpT10_ENKUlT_T0_E_clISt17integral_constantIbLb1EES19_EEDaS14_S15_EUlS14_E_NS1_11comp_targetILNS1_3genE2ELNS1_11target_archE906ELNS1_3gpuE6ELNS1_3repE0EEENS1_30default_config_static_selectorELNS0_4arch9wavefront6targetE1EEEvT1_
    .private_segment_fixed_size: 0
    .sgpr_count:     6
    .sgpr_spill_count: 0
    .symbol:         _ZN7rocprim17ROCPRIM_400000_NS6detail17trampoline_kernelINS0_14default_configENS1_25partition_config_selectorILNS1_17partition_subalgoE8EN3c108BFloat16ENS0_10empty_typeEbEEZZNS1_14partition_implILS5_8ELb0ES3_jPKS7_PS8_PKS8_NS0_5tupleIJPS7_S8_EEENSG_IJSD_SD_EEENS0_18inequality_wrapperIN6hipcub16HIPCUB_304000_NS8EqualityEEEPlJS8_EEE10hipError_tPvRmT3_T4_T5_T6_T7_T9_mT8_P12ihipStream_tbDpT10_ENKUlT_T0_E_clISt17integral_constantIbLb1EES19_EEDaS14_S15_EUlS14_E_NS1_11comp_targetILNS1_3genE2ELNS1_11target_archE906ELNS1_3gpuE6ELNS1_3repE0EEENS1_30default_config_static_selectorELNS0_4arch9wavefront6targetE1EEEvT1_.kd
    .uniform_work_group_size: 1
    .uses_dynamic_stack: false
    .vgpr_count:     0
    .vgpr_spill_count: 0
    .wavefront_size: 64
  - .agpr_count:     0
    .args:
      - .offset:         0
        .size:           128
        .value_kind:     by_value
    .group_segment_fixed_size: 0
    .kernarg_segment_align: 8
    .kernarg_segment_size: 128
    .language:       OpenCL C
    .language_version:
      - 2
      - 0
    .max_flat_workgroup_size: 256
    .name:           _ZN7rocprim17ROCPRIM_400000_NS6detail17trampoline_kernelINS0_14default_configENS1_25partition_config_selectorILNS1_17partition_subalgoE8EN3c108BFloat16ENS0_10empty_typeEbEEZZNS1_14partition_implILS5_8ELb0ES3_jPKS7_PS8_PKS8_NS0_5tupleIJPS7_S8_EEENSG_IJSD_SD_EEENS0_18inequality_wrapperIN6hipcub16HIPCUB_304000_NS8EqualityEEEPlJS8_EEE10hipError_tPvRmT3_T4_T5_T6_T7_T9_mT8_P12ihipStream_tbDpT10_ENKUlT_T0_E_clISt17integral_constantIbLb1EES19_EEDaS14_S15_EUlS14_E_NS1_11comp_targetILNS1_3genE10ELNS1_11target_archE1200ELNS1_3gpuE4ELNS1_3repE0EEENS1_30default_config_static_selectorELNS0_4arch9wavefront6targetE1EEEvT1_
    .private_segment_fixed_size: 0
    .sgpr_count:     6
    .sgpr_spill_count: 0
    .symbol:         _ZN7rocprim17ROCPRIM_400000_NS6detail17trampoline_kernelINS0_14default_configENS1_25partition_config_selectorILNS1_17partition_subalgoE8EN3c108BFloat16ENS0_10empty_typeEbEEZZNS1_14partition_implILS5_8ELb0ES3_jPKS7_PS8_PKS8_NS0_5tupleIJPS7_S8_EEENSG_IJSD_SD_EEENS0_18inequality_wrapperIN6hipcub16HIPCUB_304000_NS8EqualityEEEPlJS8_EEE10hipError_tPvRmT3_T4_T5_T6_T7_T9_mT8_P12ihipStream_tbDpT10_ENKUlT_T0_E_clISt17integral_constantIbLb1EES19_EEDaS14_S15_EUlS14_E_NS1_11comp_targetILNS1_3genE10ELNS1_11target_archE1200ELNS1_3gpuE4ELNS1_3repE0EEENS1_30default_config_static_selectorELNS0_4arch9wavefront6targetE1EEEvT1_.kd
    .uniform_work_group_size: 1
    .uses_dynamic_stack: false
    .vgpr_count:     0
    .vgpr_spill_count: 0
    .wavefront_size: 64
  - .agpr_count:     0
    .args:
      - .offset:         0
        .size:           128
        .value_kind:     by_value
    .group_segment_fixed_size: 0
    .kernarg_segment_align: 8
    .kernarg_segment_size: 128
    .language:       OpenCL C
    .language_version:
      - 2
      - 0
    .max_flat_workgroup_size: 128
    .name:           _ZN7rocprim17ROCPRIM_400000_NS6detail17trampoline_kernelINS0_14default_configENS1_25partition_config_selectorILNS1_17partition_subalgoE8EN3c108BFloat16ENS0_10empty_typeEbEEZZNS1_14partition_implILS5_8ELb0ES3_jPKS7_PS8_PKS8_NS0_5tupleIJPS7_S8_EEENSG_IJSD_SD_EEENS0_18inequality_wrapperIN6hipcub16HIPCUB_304000_NS8EqualityEEEPlJS8_EEE10hipError_tPvRmT3_T4_T5_T6_T7_T9_mT8_P12ihipStream_tbDpT10_ENKUlT_T0_E_clISt17integral_constantIbLb1EES19_EEDaS14_S15_EUlS14_E_NS1_11comp_targetILNS1_3genE9ELNS1_11target_archE1100ELNS1_3gpuE3ELNS1_3repE0EEENS1_30default_config_static_selectorELNS0_4arch9wavefront6targetE1EEEvT1_
    .private_segment_fixed_size: 0
    .sgpr_count:     6
    .sgpr_spill_count: 0
    .symbol:         _ZN7rocprim17ROCPRIM_400000_NS6detail17trampoline_kernelINS0_14default_configENS1_25partition_config_selectorILNS1_17partition_subalgoE8EN3c108BFloat16ENS0_10empty_typeEbEEZZNS1_14partition_implILS5_8ELb0ES3_jPKS7_PS8_PKS8_NS0_5tupleIJPS7_S8_EEENSG_IJSD_SD_EEENS0_18inequality_wrapperIN6hipcub16HIPCUB_304000_NS8EqualityEEEPlJS8_EEE10hipError_tPvRmT3_T4_T5_T6_T7_T9_mT8_P12ihipStream_tbDpT10_ENKUlT_T0_E_clISt17integral_constantIbLb1EES19_EEDaS14_S15_EUlS14_E_NS1_11comp_targetILNS1_3genE9ELNS1_11target_archE1100ELNS1_3gpuE3ELNS1_3repE0EEENS1_30default_config_static_selectorELNS0_4arch9wavefront6targetE1EEEvT1_.kd
    .uniform_work_group_size: 1
    .uses_dynamic_stack: false
    .vgpr_count:     0
    .vgpr_spill_count: 0
    .wavefront_size: 64
  - .agpr_count:     0
    .args:
      - .offset:         0
        .size:           128
        .value_kind:     by_value
    .group_segment_fixed_size: 0
    .kernarg_segment_align: 8
    .kernarg_segment_size: 128
    .language:       OpenCL C
    .language_version:
      - 2
      - 0
    .max_flat_workgroup_size: 384
    .name:           _ZN7rocprim17ROCPRIM_400000_NS6detail17trampoline_kernelINS0_14default_configENS1_25partition_config_selectorILNS1_17partition_subalgoE8EN3c108BFloat16ENS0_10empty_typeEbEEZZNS1_14partition_implILS5_8ELb0ES3_jPKS7_PS8_PKS8_NS0_5tupleIJPS7_S8_EEENSG_IJSD_SD_EEENS0_18inequality_wrapperIN6hipcub16HIPCUB_304000_NS8EqualityEEEPlJS8_EEE10hipError_tPvRmT3_T4_T5_T6_T7_T9_mT8_P12ihipStream_tbDpT10_ENKUlT_T0_E_clISt17integral_constantIbLb1EES19_EEDaS14_S15_EUlS14_E_NS1_11comp_targetILNS1_3genE8ELNS1_11target_archE1030ELNS1_3gpuE2ELNS1_3repE0EEENS1_30default_config_static_selectorELNS0_4arch9wavefront6targetE1EEEvT1_
    .private_segment_fixed_size: 0
    .sgpr_count:     6
    .sgpr_spill_count: 0
    .symbol:         _ZN7rocprim17ROCPRIM_400000_NS6detail17trampoline_kernelINS0_14default_configENS1_25partition_config_selectorILNS1_17partition_subalgoE8EN3c108BFloat16ENS0_10empty_typeEbEEZZNS1_14partition_implILS5_8ELb0ES3_jPKS7_PS8_PKS8_NS0_5tupleIJPS7_S8_EEENSG_IJSD_SD_EEENS0_18inequality_wrapperIN6hipcub16HIPCUB_304000_NS8EqualityEEEPlJS8_EEE10hipError_tPvRmT3_T4_T5_T6_T7_T9_mT8_P12ihipStream_tbDpT10_ENKUlT_T0_E_clISt17integral_constantIbLb1EES19_EEDaS14_S15_EUlS14_E_NS1_11comp_targetILNS1_3genE8ELNS1_11target_archE1030ELNS1_3gpuE2ELNS1_3repE0EEENS1_30default_config_static_selectorELNS0_4arch9wavefront6targetE1EEEvT1_.kd
    .uniform_work_group_size: 1
    .uses_dynamic_stack: false
    .vgpr_count:     0
    .vgpr_spill_count: 0
    .wavefront_size: 64
  - .agpr_count:     0
    .args:
      - .offset:         0
        .size:           112
        .value_kind:     by_value
    .group_segment_fixed_size: 0
    .kernarg_segment_align: 8
    .kernarg_segment_size: 112
    .language:       OpenCL C
    .language_version:
      - 2
      - 0
    .max_flat_workgroup_size: 256
    .name:           _ZN7rocprim17ROCPRIM_400000_NS6detail17trampoline_kernelINS0_14default_configENS1_25partition_config_selectorILNS1_17partition_subalgoE8EN3c108BFloat16ENS0_10empty_typeEbEEZZNS1_14partition_implILS5_8ELb0ES3_jPKS7_PS8_PKS8_NS0_5tupleIJPS7_S8_EEENSG_IJSD_SD_EEENS0_18inequality_wrapperIN6hipcub16HIPCUB_304000_NS8EqualityEEEPlJS8_EEE10hipError_tPvRmT3_T4_T5_T6_T7_T9_mT8_P12ihipStream_tbDpT10_ENKUlT_T0_E_clISt17integral_constantIbLb1EES18_IbLb0EEEEDaS14_S15_EUlS14_E_NS1_11comp_targetILNS1_3genE0ELNS1_11target_archE4294967295ELNS1_3gpuE0ELNS1_3repE0EEENS1_30default_config_static_selectorELNS0_4arch9wavefront6targetE1EEEvT1_
    .private_segment_fixed_size: 0
    .sgpr_count:     6
    .sgpr_spill_count: 0
    .symbol:         _ZN7rocprim17ROCPRIM_400000_NS6detail17trampoline_kernelINS0_14default_configENS1_25partition_config_selectorILNS1_17partition_subalgoE8EN3c108BFloat16ENS0_10empty_typeEbEEZZNS1_14partition_implILS5_8ELb0ES3_jPKS7_PS8_PKS8_NS0_5tupleIJPS7_S8_EEENSG_IJSD_SD_EEENS0_18inequality_wrapperIN6hipcub16HIPCUB_304000_NS8EqualityEEEPlJS8_EEE10hipError_tPvRmT3_T4_T5_T6_T7_T9_mT8_P12ihipStream_tbDpT10_ENKUlT_T0_E_clISt17integral_constantIbLb1EES18_IbLb0EEEEDaS14_S15_EUlS14_E_NS1_11comp_targetILNS1_3genE0ELNS1_11target_archE4294967295ELNS1_3gpuE0ELNS1_3repE0EEENS1_30default_config_static_selectorELNS0_4arch9wavefront6targetE1EEEvT1_.kd
    .uniform_work_group_size: 1
    .uses_dynamic_stack: false
    .vgpr_count:     0
    .vgpr_spill_count: 0
    .wavefront_size: 64
  - .agpr_count:     0
    .args:
      - .offset:         0
        .size:           112
        .value_kind:     by_value
    .group_segment_fixed_size: 30728
    .kernarg_segment_align: 8
    .kernarg_segment_size: 112
    .language:       OpenCL C
    .language_version:
      - 2
      - 0
    .max_flat_workgroup_size: 512
    .name:           _ZN7rocprim17ROCPRIM_400000_NS6detail17trampoline_kernelINS0_14default_configENS1_25partition_config_selectorILNS1_17partition_subalgoE8EN3c108BFloat16ENS0_10empty_typeEbEEZZNS1_14partition_implILS5_8ELb0ES3_jPKS7_PS8_PKS8_NS0_5tupleIJPS7_S8_EEENSG_IJSD_SD_EEENS0_18inequality_wrapperIN6hipcub16HIPCUB_304000_NS8EqualityEEEPlJS8_EEE10hipError_tPvRmT3_T4_T5_T6_T7_T9_mT8_P12ihipStream_tbDpT10_ENKUlT_T0_E_clISt17integral_constantIbLb1EES18_IbLb0EEEEDaS14_S15_EUlS14_E_NS1_11comp_targetILNS1_3genE5ELNS1_11target_archE942ELNS1_3gpuE9ELNS1_3repE0EEENS1_30default_config_static_selectorELNS0_4arch9wavefront6targetE1EEEvT1_
    .private_segment_fixed_size: 0
    .sgpr_count:     46
    .sgpr_spill_count: 0
    .symbol:         _ZN7rocprim17ROCPRIM_400000_NS6detail17trampoline_kernelINS0_14default_configENS1_25partition_config_selectorILNS1_17partition_subalgoE8EN3c108BFloat16ENS0_10empty_typeEbEEZZNS1_14partition_implILS5_8ELb0ES3_jPKS7_PS8_PKS8_NS0_5tupleIJPS7_S8_EEENSG_IJSD_SD_EEENS0_18inequality_wrapperIN6hipcub16HIPCUB_304000_NS8EqualityEEEPlJS8_EEE10hipError_tPvRmT3_T4_T5_T6_T7_T9_mT8_P12ihipStream_tbDpT10_ENKUlT_T0_E_clISt17integral_constantIbLb1EES18_IbLb0EEEEDaS14_S15_EUlS14_E_NS1_11comp_targetILNS1_3genE5ELNS1_11target_archE942ELNS1_3gpuE9ELNS1_3repE0EEENS1_30default_config_static_selectorELNS0_4arch9wavefront6targetE1EEEvT1_.kd
    .uniform_work_group_size: 1
    .uses_dynamic_stack: false
    .vgpr_count:     112
    .vgpr_spill_count: 0
    .wavefront_size: 64
  - .agpr_count:     0
    .args:
      - .offset:         0
        .size:           112
        .value_kind:     by_value
    .group_segment_fixed_size: 0
    .kernarg_segment_align: 8
    .kernarg_segment_size: 112
    .language:       OpenCL C
    .language_version:
      - 2
      - 0
    .max_flat_workgroup_size: 256
    .name:           _ZN7rocprim17ROCPRIM_400000_NS6detail17trampoline_kernelINS0_14default_configENS1_25partition_config_selectorILNS1_17partition_subalgoE8EN3c108BFloat16ENS0_10empty_typeEbEEZZNS1_14partition_implILS5_8ELb0ES3_jPKS7_PS8_PKS8_NS0_5tupleIJPS7_S8_EEENSG_IJSD_SD_EEENS0_18inequality_wrapperIN6hipcub16HIPCUB_304000_NS8EqualityEEEPlJS8_EEE10hipError_tPvRmT3_T4_T5_T6_T7_T9_mT8_P12ihipStream_tbDpT10_ENKUlT_T0_E_clISt17integral_constantIbLb1EES18_IbLb0EEEEDaS14_S15_EUlS14_E_NS1_11comp_targetILNS1_3genE4ELNS1_11target_archE910ELNS1_3gpuE8ELNS1_3repE0EEENS1_30default_config_static_selectorELNS0_4arch9wavefront6targetE1EEEvT1_
    .private_segment_fixed_size: 0
    .sgpr_count:     6
    .sgpr_spill_count: 0
    .symbol:         _ZN7rocprim17ROCPRIM_400000_NS6detail17trampoline_kernelINS0_14default_configENS1_25partition_config_selectorILNS1_17partition_subalgoE8EN3c108BFloat16ENS0_10empty_typeEbEEZZNS1_14partition_implILS5_8ELb0ES3_jPKS7_PS8_PKS8_NS0_5tupleIJPS7_S8_EEENSG_IJSD_SD_EEENS0_18inequality_wrapperIN6hipcub16HIPCUB_304000_NS8EqualityEEEPlJS8_EEE10hipError_tPvRmT3_T4_T5_T6_T7_T9_mT8_P12ihipStream_tbDpT10_ENKUlT_T0_E_clISt17integral_constantIbLb1EES18_IbLb0EEEEDaS14_S15_EUlS14_E_NS1_11comp_targetILNS1_3genE4ELNS1_11target_archE910ELNS1_3gpuE8ELNS1_3repE0EEENS1_30default_config_static_selectorELNS0_4arch9wavefront6targetE1EEEvT1_.kd
    .uniform_work_group_size: 1
    .uses_dynamic_stack: false
    .vgpr_count:     0
    .vgpr_spill_count: 0
    .wavefront_size: 64
  - .agpr_count:     0
    .args:
      - .offset:         0
        .size:           112
        .value_kind:     by_value
    .group_segment_fixed_size: 0
    .kernarg_segment_align: 8
    .kernarg_segment_size: 112
    .language:       OpenCL C
    .language_version:
      - 2
      - 0
    .max_flat_workgroup_size: 256
    .name:           _ZN7rocprim17ROCPRIM_400000_NS6detail17trampoline_kernelINS0_14default_configENS1_25partition_config_selectorILNS1_17partition_subalgoE8EN3c108BFloat16ENS0_10empty_typeEbEEZZNS1_14partition_implILS5_8ELb0ES3_jPKS7_PS8_PKS8_NS0_5tupleIJPS7_S8_EEENSG_IJSD_SD_EEENS0_18inequality_wrapperIN6hipcub16HIPCUB_304000_NS8EqualityEEEPlJS8_EEE10hipError_tPvRmT3_T4_T5_T6_T7_T9_mT8_P12ihipStream_tbDpT10_ENKUlT_T0_E_clISt17integral_constantIbLb1EES18_IbLb0EEEEDaS14_S15_EUlS14_E_NS1_11comp_targetILNS1_3genE3ELNS1_11target_archE908ELNS1_3gpuE7ELNS1_3repE0EEENS1_30default_config_static_selectorELNS0_4arch9wavefront6targetE1EEEvT1_
    .private_segment_fixed_size: 0
    .sgpr_count:     6
    .sgpr_spill_count: 0
    .symbol:         _ZN7rocprim17ROCPRIM_400000_NS6detail17trampoline_kernelINS0_14default_configENS1_25partition_config_selectorILNS1_17partition_subalgoE8EN3c108BFloat16ENS0_10empty_typeEbEEZZNS1_14partition_implILS5_8ELb0ES3_jPKS7_PS8_PKS8_NS0_5tupleIJPS7_S8_EEENSG_IJSD_SD_EEENS0_18inequality_wrapperIN6hipcub16HIPCUB_304000_NS8EqualityEEEPlJS8_EEE10hipError_tPvRmT3_T4_T5_T6_T7_T9_mT8_P12ihipStream_tbDpT10_ENKUlT_T0_E_clISt17integral_constantIbLb1EES18_IbLb0EEEEDaS14_S15_EUlS14_E_NS1_11comp_targetILNS1_3genE3ELNS1_11target_archE908ELNS1_3gpuE7ELNS1_3repE0EEENS1_30default_config_static_selectorELNS0_4arch9wavefront6targetE1EEEvT1_.kd
    .uniform_work_group_size: 1
    .uses_dynamic_stack: false
    .vgpr_count:     0
    .vgpr_spill_count: 0
    .wavefront_size: 64
  - .agpr_count:     0
    .args:
      - .offset:         0
        .size:           112
        .value_kind:     by_value
    .group_segment_fixed_size: 0
    .kernarg_segment_align: 8
    .kernarg_segment_size: 112
    .language:       OpenCL C
    .language_version:
      - 2
      - 0
    .max_flat_workgroup_size: 192
    .name:           _ZN7rocprim17ROCPRIM_400000_NS6detail17trampoline_kernelINS0_14default_configENS1_25partition_config_selectorILNS1_17partition_subalgoE8EN3c108BFloat16ENS0_10empty_typeEbEEZZNS1_14partition_implILS5_8ELb0ES3_jPKS7_PS8_PKS8_NS0_5tupleIJPS7_S8_EEENSG_IJSD_SD_EEENS0_18inequality_wrapperIN6hipcub16HIPCUB_304000_NS8EqualityEEEPlJS8_EEE10hipError_tPvRmT3_T4_T5_T6_T7_T9_mT8_P12ihipStream_tbDpT10_ENKUlT_T0_E_clISt17integral_constantIbLb1EES18_IbLb0EEEEDaS14_S15_EUlS14_E_NS1_11comp_targetILNS1_3genE2ELNS1_11target_archE906ELNS1_3gpuE6ELNS1_3repE0EEENS1_30default_config_static_selectorELNS0_4arch9wavefront6targetE1EEEvT1_
    .private_segment_fixed_size: 0
    .sgpr_count:     6
    .sgpr_spill_count: 0
    .symbol:         _ZN7rocprim17ROCPRIM_400000_NS6detail17trampoline_kernelINS0_14default_configENS1_25partition_config_selectorILNS1_17partition_subalgoE8EN3c108BFloat16ENS0_10empty_typeEbEEZZNS1_14partition_implILS5_8ELb0ES3_jPKS7_PS8_PKS8_NS0_5tupleIJPS7_S8_EEENSG_IJSD_SD_EEENS0_18inequality_wrapperIN6hipcub16HIPCUB_304000_NS8EqualityEEEPlJS8_EEE10hipError_tPvRmT3_T4_T5_T6_T7_T9_mT8_P12ihipStream_tbDpT10_ENKUlT_T0_E_clISt17integral_constantIbLb1EES18_IbLb0EEEEDaS14_S15_EUlS14_E_NS1_11comp_targetILNS1_3genE2ELNS1_11target_archE906ELNS1_3gpuE6ELNS1_3repE0EEENS1_30default_config_static_selectorELNS0_4arch9wavefront6targetE1EEEvT1_.kd
    .uniform_work_group_size: 1
    .uses_dynamic_stack: false
    .vgpr_count:     0
    .vgpr_spill_count: 0
    .wavefront_size: 64
  - .agpr_count:     0
    .args:
      - .offset:         0
        .size:           112
        .value_kind:     by_value
    .group_segment_fixed_size: 0
    .kernarg_segment_align: 8
    .kernarg_segment_size: 112
    .language:       OpenCL C
    .language_version:
      - 2
      - 0
    .max_flat_workgroup_size: 256
    .name:           _ZN7rocprim17ROCPRIM_400000_NS6detail17trampoline_kernelINS0_14default_configENS1_25partition_config_selectorILNS1_17partition_subalgoE8EN3c108BFloat16ENS0_10empty_typeEbEEZZNS1_14partition_implILS5_8ELb0ES3_jPKS7_PS8_PKS8_NS0_5tupleIJPS7_S8_EEENSG_IJSD_SD_EEENS0_18inequality_wrapperIN6hipcub16HIPCUB_304000_NS8EqualityEEEPlJS8_EEE10hipError_tPvRmT3_T4_T5_T6_T7_T9_mT8_P12ihipStream_tbDpT10_ENKUlT_T0_E_clISt17integral_constantIbLb1EES18_IbLb0EEEEDaS14_S15_EUlS14_E_NS1_11comp_targetILNS1_3genE10ELNS1_11target_archE1200ELNS1_3gpuE4ELNS1_3repE0EEENS1_30default_config_static_selectorELNS0_4arch9wavefront6targetE1EEEvT1_
    .private_segment_fixed_size: 0
    .sgpr_count:     6
    .sgpr_spill_count: 0
    .symbol:         _ZN7rocprim17ROCPRIM_400000_NS6detail17trampoline_kernelINS0_14default_configENS1_25partition_config_selectorILNS1_17partition_subalgoE8EN3c108BFloat16ENS0_10empty_typeEbEEZZNS1_14partition_implILS5_8ELb0ES3_jPKS7_PS8_PKS8_NS0_5tupleIJPS7_S8_EEENSG_IJSD_SD_EEENS0_18inequality_wrapperIN6hipcub16HIPCUB_304000_NS8EqualityEEEPlJS8_EEE10hipError_tPvRmT3_T4_T5_T6_T7_T9_mT8_P12ihipStream_tbDpT10_ENKUlT_T0_E_clISt17integral_constantIbLb1EES18_IbLb0EEEEDaS14_S15_EUlS14_E_NS1_11comp_targetILNS1_3genE10ELNS1_11target_archE1200ELNS1_3gpuE4ELNS1_3repE0EEENS1_30default_config_static_selectorELNS0_4arch9wavefront6targetE1EEEvT1_.kd
    .uniform_work_group_size: 1
    .uses_dynamic_stack: false
    .vgpr_count:     0
    .vgpr_spill_count: 0
    .wavefront_size: 64
  - .agpr_count:     0
    .args:
      - .offset:         0
        .size:           112
        .value_kind:     by_value
    .group_segment_fixed_size: 0
    .kernarg_segment_align: 8
    .kernarg_segment_size: 112
    .language:       OpenCL C
    .language_version:
      - 2
      - 0
    .max_flat_workgroup_size: 128
    .name:           _ZN7rocprim17ROCPRIM_400000_NS6detail17trampoline_kernelINS0_14default_configENS1_25partition_config_selectorILNS1_17partition_subalgoE8EN3c108BFloat16ENS0_10empty_typeEbEEZZNS1_14partition_implILS5_8ELb0ES3_jPKS7_PS8_PKS8_NS0_5tupleIJPS7_S8_EEENSG_IJSD_SD_EEENS0_18inequality_wrapperIN6hipcub16HIPCUB_304000_NS8EqualityEEEPlJS8_EEE10hipError_tPvRmT3_T4_T5_T6_T7_T9_mT8_P12ihipStream_tbDpT10_ENKUlT_T0_E_clISt17integral_constantIbLb1EES18_IbLb0EEEEDaS14_S15_EUlS14_E_NS1_11comp_targetILNS1_3genE9ELNS1_11target_archE1100ELNS1_3gpuE3ELNS1_3repE0EEENS1_30default_config_static_selectorELNS0_4arch9wavefront6targetE1EEEvT1_
    .private_segment_fixed_size: 0
    .sgpr_count:     6
    .sgpr_spill_count: 0
    .symbol:         _ZN7rocprim17ROCPRIM_400000_NS6detail17trampoline_kernelINS0_14default_configENS1_25partition_config_selectorILNS1_17partition_subalgoE8EN3c108BFloat16ENS0_10empty_typeEbEEZZNS1_14partition_implILS5_8ELb0ES3_jPKS7_PS8_PKS8_NS0_5tupleIJPS7_S8_EEENSG_IJSD_SD_EEENS0_18inequality_wrapperIN6hipcub16HIPCUB_304000_NS8EqualityEEEPlJS8_EEE10hipError_tPvRmT3_T4_T5_T6_T7_T9_mT8_P12ihipStream_tbDpT10_ENKUlT_T0_E_clISt17integral_constantIbLb1EES18_IbLb0EEEEDaS14_S15_EUlS14_E_NS1_11comp_targetILNS1_3genE9ELNS1_11target_archE1100ELNS1_3gpuE3ELNS1_3repE0EEENS1_30default_config_static_selectorELNS0_4arch9wavefront6targetE1EEEvT1_.kd
    .uniform_work_group_size: 1
    .uses_dynamic_stack: false
    .vgpr_count:     0
    .vgpr_spill_count: 0
    .wavefront_size: 64
  - .agpr_count:     0
    .args:
      - .offset:         0
        .size:           112
        .value_kind:     by_value
    .group_segment_fixed_size: 0
    .kernarg_segment_align: 8
    .kernarg_segment_size: 112
    .language:       OpenCL C
    .language_version:
      - 2
      - 0
    .max_flat_workgroup_size: 384
    .name:           _ZN7rocprim17ROCPRIM_400000_NS6detail17trampoline_kernelINS0_14default_configENS1_25partition_config_selectorILNS1_17partition_subalgoE8EN3c108BFloat16ENS0_10empty_typeEbEEZZNS1_14partition_implILS5_8ELb0ES3_jPKS7_PS8_PKS8_NS0_5tupleIJPS7_S8_EEENSG_IJSD_SD_EEENS0_18inequality_wrapperIN6hipcub16HIPCUB_304000_NS8EqualityEEEPlJS8_EEE10hipError_tPvRmT3_T4_T5_T6_T7_T9_mT8_P12ihipStream_tbDpT10_ENKUlT_T0_E_clISt17integral_constantIbLb1EES18_IbLb0EEEEDaS14_S15_EUlS14_E_NS1_11comp_targetILNS1_3genE8ELNS1_11target_archE1030ELNS1_3gpuE2ELNS1_3repE0EEENS1_30default_config_static_selectorELNS0_4arch9wavefront6targetE1EEEvT1_
    .private_segment_fixed_size: 0
    .sgpr_count:     6
    .sgpr_spill_count: 0
    .symbol:         _ZN7rocprim17ROCPRIM_400000_NS6detail17trampoline_kernelINS0_14default_configENS1_25partition_config_selectorILNS1_17partition_subalgoE8EN3c108BFloat16ENS0_10empty_typeEbEEZZNS1_14partition_implILS5_8ELb0ES3_jPKS7_PS8_PKS8_NS0_5tupleIJPS7_S8_EEENSG_IJSD_SD_EEENS0_18inequality_wrapperIN6hipcub16HIPCUB_304000_NS8EqualityEEEPlJS8_EEE10hipError_tPvRmT3_T4_T5_T6_T7_T9_mT8_P12ihipStream_tbDpT10_ENKUlT_T0_E_clISt17integral_constantIbLb1EES18_IbLb0EEEEDaS14_S15_EUlS14_E_NS1_11comp_targetILNS1_3genE8ELNS1_11target_archE1030ELNS1_3gpuE2ELNS1_3repE0EEENS1_30default_config_static_selectorELNS0_4arch9wavefront6targetE1EEEvT1_.kd
    .uniform_work_group_size: 1
    .uses_dynamic_stack: false
    .vgpr_count:     0
    .vgpr_spill_count: 0
    .wavefront_size: 64
  - .agpr_count:     0
    .args:
      - .offset:         0
        .size:           128
        .value_kind:     by_value
    .group_segment_fixed_size: 0
    .kernarg_segment_align: 8
    .kernarg_segment_size: 128
    .language:       OpenCL C
    .language_version:
      - 2
      - 0
    .max_flat_workgroup_size: 256
    .name:           _ZN7rocprim17ROCPRIM_400000_NS6detail17trampoline_kernelINS0_14default_configENS1_25partition_config_selectorILNS1_17partition_subalgoE8EN3c108BFloat16ENS0_10empty_typeEbEEZZNS1_14partition_implILS5_8ELb0ES3_jPKS7_PS8_PKS8_NS0_5tupleIJPS7_S8_EEENSG_IJSD_SD_EEENS0_18inequality_wrapperIN6hipcub16HIPCUB_304000_NS8EqualityEEEPlJS8_EEE10hipError_tPvRmT3_T4_T5_T6_T7_T9_mT8_P12ihipStream_tbDpT10_ENKUlT_T0_E_clISt17integral_constantIbLb0EES18_IbLb1EEEEDaS14_S15_EUlS14_E_NS1_11comp_targetILNS1_3genE0ELNS1_11target_archE4294967295ELNS1_3gpuE0ELNS1_3repE0EEENS1_30default_config_static_selectorELNS0_4arch9wavefront6targetE1EEEvT1_
    .private_segment_fixed_size: 0
    .sgpr_count:     6
    .sgpr_spill_count: 0
    .symbol:         _ZN7rocprim17ROCPRIM_400000_NS6detail17trampoline_kernelINS0_14default_configENS1_25partition_config_selectorILNS1_17partition_subalgoE8EN3c108BFloat16ENS0_10empty_typeEbEEZZNS1_14partition_implILS5_8ELb0ES3_jPKS7_PS8_PKS8_NS0_5tupleIJPS7_S8_EEENSG_IJSD_SD_EEENS0_18inequality_wrapperIN6hipcub16HIPCUB_304000_NS8EqualityEEEPlJS8_EEE10hipError_tPvRmT3_T4_T5_T6_T7_T9_mT8_P12ihipStream_tbDpT10_ENKUlT_T0_E_clISt17integral_constantIbLb0EES18_IbLb1EEEEDaS14_S15_EUlS14_E_NS1_11comp_targetILNS1_3genE0ELNS1_11target_archE4294967295ELNS1_3gpuE0ELNS1_3repE0EEENS1_30default_config_static_selectorELNS0_4arch9wavefront6targetE1EEEvT1_.kd
    .uniform_work_group_size: 1
    .uses_dynamic_stack: false
    .vgpr_count:     0
    .vgpr_spill_count: 0
    .wavefront_size: 64
  - .agpr_count:     0
    .args:
      - .offset:         0
        .size:           128
        .value_kind:     by_value
    .group_segment_fixed_size: 30728
    .kernarg_segment_align: 8
    .kernarg_segment_size: 128
    .language:       OpenCL C
    .language_version:
      - 2
      - 0
    .max_flat_workgroup_size: 512
    .name:           _ZN7rocprim17ROCPRIM_400000_NS6detail17trampoline_kernelINS0_14default_configENS1_25partition_config_selectorILNS1_17partition_subalgoE8EN3c108BFloat16ENS0_10empty_typeEbEEZZNS1_14partition_implILS5_8ELb0ES3_jPKS7_PS8_PKS8_NS0_5tupleIJPS7_S8_EEENSG_IJSD_SD_EEENS0_18inequality_wrapperIN6hipcub16HIPCUB_304000_NS8EqualityEEEPlJS8_EEE10hipError_tPvRmT3_T4_T5_T6_T7_T9_mT8_P12ihipStream_tbDpT10_ENKUlT_T0_E_clISt17integral_constantIbLb0EES18_IbLb1EEEEDaS14_S15_EUlS14_E_NS1_11comp_targetILNS1_3genE5ELNS1_11target_archE942ELNS1_3gpuE9ELNS1_3repE0EEENS1_30default_config_static_selectorELNS0_4arch9wavefront6targetE1EEEvT1_
    .private_segment_fixed_size: 0
    .sgpr_count:     44
    .sgpr_spill_count: 0
    .symbol:         _ZN7rocprim17ROCPRIM_400000_NS6detail17trampoline_kernelINS0_14default_configENS1_25partition_config_selectorILNS1_17partition_subalgoE8EN3c108BFloat16ENS0_10empty_typeEbEEZZNS1_14partition_implILS5_8ELb0ES3_jPKS7_PS8_PKS8_NS0_5tupleIJPS7_S8_EEENSG_IJSD_SD_EEENS0_18inequality_wrapperIN6hipcub16HIPCUB_304000_NS8EqualityEEEPlJS8_EEE10hipError_tPvRmT3_T4_T5_T6_T7_T9_mT8_P12ihipStream_tbDpT10_ENKUlT_T0_E_clISt17integral_constantIbLb0EES18_IbLb1EEEEDaS14_S15_EUlS14_E_NS1_11comp_targetILNS1_3genE5ELNS1_11target_archE942ELNS1_3gpuE9ELNS1_3repE0EEENS1_30default_config_static_selectorELNS0_4arch9wavefront6targetE1EEEvT1_.kd
    .uniform_work_group_size: 1
    .uses_dynamic_stack: false
    .vgpr_count:     116
    .vgpr_spill_count: 0
    .wavefront_size: 64
  - .agpr_count:     0
    .args:
      - .offset:         0
        .size:           128
        .value_kind:     by_value
    .group_segment_fixed_size: 0
    .kernarg_segment_align: 8
    .kernarg_segment_size: 128
    .language:       OpenCL C
    .language_version:
      - 2
      - 0
    .max_flat_workgroup_size: 256
    .name:           _ZN7rocprim17ROCPRIM_400000_NS6detail17trampoline_kernelINS0_14default_configENS1_25partition_config_selectorILNS1_17partition_subalgoE8EN3c108BFloat16ENS0_10empty_typeEbEEZZNS1_14partition_implILS5_8ELb0ES3_jPKS7_PS8_PKS8_NS0_5tupleIJPS7_S8_EEENSG_IJSD_SD_EEENS0_18inequality_wrapperIN6hipcub16HIPCUB_304000_NS8EqualityEEEPlJS8_EEE10hipError_tPvRmT3_T4_T5_T6_T7_T9_mT8_P12ihipStream_tbDpT10_ENKUlT_T0_E_clISt17integral_constantIbLb0EES18_IbLb1EEEEDaS14_S15_EUlS14_E_NS1_11comp_targetILNS1_3genE4ELNS1_11target_archE910ELNS1_3gpuE8ELNS1_3repE0EEENS1_30default_config_static_selectorELNS0_4arch9wavefront6targetE1EEEvT1_
    .private_segment_fixed_size: 0
    .sgpr_count:     6
    .sgpr_spill_count: 0
    .symbol:         _ZN7rocprim17ROCPRIM_400000_NS6detail17trampoline_kernelINS0_14default_configENS1_25partition_config_selectorILNS1_17partition_subalgoE8EN3c108BFloat16ENS0_10empty_typeEbEEZZNS1_14partition_implILS5_8ELb0ES3_jPKS7_PS8_PKS8_NS0_5tupleIJPS7_S8_EEENSG_IJSD_SD_EEENS0_18inequality_wrapperIN6hipcub16HIPCUB_304000_NS8EqualityEEEPlJS8_EEE10hipError_tPvRmT3_T4_T5_T6_T7_T9_mT8_P12ihipStream_tbDpT10_ENKUlT_T0_E_clISt17integral_constantIbLb0EES18_IbLb1EEEEDaS14_S15_EUlS14_E_NS1_11comp_targetILNS1_3genE4ELNS1_11target_archE910ELNS1_3gpuE8ELNS1_3repE0EEENS1_30default_config_static_selectorELNS0_4arch9wavefront6targetE1EEEvT1_.kd
    .uniform_work_group_size: 1
    .uses_dynamic_stack: false
    .vgpr_count:     0
    .vgpr_spill_count: 0
    .wavefront_size: 64
  - .agpr_count:     0
    .args:
      - .offset:         0
        .size:           128
        .value_kind:     by_value
    .group_segment_fixed_size: 0
    .kernarg_segment_align: 8
    .kernarg_segment_size: 128
    .language:       OpenCL C
    .language_version:
      - 2
      - 0
    .max_flat_workgroup_size: 256
    .name:           _ZN7rocprim17ROCPRIM_400000_NS6detail17trampoline_kernelINS0_14default_configENS1_25partition_config_selectorILNS1_17partition_subalgoE8EN3c108BFloat16ENS0_10empty_typeEbEEZZNS1_14partition_implILS5_8ELb0ES3_jPKS7_PS8_PKS8_NS0_5tupleIJPS7_S8_EEENSG_IJSD_SD_EEENS0_18inequality_wrapperIN6hipcub16HIPCUB_304000_NS8EqualityEEEPlJS8_EEE10hipError_tPvRmT3_T4_T5_T6_T7_T9_mT8_P12ihipStream_tbDpT10_ENKUlT_T0_E_clISt17integral_constantIbLb0EES18_IbLb1EEEEDaS14_S15_EUlS14_E_NS1_11comp_targetILNS1_3genE3ELNS1_11target_archE908ELNS1_3gpuE7ELNS1_3repE0EEENS1_30default_config_static_selectorELNS0_4arch9wavefront6targetE1EEEvT1_
    .private_segment_fixed_size: 0
    .sgpr_count:     6
    .sgpr_spill_count: 0
    .symbol:         _ZN7rocprim17ROCPRIM_400000_NS6detail17trampoline_kernelINS0_14default_configENS1_25partition_config_selectorILNS1_17partition_subalgoE8EN3c108BFloat16ENS0_10empty_typeEbEEZZNS1_14partition_implILS5_8ELb0ES3_jPKS7_PS8_PKS8_NS0_5tupleIJPS7_S8_EEENSG_IJSD_SD_EEENS0_18inequality_wrapperIN6hipcub16HIPCUB_304000_NS8EqualityEEEPlJS8_EEE10hipError_tPvRmT3_T4_T5_T6_T7_T9_mT8_P12ihipStream_tbDpT10_ENKUlT_T0_E_clISt17integral_constantIbLb0EES18_IbLb1EEEEDaS14_S15_EUlS14_E_NS1_11comp_targetILNS1_3genE3ELNS1_11target_archE908ELNS1_3gpuE7ELNS1_3repE0EEENS1_30default_config_static_selectorELNS0_4arch9wavefront6targetE1EEEvT1_.kd
    .uniform_work_group_size: 1
    .uses_dynamic_stack: false
    .vgpr_count:     0
    .vgpr_spill_count: 0
    .wavefront_size: 64
  - .agpr_count:     0
    .args:
      - .offset:         0
        .size:           128
        .value_kind:     by_value
    .group_segment_fixed_size: 0
    .kernarg_segment_align: 8
    .kernarg_segment_size: 128
    .language:       OpenCL C
    .language_version:
      - 2
      - 0
    .max_flat_workgroup_size: 192
    .name:           _ZN7rocprim17ROCPRIM_400000_NS6detail17trampoline_kernelINS0_14default_configENS1_25partition_config_selectorILNS1_17partition_subalgoE8EN3c108BFloat16ENS0_10empty_typeEbEEZZNS1_14partition_implILS5_8ELb0ES3_jPKS7_PS8_PKS8_NS0_5tupleIJPS7_S8_EEENSG_IJSD_SD_EEENS0_18inequality_wrapperIN6hipcub16HIPCUB_304000_NS8EqualityEEEPlJS8_EEE10hipError_tPvRmT3_T4_T5_T6_T7_T9_mT8_P12ihipStream_tbDpT10_ENKUlT_T0_E_clISt17integral_constantIbLb0EES18_IbLb1EEEEDaS14_S15_EUlS14_E_NS1_11comp_targetILNS1_3genE2ELNS1_11target_archE906ELNS1_3gpuE6ELNS1_3repE0EEENS1_30default_config_static_selectorELNS0_4arch9wavefront6targetE1EEEvT1_
    .private_segment_fixed_size: 0
    .sgpr_count:     6
    .sgpr_spill_count: 0
    .symbol:         _ZN7rocprim17ROCPRIM_400000_NS6detail17trampoline_kernelINS0_14default_configENS1_25partition_config_selectorILNS1_17partition_subalgoE8EN3c108BFloat16ENS0_10empty_typeEbEEZZNS1_14partition_implILS5_8ELb0ES3_jPKS7_PS8_PKS8_NS0_5tupleIJPS7_S8_EEENSG_IJSD_SD_EEENS0_18inequality_wrapperIN6hipcub16HIPCUB_304000_NS8EqualityEEEPlJS8_EEE10hipError_tPvRmT3_T4_T5_T6_T7_T9_mT8_P12ihipStream_tbDpT10_ENKUlT_T0_E_clISt17integral_constantIbLb0EES18_IbLb1EEEEDaS14_S15_EUlS14_E_NS1_11comp_targetILNS1_3genE2ELNS1_11target_archE906ELNS1_3gpuE6ELNS1_3repE0EEENS1_30default_config_static_selectorELNS0_4arch9wavefront6targetE1EEEvT1_.kd
    .uniform_work_group_size: 1
    .uses_dynamic_stack: false
    .vgpr_count:     0
    .vgpr_spill_count: 0
    .wavefront_size: 64
  - .agpr_count:     0
    .args:
      - .offset:         0
        .size:           128
        .value_kind:     by_value
    .group_segment_fixed_size: 0
    .kernarg_segment_align: 8
    .kernarg_segment_size: 128
    .language:       OpenCL C
    .language_version:
      - 2
      - 0
    .max_flat_workgroup_size: 256
    .name:           _ZN7rocprim17ROCPRIM_400000_NS6detail17trampoline_kernelINS0_14default_configENS1_25partition_config_selectorILNS1_17partition_subalgoE8EN3c108BFloat16ENS0_10empty_typeEbEEZZNS1_14partition_implILS5_8ELb0ES3_jPKS7_PS8_PKS8_NS0_5tupleIJPS7_S8_EEENSG_IJSD_SD_EEENS0_18inequality_wrapperIN6hipcub16HIPCUB_304000_NS8EqualityEEEPlJS8_EEE10hipError_tPvRmT3_T4_T5_T6_T7_T9_mT8_P12ihipStream_tbDpT10_ENKUlT_T0_E_clISt17integral_constantIbLb0EES18_IbLb1EEEEDaS14_S15_EUlS14_E_NS1_11comp_targetILNS1_3genE10ELNS1_11target_archE1200ELNS1_3gpuE4ELNS1_3repE0EEENS1_30default_config_static_selectorELNS0_4arch9wavefront6targetE1EEEvT1_
    .private_segment_fixed_size: 0
    .sgpr_count:     6
    .sgpr_spill_count: 0
    .symbol:         _ZN7rocprim17ROCPRIM_400000_NS6detail17trampoline_kernelINS0_14default_configENS1_25partition_config_selectorILNS1_17partition_subalgoE8EN3c108BFloat16ENS0_10empty_typeEbEEZZNS1_14partition_implILS5_8ELb0ES3_jPKS7_PS8_PKS8_NS0_5tupleIJPS7_S8_EEENSG_IJSD_SD_EEENS0_18inequality_wrapperIN6hipcub16HIPCUB_304000_NS8EqualityEEEPlJS8_EEE10hipError_tPvRmT3_T4_T5_T6_T7_T9_mT8_P12ihipStream_tbDpT10_ENKUlT_T0_E_clISt17integral_constantIbLb0EES18_IbLb1EEEEDaS14_S15_EUlS14_E_NS1_11comp_targetILNS1_3genE10ELNS1_11target_archE1200ELNS1_3gpuE4ELNS1_3repE0EEENS1_30default_config_static_selectorELNS0_4arch9wavefront6targetE1EEEvT1_.kd
    .uniform_work_group_size: 1
    .uses_dynamic_stack: false
    .vgpr_count:     0
    .vgpr_spill_count: 0
    .wavefront_size: 64
  - .agpr_count:     0
    .args:
      - .offset:         0
        .size:           128
        .value_kind:     by_value
    .group_segment_fixed_size: 0
    .kernarg_segment_align: 8
    .kernarg_segment_size: 128
    .language:       OpenCL C
    .language_version:
      - 2
      - 0
    .max_flat_workgroup_size: 128
    .name:           _ZN7rocprim17ROCPRIM_400000_NS6detail17trampoline_kernelINS0_14default_configENS1_25partition_config_selectorILNS1_17partition_subalgoE8EN3c108BFloat16ENS0_10empty_typeEbEEZZNS1_14partition_implILS5_8ELb0ES3_jPKS7_PS8_PKS8_NS0_5tupleIJPS7_S8_EEENSG_IJSD_SD_EEENS0_18inequality_wrapperIN6hipcub16HIPCUB_304000_NS8EqualityEEEPlJS8_EEE10hipError_tPvRmT3_T4_T5_T6_T7_T9_mT8_P12ihipStream_tbDpT10_ENKUlT_T0_E_clISt17integral_constantIbLb0EES18_IbLb1EEEEDaS14_S15_EUlS14_E_NS1_11comp_targetILNS1_3genE9ELNS1_11target_archE1100ELNS1_3gpuE3ELNS1_3repE0EEENS1_30default_config_static_selectorELNS0_4arch9wavefront6targetE1EEEvT1_
    .private_segment_fixed_size: 0
    .sgpr_count:     6
    .sgpr_spill_count: 0
    .symbol:         _ZN7rocprim17ROCPRIM_400000_NS6detail17trampoline_kernelINS0_14default_configENS1_25partition_config_selectorILNS1_17partition_subalgoE8EN3c108BFloat16ENS0_10empty_typeEbEEZZNS1_14partition_implILS5_8ELb0ES3_jPKS7_PS8_PKS8_NS0_5tupleIJPS7_S8_EEENSG_IJSD_SD_EEENS0_18inequality_wrapperIN6hipcub16HIPCUB_304000_NS8EqualityEEEPlJS8_EEE10hipError_tPvRmT3_T4_T5_T6_T7_T9_mT8_P12ihipStream_tbDpT10_ENKUlT_T0_E_clISt17integral_constantIbLb0EES18_IbLb1EEEEDaS14_S15_EUlS14_E_NS1_11comp_targetILNS1_3genE9ELNS1_11target_archE1100ELNS1_3gpuE3ELNS1_3repE0EEENS1_30default_config_static_selectorELNS0_4arch9wavefront6targetE1EEEvT1_.kd
    .uniform_work_group_size: 1
    .uses_dynamic_stack: false
    .vgpr_count:     0
    .vgpr_spill_count: 0
    .wavefront_size: 64
  - .agpr_count:     0
    .args:
      - .offset:         0
        .size:           128
        .value_kind:     by_value
    .group_segment_fixed_size: 0
    .kernarg_segment_align: 8
    .kernarg_segment_size: 128
    .language:       OpenCL C
    .language_version:
      - 2
      - 0
    .max_flat_workgroup_size: 384
    .name:           _ZN7rocprim17ROCPRIM_400000_NS6detail17trampoline_kernelINS0_14default_configENS1_25partition_config_selectorILNS1_17partition_subalgoE8EN3c108BFloat16ENS0_10empty_typeEbEEZZNS1_14partition_implILS5_8ELb0ES3_jPKS7_PS8_PKS8_NS0_5tupleIJPS7_S8_EEENSG_IJSD_SD_EEENS0_18inequality_wrapperIN6hipcub16HIPCUB_304000_NS8EqualityEEEPlJS8_EEE10hipError_tPvRmT3_T4_T5_T6_T7_T9_mT8_P12ihipStream_tbDpT10_ENKUlT_T0_E_clISt17integral_constantIbLb0EES18_IbLb1EEEEDaS14_S15_EUlS14_E_NS1_11comp_targetILNS1_3genE8ELNS1_11target_archE1030ELNS1_3gpuE2ELNS1_3repE0EEENS1_30default_config_static_selectorELNS0_4arch9wavefront6targetE1EEEvT1_
    .private_segment_fixed_size: 0
    .sgpr_count:     6
    .sgpr_spill_count: 0
    .symbol:         _ZN7rocprim17ROCPRIM_400000_NS6detail17trampoline_kernelINS0_14default_configENS1_25partition_config_selectorILNS1_17partition_subalgoE8EN3c108BFloat16ENS0_10empty_typeEbEEZZNS1_14partition_implILS5_8ELb0ES3_jPKS7_PS8_PKS8_NS0_5tupleIJPS7_S8_EEENSG_IJSD_SD_EEENS0_18inequality_wrapperIN6hipcub16HIPCUB_304000_NS8EqualityEEEPlJS8_EEE10hipError_tPvRmT3_T4_T5_T6_T7_T9_mT8_P12ihipStream_tbDpT10_ENKUlT_T0_E_clISt17integral_constantIbLb0EES18_IbLb1EEEEDaS14_S15_EUlS14_E_NS1_11comp_targetILNS1_3genE8ELNS1_11target_archE1030ELNS1_3gpuE2ELNS1_3repE0EEENS1_30default_config_static_selectorELNS0_4arch9wavefront6targetE1EEEvT1_.kd
    .uniform_work_group_size: 1
    .uses_dynamic_stack: false
    .vgpr_count:     0
    .vgpr_spill_count: 0
    .wavefront_size: 64
  - .agpr_count:     0
    .args:
      - .offset:         0
        .size:           128
        .value_kind:     by_value
    .group_segment_fixed_size: 0
    .kernarg_segment_align: 8
    .kernarg_segment_size: 128
    .language:       OpenCL C
    .language_version:
      - 2
      - 0
    .max_flat_workgroup_size: 256
    .name:           _ZN7rocprim17ROCPRIM_400000_NS6detail17trampoline_kernelINS0_14default_configENS1_33run_length_encode_config_selectorIN3c108BFloat16EjNS0_4plusIjEEEEZZNS1_33reduce_by_key_impl_wrapped_configILNS1_25lookback_scan_determinismE0ES3_S9_PKS6_NS0_17constant_iteratorIjlEEPS6_PlSH_S8_NS0_8equal_toIS6_EEEE10hipError_tPvRmT2_T3_mT4_T5_T6_T7_T8_P12ihipStream_tbENKUlT_T0_E_clISt17integral_constantIbLb0EES11_EEDaSW_SX_EUlSW_E_NS1_11comp_targetILNS1_3genE0ELNS1_11target_archE4294967295ELNS1_3gpuE0ELNS1_3repE0EEENS1_30default_config_static_selectorELNS0_4arch9wavefront6targetE1EEEvT1_
    .private_segment_fixed_size: 0
    .sgpr_count:     6
    .sgpr_spill_count: 0
    .symbol:         _ZN7rocprim17ROCPRIM_400000_NS6detail17trampoline_kernelINS0_14default_configENS1_33run_length_encode_config_selectorIN3c108BFloat16EjNS0_4plusIjEEEEZZNS1_33reduce_by_key_impl_wrapped_configILNS1_25lookback_scan_determinismE0ES3_S9_PKS6_NS0_17constant_iteratorIjlEEPS6_PlSH_S8_NS0_8equal_toIS6_EEEE10hipError_tPvRmT2_T3_mT4_T5_T6_T7_T8_P12ihipStream_tbENKUlT_T0_E_clISt17integral_constantIbLb0EES11_EEDaSW_SX_EUlSW_E_NS1_11comp_targetILNS1_3genE0ELNS1_11target_archE4294967295ELNS1_3gpuE0ELNS1_3repE0EEENS1_30default_config_static_selectorELNS0_4arch9wavefront6targetE1EEEvT1_.kd
    .uniform_work_group_size: 1
    .uses_dynamic_stack: false
    .vgpr_count:     0
    .vgpr_spill_count: 0
    .wavefront_size: 64
  - .agpr_count:     0
    .args:
      - .offset:         0
        .size:           128
        .value_kind:     by_value
    .group_segment_fixed_size: 15360
    .kernarg_segment_align: 8
    .kernarg_segment_size: 128
    .language:       OpenCL C
    .language_version:
      - 2
      - 0
    .max_flat_workgroup_size: 256
    .name:           _ZN7rocprim17ROCPRIM_400000_NS6detail17trampoline_kernelINS0_14default_configENS1_33run_length_encode_config_selectorIN3c108BFloat16EjNS0_4plusIjEEEEZZNS1_33reduce_by_key_impl_wrapped_configILNS1_25lookback_scan_determinismE0ES3_S9_PKS6_NS0_17constant_iteratorIjlEEPS6_PlSH_S8_NS0_8equal_toIS6_EEEE10hipError_tPvRmT2_T3_mT4_T5_T6_T7_T8_P12ihipStream_tbENKUlT_T0_E_clISt17integral_constantIbLb0EES11_EEDaSW_SX_EUlSW_E_NS1_11comp_targetILNS1_3genE5ELNS1_11target_archE942ELNS1_3gpuE9ELNS1_3repE0EEENS1_30default_config_static_selectorELNS0_4arch9wavefront6targetE1EEEvT1_
    .private_segment_fixed_size: 0
    .sgpr_count:     70
    .sgpr_spill_count: 0
    .symbol:         _ZN7rocprim17ROCPRIM_400000_NS6detail17trampoline_kernelINS0_14default_configENS1_33run_length_encode_config_selectorIN3c108BFloat16EjNS0_4plusIjEEEEZZNS1_33reduce_by_key_impl_wrapped_configILNS1_25lookback_scan_determinismE0ES3_S9_PKS6_NS0_17constant_iteratorIjlEEPS6_PlSH_S8_NS0_8equal_toIS6_EEEE10hipError_tPvRmT2_T3_mT4_T5_T6_T7_T8_P12ihipStream_tbENKUlT_T0_E_clISt17integral_constantIbLb0EES11_EEDaSW_SX_EUlSW_E_NS1_11comp_targetILNS1_3genE5ELNS1_11target_archE942ELNS1_3gpuE9ELNS1_3repE0EEENS1_30default_config_static_selectorELNS0_4arch9wavefront6targetE1EEEvT1_.kd
    .uniform_work_group_size: 1
    .uses_dynamic_stack: false
    .vgpr_count:     108
    .vgpr_spill_count: 0
    .wavefront_size: 64
  - .agpr_count:     0
    .args:
      - .offset:         0
        .size:           128
        .value_kind:     by_value
    .group_segment_fixed_size: 0
    .kernarg_segment_align: 8
    .kernarg_segment_size: 128
    .language:       OpenCL C
    .language_version:
      - 2
      - 0
    .max_flat_workgroup_size: 256
    .name:           _ZN7rocprim17ROCPRIM_400000_NS6detail17trampoline_kernelINS0_14default_configENS1_33run_length_encode_config_selectorIN3c108BFloat16EjNS0_4plusIjEEEEZZNS1_33reduce_by_key_impl_wrapped_configILNS1_25lookback_scan_determinismE0ES3_S9_PKS6_NS0_17constant_iteratorIjlEEPS6_PlSH_S8_NS0_8equal_toIS6_EEEE10hipError_tPvRmT2_T3_mT4_T5_T6_T7_T8_P12ihipStream_tbENKUlT_T0_E_clISt17integral_constantIbLb0EES11_EEDaSW_SX_EUlSW_E_NS1_11comp_targetILNS1_3genE4ELNS1_11target_archE910ELNS1_3gpuE8ELNS1_3repE0EEENS1_30default_config_static_selectorELNS0_4arch9wavefront6targetE1EEEvT1_
    .private_segment_fixed_size: 0
    .sgpr_count:     6
    .sgpr_spill_count: 0
    .symbol:         _ZN7rocprim17ROCPRIM_400000_NS6detail17trampoline_kernelINS0_14default_configENS1_33run_length_encode_config_selectorIN3c108BFloat16EjNS0_4plusIjEEEEZZNS1_33reduce_by_key_impl_wrapped_configILNS1_25lookback_scan_determinismE0ES3_S9_PKS6_NS0_17constant_iteratorIjlEEPS6_PlSH_S8_NS0_8equal_toIS6_EEEE10hipError_tPvRmT2_T3_mT4_T5_T6_T7_T8_P12ihipStream_tbENKUlT_T0_E_clISt17integral_constantIbLb0EES11_EEDaSW_SX_EUlSW_E_NS1_11comp_targetILNS1_3genE4ELNS1_11target_archE910ELNS1_3gpuE8ELNS1_3repE0EEENS1_30default_config_static_selectorELNS0_4arch9wavefront6targetE1EEEvT1_.kd
    .uniform_work_group_size: 1
    .uses_dynamic_stack: false
    .vgpr_count:     0
    .vgpr_spill_count: 0
    .wavefront_size: 64
  - .agpr_count:     0
    .args:
      - .offset:         0
        .size:           128
        .value_kind:     by_value
    .group_segment_fixed_size: 0
    .kernarg_segment_align: 8
    .kernarg_segment_size: 128
    .language:       OpenCL C
    .language_version:
      - 2
      - 0
    .max_flat_workgroup_size: 256
    .name:           _ZN7rocprim17ROCPRIM_400000_NS6detail17trampoline_kernelINS0_14default_configENS1_33run_length_encode_config_selectorIN3c108BFloat16EjNS0_4plusIjEEEEZZNS1_33reduce_by_key_impl_wrapped_configILNS1_25lookback_scan_determinismE0ES3_S9_PKS6_NS0_17constant_iteratorIjlEEPS6_PlSH_S8_NS0_8equal_toIS6_EEEE10hipError_tPvRmT2_T3_mT4_T5_T6_T7_T8_P12ihipStream_tbENKUlT_T0_E_clISt17integral_constantIbLb0EES11_EEDaSW_SX_EUlSW_E_NS1_11comp_targetILNS1_3genE3ELNS1_11target_archE908ELNS1_3gpuE7ELNS1_3repE0EEENS1_30default_config_static_selectorELNS0_4arch9wavefront6targetE1EEEvT1_
    .private_segment_fixed_size: 0
    .sgpr_count:     6
    .sgpr_spill_count: 0
    .symbol:         _ZN7rocprim17ROCPRIM_400000_NS6detail17trampoline_kernelINS0_14default_configENS1_33run_length_encode_config_selectorIN3c108BFloat16EjNS0_4plusIjEEEEZZNS1_33reduce_by_key_impl_wrapped_configILNS1_25lookback_scan_determinismE0ES3_S9_PKS6_NS0_17constant_iteratorIjlEEPS6_PlSH_S8_NS0_8equal_toIS6_EEEE10hipError_tPvRmT2_T3_mT4_T5_T6_T7_T8_P12ihipStream_tbENKUlT_T0_E_clISt17integral_constantIbLb0EES11_EEDaSW_SX_EUlSW_E_NS1_11comp_targetILNS1_3genE3ELNS1_11target_archE908ELNS1_3gpuE7ELNS1_3repE0EEENS1_30default_config_static_selectorELNS0_4arch9wavefront6targetE1EEEvT1_.kd
    .uniform_work_group_size: 1
    .uses_dynamic_stack: false
    .vgpr_count:     0
    .vgpr_spill_count: 0
    .wavefront_size: 64
  - .agpr_count:     0
    .args:
      - .offset:         0
        .size:           128
        .value_kind:     by_value
    .group_segment_fixed_size: 0
    .kernarg_segment_align: 8
    .kernarg_segment_size: 128
    .language:       OpenCL C
    .language_version:
      - 2
      - 0
    .max_flat_workgroup_size: 256
    .name:           _ZN7rocprim17ROCPRIM_400000_NS6detail17trampoline_kernelINS0_14default_configENS1_33run_length_encode_config_selectorIN3c108BFloat16EjNS0_4plusIjEEEEZZNS1_33reduce_by_key_impl_wrapped_configILNS1_25lookback_scan_determinismE0ES3_S9_PKS6_NS0_17constant_iteratorIjlEEPS6_PlSH_S8_NS0_8equal_toIS6_EEEE10hipError_tPvRmT2_T3_mT4_T5_T6_T7_T8_P12ihipStream_tbENKUlT_T0_E_clISt17integral_constantIbLb0EES11_EEDaSW_SX_EUlSW_E_NS1_11comp_targetILNS1_3genE2ELNS1_11target_archE906ELNS1_3gpuE6ELNS1_3repE0EEENS1_30default_config_static_selectorELNS0_4arch9wavefront6targetE1EEEvT1_
    .private_segment_fixed_size: 0
    .sgpr_count:     6
    .sgpr_spill_count: 0
    .symbol:         _ZN7rocprim17ROCPRIM_400000_NS6detail17trampoline_kernelINS0_14default_configENS1_33run_length_encode_config_selectorIN3c108BFloat16EjNS0_4plusIjEEEEZZNS1_33reduce_by_key_impl_wrapped_configILNS1_25lookback_scan_determinismE0ES3_S9_PKS6_NS0_17constant_iteratorIjlEEPS6_PlSH_S8_NS0_8equal_toIS6_EEEE10hipError_tPvRmT2_T3_mT4_T5_T6_T7_T8_P12ihipStream_tbENKUlT_T0_E_clISt17integral_constantIbLb0EES11_EEDaSW_SX_EUlSW_E_NS1_11comp_targetILNS1_3genE2ELNS1_11target_archE906ELNS1_3gpuE6ELNS1_3repE0EEENS1_30default_config_static_selectorELNS0_4arch9wavefront6targetE1EEEvT1_.kd
    .uniform_work_group_size: 1
    .uses_dynamic_stack: false
    .vgpr_count:     0
    .vgpr_spill_count: 0
    .wavefront_size: 64
  - .agpr_count:     0
    .args:
      - .offset:         0
        .size:           128
        .value_kind:     by_value
    .group_segment_fixed_size: 0
    .kernarg_segment_align: 8
    .kernarg_segment_size: 128
    .language:       OpenCL C
    .language_version:
      - 2
      - 0
    .max_flat_workgroup_size: 256
    .name:           _ZN7rocprim17ROCPRIM_400000_NS6detail17trampoline_kernelINS0_14default_configENS1_33run_length_encode_config_selectorIN3c108BFloat16EjNS0_4plusIjEEEEZZNS1_33reduce_by_key_impl_wrapped_configILNS1_25lookback_scan_determinismE0ES3_S9_PKS6_NS0_17constant_iteratorIjlEEPS6_PlSH_S8_NS0_8equal_toIS6_EEEE10hipError_tPvRmT2_T3_mT4_T5_T6_T7_T8_P12ihipStream_tbENKUlT_T0_E_clISt17integral_constantIbLb0EES11_EEDaSW_SX_EUlSW_E_NS1_11comp_targetILNS1_3genE10ELNS1_11target_archE1201ELNS1_3gpuE5ELNS1_3repE0EEENS1_30default_config_static_selectorELNS0_4arch9wavefront6targetE1EEEvT1_
    .private_segment_fixed_size: 0
    .sgpr_count:     6
    .sgpr_spill_count: 0
    .symbol:         _ZN7rocprim17ROCPRIM_400000_NS6detail17trampoline_kernelINS0_14default_configENS1_33run_length_encode_config_selectorIN3c108BFloat16EjNS0_4plusIjEEEEZZNS1_33reduce_by_key_impl_wrapped_configILNS1_25lookback_scan_determinismE0ES3_S9_PKS6_NS0_17constant_iteratorIjlEEPS6_PlSH_S8_NS0_8equal_toIS6_EEEE10hipError_tPvRmT2_T3_mT4_T5_T6_T7_T8_P12ihipStream_tbENKUlT_T0_E_clISt17integral_constantIbLb0EES11_EEDaSW_SX_EUlSW_E_NS1_11comp_targetILNS1_3genE10ELNS1_11target_archE1201ELNS1_3gpuE5ELNS1_3repE0EEENS1_30default_config_static_selectorELNS0_4arch9wavefront6targetE1EEEvT1_.kd
    .uniform_work_group_size: 1
    .uses_dynamic_stack: false
    .vgpr_count:     0
    .vgpr_spill_count: 0
    .wavefront_size: 64
  - .agpr_count:     0
    .args:
      - .offset:         0
        .size:           128
        .value_kind:     by_value
    .group_segment_fixed_size: 0
    .kernarg_segment_align: 8
    .kernarg_segment_size: 128
    .language:       OpenCL C
    .language_version:
      - 2
      - 0
    .max_flat_workgroup_size: 256
    .name:           _ZN7rocprim17ROCPRIM_400000_NS6detail17trampoline_kernelINS0_14default_configENS1_33run_length_encode_config_selectorIN3c108BFloat16EjNS0_4plusIjEEEEZZNS1_33reduce_by_key_impl_wrapped_configILNS1_25lookback_scan_determinismE0ES3_S9_PKS6_NS0_17constant_iteratorIjlEEPS6_PlSH_S8_NS0_8equal_toIS6_EEEE10hipError_tPvRmT2_T3_mT4_T5_T6_T7_T8_P12ihipStream_tbENKUlT_T0_E_clISt17integral_constantIbLb0EES11_EEDaSW_SX_EUlSW_E_NS1_11comp_targetILNS1_3genE10ELNS1_11target_archE1200ELNS1_3gpuE4ELNS1_3repE0EEENS1_30default_config_static_selectorELNS0_4arch9wavefront6targetE1EEEvT1_
    .private_segment_fixed_size: 0
    .sgpr_count:     6
    .sgpr_spill_count: 0
    .symbol:         _ZN7rocprim17ROCPRIM_400000_NS6detail17trampoline_kernelINS0_14default_configENS1_33run_length_encode_config_selectorIN3c108BFloat16EjNS0_4plusIjEEEEZZNS1_33reduce_by_key_impl_wrapped_configILNS1_25lookback_scan_determinismE0ES3_S9_PKS6_NS0_17constant_iteratorIjlEEPS6_PlSH_S8_NS0_8equal_toIS6_EEEE10hipError_tPvRmT2_T3_mT4_T5_T6_T7_T8_P12ihipStream_tbENKUlT_T0_E_clISt17integral_constantIbLb0EES11_EEDaSW_SX_EUlSW_E_NS1_11comp_targetILNS1_3genE10ELNS1_11target_archE1200ELNS1_3gpuE4ELNS1_3repE0EEENS1_30default_config_static_selectorELNS0_4arch9wavefront6targetE1EEEvT1_.kd
    .uniform_work_group_size: 1
    .uses_dynamic_stack: false
    .vgpr_count:     0
    .vgpr_spill_count: 0
    .wavefront_size: 64
  - .agpr_count:     0
    .args:
      - .offset:         0
        .size:           128
        .value_kind:     by_value
    .group_segment_fixed_size: 0
    .kernarg_segment_align: 8
    .kernarg_segment_size: 128
    .language:       OpenCL C
    .language_version:
      - 2
      - 0
    .max_flat_workgroup_size: 256
    .name:           _ZN7rocprim17ROCPRIM_400000_NS6detail17trampoline_kernelINS0_14default_configENS1_33run_length_encode_config_selectorIN3c108BFloat16EjNS0_4plusIjEEEEZZNS1_33reduce_by_key_impl_wrapped_configILNS1_25lookback_scan_determinismE0ES3_S9_PKS6_NS0_17constant_iteratorIjlEEPS6_PlSH_S8_NS0_8equal_toIS6_EEEE10hipError_tPvRmT2_T3_mT4_T5_T6_T7_T8_P12ihipStream_tbENKUlT_T0_E_clISt17integral_constantIbLb0EES11_EEDaSW_SX_EUlSW_E_NS1_11comp_targetILNS1_3genE9ELNS1_11target_archE1100ELNS1_3gpuE3ELNS1_3repE0EEENS1_30default_config_static_selectorELNS0_4arch9wavefront6targetE1EEEvT1_
    .private_segment_fixed_size: 0
    .sgpr_count:     6
    .sgpr_spill_count: 0
    .symbol:         _ZN7rocprim17ROCPRIM_400000_NS6detail17trampoline_kernelINS0_14default_configENS1_33run_length_encode_config_selectorIN3c108BFloat16EjNS0_4plusIjEEEEZZNS1_33reduce_by_key_impl_wrapped_configILNS1_25lookback_scan_determinismE0ES3_S9_PKS6_NS0_17constant_iteratorIjlEEPS6_PlSH_S8_NS0_8equal_toIS6_EEEE10hipError_tPvRmT2_T3_mT4_T5_T6_T7_T8_P12ihipStream_tbENKUlT_T0_E_clISt17integral_constantIbLb0EES11_EEDaSW_SX_EUlSW_E_NS1_11comp_targetILNS1_3genE9ELNS1_11target_archE1100ELNS1_3gpuE3ELNS1_3repE0EEENS1_30default_config_static_selectorELNS0_4arch9wavefront6targetE1EEEvT1_.kd
    .uniform_work_group_size: 1
    .uses_dynamic_stack: false
    .vgpr_count:     0
    .vgpr_spill_count: 0
    .wavefront_size: 64
  - .agpr_count:     0
    .args:
      - .offset:         0
        .size:           128
        .value_kind:     by_value
    .group_segment_fixed_size: 0
    .kernarg_segment_align: 8
    .kernarg_segment_size: 128
    .language:       OpenCL C
    .language_version:
      - 2
      - 0
    .max_flat_workgroup_size: 256
    .name:           _ZN7rocprim17ROCPRIM_400000_NS6detail17trampoline_kernelINS0_14default_configENS1_33run_length_encode_config_selectorIN3c108BFloat16EjNS0_4plusIjEEEEZZNS1_33reduce_by_key_impl_wrapped_configILNS1_25lookback_scan_determinismE0ES3_S9_PKS6_NS0_17constant_iteratorIjlEEPS6_PlSH_S8_NS0_8equal_toIS6_EEEE10hipError_tPvRmT2_T3_mT4_T5_T6_T7_T8_P12ihipStream_tbENKUlT_T0_E_clISt17integral_constantIbLb0EES11_EEDaSW_SX_EUlSW_E_NS1_11comp_targetILNS1_3genE8ELNS1_11target_archE1030ELNS1_3gpuE2ELNS1_3repE0EEENS1_30default_config_static_selectorELNS0_4arch9wavefront6targetE1EEEvT1_
    .private_segment_fixed_size: 0
    .sgpr_count:     6
    .sgpr_spill_count: 0
    .symbol:         _ZN7rocprim17ROCPRIM_400000_NS6detail17trampoline_kernelINS0_14default_configENS1_33run_length_encode_config_selectorIN3c108BFloat16EjNS0_4plusIjEEEEZZNS1_33reduce_by_key_impl_wrapped_configILNS1_25lookback_scan_determinismE0ES3_S9_PKS6_NS0_17constant_iteratorIjlEEPS6_PlSH_S8_NS0_8equal_toIS6_EEEE10hipError_tPvRmT2_T3_mT4_T5_T6_T7_T8_P12ihipStream_tbENKUlT_T0_E_clISt17integral_constantIbLb0EES11_EEDaSW_SX_EUlSW_E_NS1_11comp_targetILNS1_3genE8ELNS1_11target_archE1030ELNS1_3gpuE2ELNS1_3repE0EEENS1_30default_config_static_selectorELNS0_4arch9wavefront6targetE1EEEvT1_.kd
    .uniform_work_group_size: 1
    .uses_dynamic_stack: false
    .vgpr_count:     0
    .vgpr_spill_count: 0
    .wavefront_size: 64
  - .agpr_count:     0
    .args:
      - .offset:         0
        .size:           128
        .value_kind:     by_value
    .group_segment_fixed_size: 0
    .kernarg_segment_align: 8
    .kernarg_segment_size: 128
    .language:       OpenCL C
    .language_version:
      - 2
      - 0
    .max_flat_workgroup_size: 256
    .name:           _ZN7rocprim17ROCPRIM_400000_NS6detail17trampoline_kernelINS0_14default_configENS1_33run_length_encode_config_selectorIN3c108BFloat16EjNS0_4plusIjEEEEZZNS1_33reduce_by_key_impl_wrapped_configILNS1_25lookback_scan_determinismE0ES3_S9_PKS6_NS0_17constant_iteratorIjlEEPS6_PlSH_S8_NS0_8equal_toIS6_EEEE10hipError_tPvRmT2_T3_mT4_T5_T6_T7_T8_P12ihipStream_tbENKUlT_T0_E_clISt17integral_constantIbLb1EES11_EEDaSW_SX_EUlSW_E_NS1_11comp_targetILNS1_3genE0ELNS1_11target_archE4294967295ELNS1_3gpuE0ELNS1_3repE0EEENS1_30default_config_static_selectorELNS0_4arch9wavefront6targetE1EEEvT1_
    .private_segment_fixed_size: 0
    .sgpr_count:     6
    .sgpr_spill_count: 0
    .symbol:         _ZN7rocprim17ROCPRIM_400000_NS6detail17trampoline_kernelINS0_14default_configENS1_33run_length_encode_config_selectorIN3c108BFloat16EjNS0_4plusIjEEEEZZNS1_33reduce_by_key_impl_wrapped_configILNS1_25lookback_scan_determinismE0ES3_S9_PKS6_NS0_17constant_iteratorIjlEEPS6_PlSH_S8_NS0_8equal_toIS6_EEEE10hipError_tPvRmT2_T3_mT4_T5_T6_T7_T8_P12ihipStream_tbENKUlT_T0_E_clISt17integral_constantIbLb1EES11_EEDaSW_SX_EUlSW_E_NS1_11comp_targetILNS1_3genE0ELNS1_11target_archE4294967295ELNS1_3gpuE0ELNS1_3repE0EEENS1_30default_config_static_selectorELNS0_4arch9wavefront6targetE1EEEvT1_.kd
    .uniform_work_group_size: 1
    .uses_dynamic_stack: false
    .vgpr_count:     0
    .vgpr_spill_count: 0
    .wavefront_size: 64
  - .agpr_count:     0
    .args:
      - .offset:         0
        .size:           128
        .value_kind:     by_value
    .group_segment_fixed_size: 15360
    .kernarg_segment_align: 8
    .kernarg_segment_size: 128
    .language:       OpenCL C
    .language_version:
      - 2
      - 0
    .max_flat_workgroup_size: 256
    .name:           _ZN7rocprim17ROCPRIM_400000_NS6detail17trampoline_kernelINS0_14default_configENS1_33run_length_encode_config_selectorIN3c108BFloat16EjNS0_4plusIjEEEEZZNS1_33reduce_by_key_impl_wrapped_configILNS1_25lookback_scan_determinismE0ES3_S9_PKS6_NS0_17constant_iteratorIjlEEPS6_PlSH_S8_NS0_8equal_toIS6_EEEE10hipError_tPvRmT2_T3_mT4_T5_T6_T7_T8_P12ihipStream_tbENKUlT_T0_E_clISt17integral_constantIbLb1EES11_EEDaSW_SX_EUlSW_E_NS1_11comp_targetILNS1_3genE5ELNS1_11target_archE942ELNS1_3gpuE9ELNS1_3repE0EEENS1_30default_config_static_selectorELNS0_4arch9wavefront6targetE1EEEvT1_
    .private_segment_fixed_size: 0
    .sgpr_count:     72
    .sgpr_spill_count: 0
    .symbol:         _ZN7rocprim17ROCPRIM_400000_NS6detail17trampoline_kernelINS0_14default_configENS1_33run_length_encode_config_selectorIN3c108BFloat16EjNS0_4plusIjEEEEZZNS1_33reduce_by_key_impl_wrapped_configILNS1_25lookback_scan_determinismE0ES3_S9_PKS6_NS0_17constant_iteratorIjlEEPS6_PlSH_S8_NS0_8equal_toIS6_EEEE10hipError_tPvRmT2_T3_mT4_T5_T6_T7_T8_P12ihipStream_tbENKUlT_T0_E_clISt17integral_constantIbLb1EES11_EEDaSW_SX_EUlSW_E_NS1_11comp_targetILNS1_3genE5ELNS1_11target_archE942ELNS1_3gpuE9ELNS1_3repE0EEENS1_30default_config_static_selectorELNS0_4arch9wavefront6targetE1EEEvT1_.kd
    .uniform_work_group_size: 1
    .uses_dynamic_stack: false
    .vgpr_count:     108
    .vgpr_spill_count: 0
    .wavefront_size: 64
  - .agpr_count:     0
    .args:
      - .offset:         0
        .size:           128
        .value_kind:     by_value
    .group_segment_fixed_size: 0
    .kernarg_segment_align: 8
    .kernarg_segment_size: 128
    .language:       OpenCL C
    .language_version:
      - 2
      - 0
    .max_flat_workgroup_size: 256
    .name:           _ZN7rocprim17ROCPRIM_400000_NS6detail17trampoline_kernelINS0_14default_configENS1_33run_length_encode_config_selectorIN3c108BFloat16EjNS0_4plusIjEEEEZZNS1_33reduce_by_key_impl_wrapped_configILNS1_25lookback_scan_determinismE0ES3_S9_PKS6_NS0_17constant_iteratorIjlEEPS6_PlSH_S8_NS0_8equal_toIS6_EEEE10hipError_tPvRmT2_T3_mT4_T5_T6_T7_T8_P12ihipStream_tbENKUlT_T0_E_clISt17integral_constantIbLb1EES11_EEDaSW_SX_EUlSW_E_NS1_11comp_targetILNS1_3genE4ELNS1_11target_archE910ELNS1_3gpuE8ELNS1_3repE0EEENS1_30default_config_static_selectorELNS0_4arch9wavefront6targetE1EEEvT1_
    .private_segment_fixed_size: 0
    .sgpr_count:     6
    .sgpr_spill_count: 0
    .symbol:         _ZN7rocprim17ROCPRIM_400000_NS6detail17trampoline_kernelINS0_14default_configENS1_33run_length_encode_config_selectorIN3c108BFloat16EjNS0_4plusIjEEEEZZNS1_33reduce_by_key_impl_wrapped_configILNS1_25lookback_scan_determinismE0ES3_S9_PKS6_NS0_17constant_iteratorIjlEEPS6_PlSH_S8_NS0_8equal_toIS6_EEEE10hipError_tPvRmT2_T3_mT4_T5_T6_T7_T8_P12ihipStream_tbENKUlT_T0_E_clISt17integral_constantIbLb1EES11_EEDaSW_SX_EUlSW_E_NS1_11comp_targetILNS1_3genE4ELNS1_11target_archE910ELNS1_3gpuE8ELNS1_3repE0EEENS1_30default_config_static_selectorELNS0_4arch9wavefront6targetE1EEEvT1_.kd
    .uniform_work_group_size: 1
    .uses_dynamic_stack: false
    .vgpr_count:     0
    .vgpr_spill_count: 0
    .wavefront_size: 64
  - .agpr_count:     0
    .args:
      - .offset:         0
        .size:           128
        .value_kind:     by_value
    .group_segment_fixed_size: 0
    .kernarg_segment_align: 8
    .kernarg_segment_size: 128
    .language:       OpenCL C
    .language_version:
      - 2
      - 0
    .max_flat_workgroup_size: 256
    .name:           _ZN7rocprim17ROCPRIM_400000_NS6detail17trampoline_kernelINS0_14default_configENS1_33run_length_encode_config_selectorIN3c108BFloat16EjNS0_4plusIjEEEEZZNS1_33reduce_by_key_impl_wrapped_configILNS1_25lookback_scan_determinismE0ES3_S9_PKS6_NS0_17constant_iteratorIjlEEPS6_PlSH_S8_NS0_8equal_toIS6_EEEE10hipError_tPvRmT2_T3_mT4_T5_T6_T7_T8_P12ihipStream_tbENKUlT_T0_E_clISt17integral_constantIbLb1EES11_EEDaSW_SX_EUlSW_E_NS1_11comp_targetILNS1_3genE3ELNS1_11target_archE908ELNS1_3gpuE7ELNS1_3repE0EEENS1_30default_config_static_selectorELNS0_4arch9wavefront6targetE1EEEvT1_
    .private_segment_fixed_size: 0
    .sgpr_count:     6
    .sgpr_spill_count: 0
    .symbol:         _ZN7rocprim17ROCPRIM_400000_NS6detail17trampoline_kernelINS0_14default_configENS1_33run_length_encode_config_selectorIN3c108BFloat16EjNS0_4plusIjEEEEZZNS1_33reduce_by_key_impl_wrapped_configILNS1_25lookback_scan_determinismE0ES3_S9_PKS6_NS0_17constant_iteratorIjlEEPS6_PlSH_S8_NS0_8equal_toIS6_EEEE10hipError_tPvRmT2_T3_mT4_T5_T6_T7_T8_P12ihipStream_tbENKUlT_T0_E_clISt17integral_constantIbLb1EES11_EEDaSW_SX_EUlSW_E_NS1_11comp_targetILNS1_3genE3ELNS1_11target_archE908ELNS1_3gpuE7ELNS1_3repE0EEENS1_30default_config_static_selectorELNS0_4arch9wavefront6targetE1EEEvT1_.kd
    .uniform_work_group_size: 1
    .uses_dynamic_stack: false
    .vgpr_count:     0
    .vgpr_spill_count: 0
    .wavefront_size: 64
  - .agpr_count:     0
    .args:
      - .offset:         0
        .size:           128
        .value_kind:     by_value
    .group_segment_fixed_size: 0
    .kernarg_segment_align: 8
    .kernarg_segment_size: 128
    .language:       OpenCL C
    .language_version:
      - 2
      - 0
    .max_flat_workgroup_size: 256
    .name:           _ZN7rocprim17ROCPRIM_400000_NS6detail17trampoline_kernelINS0_14default_configENS1_33run_length_encode_config_selectorIN3c108BFloat16EjNS0_4plusIjEEEEZZNS1_33reduce_by_key_impl_wrapped_configILNS1_25lookback_scan_determinismE0ES3_S9_PKS6_NS0_17constant_iteratorIjlEEPS6_PlSH_S8_NS0_8equal_toIS6_EEEE10hipError_tPvRmT2_T3_mT4_T5_T6_T7_T8_P12ihipStream_tbENKUlT_T0_E_clISt17integral_constantIbLb1EES11_EEDaSW_SX_EUlSW_E_NS1_11comp_targetILNS1_3genE2ELNS1_11target_archE906ELNS1_3gpuE6ELNS1_3repE0EEENS1_30default_config_static_selectorELNS0_4arch9wavefront6targetE1EEEvT1_
    .private_segment_fixed_size: 0
    .sgpr_count:     6
    .sgpr_spill_count: 0
    .symbol:         _ZN7rocprim17ROCPRIM_400000_NS6detail17trampoline_kernelINS0_14default_configENS1_33run_length_encode_config_selectorIN3c108BFloat16EjNS0_4plusIjEEEEZZNS1_33reduce_by_key_impl_wrapped_configILNS1_25lookback_scan_determinismE0ES3_S9_PKS6_NS0_17constant_iteratorIjlEEPS6_PlSH_S8_NS0_8equal_toIS6_EEEE10hipError_tPvRmT2_T3_mT4_T5_T6_T7_T8_P12ihipStream_tbENKUlT_T0_E_clISt17integral_constantIbLb1EES11_EEDaSW_SX_EUlSW_E_NS1_11comp_targetILNS1_3genE2ELNS1_11target_archE906ELNS1_3gpuE6ELNS1_3repE0EEENS1_30default_config_static_selectorELNS0_4arch9wavefront6targetE1EEEvT1_.kd
    .uniform_work_group_size: 1
    .uses_dynamic_stack: false
    .vgpr_count:     0
    .vgpr_spill_count: 0
    .wavefront_size: 64
  - .agpr_count:     0
    .args:
      - .offset:         0
        .size:           128
        .value_kind:     by_value
    .group_segment_fixed_size: 0
    .kernarg_segment_align: 8
    .kernarg_segment_size: 128
    .language:       OpenCL C
    .language_version:
      - 2
      - 0
    .max_flat_workgroup_size: 256
    .name:           _ZN7rocprim17ROCPRIM_400000_NS6detail17trampoline_kernelINS0_14default_configENS1_33run_length_encode_config_selectorIN3c108BFloat16EjNS0_4plusIjEEEEZZNS1_33reduce_by_key_impl_wrapped_configILNS1_25lookback_scan_determinismE0ES3_S9_PKS6_NS0_17constant_iteratorIjlEEPS6_PlSH_S8_NS0_8equal_toIS6_EEEE10hipError_tPvRmT2_T3_mT4_T5_T6_T7_T8_P12ihipStream_tbENKUlT_T0_E_clISt17integral_constantIbLb1EES11_EEDaSW_SX_EUlSW_E_NS1_11comp_targetILNS1_3genE10ELNS1_11target_archE1201ELNS1_3gpuE5ELNS1_3repE0EEENS1_30default_config_static_selectorELNS0_4arch9wavefront6targetE1EEEvT1_
    .private_segment_fixed_size: 0
    .sgpr_count:     6
    .sgpr_spill_count: 0
    .symbol:         _ZN7rocprim17ROCPRIM_400000_NS6detail17trampoline_kernelINS0_14default_configENS1_33run_length_encode_config_selectorIN3c108BFloat16EjNS0_4plusIjEEEEZZNS1_33reduce_by_key_impl_wrapped_configILNS1_25lookback_scan_determinismE0ES3_S9_PKS6_NS0_17constant_iteratorIjlEEPS6_PlSH_S8_NS0_8equal_toIS6_EEEE10hipError_tPvRmT2_T3_mT4_T5_T6_T7_T8_P12ihipStream_tbENKUlT_T0_E_clISt17integral_constantIbLb1EES11_EEDaSW_SX_EUlSW_E_NS1_11comp_targetILNS1_3genE10ELNS1_11target_archE1201ELNS1_3gpuE5ELNS1_3repE0EEENS1_30default_config_static_selectorELNS0_4arch9wavefront6targetE1EEEvT1_.kd
    .uniform_work_group_size: 1
    .uses_dynamic_stack: false
    .vgpr_count:     0
    .vgpr_spill_count: 0
    .wavefront_size: 64
  - .agpr_count:     0
    .args:
      - .offset:         0
        .size:           128
        .value_kind:     by_value
    .group_segment_fixed_size: 0
    .kernarg_segment_align: 8
    .kernarg_segment_size: 128
    .language:       OpenCL C
    .language_version:
      - 2
      - 0
    .max_flat_workgroup_size: 256
    .name:           _ZN7rocprim17ROCPRIM_400000_NS6detail17trampoline_kernelINS0_14default_configENS1_33run_length_encode_config_selectorIN3c108BFloat16EjNS0_4plusIjEEEEZZNS1_33reduce_by_key_impl_wrapped_configILNS1_25lookback_scan_determinismE0ES3_S9_PKS6_NS0_17constant_iteratorIjlEEPS6_PlSH_S8_NS0_8equal_toIS6_EEEE10hipError_tPvRmT2_T3_mT4_T5_T6_T7_T8_P12ihipStream_tbENKUlT_T0_E_clISt17integral_constantIbLb1EES11_EEDaSW_SX_EUlSW_E_NS1_11comp_targetILNS1_3genE10ELNS1_11target_archE1200ELNS1_3gpuE4ELNS1_3repE0EEENS1_30default_config_static_selectorELNS0_4arch9wavefront6targetE1EEEvT1_
    .private_segment_fixed_size: 0
    .sgpr_count:     6
    .sgpr_spill_count: 0
    .symbol:         _ZN7rocprim17ROCPRIM_400000_NS6detail17trampoline_kernelINS0_14default_configENS1_33run_length_encode_config_selectorIN3c108BFloat16EjNS0_4plusIjEEEEZZNS1_33reduce_by_key_impl_wrapped_configILNS1_25lookback_scan_determinismE0ES3_S9_PKS6_NS0_17constant_iteratorIjlEEPS6_PlSH_S8_NS0_8equal_toIS6_EEEE10hipError_tPvRmT2_T3_mT4_T5_T6_T7_T8_P12ihipStream_tbENKUlT_T0_E_clISt17integral_constantIbLb1EES11_EEDaSW_SX_EUlSW_E_NS1_11comp_targetILNS1_3genE10ELNS1_11target_archE1200ELNS1_3gpuE4ELNS1_3repE0EEENS1_30default_config_static_selectorELNS0_4arch9wavefront6targetE1EEEvT1_.kd
    .uniform_work_group_size: 1
    .uses_dynamic_stack: false
    .vgpr_count:     0
    .vgpr_spill_count: 0
    .wavefront_size: 64
  - .agpr_count:     0
    .args:
      - .offset:         0
        .size:           128
        .value_kind:     by_value
    .group_segment_fixed_size: 0
    .kernarg_segment_align: 8
    .kernarg_segment_size: 128
    .language:       OpenCL C
    .language_version:
      - 2
      - 0
    .max_flat_workgroup_size: 256
    .name:           _ZN7rocprim17ROCPRIM_400000_NS6detail17trampoline_kernelINS0_14default_configENS1_33run_length_encode_config_selectorIN3c108BFloat16EjNS0_4plusIjEEEEZZNS1_33reduce_by_key_impl_wrapped_configILNS1_25lookback_scan_determinismE0ES3_S9_PKS6_NS0_17constant_iteratorIjlEEPS6_PlSH_S8_NS0_8equal_toIS6_EEEE10hipError_tPvRmT2_T3_mT4_T5_T6_T7_T8_P12ihipStream_tbENKUlT_T0_E_clISt17integral_constantIbLb1EES11_EEDaSW_SX_EUlSW_E_NS1_11comp_targetILNS1_3genE9ELNS1_11target_archE1100ELNS1_3gpuE3ELNS1_3repE0EEENS1_30default_config_static_selectorELNS0_4arch9wavefront6targetE1EEEvT1_
    .private_segment_fixed_size: 0
    .sgpr_count:     6
    .sgpr_spill_count: 0
    .symbol:         _ZN7rocprim17ROCPRIM_400000_NS6detail17trampoline_kernelINS0_14default_configENS1_33run_length_encode_config_selectorIN3c108BFloat16EjNS0_4plusIjEEEEZZNS1_33reduce_by_key_impl_wrapped_configILNS1_25lookback_scan_determinismE0ES3_S9_PKS6_NS0_17constant_iteratorIjlEEPS6_PlSH_S8_NS0_8equal_toIS6_EEEE10hipError_tPvRmT2_T3_mT4_T5_T6_T7_T8_P12ihipStream_tbENKUlT_T0_E_clISt17integral_constantIbLb1EES11_EEDaSW_SX_EUlSW_E_NS1_11comp_targetILNS1_3genE9ELNS1_11target_archE1100ELNS1_3gpuE3ELNS1_3repE0EEENS1_30default_config_static_selectorELNS0_4arch9wavefront6targetE1EEEvT1_.kd
    .uniform_work_group_size: 1
    .uses_dynamic_stack: false
    .vgpr_count:     0
    .vgpr_spill_count: 0
    .wavefront_size: 64
  - .agpr_count:     0
    .args:
      - .offset:         0
        .size:           128
        .value_kind:     by_value
    .group_segment_fixed_size: 0
    .kernarg_segment_align: 8
    .kernarg_segment_size: 128
    .language:       OpenCL C
    .language_version:
      - 2
      - 0
    .max_flat_workgroup_size: 256
    .name:           _ZN7rocprim17ROCPRIM_400000_NS6detail17trampoline_kernelINS0_14default_configENS1_33run_length_encode_config_selectorIN3c108BFloat16EjNS0_4plusIjEEEEZZNS1_33reduce_by_key_impl_wrapped_configILNS1_25lookback_scan_determinismE0ES3_S9_PKS6_NS0_17constant_iteratorIjlEEPS6_PlSH_S8_NS0_8equal_toIS6_EEEE10hipError_tPvRmT2_T3_mT4_T5_T6_T7_T8_P12ihipStream_tbENKUlT_T0_E_clISt17integral_constantIbLb1EES11_EEDaSW_SX_EUlSW_E_NS1_11comp_targetILNS1_3genE8ELNS1_11target_archE1030ELNS1_3gpuE2ELNS1_3repE0EEENS1_30default_config_static_selectorELNS0_4arch9wavefront6targetE1EEEvT1_
    .private_segment_fixed_size: 0
    .sgpr_count:     6
    .sgpr_spill_count: 0
    .symbol:         _ZN7rocprim17ROCPRIM_400000_NS6detail17trampoline_kernelINS0_14default_configENS1_33run_length_encode_config_selectorIN3c108BFloat16EjNS0_4plusIjEEEEZZNS1_33reduce_by_key_impl_wrapped_configILNS1_25lookback_scan_determinismE0ES3_S9_PKS6_NS0_17constant_iteratorIjlEEPS6_PlSH_S8_NS0_8equal_toIS6_EEEE10hipError_tPvRmT2_T3_mT4_T5_T6_T7_T8_P12ihipStream_tbENKUlT_T0_E_clISt17integral_constantIbLb1EES11_EEDaSW_SX_EUlSW_E_NS1_11comp_targetILNS1_3genE8ELNS1_11target_archE1030ELNS1_3gpuE2ELNS1_3repE0EEENS1_30default_config_static_selectorELNS0_4arch9wavefront6targetE1EEEvT1_.kd
    .uniform_work_group_size: 1
    .uses_dynamic_stack: false
    .vgpr_count:     0
    .vgpr_spill_count: 0
    .wavefront_size: 64
  - .agpr_count:     0
    .args:
      - .offset:         0
        .size:           128
        .value_kind:     by_value
    .group_segment_fixed_size: 0
    .kernarg_segment_align: 8
    .kernarg_segment_size: 128
    .language:       OpenCL C
    .language_version:
      - 2
      - 0
    .max_flat_workgroup_size: 256
    .name:           _ZN7rocprim17ROCPRIM_400000_NS6detail17trampoline_kernelINS0_14default_configENS1_33run_length_encode_config_selectorIN3c108BFloat16EjNS0_4plusIjEEEEZZNS1_33reduce_by_key_impl_wrapped_configILNS1_25lookback_scan_determinismE0ES3_S9_PKS6_NS0_17constant_iteratorIjlEEPS6_PlSH_S8_NS0_8equal_toIS6_EEEE10hipError_tPvRmT2_T3_mT4_T5_T6_T7_T8_P12ihipStream_tbENKUlT_T0_E_clISt17integral_constantIbLb1EES10_IbLb0EEEEDaSW_SX_EUlSW_E_NS1_11comp_targetILNS1_3genE0ELNS1_11target_archE4294967295ELNS1_3gpuE0ELNS1_3repE0EEENS1_30default_config_static_selectorELNS0_4arch9wavefront6targetE1EEEvT1_
    .private_segment_fixed_size: 0
    .sgpr_count:     6
    .sgpr_spill_count: 0
    .symbol:         _ZN7rocprim17ROCPRIM_400000_NS6detail17trampoline_kernelINS0_14default_configENS1_33run_length_encode_config_selectorIN3c108BFloat16EjNS0_4plusIjEEEEZZNS1_33reduce_by_key_impl_wrapped_configILNS1_25lookback_scan_determinismE0ES3_S9_PKS6_NS0_17constant_iteratorIjlEEPS6_PlSH_S8_NS0_8equal_toIS6_EEEE10hipError_tPvRmT2_T3_mT4_T5_T6_T7_T8_P12ihipStream_tbENKUlT_T0_E_clISt17integral_constantIbLb1EES10_IbLb0EEEEDaSW_SX_EUlSW_E_NS1_11comp_targetILNS1_3genE0ELNS1_11target_archE4294967295ELNS1_3gpuE0ELNS1_3repE0EEENS1_30default_config_static_selectorELNS0_4arch9wavefront6targetE1EEEvT1_.kd
    .uniform_work_group_size: 1
    .uses_dynamic_stack: false
    .vgpr_count:     0
    .vgpr_spill_count: 0
    .wavefront_size: 64
  - .agpr_count:     0
    .args:
      - .offset:         0
        .size:           128
        .value_kind:     by_value
    .group_segment_fixed_size: 15360
    .kernarg_segment_align: 8
    .kernarg_segment_size: 128
    .language:       OpenCL C
    .language_version:
      - 2
      - 0
    .max_flat_workgroup_size: 256
    .name:           _ZN7rocprim17ROCPRIM_400000_NS6detail17trampoline_kernelINS0_14default_configENS1_33run_length_encode_config_selectorIN3c108BFloat16EjNS0_4plusIjEEEEZZNS1_33reduce_by_key_impl_wrapped_configILNS1_25lookback_scan_determinismE0ES3_S9_PKS6_NS0_17constant_iteratorIjlEEPS6_PlSH_S8_NS0_8equal_toIS6_EEEE10hipError_tPvRmT2_T3_mT4_T5_T6_T7_T8_P12ihipStream_tbENKUlT_T0_E_clISt17integral_constantIbLb1EES10_IbLb0EEEEDaSW_SX_EUlSW_E_NS1_11comp_targetILNS1_3genE5ELNS1_11target_archE942ELNS1_3gpuE9ELNS1_3repE0EEENS1_30default_config_static_selectorELNS0_4arch9wavefront6targetE1EEEvT1_
    .private_segment_fixed_size: 0
    .sgpr_count:     70
    .sgpr_spill_count: 0
    .symbol:         _ZN7rocprim17ROCPRIM_400000_NS6detail17trampoline_kernelINS0_14default_configENS1_33run_length_encode_config_selectorIN3c108BFloat16EjNS0_4plusIjEEEEZZNS1_33reduce_by_key_impl_wrapped_configILNS1_25lookback_scan_determinismE0ES3_S9_PKS6_NS0_17constant_iteratorIjlEEPS6_PlSH_S8_NS0_8equal_toIS6_EEEE10hipError_tPvRmT2_T3_mT4_T5_T6_T7_T8_P12ihipStream_tbENKUlT_T0_E_clISt17integral_constantIbLb1EES10_IbLb0EEEEDaSW_SX_EUlSW_E_NS1_11comp_targetILNS1_3genE5ELNS1_11target_archE942ELNS1_3gpuE9ELNS1_3repE0EEENS1_30default_config_static_selectorELNS0_4arch9wavefront6targetE1EEEvT1_.kd
    .uniform_work_group_size: 1
    .uses_dynamic_stack: false
    .vgpr_count:     108
    .vgpr_spill_count: 0
    .wavefront_size: 64
  - .agpr_count:     0
    .args:
      - .offset:         0
        .size:           128
        .value_kind:     by_value
    .group_segment_fixed_size: 0
    .kernarg_segment_align: 8
    .kernarg_segment_size: 128
    .language:       OpenCL C
    .language_version:
      - 2
      - 0
    .max_flat_workgroup_size: 256
    .name:           _ZN7rocprim17ROCPRIM_400000_NS6detail17trampoline_kernelINS0_14default_configENS1_33run_length_encode_config_selectorIN3c108BFloat16EjNS0_4plusIjEEEEZZNS1_33reduce_by_key_impl_wrapped_configILNS1_25lookback_scan_determinismE0ES3_S9_PKS6_NS0_17constant_iteratorIjlEEPS6_PlSH_S8_NS0_8equal_toIS6_EEEE10hipError_tPvRmT2_T3_mT4_T5_T6_T7_T8_P12ihipStream_tbENKUlT_T0_E_clISt17integral_constantIbLb1EES10_IbLb0EEEEDaSW_SX_EUlSW_E_NS1_11comp_targetILNS1_3genE4ELNS1_11target_archE910ELNS1_3gpuE8ELNS1_3repE0EEENS1_30default_config_static_selectorELNS0_4arch9wavefront6targetE1EEEvT1_
    .private_segment_fixed_size: 0
    .sgpr_count:     6
    .sgpr_spill_count: 0
    .symbol:         _ZN7rocprim17ROCPRIM_400000_NS6detail17trampoline_kernelINS0_14default_configENS1_33run_length_encode_config_selectorIN3c108BFloat16EjNS0_4plusIjEEEEZZNS1_33reduce_by_key_impl_wrapped_configILNS1_25lookback_scan_determinismE0ES3_S9_PKS6_NS0_17constant_iteratorIjlEEPS6_PlSH_S8_NS0_8equal_toIS6_EEEE10hipError_tPvRmT2_T3_mT4_T5_T6_T7_T8_P12ihipStream_tbENKUlT_T0_E_clISt17integral_constantIbLb1EES10_IbLb0EEEEDaSW_SX_EUlSW_E_NS1_11comp_targetILNS1_3genE4ELNS1_11target_archE910ELNS1_3gpuE8ELNS1_3repE0EEENS1_30default_config_static_selectorELNS0_4arch9wavefront6targetE1EEEvT1_.kd
    .uniform_work_group_size: 1
    .uses_dynamic_stack: false
    .vgpr_count:     0
    .vgpr_spill_count: 0
    .wavefront_size: 64
  - .agpr_count:     0
    .args:
      - .offset:         0
        .size:           128
        .value_kind:     by_value
    .group_segment_fixed_size: 0
    .kernarg_segment_align: 8
    .kernarg_segment_size: 128
    .language:       OpenCL C
    .language_version:
      - 2
      - 0
    .max_flat_workgroup_size: 256
    .name:           _ZN7rocprim17ROCPRIM_400000_NS6detail17trampoline_kernelINS0_14default_configENS1_33run_length_encode_config_selectorIN3c108BFloat16EjNS0_4plusIjEEEEZZNS1_33reduce_by_key_impl_wrapped_configILNS1_25lookback_scan_determinismE0ES3_S9_PKS6_NS0_17constant_iteratorIjlEEPS6_PlSH_S8_NS0_8equal_toIS6_EEEE10hipError_tPvRmT2_T3_mT4_T5_T6_T7_T8_P12ihipStream_tbENKUlT_T0_E_clISt17integral_constantIbLb1EES10_IbLb0EEEEDaSW_SX_EUlSW_E_NS1_11comp_targetILNS1_3genE3ELNS1_11target_archE908ELNS1_3gpuE7ELNS1_3repE0EEENS1_30default_config_static_selectorELNS0_4arch9wavefront6targetE1EEEvT1_
    .private_segment_fixed_size: 0
    .sgpr_count:     6
    .sgpr_spill_count: 0
    .symbol:         _ZN7rocprim17ROCPRIM_400000_NS6detail17trampoline_kernelINS0_14default_configENS1_33run_length_encode_config_selectorIN3c108BFloat16EjNS0_4plusIjEEEEZZNS1_33reduce_by_key_impl_wrapped_configILNS1_25lookback_scan_determinismE0ES3_S9_PKS6_NS0_17constant_iteratorIjlEEPS6_PlSH_S8_NS0_8equal_toIS6_EEEE10hipError_tPvRmT2_T3_mT4_T5_T6_T7_T8_P12ihipStream_tbENKUlT_T0_E_clISt17integral_constantIbLb1EES10_IbLb0EEEEDaSW_SX_EUlSW_E_NS1_11comp_targetILNS1_3genE3ELNS1_11target_archE908ELNS1_3gpuE7ELNS1_3repE0EEENS1_30default_config_static_selectorELNS0_4arch9wavefront6targetE1EEEvT1_.kd
    .uniform_work_group_size: 1
    .uses_dynamic_stack: false
    .vgpr_count:     0
    .vgpr_spill_count: 0
    .wavefront_size: 64
  - .agpr_count:     0
    .args:
      - .offset:         0
        .size:           128
        .value_kind:     by_value
    .group_segment_fixed_size: 0
    .kernarg_segment_align: 8
    .kernarg_segment_size: 128
    .language:       OpenCL C
    .language_version:
      - 2
      - 0
    .max_flat_workgroup_size: 256
    .name:           _ZN7rocprim17ROCPRIM_400000_NS6detail17trampoline_kernelINS0_14default_configENS1_33run_length_encode_config_selectorIN3c108BFloat16EjNS0_4plusIjEEEEZZNS1_33reduce_by_key_impl_wrapped_configILNS1_25lookback_scan_determinismE0ES3_S9_PKS6_NS0_17constant_iteratorIjlEEPS6_PlSH_S8_NS0_8equal_toIS6_EEEE10hipError_tPvRmT2_T3_mT4_T5_T6_T7_T8_P12ihipStream_tbENKUlT_T0_E_clISt17integral_constantIbLb1EES10_IbLb0EEEEDaSW_SX_EUlSW_E_NS1_11comp_targetILNS1_3genE2ELNS1_11target_archE906ELNS1_3gpuE6ELNS1_3repE0EEENS1_30default_config_static_selectorELNS0_4arch9wavefront6targetE1EEEvT1_
    .private_segment_fixed_size: 0
    .sgpr_count:     6
    .sgpr_spill_count: 0
    .symbol:         _ZN7rocprim17ROCPRIM_400000_NS6detail17trampoline_kernelINS0_14default_configENS1_33run_length_encode_config_selectorIN3c108BFloat16EjNS0_4plusIjEEEEZZNS1_33reduce_by_key_impl_wrapped_configILNS1_25lookback_scan_determinismE0ES3_S9_PKS6_NS0_17constant_iteratorIjlEEPS6_PlSH_S8_NS0_8equal_toIS6_EEEE10hipError_tPvRmT2_T3_mT4_T5_T6_T7_T8_P12ihipStream_tbENKUlT_T0_E_clISt17integral_constantIbLb1EES10_IbLb0EEEEDaSW_SX_EUlSW_E_NS1_11comp_targetILNS1_3genE2ELNS1_11target_archE906ELNS1_3gpuE6ELNS1_3repE0EEENS1_30default_config_static_selectorELNS0_4arch9wavefront6targetE1EEEvT1_.kd
    .uniform_work_group_size: 1
    .uses_dynamic_stack: false
    .vgpr_count:     0
    .vgpr_spill_count: 0
    .wavefront_size: 64
  - .agpr_count:     0
    .args:
      - .offset:         0
        .size:           128
        .value_kind:     by_value
    .group_segment_fixed_size: 0
    .kernarg_segment_align: 8
    .kernarg_segment_size: 128
    .language:       OpenCL C
    .language_version:
      - 2
      - 0
    .max_flat_workgroup_size: 256
    .name:           _ZN7rocprim17ROCPRIM_400000_NS6detail17trampoline_kernelINS0_14default_configENS1_33run_length_encode_config_selectorIN3c108BFloat16EjNS0_4plusIjEEEEZZNS1_33reduce_by_key_impl_wrapped_configILNS1_25lookback_scan_determinismE0ES3_S9_PKS6_NS0_17constant_iteratorIjlEEPS6_PlSH_S8_NS0_8equal_toIS6_EEEE10hipError_tPvRmT2_T3_mT4_T5_T6_T7_T8_P12ihipStream_tbENKUlT_T0_E_clISt17integral_constantIbLb1EES10_IbLb0EEEEDaSW_SX_EUlSW_E_NS1_11comp_targetILNS1_3genE10ELNS1_11target_archE1201ELNS1_3gpuE5ELNS1_3repE0EEENS1_30default_config_static_selectorELNS0_4arch9wavefront6targetE1EEEvT1_
    .private_segment_fixed_size: 0
    .sgpr_count:     6
    .sgpr_spill_count: 0
    .symbol:         _ZN7rocprim17ROCPRIM_400000_NS6detail17trampoline_kernelINS0_14default_configENS1_33run_length_encode_config_selectorIN3c108BFloat16EjNS0_4plusIjEEEEZZNS1_33reduce_by_key_impl_wrapped_configILNS1_25lookback_scan_determinismE0ES3_S9_PKS6_NS0_17constant_iteratorIjlEEPS6_PlSH_S8_NS0_8equal_toIS6_EEEE10hipError_tPvRmT2_T3_mT4_T5_T6_T7_T8_P12ihipStream_tbENKUlT_T0_E_clISt17integral_constantIbLb1EES10_IbLb0EEEEDaSW_SX_EUlSW_E_NS1_11comp_targetILNS1_3genE10ELNS1_11target_archE1201ELNS1_3gpuE5ELNS1_3repE0EEENS1_30default_config_static_selectorELNS0_4arch9wavefront6targetE1EEEvT1_.kd
    .uniform_work_group_size: 1
    .uses_dynamic_stack: false
    .vgpr_count:     0
    .vgpr_spill_count: 0
    .wavefront_size: 64
  - .agpr_count:     0
    .args:
      - .offset:         0
        .size:           128
        .value_kind:     by_value
    .group_segment_fixed_size: 0
    .kernarg_segment_align: 8
    .kernarg_segment_size: 128
    .language:       OpenCL C
    .language_version:
      - 2
      - 0
    .max_flat_workgroup_size: 256
    .name:           _ZN7rocprim17ROCPRIM_400000_NS6detail17trampoline_kernelINS0_14default_configENS1_33run_length_encode_config_selectorIN3c108BFloat16EjNS0_4plusIjEEEEZZNS1_33reduce_by_key_impl_wrapped_configILNS1_25lookback_scan_determinismE0ES3_S9_PKS6_NS0_17constant_iteratorIjlEEPS6_PlSH_S8_NS0_8equal_toIS6_EEEE10hipError_tPvRmT2_T3_mT4_T5_T6_T7_T8_P12ihipStream_tbENKUlT_T0_E_clISt17integral_constantIbLb1EES10_IbLb0EEEEDaSW_SX_EUlSW_E_NS1_11comp_targetILNS1_3genE10ELNS1_11target_archE1200ELNS1_3gpuE4ELNS1_3repE0EEENS1_30default_config_static_selectorELNS0_4arch9wavefront6targetE1EEEvT1_
    .private_segment_fixed_size: 0
    .sgpr_count:     6
    .sgpr_spill_count: 0
    .symbol:         _ZN7rocprim17ROCPRIM_400000_NS6detail17trampoline_kernelINS0_14default_configENS1_33run_length_encode_config_selectorIN3c108BFloat16EjNS0_4plusIjEEEEZZNS1_33reduce_by_key_impl_wrapped_configILNS1_25lookback_scan_determinismE0ES3_S9_PKS6_NS0_17constant_iteratorIjlEEPS6_PlSH_S8_NS0_8equal_toIS6_EEEE10hipError_tPvRmT2_T3_mT4_T5_T6_T7_T8_P12ihipStream_tbENKUlT_T0_E_clISt17integral_constantIbLb1EES10_IbLb0EEEEDaSW_SX_EUlSW_E_NS1_11comp_targetILNS1_3genE10ELNS1_11target_archE1200ELNS1_3gpuE4ELNS1_3repE0EEENS1_30default_config_static_selectorELNS0_4arch9wavefront6targetE1EEEvT1_.kd
    .uniform_work_group_size: 1
    .uses_dynamic_stack: false
    .vgpr_count:     0
    .vgpr_spill_count: 0
    .wavefront_size: 64
  - .agpr_count:     0
    .args:
      - .offset:         0
        .size:           128
        .value_kind:     by_value
    .group_segment_fixed_size: 0
    .kernarg_segment_align: 8
    .kernarg_segment_size: 128
    .language:       OpenCL C
    .language_version:
      - 2
      - 0
    .max_flat_workgroup_size: 256
    .name:           _ZN7rocprim17ROCPRIM_400000_NS6detail17trampoline_kernelINS0_14default_configENS1_33run_length_encode_config_selectorIN3c108BFloat16EjNS0_4plusIjEEEEZZNS1_33reduce_by_key_impl_wrapped_configILNS1_25lookback_scan_determinismE0ES3_S9_PKS6_NS0_17constant_iteratorIjlEEPS6_PlSH_S8_NS0_8equal_toIS6_EEEE10hipError_tPvRmT2_T3_mT4_T5_T6_T7_T8_P12ihipStream_tbENKUlT_T0_E_clISt17integral_constantIbLb1EES10_IbLb0EEEEDaSW_SX_EUlSW_E_NS1_11comp_targetILNS1_3genE9ELNS1_11target_archE1100ELNS1_3gpuE3ELNS1_3repE0EEENS1_30default_config_static_selectorELNS0_4arch9wavefront6targetE1EEEvT1_
    .private_segment_fixed_size: 0
    .sgpr_count:     6
    .sgpr_spill_count: 0
    .symbol:         _ZN7rocprim17ROCPRIM_400000_NS6detail17trampoline_kernelINS0_14default_configENS1_33run_length_encode_config_selectorIN3c108BFloat16EjNS0_4plusIjEEEEZZNS1_33reduce_by_key_impl_wrapped_configILNS1_25lookback_scan_determinismE0ES3_S9_PKS6_NS0_17constant_iteratorIjlEEPS6_PlSH_S8_NS0_8equal_toIS6_EEEE10hipError_tPvRmT2_T3_mT4_T5_T6_T7_T8_P12ihipStream_tbENKUlT_T0_E_clISt17integral_constantIbLb1EES10_IbLb0EEEEDaSW_SX_EUlSW_E_NS1_11comp_targetILNS1_3genE9ELNS1_11target_archE1100ELNS1_3gpuE3ELNS1_3repE0EEENS1_30default_config_static_selectorELNS0_4arch9wavefront6targetE1EEEvT1_.kd
    .uniform_work_group_size: 1
    .uses_dynamic_stack: false
    .vgpr_count:     0
    .vgpr_spill_count: 0
    .wavefront_size: 64
  - .agpr_count:     0
    .args:
      - .offset:         0
        .size:           128
        .value_kind:     by_value
    .group_segment_fixed_size: 0
    .kernarg_segment_align: 8
    .kernarg_segment_size: 128
    .language:       OpenCL C
    .language_version:
      - 2
      - 0
    .max_flat_workgroup_size: 256
    .name:           _ZN7rocprim17ROCPRIM_400000_NS6detail17trampoline_kernelINS0_14default_configENS1_33run_length_encode_config_selectorIN3c108BFloat16EjNS0_4plusIjEEEEZZNS1_33reduce_by_key_impl_wrapped_configILNS1_25lookback_scan_determinismE0ES3_S9_PKS6_NS0_17constant_iteratorIjlEEPS6_PlSH_S8_NS0_8equal_toIS6_EEEE10hipError_tPvRmT2_T3_mT4_T5_T6_T7_T8_P12ihipStream_tbENKUlT_T0_E_clISt17integral_constantIbLb1EES10_IbLb0EEEEDaSW_SX_EUlSW_E_NS1_11comp_targetILNS1_3genE8ELNS1_11target_archE1030ELNS1_3gpuE2ELNS1_3repE0EEENS1_30default_config_static_selectorELNS0_4arch9wavefront6targetE1EEEvT1_
    .private_segment_fixed_size: 0
    .sgpr_count:     6
    .sgpr_spill_count: 0
    .symbol:         _ZN7rocprim17ROCPRIM_400000_NS6detail17trampoline_kernelINS0_14default_configENS1_33run_length_encode_config_selectorIN3c108BFloat16EjNS0_4plusIjEEEEZZNS1_33reduce_by_key_impl_wrapped_configILNS1_25lookback_scan_determinismE0ES3_S9_PKS6_NS0_17constant_iteratorIjlEEPS6_PlSH_S8_NS0_8equal_toIS6_EEEE10hipError_tPvRmT2_T3_mT4_T5_T6_T7_T8_P12ihipStream_tbENKUlT_T0_E_clISt17integral_constantIbLb1EES10_IbLb0EEEEDaSW_SX_EUlSW_E_NS1_11comp_targetILNS1_3genE8ELNS1_11target_archE1030ELNS1_3gpuE2ELNS1_3repE0EEENS1_30default_config_static_selectorELNS0_4arch9wavefront6targetE1EEEvT1_.kd
    .uniform_work_group_size: 1
    .uses_dynamic_stack: false
    .vgpr_count:     0
    .vgpr_spill_count: 0
    .wavefront_size: 64
  - .agpr_count:     0
    .args:
      - .offset:         0
        .size:           128
        .value_kind:     by_value
    .group_segment_fixed_size: 0
    .kernarg_segment_align: 8
    .kernarg_segment_size: 128
    .language:       OpenCL C
    .language_version:
      - 2
      - 0
    .max_flat_workgroup_size: 256
    .name:           _ZN7rocprim17ROCPRIM_400000_NS6detail17trampoline_kernelINS0_14default_configENS1_33run_length_encode_config_selectorIN3c108BFloat16EjNS0_4plusIjEEEEZZNS1_33reduce_by_key_impl_wrapped_configILNS1_25lookback_scan_determinismE0ES3_S9_PKS6_NS0_17constant_iteratorIjlEEPS6_PlSH_S8_NS0_8equal_toIS6_EEEE10hipError_tPvRmT2_T3_mT4_T5_T6_T7_T8_P12ihipStream_tbENKUlT_T0_E_clISt17integral_constantIbLb0EES10_IbLb1EEEEDaSW_SX_EUlSW_E_NS1_11comp_targetILNS1_3genE0ELNS1_11target_archE4294967295ELNS1_3gpuE0ELNS1_3repE0EEENS1_30default_config_static_selectorELNS0_4arch9wavefront6targetE1EEEvT1_
    .private_segment_fixed_size: 0
    .sgpr_count:     6
    .sgpr_spill_count: 0
    .symbol:         _ZN7rocprim17ROCPRIM_400000_NS6detail17trampoline_kernelINS0_14default_configENS1_33run_length_encode_config_selectorIN3c108BFloat16EjNS0_4plusIjEEEEZZNS1_33reduce_by_key_impl_wrapped_configILNS1_25lookback_scan_determinismE0ES3_S9_PKS6_NS0_17constant_iteratorIjlEEPS6_PlSH_S8_NS0_8equal_toIS6_EEEE10hipError_tPvRmT2_T3_mT4_T5_T6_T7_T8_P12ihipStream_tbENKUlT_T0_E_clISt17integral_constantIbLb0EES10_IbLb1EEEEDaSW_SX_EUlSW_E_NS1_11comp_targetILNS1_3genE0ELNS1_11target_archE4294967295ELNS1_3gpuE0ELNS1_3repE0EEENS1_30default_config_static_selectorELNS0_4arch9wavefront6targetE1EEEvT1_.kd
    .uniform_work_group_size: 1
    .uses_dynamic_stack: false
    .vgpr_count:     0
    .vgpr_spill_count: 0
    .wavefront_size: 64
  - .agpr_count:     0
    .args:
      - .offset:         0
        .size:           128
        .value_kind:     by_value
    .group_segment_fixed_size: 15360
    .kernarg_segment_align: 8
    .kernarg_segment_size: 128
    .language:       OpenCL C
    .language_version:
      - 2
      - 0
    .max_flat_workgroup_size: 256
    .name:           _ZN7rocprim17ROCPRIM_400000_NS6detail17trampoline_kernelINS0_14default_configENS1_33run_length_encode_config_selectorIN3c108BFloat16EjNS0_4plusIjEEEEZZNS1_33reduce_by_key_impl_wrapped_configILNS1_25lookback_scan_determinismE0ES3_S9_PKS6_NS0_17constant_iteratorIjlEEPS6_PlSH_S8_NS0_8equal_toIS6_EEEE10hipError_tPvRmT2_T3_mT4_T5_T6_T7_T8_P12ihipStream_tbENKUlT_T0_E_clISt17integral_constantIbLb0EES10_IbLb1EEEEDaSW_SX_EUlSW_E_NS1_11comp_targetILNS1_3genE5ELNS1_11target_archE942ELNS1_3gpuE9ELNS1_3repE0EEENS1_30default_config_static_selectorELNS0_4arch9wavefront6targetE1EEEvT1_
    .private_segment_fixed_size: 0
    .sgpr_count:     72
    .sgpr_spill_count: 0
    .symbol:         _ZN7rocprim17ROCPRIM_400000_NS6detail17trampoline_kernelINS0_14default_configENS1_33run_length_encode_config_selectorIN3c108BFloat16EjNS0_4plusIjEEEEZZNS1_33reduce_by_key_impl_wrapped_configILNS1_25lookback_scan_determinismE0ES3_S9_PKS6_NS0_17constant_iteratorIjlEEPS6_PlSH_S8_NS0_8equal_toIS6_EEEE10hipError_tPvRmT2_T3_mT4_T5_T6_T7_T8_P12ihipStream_tbENKUlT_T0_E_clISt17integral_constantIbLb0EES10_IbLb1EEEEDaSW_SX_EUlSW_E_NS1_11comp_targetILNS1_3genE5ELNS1_11target_archE942ELNS1_3gpuE9ELNS1_3repE0EEENS1_30default_config_static_selectorELNS0_4arch9wavefront6targetE1EEEvT1_.kd
    .uniform_work_group_size: 1
    .uses_dynamic_stack: false
    .vgpr_count:     108
    .vgpr_spill_count: 0
    .wavefront_size: 64
  - .agpr_count:     0
    .args:
      - .offset:         0
        .size:           128
        .value_kind:     by_value
    .group_segment_fixed_size: 0
    .kernarg_segment_align: 8
    .kernarg_segment_size: 128
    .language:       OpenCL C
    .language_version:
      - 2
      - 0
    .max_flat_workgroup_size: 256
    .name:           _ZN7rocprim17ROCPRIM_400000_NS6detail17trampoline_kernelINS0_14default_configENS1_33run_length_encode_config_selectorIN3c108BFloat16EjNS0_4plusIjEEEEZZNS1_33reduce_by_key_impl_wrapped_configILNS1_25lookback_scan_determinismE0ES3_S9_PKS6_NS0_17constant_iteratorIjlEEPS6_PlSH_S8_NS0_8equal_toIS6_EEEE10hipError_tPvRmT2_T3_mT4_T5_T6_T7_T8_P12ihipStream_tbENKUlT_T0_E_clISt17integral_constantIbLb0EES10_IbLb1EEEEDaSW_SX_EUlSW_E_NS1_11comp_targetILNS1_3genE4ELNS1_11target_archE910ELNS1_3gpuE8ELNS1_3repE0EEENS1_30default_config_static_selectorELNS0_4arch9wavefront6targetE1EEEvT1_
    .private_segment_fixed_size: 0
    .sgpr_count:     6
    .sgpr_spill_count: 0
    .symbol:         _ZN7rocprim17ROCPRIM_400000_NS6detail17trampoline_kernelINS0_14default_configENS1_33run_length_encode_config_selectorIN3c108BFloat16EjNS0_4plusIjEEEEZZNS1_33reduce_by_key_impl_wrapped_configILNS1_25lookback_scan_determinismE0ES3_S9_PKS6_NS0_17constant_iteratorIjlEEPS6_PlSH_S8_NS0_8equal_toIS6_EEEE10hipError_tPvRmT2_T3_mT4_T5_T6_T7_T8_P12ihipStream_tbENKUlT_T0_E_clISt17integral_constantIbLb0EES10_IbLb1EEEEDaSW_SX_EUlSW_E_NS1_11comp_targetILNS1_3genE4ELNS1_11target_archE910ELNS1_3gpuE8ELNS1_3repE0EEENS1_30default_config_static_selectorELNS0_4arch9wavefront6targetE1EEEvT1_.kd
    .uniform_work_group_size: 1
    .uses_dynamic_stack: false
    .vgpr_count:     0
    .vgpr_spill_count: 0
    .wavefront_size: 64
  - .agpr_count:     0
    .args:
      - .offset:         0
        .size:           128
        .value_kind:     by_value
    .group_segment_fixed_size: 0
    .kernarg_segment_align: 8
    .kernarg_segment_size: 128
    .language:       OpenCL C
    .language_version:
      - 2
      - 0
    .max_flat_workgroup_size: 256
    .name:           _ZN7rocprim17ROCPRIM_400000_NS6detail17trampoline_kernelINS0_14default_configENS1_33run_length_encode_config_selectorIN3c108BFloat16EjNS0_4plusIjEEEEZZNS1_33reduce_by_key_impl_wrapped_configILNS1_25lookback_scan_determinismE0ES3_S9_PKS6_NS0_17constant_iteratorIjlEEPS6_PlSH_S8_NS0_8equal_toIS6_EEEE10hipError_tPvRmT2_T3_mT4_T5_T6_T7_T8_P12ihipStream_tbENKUlT_T0_E_clISt17integral_constantIbLb0EES10_IbLb1EEEEDaSW_SX_EUlSW_E_NS1_11comp_targetILNS1_3genE3ELNS1_11target_archE908ELNS1_3gpuE7ELNS1_3repE0EEENS1_30default_config_static_selectorELNS0_4arch9wavefront6targetE1EEEvT1_
    .private_segment_fixed_size: 0
    .sgpr_count:     6
    .sgpr_spill_count: 0
    .symbol:         _ZN7rocprim17ROCPRIM_400000_NS6detail17trampoline_kernelINS0_14default_configENS1_33run_length_encode_config_selectorIN3c108BFloat16EjNS0_4plusIjEEEEZZNS1_33reduce_by_key_impl_wrapped_configILNS1_25lookback_scan_determinismE0ES3_S9_PKS6_NS0_17constant_iteratorIjlEEPS6_PlSH_S8_NS0_8equal_toIS6_EEEE10hipError_tPvRmT2_T3_mT4_T5_T6_T7_T8_P12ihipStream_tbENKUlT_T0_E_clISt17integral_constantIbLb0EES10_IbLb1EEEEDaSW_SX_EUlSW_E_NS1_11comp_targetILNS1_3genE3ELNS1_11target_archE908ELNS1_3gpuE7ELNS1_3repE0EEENS1_30default_config_static_selectorELNS0_4arch9wavefront6targetE1EEEvT1_.kd
    .uniform_work_group_size: 1
    .uses_dynamic_stack: false
    .vgpr_count:     0
    .vgpr_spill_count: 0
    .wavefront_size: 64
  - .agpr_count:     0
    .args:
      - .offset:         0
        .size:           128
        .value_kind:     by_value
    .group_segment_fixed_size: 0
    .kernarg_segment_align: 8
    .kernarg_segment_size: 128
    .language:       OpenCL C
    .language_version:
      - 2
      - 0
    .max_flat_workgroup_size: 256
    .name:           _ZN7rocprim17ROCPRIM_400000_NS6detail17trampoline_kernelINS0_14default_configENS1_33run_length_encode_config_selectorIN3c108BFloat16EjNS0_4plusIjEEEEZZNS1_33reduce_by_key_impl_wrapped_configILNS1_25lookback_scan_determinismE0ES3_S9_PKS6_NS0_17constant_iteratorIjlEEPS6_PlSH_S8_NS0_8equal_toIS6_EEEE10hipError_tPvRmT2_T3_mT4_T5_T6_T7_T8_P12ihipStream_tbENKUlT_T0_E_clISt17integral_constantIbLb0EES10_IbLb1EEEEDaSW_SX_EUlSW_E_NS1_11comp_targetILNS1_3genE2ELNS1_11target_archE906ELNS1_3gpuE6ELNS1_3repE0EEENS1_30default_config_static_selectorELNS0_4arch9wavefront6targetE1EEEvT1_
    .private_segment_fixed_size: 0
    .sgpr_count:     6
    .sgpr_spill_count: 0
    .symbol:         _ZN7rocprim17ROCPRIM_400000_NS6detail17trampoline_kernelINS0_14default_configENS1_33run_length_encode_config_selectorIN3c108BFloat16EjNS0_4plusIjEEEEZZNS1_33reduce_by_key_impl_wrapped_configILNS1_25lookback_scan_determinismE0ES3_S9_PKS6_NS0_17constant_iteratorIjlEEPS6_PlSH_S8_NS0_8equal_toIS6_EEEE10hipError_tPvRmT2_T3_mT4_T5_T6_T7_T8_P12ihipStream_tbENKUlT_T0_E_clISt17integral_constantIbLb0EES10_IbLb1EEEEDaSW_SX_EUlSW_E_NS1_11comp_targetILNS1_3genE2ELNS1_11target_archE906ELNS1_3gpuE6ELNS1_3repE0EEENS1_30default_config_static_selectorELNS0_4arch9wavefront6targetE1EEEvT1_.kd
    .uniform_work_group_size: 1
    .uses_dynamic_stack: false
    .vgpr_count:     0
    .vgpr_spill_count: 0
    .wavefront_size: 64
  - .agpr_count:     0
    .args:
      - .offset:         0
        .size:           128
        .value_kind:     by_value
    .group_segment_fixed_size: 0
    .kernarg_segment_align: 8
    .kernarg_segment_size: 128
    .language:       OpenCL C
    .language_version:
      - 2
      - 0
    .max_flat_workgroup_size: 256
    .name:           _ZN7rocprim17ROCPRIM_400000_NS6detail17trampoline_kernelINS0_14default_configENS1_33run_length_encode_config_selectorIN3c108BFloat16EjNS0_4plusIjEEEEZZNS1_33reduce_by_key_impl_wrapped_configILNS1_25lookback_scan_determinismE0ES3_S9_PKS6_NS0_17constant_iteratorIjlEEPS6_PlSH_S8_NS0_8equal_toIS6_EEEE10hipError_tPvRmT2_T3_mT4_T5_T6_T7_T8_P12ihipStream_tbENKUlT_T0_E_clISt17integral_constantIbLb0EES10_IbLb1EEEEDaSW_SX_EUlSW_E_NS1_11comp_targetILNS1_3genE10ELNS1_11target_archE1201ELNS1_3gpuE5ELNS1_3repE0EEENS1_30default_config_static_selectorELNS0_4arch9wavefront6targetE1EEEvT1_
    .private_segment_fixed_size: 0
    .sgpr_count:     6
    .sgpr_spill_count: 0
    .symbol:         _ZN7rocprim17ROCPRIM_400000_NS6detail17trampoline_kernelINS0_14default_configENS1_33run_length_encode_config_selectorIN3c108BFloat16EjNS0_4plusIjEEEEZZNS1_33reduce_by_key_impl_wrapped_configILNS1_25lookback_scan_determinismE0ES3_S9_PKS6_NS0_17constant_iteratorIjlEEPS6_PlSH_S8_NS0_8equal_toIS6_EEEE10hipError_tPvRmT2_T3_mT4_T5_T6_T7_T8_P12ihipStream_tbENKUlT_T0_E_clISt17integral_constantIbLb0EES10_IbLb1EEEEDaSW_SX_EUlSW_E_NS1_11comp_targetILNS1_3genE10ELNS1_11target_archE1201ELNS1_3gpuE5ELNS1_3repE0EEENS1_30default_config_static_selectorELNS0_4arch9wavefront6targetE1EEEvT1_.kd
    .uniform_work_group_size: 1
    .uses_dynamic_stack: false
    .vgpr_count:     0
    .vgpr_spill_count: 0
    .wavefront_size: 64
  - .agpr_count:     0
    .args:
      - .offset:         0
        .size:           128
        .value_kind:     by_value
    .group_segment_fixed_size: 0
    .kernarg_segment_align: 8
    .kernarg_segment_size: 128
    .language:       OpenCL C
    .language_version:
      - 2
      - 0
    .max_flat_workgroup_size: 256
    .name:           _ZN7rocprim17ROCPRIM_400000_NS6detail17trampoline_kernelINS0_14default_configENS1_33run_length_encode_config_selectorIN3c108BFloat16EjNS0_4plusIjEEEEZZNS1_33reduce_by_key_impl_wrapped_configILNS1_25lookback_scan_determinismE0ES3_S9_PKS6_NS0_17constant_iteratorIjlEEPS6_PlSH_S8_NS0_8equal_toIS6_EEEE10hipError_tPvRmT2_T3_mT4_T5_T6_T7_T8_P12ihipStream_tbENKUlT_T0_E_clISt17integral_constantIbLb0EES10_IbLb1EEEEDaSW_SX_EUlSW_E_NS1_11comp_targetILNS1_3genE10ELNS1_11target_archE1200ELNS1_3gpuE4ELNS1_3repE0EEENS1_30default_config_static_selectorELNS0_4arch9wavefront6targetE1EEEvT1_
    .private_segment_fixed_size: 0
    .sgpr_count:     6
    .sgpr_spill_count: 0
    .symbol:         _ZN7rocprim17ROCPRIM_400000_NS6detail17trampoline_kernelINS0_14default_configENS1_33run_length_encode_config_selectorIN3c108BFloat16EjNS0_4plusIjEEEEZZNS1_33reduce_by_key_impl_wrapped_configILNS1_25lookback_scan_determinismE0ES3_S9_PKS6_NS0_17constant_iteratorIjlEEPS6_PlSH_S8_NS0_8equal_toIS6_EEEE10hipError_tPvRmT2_T3_mT4_T5_T6_T7_T8_P12ihipStream_tbENKUlT_T0_E_clISt17integral_constantIbLb0EES10_IbLb1EEEEDaSW_SX_EUlSW_E_NS1_11comp_targetILNS1_3genE10ELNS1_11target_archE1200ELNS1_3gpuE4ELNS1_3repE0EEENS1_30default_config_static_selectorELNS0_4arch9wavefront6targetE1EEEvT1_.kd
    .uniform_work_group_size: 1
    .uses_dynamic_stack: false
    .vgpr_count:     0
    .vgpr_spill_count: 0
    .wavefront_size: 64
  - .agpr_count:     0
    .args:
      - .offset:         0
        .size:           128
        .value_kind:     by_value
    .group_segment_fixed_size: 0
    .kernarg_segment_align: 8
    .kernarg_segment_size: 128
    .language:       OpenCL C
    .language_version:
      - 2
      - 0
    .max_flat_workgroup_size: 256
    .name:           _ZN7rocprim17ROCPRIM_400000_NS6detail17trampoline_kernelINS0_14default_configENS1_33run_length_encode_config_selectorIN3c108BFloat16EjNS0_4plusIjEEEEZZNS1_33reduce_by_key_impl_wrapped_configILNS1_25lookback_scan_determinismE0ES3_S9_PKS6_NS0_17constant_iteratorIjlEEPS6_PlSH_S8_NS0_8equal_toIS6_EEEE10hipError_tPvRmT2_T3_mT4_T5_T6_T7_T8_P12ihipStream_tbENKUlT_T0_E_clISt17integral_constantIbLb0EES10_IbLb1EEEEDaSW_SX_EUlSW_E_NS1_11comp_targetILNS1_3genE9ELNS1_11target_archE1100ELNS1_3gpuE3ELNS1_3repE0EEENS1_30default_config_static_selectorELNS0_4arch9wavefront6targetE1EEEvT1_
    .private_segment_fixed_size: 0
    .sgpr_count:     6
    .sgpr_spill_count: 0
    .symbol:         _ZN7rocprim17ROCPRIM_400000_NS6detail17trampoline_kernelINS0_14default_configENS1_33run_length_encode_config_selectorIN3c108BFloat16EjNS0_4plusIjEEEEZZNS1_33reduce_by_key_impl_wrapped_configILNS1_25lookback_scan_determinismE0ES3_S9_PKS6_NS0_17constant_iteratorIjlEEPS6_PlSH_S8_NS0_8equal_toIS6_EEEE10hipError_tPvRmT2_T3_mT4_T5_T6_T7_T8_P12ihipStream_tbENKUlT_T0_E_clISt17integral_constantIbLb0EES10_IbLb1EEEEDaSW_SX_EUlSW_E_NS1_11comp_targetILNS1_3genE9ELNS1_11target_archE1100ELNS1_3gpuE3ELNS1_3repE0EEENS1_30default_config_static_selectorELNS0_4arch9wavefront6targetE1EEEvT1_.kd
    .uniform_work_group_size: 1
    .uses_dynamic_stack: false
    .vgpr_count:     0
    .vgpr_spill_count: 0
    .wavefront_size: 64
  - .agpr_count:     0
    .args:
      - .offset:         0
        .size:           128
        .value_kind:     by_value
    .group_segment_fixed_size: 0
    .kernarg_segment_align: 8
    .kernarg_segment_size: 128
    .language:       OpenCL C
    .language_version:
      - 2
      - 0
    .max_flat_workgroup_size: 256
    .name:           _ZN7rocprim17ROCPRIM_400000_NS6detail17trampoline_kernelINS0_14default_configENS1_33run_length_encode_config_selectorIN3c108BFloat16EjNS0_4plusIjEEEEZZNS1_33reduce_by_key_impl_wrapped_configILNS1_25lookback_scan_determinismE0ES3_S9_PKS6_NS0_17constant_iteratorIjlEEPS6_PlSH_S8_NS0_8equal_toIS6_EEEE10hipError_tPvRmT2_T3_mT4_T5_T6_T7_T8_P12ihipStream_tbENKUlT_T0_E_clISt17integral_constantIbLb0EES10_IbLb1EEEEDaSW_SX_EUlSW_E_NS1_11comp_targetILNS1_3genE8ELNS1_11target_archE1030ELNS1_3gpuE2ELNS1_3repE0EEENS1_30default_config_static_selectorELNS0_4arch9wavefront6targetE1EEEvT1_
    .private_segment_fixed_size: 0
    .sgpr_count:     6
    .sgpr_spill_count: 0
    .symbol:         _ZN7rocprim17ROCPRIM_400000_NS6detail17trampoline_kernelINS0_14default_configENS1_33run_length_encode_config_selectorIN3c108BFloat16EjNS0_4plusIjEEEEZZNS1_33reduce_by_key_impl_wrapped_configILNS1_25lookback_scan_determinismE0ES3_S9_PKS6_NS0_17constant_iteratorIjlEEPS6_PlSH_S8_NS0_8equal_toIS6_EEEE10hipError_tPvRmT2_T3_mT4_T5_T6_T7_T8_P12ihipStream_tbENKUlT_T0_E_clISt17integral_constantIbLb0EES10_IbLb1EEEEDaSW_SX_EUlSW_E_NS1_11comp_targetILNS1_3genE8ELNS1_11target_archE1030ELNS1_3gpuE2ELNS1_3repE0EEENS1_30default_config_static_selectorELNS0_4arch9wavefront6targetE1EEEvT1_.kd
    .uniform_work_group_size: 1
    .uses_dynamic_stack: false
    .vgpr_count:     0
    .vgpr_spill_count: 0
    .wavefront_size: 64
  - .agpr_count:     0
    .args:
      - .offset:         0
        .size:           8
        .value_kind:     by_value
      - .address_space:  global
        .offset:         8
        .size:           8
        .value_kind:     global_buffer
      - .address_space:  global
        .offset:         16
        .size:           8
        .value_kind:     global_buffer
      - .offset:         24
        .size:           4
        .value_kind:     hidden_block_count_x
      - .offset:         28
        .size:           4
        .value_kind:     hidden_block_count_y
      - .offset:         32
        .size:           4
        .value_kind:     hidden_block_count_z
      - .offset:         36
        .size:           2
        .value_kind:     hidden_group_size_x
      - .offset:         38
        .size:           2
        .value_kind:     hidden_group_size_y
      - .offset:         40
        .size:           2
        .value_kind:     hidden_group_size_z
      - .offset:         42
        .size:           2
        .value_kind:     hidden_remainder_x
      - .offset:         44
        .size:           2
        .value_kind:     hidden_remainder_y
      - .offset:         46
        .size:           2
        .value_kind:     hidden_remainder_z
      - .offset:         64
        .size:           8
        .value_kind:     hidden_global_offset_x
      - .offset:         72
        .size:           8
        .value_kind:     hidden_global_offset_y
      - .offset:         80
        .size:           8
        .value_kind:     hidden_global_offset_z
      - .offset:         88
        .size:           2
        .value_kind:     hidden_grid_dims
    .group_segment_fixed_size: 0
    .kernarg_segment_align: 8
    .kernarg_segment_size: 280
    .language:       OpenCL C
    .language_version:
      - 2
      - 0
    .max_flat_workgroup_size: 1024
    .name:           _ZN2at6native8internal12_GLOBAL__N_126adjacent_difference_kernelIPKN3c104HalfEEEvlT_Pi
    .private_segment_fixed_size: 0
    .sgpr_count:     22
    .sgpr_spill_count: 0
    .symbol:         _ZN2at6native8internal12_GLOBAL__N_126adjacent_difference_kernelIPKN3c104HalfEEEvlT_Pi.kd
    .uniform_work_group_size: 1
    .uses_dynamic_stack: false
    .vgpr_count:     10
    .vgpr_spill_count: 0
    .wavefront_size: 64
  - .agpr_count:     0
    .args:
      - .offset:         0
        .size:           112
        .value_kind:     by_value
    .group_segment_fixed_size: 0
    .kernarg_segment_align: 8
    .kernarg_segment_size: 112
    .language:       OpenCL C
    .language_version:
      - 2
      - 0
    .max_flat_workgroup_size: 256
    .name:           _ZN7rocprim17ROCPRIM_400000_NS6detail17trampoline_kernelINS0_14default_configENS1_25partition_config_selectorILNS1_17partition_subalgoE8EN3c104HalfENS0_10empty_typeEbEEZZNS1_14partition_implILS5_8ELb0ES3_jPKS7_PS8_PKS8_NS0_5tupleIJPS7_S8_EEENSG_IJSD_SD_EEENS0_18inequality_wrapperIN6hipcub16HIPCUB_304000_NS8EqualityEEEPlJS8_EEE10hipError_tPvRmT3_T4_T5_T6_T7_T9_mT8_P12ihipStream_tbDpT10_ENKUlT_T0_E_clISt17integral_constantIbLb0EES19_EEDaS14_S15_EUlS14_E_NS1_11comp_targetILNS1_3genE0ELNS1_11target_archE4294967295ELNS1_3gpuE0ELNS1_3repE0EEENS1_30default_config_static_selectorELNS0_4arch9wavefront6targetE1EEEvT1_
    .private_segment_fixed_size: 0
    .sgpr_count:     6
    .sgpr_spill_count: 0
    .symbol:         _ZN7rocprim17ROCPRIM_400000_NS6detail17trampoline_kernelINS0_14default_configENS1_25partition_config_selectorILNS1_17partition_subalgoE8EN3c104HalfENS0_10empty_typeEbEEZZNS1_14partition_implILS5_8ELb0ES3_jPKS7_PS8_PKS8_NS0_5tupleIJPS7_S8_EEENSG_IJSD_SD_EEENS0_18inequality_wrapperIN6hipcub16HIPCUB_304000_NS8EqualityEEEPlJS8_EEE10hipError_tPvRmT3_T4_T5_T6_T7_T9_mT8_P12ihipStream_tbDpT10_ENKUlT_T0_E_clISt17integral_constantIbLb0EES19_EEDaS14_S15_EUlS14_E_NS1_11comp_targetILNS1_3genE0ELNS1_11target_archE4294967295ELNS1_3gpuE0ELNS1_3repE0EEENS1_30default_config_static_selectorELNS0_4arch9wavefront6targetE1EEEvT1_.kd
    .uniform_work_group_size: 1
    .uses_dynamic_stack: false
    .vgpr_count:     0
    .vgpr_spill_count: 0
    .wavefront_size: 64
  - .agpr_count:     0
    .args:
      - .offset:         0
        .size:           112
        .value_kind:     by_value
    .group_segment_fixed_size: 30728
    .kernarg_segment_align: 8
    .kernarg_segment_size: 112
    .language:       OpenCL C
    .language_version:
      - 2
      - 0
    .max_flat_workgroup_size: 512
    .name:           _ZN7rocprim17ROCPRIM_400000_NS6detail17trampoline_kernelINS0_14default_configENS1_25partition_config_selectorILNS1_17partition_subalgoE8EN3c104HalfENS0_10empty_typeEbEEZZNS1_14partition_implILS5_8ELb0ES3_jPKS7_PS8_PKS8_NS0_5tupleIJPS7_S8_EEENSG_IJSD_SD_EEENS0_18inequality_wrapperIN6hipcub16HIPCUB_304000_NS8EqualityEEEPlJS8_EEE10hipError_tPvRmT3_T4_T5_T6_T7_T9_mT8_P12ihipStream_tbDpT10_ENKUlT_T0_E_clISt17integral_constantIbLb0EES19_EEDaS14_S15_EUlS14_E_NS1_11comp_targetILNS1_3genE5ELNS1_11target_archE942ELNS1_3gpuE9ELNS1_3repE0EEENS1_30default_config_static_selectorELNS0_4arch9wavefront6targetE1EEEvT1_
    .private_segment_fixed_size: 0
    .sgpr_count:     84
    .sgpr_spill_count: 0
    .symbol:         _ZN7rocprim17ROCPRIM_400000_NS6detail17trampoline_kernelINS0_14default_configENS1_25partition_config_selectorILNS1_17partition_subalgoE8EN3c104HalfENS0_10empty_typeEbEEZZNS1_14partition_implILS5_8ELb0ES3_jPKS7_PS8_PKS8_NS0_5tupleIJPS7_S8_EEENSG_IJSD_SD_EEENS0_18inequality_wrapperIN6hipcub16HIPCUB_304000_NS8EqualityEEEPlJS8_EEE10hipError_tPvRmT3_T4_T5_T6_T7_T9_mT8_P12ihipStream_tbDpT10_ENKUlT_T0_E_clISt17integral_constantIbLb0EES19_EEDaS14_S15_EUlS14_E_NS1_11comp_targetILNS1_3genE5ELNS1_11target_archE942ELNS1_3gpuE9ELNS1_3repE0EEENS1_30default_config_static_selectorELNS0_4arch9wavefront6targetE1EEEvT1_.kd
    .uniform_work_group_size: 1
    .uses_dynamic_stack: false
    .vgpr_count:     114
    .vgpr_spill_count: 0
    .wavefront_size: 64
  - .agpr_count:     0
    .args:
      - .offset:         0
        .size:           112
        .value_kind:     by_value
    .group_segment_fixed_size: 0
    .kernarg_segment_align: 8
    .kernarg_segment_size: 112
    .language:       OpenCL C
    .language_version:
      - 2
      - 0
    .max_flat_workgroup_size: 256
    .name:           _ZN7rocprim17ROCPRIM_400000_NS6detail17trampoline_kernelINS0_14default_configENS1_25partition_config_selectorILNS1_17partition_subalgoE8EN3c104HalfENS0_10empty_typeEbEEZZNS1_14partition_implILS5_8ELb0ES3_jPKS7_PS8_PKS8_NS0_5tupleIJPS7_S8_EEENSG_IJSD_SD_EEENS0_18inequality_wrapperIN6hipcub16HIPCUB_304000_NS8EqualityEEEPlJS8_EEE10hipError_tPvRmT3_T4_T5_T6_T7_T9_mT8_P12ihipStream_tbDpT10_ENKUlT_T0_E_clISt17integral_constantIbLb0EES19_EEDaS14_S15_EUlS14_E_NS1_11comp_targetILNS1_3genE4ELNS1_11target_archE910ELNS1_3gpuE8ELNS1_3repE0EEENS1_30default_config_static_selectorELNS0_4arch9wavefront6targetE1EEEvT1_
    .private_segment_fixed_size: 0
    .sgpr_count:     6
    .sgpr_spill_count: 0
    .symbol:         _ZN7rocprim17ROCPRIM_400000_NS6detail17trampoline_kernelINS0_14default_configENS1_25partition_config_selectorILNS1_17partition_subalgoE8EN3c104HalfENS0_10empty_typeEbEEZZNS1_14partition_implILS5_8ELb0ES3_jPKS7_PS8_PKS8_NS0_5tupleIJPS7_S8_EEENSG_IJSD_SD_EEENS0_18inequality_wrapperIN6hipcub16HIPCUB_304000_NS8EqualityEEEPlJS8_EEE10hipError_tPvRmT3_T4_T5_T6_T7_T9_mT8_P12ihipStream_tbDpT10_ENKUlT_T0_E_clISt17integral_constantIbLb0EES19_EEDaS14_S15_EUlS14_E_NS1_11comp_targetILNS1_3genE4ELNS1_11target_archE910ELNS1_3gpuE8ELNS1_3repE0EEENS1_30default_config_static_selectorELNS0_4arch9wavefront6targetE1EEEvT1_.kd
    .uniform_work_group_size: 1
    .uses_dynamic_stack: false
    .vgpr_count:     0
    .vgpr_spill_count: 0
    .wavefront_size: 64
  - .agpr_count:     0
    .args:
      - .offset:         0
        .size:           112
        .value_kind:     by_value
    .group_segment_fixed_size: 0
    .kernarg_segment_align: 8
    .kernarg_segment_size: 112
    .language:       OpenCL C
    .language_version:
      - 2
      - 0
    .max_flat_workgroup_size: 256
    .name:           _ZN7rocprim17ROCPRIM_400000_NS6detail17trampoline_kernelINS0_14default_configENS1_25partition_config_selectorILNS1_17partition_subalgoE8EN3c104HalfENS0_10empty_typeEbEEZZNS1_14partition_implILS5_8ELb0ES3_jPKS7_PS8_PKS8_NS0_5tupleIJPS7_S8_EEENSG_IJSD_SD_EEENS0_18inequality_wrapperIN6hipcub16HIPCUB_304000_NS8EqualityEEEPlJS8_EEE10hipError_tPvRmT3_T4_T5_T6_T7_T9_mT8_P12ihipStream_tbDpT10_ENKUlT_T0_E_clISt17integral_constantIbLb0EES19_EEDaS14_S15_EUlS14_E_NS1_11comp_targetILNS1_3genE3ELNS1_11target_archE908ELNS1_3gpuE7ELNS1_3repE0EEENS1_30default_config_static_selectorELNS0_4arch9wavefront6targetE1EEEvT1_
    .private_segment_fixed_size: 0
    .sgpr_count:     6
    .sgpr_spill_count: 0
    .symbol:         _ZN7rocprim17ROCPRIM_400000_NS6detail17trampoline_kernelINS0_14default_configENS1_25partition_config_selectorILNS1_17partition_subalgoE8EN3c104HalfENS0_10empty_typeEbEEZZNS1_14partition_implILS5_8ELb0ES3_jPKS7_PS8_PKS8_NS0_5tupleIJPS7_S8_EEENSG_IJSD_SD_EEENS0_18inequality_wrapperIN6hipcub16HIPCUB_304000_NS8EqualityEEEPlJS8_EEE10hipError_tPvRmT3_T4_T5_T6_T7_T9_mT8_P12ihipStream_tbDpT10_ENKUlT_T0_E_clISt17integral_constantIbLb0EES19_EEDaS14_S15_EUlS14_E_NS1_11comp_targetILNS1_3genE3ELNS1_11target_archE908ELNS1_3gpuE7ELNS1_3repE0EEENS1_30default_config_static_selectorELNS0_4arch9wavefront6targetE1EEEvT1_.kd
    .uniform_work_group_size: 1
    .uses_dynamic_stack: false
    .vgpr_count:     0
    .vgpr_spill_count: 0
    .wavefront_size: 64
  - .agpr_count:     0
    .args:
      - .offset:         0
        .size:           112
        .value_kind:     by_value
    .group_segment_fixed_size: 0
    .kernarg_segment_align: 8
    .kernarg_segment_size: 112
    .language:       OpenCL C
    .language_version:
      - 2
      - 0
    .max_flat_workgroup_size: 192
    .name:           _ZN7rocprim17ROCPRIM_400000_NS6detail17trampoline_kernelINS0_14default_configENS1_25partition_config_selectorILNS1_17partition_subalgoE8EN3c104HalfENS0_10empty_typeEbEEZZNS1_14partition_implILS5_8ELb0ES3_jPKS7_PS8_PKS8_NS0_5tupleIJPS7_S8_EEENSG_IJSD_SD_EEENS0_18inequality_wrapperIN6hipcub16HIPCUB_304000_NS8EqualityEEEPlJS8_EEE10hipError_tPvRmT3_T4_T5_T6_T7_T9_mT8_P12ihipStream_tbDpT10_ENKUlT_T0_E_clISt17integral_constantIbLb0EES19_EEDaS14_S15_EUlS14_E_NS1_11comp_targetILNS1_3genE2ELNS1_11target_archE906ELNS1_3gpuE6ELNS1_3repE0EEENS1_30default_config_static_selectorELNS0_4arch9wavefront6targetE1EEEvT1_
    .private_segment_fixed_size: 0
    .sgpr_count:     6
    .sgpr_spill_count: 0
    .symbol:         _ZN7rocprim17ROCPRIM_400000_NS6detail17trampoline_kernelINS0_14default_configENS1_25partition_config_selectorILNS1_17partition_subalgoE8EN3c104HalfENS0_10empty_typeEbEEZZNS1_14partition_implILS5_8ELb0ES3_jPKS7_PS8_PKS8_NS0_5tupleIJPS7_S8_EEENSG_IJSD_SD_EEENS0_18inequality_wrapperIN6hipcub16HIPCUB_304000_NS8EqualityEEEPlJS8_EEE10hipError_tPvRmT3_T4_T5_T6_T7_T9_mT8_P12ihipStream_tbDpT10_ENKUlT_T0_E_clISt17integral_constantIbLb0EES19_EEDaS14_S15_EUlS14_E_NS1_11comp_targetILNS1_3genE2ELNS1_11target_archE906ELNS1_3gpuE6ELNS1_3repE0EEENS1_30default_config_static_selectorELNS0_4arch9wavefront6targetE1EEEvT1_.kd
    .uniform_work_group_size: 1
    .uses_dynamic_stack: false
    .vgpr_count:     0
    .vgpr_spill_count: 0
    .wavefront_size: 64
  - .agpr_count:     0
    .args:
      - .offset:         0
        .size:           112
        .value_kind:     by_value
    .group_segment_fixed_size: 0
    .kernarg_segment_align: 8
    .kernarg_segment_size: 112
    .language:       OpenCL C
    .language_version:
      - 2
      - 0
    .max_flat_workgroup_size: 256
    .name:           _ZN7rocprim17ROCPRIM_400000_NS6detail17trampoline_kernelINS0_14default_configENS1_25partition_config_selectorILNS1_17partition_subalgoE8EN3c104HalfENS0_10empty_typeEbEEZZNS1_14partition_implILS5_8ELb0ES3_jPKS7_PS8_PKS8_NS0_5tupleIJPS7_S8_EEENSG_IJSD_SD_EEENS0_18inequality_wrapperIN6hipcub16HIPCUB_304000_NS8EqualityEEEPlJS8_EEE10hipError_tPvRmT3_T4_T5_T6_T7_T9_mT8_P12ihipStream_tbDpT10_ENKUlT_T0_E_clISt17integral_constantIbLb0EES19_EEDaS14_S15_EUlS14_E_NS1_11comp_targetILNS1_3genE10ELNS1_11target_archE1200ELNS1_3gpuE4ELNS1_3repE0EEENS1_30default_config_static_selectorELNS0_4arch9wavefront6targetE1EEEvT1_
    .private_segment_fixed_size: 0
    .sgpr_count:     6
    .sgpr_spill_count: 0
    .symbol:         _ZN7rocprim17ROCPRIM_400000_NS6detail17trampoline_kernelINS0_14default_configENS1_25partition_config_selectorILNS1_17partition_subalgoE8EN3c104HalfENS0_10empty_typeEbEEZZNS1_14partition_implILS5_8ELb0ES3_jPKS7_PS8_PKS8_NS0_5tupleIJPS7_S8_EEENSG_IJSD_SD_EEENS0_18inequality_wrapperIN6hipcub16HIPCUB_304000_NS8EqualityEEEPlJS8_EEE10hipError_tPvRmT3_T4_T5_T6_T7_T9_mT8_P12ihipStream_tbDpT10_ENKUlT_T0_E_clISt17integral_constantIbLb0EES19_EEDaS14_S15_EUlS14_E_NS1_11comp_targetILNS1_3genE10ELNS1_11target_archE1200ELNS1_3gpuE4ELNS1_3repE0EEENS1_30default_config_static_selectorELNS0_4arch9wavefront6targetE1EEEvT1_.kd
    .uniform_work_group_size: 1
    .uses_dynamic_stack: false
    .vgpr_count:     0
    .vgpr_spill_count: 0
    .wavefront_size: 64
  - .agpr_count:     0
    .args:
      - .offset:         0
        .size:           112
        .value_kind:     by_value
    .group_segment_fixed_size: 0
    .kernarg_segment_align: 8
    .kernarg_segment_size: 112
    .language:       OpenCL C
    .language_version:
      - 2
      - 0
    .max_flat_workgroup_size: 128
    .name:           _ZN7rocprim17ROCPRIM_400000_NS6detail17trampoline_kernelINS0_14default_configENS1_25partition_config_selectorILNS1_17partition_subalgoE8EN3c104HalfENS0_10empty_typeEbEEZZNS1_14partition_implILS5_8ELb0ES3_jPKS7_PS8_PKS8_NS0_5tupleIJPS7_S8_EEENSG_IJSD_SD_EEENS0_18inequality_wrapperIN6hipcub16HIPCUB_304000_NS8EqualityEEEPlJS8_EEE10hipError_tPvRmT3_T4_T5_T6_T7_T9_mT8_P12ihipStream_tbDpT10_ENKUlT_T0_E_clISt17integral_constantIbLb0EES19_EEDaS14_S15_EUlS14_E_NS1_11comp_targetILNS1_3genE9ELNS1_11target_archE1100ELNS1_3gpuE3ELNS1_3repE0EEENS1_30default_config_static_selectorELNS0_4arch9wavefront6targetE1EEEvT1_
    .private_segment_fixed_size: 0
    .sgpr_count:     6
    .sgpr_spill_count: 0
    .symbol:         _ZN7rocprim17ROCPRIM_400000_NS6detail17trampoline_kernelINS0_14default_configENS1_25partition_config_selectorILNS1_17partition_subalgoE8EN3c104HalfENS0_10empty_typeEbEEZZNS1_14partition_implILS5_8ELb0ES3_jPKS7_PS8_PKS8_NS0_5tupleIJPS7_S8_EEENSG_IJSD_SD_EEENS0_18inequality_wrapperIN6hipcub16HIPCUB_304000_NS8EqualityEEEPlJS8_EEE10hipError_tPvRmT3_T4_T5_T6_T7_T9_mT8_P12ihipStream_tbDpT10_ENKUlT_T0_E_clISt17integral_constantIbLb0EES19_EEDaS14_S15_EUlS14_E_NS1_11comp_targetILNS1_3genE9ELNS1_11target_archE1100ELNS1_3gpuE3ELNS1_3repE0EEENS1_30default_config_static_selectorELNS0_4arch9wavefront6targetE1EEEvT1_.kd
    .uniform_work_group_size: 1
    .uses_dynamic_stack: false
    .vgpr_count:     0
    .vgpr_spill_count: 0
    .wavefront_size: 64
  - .agpr_count:     0
    .args:
      - .offset:         0
        .size:           112
        .value_kind:     by_value
    .group_segment_fixed_size: 0
    .kernarg_segment_align: 8
    .kernarg_segment_size: 112
    .language:       OpenCL C
    .language_version:
      - 2
      - 0
    .max_flat_workgroup_size: 384
    .name:           _ZN7rocprim17ROCPRIM_400000_NS6detail17trampoline_kernelINS0_14default_configENS1_25partition_config_selectorILNS1_17partition_subalgoE8EN3c104HalfENS0_10empty_typeEbEEZZNS1_14partition_implILS5_8ELb0ES3_jPKS7_PS8_PKS8_NS0_5tupleIJPS7_S8_EEENSG_IJSD_SD_EEENS0_18inequality_wrapperIN6hipcub16HIPCUB_304000_NS8EqualityEEEPlJS8_EEE10hipError_tPvRmT3_T4_T5_T6_T7_T9_mT8_P12ihipStream_tbDpT10_ENKUlT_T0_E_clISt17integral_constantIbLb0EES19_EEDaS14_S15_EUlS14_E_NS1_11comp_targetILNS1_3genE8ELNS1_11target_archE1030ELNS1_3gpuE2ELNS1_3repE0EEENS1_30default_config_static_selectorELNS0_4arch9wavefront6targetE1EEEvT1_
    .private_segment_fixed_size: 0
    .sgpr_count:     6
    .sgpr_spill_count: 0
    .symbol:         _ZN7rocprim17ROCPRIM_400000_NS6detail17trampoline_kernelINS0_14default_configENS1_25partition_config_selectorILNS1_17partition_subalgoE8EN3c104HalfENS0_10empty_typeEbEEZZNS1_14partition_implILS5_8ELb0ES3_jPKS7_PS8_PKS8_NS0_5tupleIJPS7_S8_EEENSG_IJSD_SD_EEENS0_18inequality_wrapperIN6hipcub16HIPCUB_304000_NS8EqualityEEEPlJS8_EEE10hipError_tPvRmT3_T4_T5_T6_T7_T9_mT8_P12ihipStream_tbDpT10_ENKUlT_T0_E_clISt17integral_constantIbLb0EES19_EEDaS14_S15_EUlS14_E_NS1_11comp_targetILNS1_3genE8ELNS1_11target_archE1030ELNS1_3gpuE2ELNS1_3repE0EEENS1_30default_config_static_selectorELNS0_4arch9wavefront6targetE1EEEvT1_.kd
    .uniform_work_group_size: 1
    .uses_dynamic_stack: false
    .vgpr_count:     0
    .vgpr_spill_count: 0
    .wavefront_size: 64
  - .agpr_count:     0
    .args:
      - .offset:         0
        .size:           128
        .value_kind:     by_value
    .group_segment_fixed_size: 0
    .kernarg_segment_align: 8
    .kernarg_segment_size: 128
    .language:       OpenCL C
    .language_version:
      - 2
      - 0
    .max_flat_workgroup_size: 256
    .name:           _ZN7rocprim17ROCPRIM_400000_NS6detail17trampoline_kernelINS0_14default_configENS1_25partition_config_selectorILNS1_17partition_subalgoE8EN3c104HalfENS0_10empty_typeEbEEZZNS1_14partition_implILS5_8ELb0ES3_jPKS7_PS8_PKS8_NS0_5tupleIJPS7_S8_EEENSG_IJSD_SD_EEENS0_18inequality_wrapperIN6hipcub16HIPCUB_304000_NS8EqualityEEEPlJS8_EEE10hipError_tPvRmT3_T4_T5_T6_T7_T9_mT8_P12ihipStream_tbDpT10_ENKUlT_T0_E_clISt17integral_constantIbLb1EES19_EEDaS14_S15_EUlS14_E_NS1_11comp_targetILNS1_3genE0ELNS1_11target_archE4294967295ELNS1_3gpuE0ELNS1_3repE0EEENS1_30default_config_static_selectorELNS0_4arch9wavefront6targetE1EEEvT1_
    .private_segment_fixed_size: 0
    .sgpr_count:     6
    .sgpr_spill_count: 0
    .symbol:         _ZN7rocprim17ROCPRIM_400000_NS6detail17trampoline_kernelINS0_14default_configENS1_25partition_config_selectorILNS1_17partition_subalgoE8EN3c104HalfENS0_10empty_typeEbEEZZNS1_14partition_implILS5_8ELb0ES3_jPKS7_PS8_PKS8_NS0_5tupleIJPS7_S8_EEENSG_IJSD_SD_EEENS0_18inequality_wrapperIN6hipcub16HIPCUB_304000_NS8EqualityEEEPlJS8_EEE10hipError_tPvRmT3_T4_T5_T6_T7_T9_mT8_P12ihipStream_tbDpT10_ENKUlT_T0_E_clISt17integral_constantIbLb1EES19_EEDaS14_S15_EUlS14_E_NS1_11comp_targetILNS1_3genE0ELNS1_11target_archE4294967295ELNS1_3gpuE0ELNS1_3repE0EEENS1_30default_config_static_selectorELNS0_4arch9wavefront6targetE1EEEvT1_.kd
    .uniform_work_group_size: 1
    .uses_dynamic_stack: false
    .vgpr_count:     0
    .vgpr_spill_count: 0
    .wavefront_size: 64
  - .agpr_count:     0
    .args:
      - .offset:         0
        .size:           128
        .value_kind:     by_value
    .group_segment_fixed_size: 30728
    .kernarg_segment_align: 8
    .kernarg_segment_size: 128
    .language:       OpenCL C
    .language_version:
      - 2
      - 0
    .max_flat_workgroup_size: 512
    .name:           _ZN7rocprim17ROCPRIM_400000_NS6detail17trampoline_kernelINS0_14default_configENS1_25partition_config_selectorILNS1_17partition_subalgoE8EN3c104HalfENS0_10empty_typeEbEEZZNS1_14partition_implILS5_8ELb0ES3_jPKS7_PS8_PKS8_NS0_5tupleIJPS7_S8_EEENSG_IJSD_SD_EEENS0_18inequality_wrapperIN6hipcub16HIPCUB_304000_NS8EqualityEEEPlJS8_EEE10hipError_tPvRmT3_T4_T5_T6_T7_T9_mT8_P12ihipStream_tbDpT10_ENKUlT_T0_E_clISt17integral_constantIbLb1EES19_EEDaS14_S15_EUlS14_E_NS1_11comp_targetILNS1_3genE5ELNS1_11target_archE942ELNS1_3gpuE9ELNS1_3repE0EEENS1_30default_config_static_selectorELNS0_4arch9wavefront6targetE1EEEvT1_
    .private_segment_fixed_size: 0
    .sgpr_count:     87
    .sgpr_spill_count: 0
    .symbol:         _ZN7rocprim17ROCPRIM_400000_NS6detail17trampoline_kernelINS0_14default_configENS1_25partition_config_selectorILNS1_17partition_subalgoE8EN3c104HalfENS0_10empty_typeEbEEZZNS1_14partition_implILS5_8ELb0ES3_jPKS7_PS8_PKS8_NS0_5tupleIJPS7_S8_EEENSG_IJSD_SD_EEENS0_18inequality_wrapperIN6hipcub16HIPCUB_304000_NS8EqualityEEEPlJS8_EEE10hipError_tPvRmT3_T4_T5_T6_T7_T9_mT8_P12ihipStream_tbDpT10_ENKUlT_T0_E_clISt17integral_constantIbLb1EES19_EEDaS14_S15_EUlS14_E_NS1_11comp_targetILNS1_3genE5ELNS1_11target_archE942ELNS1_3gpuE9ELNS1_3repE0EEENS1_30default_config_static_selectorELNS0_4arch9wavefront6targetE1EEEvT1_.kd
    .uniform_work_group_size: 1
    .uses_dynamic_stack: false
    .vgpr_count:     118
    .vgpr_spill_count: 0
    .wavefront_size: 64
  - .agpr_count:     0
    .args:
      - .offset:         0
        .size:           128
        .value_kind:     by_value
    .group_segment_fixed_size: 0
    .kernarg_segment_align: 8
    .kernarg_segment_size: 128
    .language:       OpenCL C
    .language_version:
      - 2
      - 0
    .max_flat_workgroup_size: 256
    .name:           _ZN7rocprim17ROCPRIM_400000_NS6detail17trampoline_kernelINS0_14default_configENS1_25partition_config_selectorILNS1_17partition_subalgoE8EN3c104HalfENS0_10empty_typeEbEEZZNS1_14partition_implILS5_8ELb0ES3_jPKS7_PS8_PKS8_NS0_5tupleIJPS7_S8_EEENSG_IJSD_SD_EEENS0_18inequality_wrapperIN6hipcub16HIPCUB_304000_NS8EqualityEEEPlJS8_EEE10hipError_tPvRmT3_T4_T5_T6_T7_T9_mT8_P12ihipStream_tbDpT10_ENKUlT_T0_E_clISt17integral_constantIbLb1EES19_EEDaS14_S15_EUlS14_E_NS1_11comp_targetILNS1_3genE4ELNS1_11target_archE910ELNS1_3gpuE8ELNS1_3repE0EEENS1_30default_config_static_selectorELNS0_4arch9wavefront6targetE1EEEvT1_
    .private_segment_fixed_size: 0
    .sgpr_count:     6
    .sgpr_spill_count: 0
    .symbol:         _ZN7rocprim17ROCPRIM_400000_NS6detail17trampoline_kernelINS0_14default_configENS1_25partition_config_selectorILNS1_17partition_subalgoE8EN3c104HalfENS0_10empty_typeEbEEZZNS1_14partition_implILS5_8ELb0ES3_jPKS7_PS8_PKS8_NS0_5tupleIJPS7_S8_EEENSG_IJSD_SD_EEENS0_18inequality_wrapperIN6hipcub16HIPCUB_304000_NS8EqualityEEEPlJS8_EEE10hipError_tPvRmT3_T4_T5_T6_T7_T9_mT8_P12ihipStream_tbDpT10_ENKUlT_T0_E_clISt17integral_constantIbLb1EES19_EEDaS14_S15_EUlS14_E_NS1_11comp_targetILNS1_3genE4ELNS1_11target_archE910ELNS1_3gpuE8ELNS1_3repE0EEENS1_30default_config_static_selectorELNS0_4arch9wavefront6targetE1EEEvT1_.kd
    .uniform_work_group_size: 1
    .uses_dynamic_stack: false
    .vgpr_count:     0
    .vgpr_spill_count: 0
    .wavefront_size: 64
  - .agpr_count:     0
    .args:
      - .offset:         0
        .size:           128
        .value_kind:     by_value
    .group_segment_fixed_size: 0
    .kernarg_segment_align: 8
    .kernarg_segment_size: 128
    .language:       OpenCL C
    .language_version:
      - 2
      - 0
    .max_flat_workgroup_size: 256
    .name:           _ZN7rocprim17ROCPRIM_400000_NS6detail17trampoline_kernelINS0_14default_configENS1_25partition_config_selectorILNS1_17partition_subalgoE8EN3c104HalfENS0_10empty_typeEbEEZZNS1_14partition_implILS5_8ELb0ES3_jPKS7_PS8_PKS8_NS0_5tupleIJPS7_S8_EEENSG_IJSD_SD_EEENS0_18inequality_wrapperIN6hipcub16HIPCUB_304000_NS8EqualityEEEPlJS8_EEE10hipError_tPvRmT3_T4_T5_T6_T7_T9_mT8_P12ihipStream_tbDpT10_ENKUlT_T0_E_clISt17integral_constantIbLb1EES19_EEDaS14_S15_EUlS14_E_NS1_11comp_targetILNS1_3genE3ELNS1_11target_archE908ELNS1_3gpuE7ELNS1_3repE0EEENS1_30default_config_static_selectorELNS0_4arch9wavefront6targetE1EEEvT1_
    .private_segment_fixed_size: 0
    .sgpr_count:     6
    .sgpr_spill_count: 0
    .symbol:         _ZN7rocprim17ROCPRIM_400000_NS6detail17trampoline_kernelINS0_14default_configENS1_25partition_config_selectorILNS1_17partition_subalgoE8EN3c104HalfENS0_10empty_typeEbEEZZNS1_14partition_implILS5_8ELb0ES3_jPKS7_PS8_PKS8_NS0_5tupleIJPS7_S8_EEENSG_IJSD_SD_EEENS0_18inequality_wrapperIN6hipcub16HIPCUB_304000_NS8EqualityEEEPlJS8_EEE10hipError_tPvRmT3_T4_T5_T6_T7_T9_mT8_P12ihipStream_tbDpT10_ENKUlT_T0_E_clISt17integral_constantIbLb1EES19_EEDaS14_S15_EUlS14_E_NS1_11comp_targetILNS1_3genE3ELNS1_11target_archE908ELNS1_3gpuE7ELNS1_3repE0EEENS1_30default_config_static_selectorELNS0_4arch9wavefront6targetE1EEEvT1_.kd
    .uniform_work_group_size: 1
    .uses_dynamic_stack: false
    .vgpr_count:     0
    .vgpr_spill_count: 0
    .wavefront_size: 64
  - .agpr_count:     0
    .args:
      - .offset:         0
        .size:           128
        .value_kind:     by_value
    .group_segment_fixed_size: 0
    .kernarg_segment_align: 8
    .kernarg_segment_size: 128
    .language:       OpenCL C
    .language_version:
      - 2
      - 0
    .max_flat_workgroup_size: 192
    .name:           _ZN7rocprim17ROCPRIM_400000_NS6detail17trampoline_kernelINS0_14default_configENS1_25partition_config_selectorILNS1_17partition_subalgoE8EN3c104HalfENS0_10empty_typeEbEEZZNS1_14partition_implILS5_8ELb0ES3_jPKS7_PS8_PKS8_NS0_5tupleIJPS7_S8_EEENSG_IJSD_SD_EEENS0_18inequality_wrapperIN6hipcub16HIPCUB_304000_NS8EqualityEEEPlJS8_EEE10hipError_tPvRmT3_T4_T5_T6_T7_T9_mT8_P12ihipStream_tbDpT10_ENKUlT_T0_E_clISt17integral_constantIbLb1EES19_EEDaS14_S15_EUlS14_E_NS1_11comp_targetILNS1_3genE2ELNS1_11target_archE906ELNS1_3gpuE6ELNS1_3repE0EEENS1_30default_config_static_selectorELNS0_4arch9wavefront6targetE1EEEvT1_
    .private_segment_fixed_size: 0
    .sgpr_count:     6
    .sgpr_spill_count: 0
    .symbol:         _ZN7rocprim17ROCPRIM_400000_NS6detail17trampoline_kernelINS0_14default_configENS1_25partition_config_selectorILNS1_17partition_subalgoE8EN3c104HalfENS0_10empty_typeEbEEZZNS1_14partition_implILS5_8ELb0ES3_jPKS7_PS8_PKS8_NS0_5tupleIJPS7_S8_EEENSG_IJSD_SD_EEENS0_18inequality_wrapperIN6hipcub16HIPCUB_304000_NS8EqualityEEEPlJS8_EEE10hipError_tPvRmT3_T4_T5_T6_T7_T9_mT8_P12ihipStream_tbDpT10_ENKUlT_T0_E_clISt17integral_constantIbLb1EES19_EEDaS14_S15_EUlS14_E_NS1_11comp_targetILNS1_3genE2ELNS1_11target_archE906ELNS1_3gpuE6ELNS1_3repE0EEENS1_30default_config_static_selectorELNS0_4arch9wavefront6targetE1EEEvT1_.kd
    .uniform_work_group_size: 1
    .uses_dynamic_stack: false
    .vgpr_count:     0
    .vgpr_spill_count: 0
    .wavefront_size: 64
  - .agpr_count:     0
    .args:
      - .offset:         0
        .size:           128
        .value_kind:     by_value
    .group_segment_fixed_size: 0
    .kernarg_segment_align: 8
    .kernarg_segment_size: 128
    .language:       OpenCL C
    .language_version:
      - 2
      - 0
    .max_flat_workgroup_size: 256
    .name:           _ZN7rocprim17ROCPRIM_400000_NS6detail17trampoline_kernelINS0_14default_configENS1_25partition_config_selectorILNS1_17partition_subalgoE8EN3c104HalfENS0_10empty_typeEbEEZZNS1_14partition_implILS5_8ELb0ES3_jPKS7_PS8_PKS8_NS0_5tupleIJPS7_S8_EEENSG_IJSD_SD_EEENS0_18inequality_wrapperIN6hipcub16HIPCUB_304000_NS8EqualityEEEPlJS8_EEE10hipError_tPvRmT3_T4_T5_T6_T7_T9_mT8_P12ihipStream_tbDpT10_ENKUlT_T0_E_clISt17integral_constantIbLb1EES19_EEDaS14_S15_EUlS14_E_NS1_11comp_targetILNS1_3genE10ELNS1_11target_archE1200ELNS1_3gpuE4ELNS1_3repE0EEENS1_30default_config_static_selectorELNS0_4arch9wavefront6targetE1EEEvT1_
    .private_segment_fixed_size: 0
    .sgpr_count:     6
    .sgpr_spill_count: 0
    .symbol:         _ZN7rocprim17ROCPRIM_400000_NS6detail17trampoline_kernelINS0_14default_configENS1_25partition_config_selectorILNS1_17partition_subalgoE8EN3c104HalfENS0_10empty_typeEbEEZZNS1_14partition_implILS5_8ELb0ES3_jPKS7_PS8_PKS8_NS0_5tupleIJPS7_S8_EEENSG_IJSD_SD_EEENS0_18inequality_wrapperIN6hipcub16HIPCUB_304000_NS8EqualityEEEPlJS8_EEE10hipError_tPvRmT3_T4_T5_T6_T7_T9_mT8_P12ihipStream_tbDpT10_ENKUlT_T0_E_clISt17integral_constantIbLb1EES19_EEDaS14_S15_EUlS14_E_NS1_11comp_targetILNS1_3genE10ELNS1_11target_archE1200ELNS1_3gpuE4ELNS1_3repE0EEENS1_30default_config_static_selectorELNS0_4arch9wavefront6targetE1EEEvT1_.kd
    .uniform_work_group_size: 1
    .uses_dynamic_stack: false
    .vgpr_count:     0
    .vgpr_spill_count: 0
    .wavefront_size: 64
  - .agpr_count:     0
    .args:
      - .offset:         0
        .size:           128
        .value_kind:     by_value
    .group_segment_fixed_size: 0
    .kernarg_segment_align: 8
    .kernarg_segment_size: 128
    .language:       OpenCL C
    .language_version:
      - 2
      - 0
    .max_flat_workgroup_size: 128
    .name:           _ZN7rocprim17ROCPRIM_400000_NS6detail17trampoline_kernelINS0_14default_configENS1_25partition_config_selectorILNS1_17partition_subalgoE8EN3c104HalfENS0_10empty_typeEbEEZZNS1_14partition_implILS5_8ELb0ES3_jPKS7_PS8_PKS8_NS0_5tupleIJPS7_S8_EEENSG_IJSD_SD_EEENS0_18inequality_wrapperIN6hipcub16HIPCUB_304000_NS8EqualityEEEPlJS8_EEE10hipError_tPvRmT3_T4_T5_T6_T7_T9_mT8_P12ihipStream_tbDpT10_ENKUlT_T0_E_clISt17integral_constantIbLb1EES19_EEDaS14_S15_EUlS14_E_NS1_11comp_targetILNS1_3genE9ELNS1_11target_archE1100ELNS1_3gpuE3ELNS1_3repE0EEENS1_30default_config_static_selectorELNS0_4arch9wavefront6targetE1EEEvT1_
    .private_segment_fixed_size: 0
    .sgpr_count:     6
    .sgpr_spill_count: 0
    .symbol:         _ZN7rocprim17ROCPRIM_400000_NS6detail17trampoline_kernelINS0_14default_configENS1_25partition_config_selectorILNS1_17partition_subalgoE8EN3c104HalfENS0_10empty_typeEbEEZZNS1_14partition_implILS5_8ELb0ES3_jPKS7_PS8_PKS8_NS0_5tupleIJPS7_S8_EEENSG_IJSD_SD_EEENS0_18inequality_wrapperIN6hipcub16HIPCUB_304000_NS8EqualityEEEPlJS8_EEE10hipError_tPvRmT3_T4_T5_T6_T7_T9_mT8_P12ihipStream_tbDpT10_ENKUlT_T0_E_clISt17integral_constantIbLb1EES19_EEDaS14_S15_EUlS14_E_NS1_11comp_targetILNS1_3genE9ELNS1_11target_archE1100ELNS1_3gpuE3ELNS1_3repE0EEENS1_30default_config_static_selectorELNS0_4arch9wavefront6targetE1EEEvT1_.kd
    .uniform_work_group_size: 1
    .uses_dynamic_stack: false
    .vgpr_count:     0
    .vgpr_spill_count: 0
    .wavefront_size: 64
  - .agpr_count:     0
    .args:
      - .offset:         0
        .size:           128
        .value_kind:     by_value
    .group_segment_fixed_size: 0
    .kernarg_segment_align: 8
    .kernarg_segment_size: 128
    .language:       OpenCL C
    .language_version:
      - 2
      - 0
    .max_flat_workgroup_size: 384
    .name:           _ZN7rocprim17ROCPRIM_400000_NS6detail17trampoline_kernelINS0_14default_configENS1_25partition_config_selectorILNS1_17partition_subalgoE8EN3c104HalfENS0_10empty_typeEbEEZZNS1_14partition_implILS5_8ELb0ES3_jPKS7_PS8_PKS8_NS0_5tupleIJPS7_S8_EEENSG_IJSD_SD_EEENS0_18inequality_wrapperIN6hipcub16HIPCUB_304000_NS8EqualityEEEPlJS8_EEE10hipError_tPvRmT3_T4_T5_T6_T7_T9_mT8_P12ihipStream_tbDpT10_ENKUlT_T0_E_clISt17integral_constantIbLb1EES19_EEDaS14_S15_EUlS14_E_NS1_11comp_targetILNS1_3genE8ELNS1_11target_archE1030ELNS1_3gpuE2ELNS1_3repE0EEENS1_30default_config_static_selectorELNS0_4arch9wavefront6targetE1EEEvT1_
    .private_segment_fixed_size: 0
    .sgpr_count:     6
    .sgpr_spill_count: 0
    .symbol:         _ZN7rocprim17ROCPRIM_400000_NS6detail17trampoline_kernelINS0_14default_configENS1_25partition_config_selectorILNS1_17partition_subalgoE8EN3c104HalfENS0_10empty_typeEbEEZZNS1_14partition_implILS5_8ELb0ES3_jPKS7_PS8_PKS8_NS0_5tupleIJPS7_S8_EEENSG_IJSD_SD_EEENS0_18inequality_wrapperIN6hipcub16HIPCUB_304000_NS8EqualityEEEPlJS8_EEE10hipError_tPvRmT3_T4_T5_T6_T7_T9_mT8_P12ihipStream_tbDpT10_ENKUlT_T0_E_clISt17integral_constantIbLb1EES19_EEDaS14_S15_EUlS14_E_NS1_11comp_targetILNS1_3genE8ELNS1_11target_archE1030ELNS1_3gpuE2ELNS1_3repE0EEENS1_30default_config_static_selectorELNS0_4arch9wavefront6targetE1EEEvT1_.kd
    .uniform_work_group_size: 1
    .uses_dynamic_stack: false
    .vgpr_count:     0
    .vgpr_spill_count: 0
    .wavefront_size: 64
  - .agpr_count:     0
    .args:
      - .offset:         0
        .size:           112
        .value_kind:     by_value
    .group_segment_fixed_size: 0
    .kernarg_segment_align: 8
    .kernarg_segment_size: 112
    .language:       OpenCL C
    .language_version:
      - 2
      - 0
    .max_flat_workgroup_size: 256
    .name:           _ZN7rocprim17ROCPRIM_400000_NS6detail17trampoline_kernelINS0_14default_configENS1_25partition_config_selectorILNS1_17partition_subalgoE8EN3c104HalfENS0_10empty_typeEbEEZZNS1_14partition_implILS5_8ELb0ES3_jPKS7_PS8_PKS8_NS0_5tupleIJPS7_S8_EEENSG_IJSD_SD_EEENS0_18inequality_wrapperIN6hipcub16HIPCUB_304000_NS8EqualityEEEPlJS8_EEE10hipError_tPvRmT3_T4_T5_T6_T7_T9_mT8_P12ihipStream_tbDpT10_ENKUlT_T0_E_clISt17integral_constantIbLb1EES18_IbLb0EEEEDaS14_S15_EUlS14_E_NS1_11comp_targetILNS1_3genE0ELNS1_11target_archE4294967295ELNS1_3gpuE0ELNS1_3repE0EEENS1_30default_config_static_selectorELNS0_4arch9wavefront6targetE1EEEvT1_
    .private_segment_fixed_size: 0
    .sgpr_count:     6
    .sgpr_spill_count: 0
    .symbol:         _ZN7rocprim17ROCPRIM_400000_NS6detail17trampoline_kernelINS0_14default_configENS1_25partition_config_selectorILNS1_17partition_subalgoE8EN3c104HalfENS0_10empty_typeEbEEZZNS1_14partition_implILS5_8ELb0ES3_jPKS7_PS8_PKS8_NS0_5tupleIJPS7_S8_EEENSG_IJSD_SD_EEENS0_18inequality_wrapperIN6hipcub16HIPCUB_304000_NS8EqualityEEEPlJS8_EEE10hipError_tPvRmT3_T4_T5_T6_T7_T9_mT8_P12ihipStream_tbDpT10_ENKUlT_T0_E_clISt17integral_constantIbLb1EES18_IbLb0EEEEDaS14_S15_EUlS14_E_NS1_11comp_targetILNS1_3genE0ELNS1_11target_archE4294967295ELNS1_3gpuE0ELNS1_3repE0EEENS1_30default_config_static_selectorELNS0_4arch9wavefront6targetE1EEEvT1_.kd
    .uniform_work_group_size: 1
    .uses_dynamic_stack: false
    .vgpr_count:     0
    .vgpr_spill_count: 0
    .wavefront_size: 64
  - .agpr_count:     0
    .args:
      - .offset:         0
        .size:           112
        .value_kind:     by_value
    .group_segment_fixed_size: 30728
    .kernarg_segment_align: 8
    .kernarg_segment_size: 112
    .language:       OpenCL C
    .language_version:
      - 2
      - 0
    .max_flat_workgroup_size: 512
    .name:           _ZN7rocprim17ROCPRIM_400000_NS6detail17trampoline_kernelINS0_14default_configENS1_25partition_config_selectorILNS1_17partition_subalgoE8EN3c104HalfENS0_10empty_typeEbEEZZNS1_14partition_implILS5_8ELb0ES3_jPKS7_PS8_PKS8_NS0_5tupleIJPS7_S8_EEENSG_IJSD_SD_EEENS0_18inequality_wrapperIN6hipcub16HIPCUB_304000_NS8EqualityEEEPlJS8_EEE10hipError_tPvRmT3_T4_T5_T6_T7_T9_mT8_P12ihipStream_tbDpT10_ENKUlT_T0_E_clISt17integral_constantIbLb1EES18_IbLb0EEEEDaS14_S15_EUlS14_E_NS1_11comp_targetILNS1_3genE5ELNS1_11target_archE942ELNS1_3gpuE9ELNS1_3repE0EEENS1_30default_config_static_selectorELNS0_4arch9wavefront6targetE1EEEvT1_
    .private_segment_fixed_size: 0
    .sgpr_count:     84
    .sgpr_spill_count: 0
    .symbol:         _ZN7rocprim17ROCPRIM_400000_NS6detail17trampoline_kernelINS0_14default_configENS1_25partition_config_selectorILNS1_17partition_subalgoE8EN3c104HalfENS0_10empty_typeEbEEZZNS1_14partition_implILS5_8ELb0ES3_jPKS7_PS8_PKS8_NS0_5tupleIJPS7_S8_EEENSG_IJSD_SD_EEENS0_18inequality_wrapperIN6hipcub16HIPCUB_304000_NS8EqualityEEEPlJS8_EEE10hipError_tPvRmT3_T4_T5_T6_T7_T9_mT8_P12ihipStream_tbDpT10_ENKUlT_T0_E_clISt17integral_constantIbLb1EES18_IbLb0EEEEDaS14_S15_EUlS14_E_NS1_11comp_targetILNS1_3genE5ELNS1_11target_archE942ELNS1_3gpuE9ELNS1_3repE0EEENS1_30default_config_static_selectorELNS0_4arch9wavefront6targetE1EEEvT1_.kd
    .uniform_work_group_size: 1
    .uses_dynamic_stack: false
    .vgpr_count:     114
    .vgpr_spill_count: 0
    .wavefront_size: 64
  - .agpr_count:     0
    .args:
      - .offset:         0
        .size:           112
        .value_kind:     by_value
    .group_segment_fixed_size: 0
    .kernarg_segment_align: 8
    .kernarg_segment_size: 112
    .language:       OpenCL C
    .language_version:
      - 2
      - 0
    .max_flat_workgroup_size: 256
    .name:           _ZN7rocprim17ROCPRIM_400000_NS6detail17trampoline_kernelINS0_14default_configENS1_25partition_config_selectorILNS1_17partition_subalgoE8EN3c104HalfENS0_10empty_typeEbEEZZNS1_14partition_implILS5_8ELb0ES3_jPKS7_PS8_PKS8_NS0_5tupleIJPS7_S8_EEENSG_IJSD_SD_EEENS0_18inequality_wrapperIN6hipcub16HIPCUB_304000_NS8EqualityEEEPlJS8_EEE10hipError_tPvRmT3_T4_T5_T6_T7_T9_mT8_P12ihipStream_tbDpT10_ENKUlT_T0_E_clISt17integral_constantIbLb1EES18_IbLb0EEEEDaS14_S15_EUlS14_E_NS1_11comp_targetILNS1_3genE4ELNS1_11target_archE910ELNS1_3gpuE8ELNS1_3repE0EEENS1_30default_config_static_selectorELNS0_4arch9wavefront6targetE1EEEvT1_
    .private_segment_fixed_size: 0
    .sgpr_count:     6
    .sgpr_spill_count: 0
    .symbol:         _ZN7rocprim17ROCPRIM_400000_NS6detail17trampoline_kernelINS0_14default_configENS1_25partition_config_selectorILNS1_17partition_subalgoE8EN3c104HalfENS0_10empty_typeEbEEZZNS1_14partition_implILS5_8ELb0ES3_jPKS7_PS8_PKS8_NS0_5tupleIJPS7_S8_EEENSG_IJSD_SD_EEENS0_18inequality_wrapperIN6hipcub16HIPCUB_304000_NS8EqualityEEEPlJS8_EEE10hipError_tPvRmT3_T4_T5_T6_T7_T9_mT8_P12ihipStream_tbDpT10_ENKUlT_T0_E_clISt17integral_constantIbLb1EES18_IbLb0EEEEDaS14_S15_EUlS14_E_NS1_11comp_targetILNS1_3genE4ELNS1_11target_archE910ELNS1_3gpuE8ELNS1_3repE0EEENS1_30default_config_static_selectorELNS0_4arch9wavefront6targetE1EEEvT1_.kd
    .uniform_work_group_size: 1
    .uses_dynamic_stack: false
    .vgpr_count:     0
    .vgpr_spill_count: 0
    .wavefront_size: 64
  - .agpr_count:     0
    .args:
      - .offset:         0
        .size:           112
        .value_kind:     by_value
    .group_segment_fixed_size: 0
    .kernarg_segment_align: 8
    .kernarg_segment_size: 112
    .language:       OpenCL C
    .language_version:
      - 2
      - 0
    .max_flat_workgroup_size: 256
    .name:           _ZN7rocprim17ROCPRIM_400000_NS6detail17trampoline_kernelINS0_14default_configENS1_25partition_config_selectorILNS1_17partition_subalgoE8EN3c104HalfENS0_10empty_typeEbEEZZNS1_14partition_implILS5_8ELb0ES3_jPKS7_PS8_PKS8_NS0_5tupleIJPS7_S8_EEENSG_IJSD_SD_EEENS0_18inequality_wrapperIN6hipcub16HIPCUB_304000_NS8EqualityEEEPlJS8_EEE10hipError_tPvRmT3_T4_T5_T6_T7_T9_mT8_P12ihipStream_tbDpT10_ENKUlT_T0_E_clISt17integral_constantIbLb1EES18_IbLb0EEEEDaS14_S15_EUlS14_E_NS1_11comp_targetILNS1_3genE3ELNS1_11target_archE908ELNS1_3gpuE7ELNS1_3repE0EEENS1_30default_config_static_selectorELNS0_4arch9wavefront6targetE1EEEvT1_
    .private_segment_fixed_size: 0
    .sgpr_count:     6
    .sgpr_spill_count: 0
    .symbol:         _ZN7rocprim17ROCPRIM_400000_NS6detail17trampoline_kernelINS0_14default_configENS1_25partition_config_selectorILNS1_17partition_subalgoE8EN3c104HalfENS0_10empty_typeEbEEZZNS1_14partition_implILS5_8ELb0ES3_jPKS7_PS8_PKS8_NS0_5tupleIJPS7_S8_EEENSG_IJSD_SD_EEENS0_18inequality_wrapperIN6hipcub16HIPCUB_304000_NS8EqualityEEEPlJS8_EEE10hipError_tPvRmT3_T4_T5_T6_T7_T9_mT8_P12ihipStream_tbDpT10_ENKUlT_T0_E_clISt17integral_constantIbLb1EES18_IbLb0EEEEDaS14_S15_EUlS14_E_NS1_11comp_targetILNS1_3genE3ELNS1_11target_archE908ELNS1_3gpuE7ELNS1_3repE0EEENS1_30default_config_static_selectorELNS0_4arch9wavefront6targetE1EEEvT1_.kd
    .uniform_work_group_size: 1
    .uses_dynamic_stack: false
    .vgpr_count:     0
    .vgpr_spill_count: 0
    .wavefront_size: 64
  - .agpr_count:     0
    .args:
      - .offset:         0
        .size:           112
        .value_kind:     by_value
    .group_segment_fixed_size: 0
    .kernarg_segment_align: 8
    .kernarg_segment_size: 112
    .language:       OpenCL C
    .language_version:
      - 2
      - 0
    .max_flat_workgroup_size: 192
    .name:           _ZN7rocprim17ROCPRIM_400000_NS6detail17trampoline_kernelINS0_14default_configENS1_25partition_config_selectorILNS1_17partition_subalgoE8EN3c104HalfENS0_10empty_typeEbEEZZNS1_14partition_implILS5_8ELb0ES3_jPKS7_PS8_PKS8_NS0_5tupleIJPS7_S8_EEENSG_IJSD_SD_EEENS0_18inequality_wrapperIN6hipcub16HIPCUB_304000_NS8EqualityEEEPlJS8_EEE10hipError_tPvRmT3_T4_T5_T6_T7_T9_mT8_P12ihipStream_tbDpT10_ENKUlT_T0_E_clISt17integral_constantIbLb1EES18_IbLb0EEEEDaS14_S15_EUlS14_E_NS1_11comp_targetILNS1_3genE2ELNS1_11target_archE906ELNS1_3gpuE6ELNS1_3repE0EEENS1_30default_config_static_selectorELNS0_4arch9wavefront6targetE1EEEvT1_
    .private_segment_fixed_size: 0
    .sgpr_count:     6
    .sgpr_spill_count: 0
    .symbol:         _ZN7rocprim17ROCPRIM_400000_NS6detail17trampoline_kernelINS0_14default_configENS1_25partition_config_selectorILNS1_17partition_subalgoE8EN3c104HalfENS0_10empty_typeEbEEZZNS1_14partition_implILS5_8ELb0ES3_jPKS7_PS8_PKS8_NS0_5tupleIJPS7_S8_EEENSG_IJSD_SD_EEENS0_18inequality_wrapperIN6hipcub16HIPCUB_304000_NS8EqualityEEEPlJS8_EEE10hipError_tPvRmT3_T4_T5_T6_T7_T9_mT8_P12ihipStream_tbDpT10_ENKUlT_T0_E_clISt17integral_constantIbLb1EES18_IbLb0EEEEDaS14_S15_EUlS14_E_NS1_11comp_targetILNS1_3genE2ELNS1_11target_archE906ELNS1_3gpuE6ELNS1_3repE0EEENS1_30default_config_static_selectorELNS0_4arch9wavefront6targetE1EEEvT1_.kd
    .uniform_work_group_size: 1
    .uses_dynamic_stack: false
    .vgpr_count:     0
    .vgpr_spill_count: 0
    .wavefront_size: 64
  - .agpr_count:     0
    .args:
      - .offset:         0
        .size:           112
        .value_kind:     by_value
    .group_segment_fixed_size: 0
    .kernarg_segment_align: 8
    .kernarg_segment_size: 112
    .language:       OpenCL C
    .language_version:
      - 2
      - 0
    .max_flat_workgroup_size: 256
    .name:           _ZN7rocprim17ROCPRIM_400000_NS6detail17trampoline_kernelINS0_14default_configENS1_25partition_config_selectorILNS1_17partition_subalgoE8EN3c104HalfENS0_10empty_typeEbEEZZNS1_14partition_implILS5_8ELb0ES3_jPKS7_PS8_PKS8_NS0_5tupleIJPS7_S8_EEENSG_IJSD_SD_EEENS0_18inequality_wrapperIN6hipcub16HIPCUB_304000_NS8EqualityEEEPlJS8_EEE10hipError_tPvRmT3_T4_T5_T6_T7_T9_mT8_P12ihipStream_tbDpT10_ENKUlT_T0_E_clISt17integral_constantIbLb1EES18_IbLb0EEEEDaS14_S15_EUlS14_E_NS1_11comp_targetILNS1_3genE10ELNS1_11target_archE1200ELNS1_3gpuE4ELNS1_3repE0EEENS1_30default_config_static_selectorELNS0_4arch9wavefront6targetE1EEEvT1_
    .private_segment_fixed_size: 0
    .sgpr_count:     6
    .sgpr_spill_count: 0
    .symbol:         _ZN7rocprim17ROCPRIM_400000_NS6detail17trampoline_kernelINS0_14default_configENS1_25partition_config_selectorILNS1_17partition_subalgoE8EN3c104HalfENS0_10empty_typeEbEEZZNS1_14partition_implILS5_8ELb0ES3_jPKS7_PS8_PKS8_NS0_5tupleIJPS7_S8_EEENSG_IJSD_SD_EEENS0_18inequality_wrapperIN6hipcub16HIPCUB_304000_NS8EqualityEEEPlJS8_EEE10hipError_tPvRmT3_T4_T5_T6_T7_T9_mT8_P12ihipStream_tbDpT10_ENKUlT_T0_E_clISt17integral_constantIbLb1EES18_IbLb0EEEEDaS14_S15_EUlS14_E_NS1_11comp_targetILNS1_3genE10ELNS1_11target_archE1200ELNS1_3gpuE4ELNS1_3repE0EEENS1_30default_config_static_selectorELNS0_4arch9wavefront6targetE1EEEvT1_.kd
    .uniform_work_group_size: 1
    .uses_dynamic_stack: false
    .vgpr_count:     0
    .vgpr_spill_count: 0
    .wavefront_size: 64
  - .agpr_count:     0
    .args:
      - .offset:         0
        .size:           112
        .value_kind:     by_value
    .group_segment_fixed_size: 0
    .kernarg_segment_align: 8
    .kernarg_segment_size: 112
    .language:       OpenCL C
    .language_version:
      - 2
      - 0
    .max_flat_workgroup_size: 128
    .name:           _ZN7rocprim17ROCPRIM_400000_NS6detail17trampoline_kernelINS0_14default_configENS1_25partition_config_selectorILNS1_17partition_subalgoE8EN3c104HalfENS0_10empty_typeEbEEZZNS1_14partition_implILS5_8ELb0ES3_jPKS7_PS8_PKS8_NS0_5tupleIJPS7_S8_EEENSG_IJSD_SD_EEENS0_18inequality_wrapperIN6hipcub16HIPCUB_304000_NS8EqualityEEEPlJS8_EEE10hipError_tPvRmT3_T4_T5_T6_T7_T9_mT8_P12ihipStream_tbDpT10_ENKUlT_T0_E_clISt17integral_constantIbLb1EES18_IbLb0EEEEDaS14_S15_EUlS14_E_NS1_11comp_targetILNS1_3genE9ELNS1_11target_archE1100ELNS1_3gpuE3ELNS1_3repE0EEENS1_30default_config_static_selectorELNS0_4arch9wavefront6targetE1EEEvT1_
    .private_segment_fixed_size: 0
    .sgpr_count:     6
    .sgpr_spill_count: 0
    .symbol:         _ZN7rocprim17ROCPRIM_400000_NS6detail17trampoline_kernelINS0_14default_configENS1_25partition_config_selectorILNS1_17partition_subalgoE8EN3c104HalfENS0_10empty_typeEbEEZZNS1_14partition_implILS5_8ELb0ES3_jPKS7_PS8_PKS8_NS0_5tupleIJPS7_S8_EEENSG_IJSD_SD_EEENS0_18inequality_wrapperIN6hipcub16HIPCUB_304000_NS8EqualityEEEPlJS8_EEE10hipError_tPvRmT3_T4_T5_T6_T7_T9_mT8_P12ihipStream_tbDpT10_ENKUlT_T0_E_clISt17integral_constantIbLb1EES18_IbLb0EEEEDaS14_S15_EUlS14_E_NS1_11comp_targetILNS1_3genE9ELNS1_11target_archE1100ELNS1_3gpuE3ELNS1_3repE0EEENS1_30default_config_static_selectorELNS0_4arch9wavefront6targetE1EEEvT1_.kd
    .uniform_work_group_size: 1
    .uses_dynamic_stack: false
    .vgpr_count:     0
    .vgpr_spill_count: 0
    .wavefront_size: 64
  - .agpr_count:     0
    .args:
      - .offset:         0
        .size:           112
        .value_kind:     by_value
    .group_segment_fixed_size: 0
    .kernarg_segment_align: 8
    .kernarg_segment_size: 112
    .language:       OpenCL C
    .language_version:
      - 2
      - 0
    .max_flat_workgroup_size: 384
    .name:           _ZN7rocprim17ROCPRIM_400000_NS6detail17trampoline_kernelINS0_14default_configENS1_25partition_config_selectorILNS1_17partition_subalgoE8EN3c104HalfENS0_10empty_typeEbEEZZNS1_14partition_implILS5_8ELb0ES3_jPKS7_PS8_PKS8_NS0_5tupleIJPS7_S8_EEENSG_IJSD_SD_EEENS0_18inequality_wrapperIN6hipcub16HIPCUB_304000_NS8EqualityEEEPlJS8_EEE10hipError_tPvRmT3_T4_T5_T6_T7_T9_mT8_P12ihipStream_tbDpT10_ENKUlT_T0_E_clISt17integral_constantIbLb1EES18_IbLb0EEEEDaS14_S15_EUlS14_E_NS1_11comp_targetILNS1_3genE8ELNS1_11target_archE1030ELNS1_3gpuE2ELNS1_3repE0EEENS1_30default_config_static_selectorELNS0_4arch9wavefront6targetE1EEEvT1_
    .private_segment_fixed_size: 0
    .sgpr_count:     6
    .sgpr_spill_count: 0
    .symbol:         _ZN7rocprim17ROCPRIM_400000_NS6detail17trampoline_kernelINS0_14default_configENS1_25partition_config_selectorILNS1_17partition_subalgoE8EN3c104HalfENS0_10empty_typeEbEEZZNS1_14partition_implILS5_8ELb0ES3_jPKS7_PS8_PKS8_NS0_5tupleIJPS7_S8_EEENSG_IJSD_SD_EEENS0_18inequality_wrapperIN6hipcub16HIPCUB_304000_NS8EqualityEEEPlJS8_EEE10hipError_tPvRmT3_T4_T5_T6_T7_T9_mT8_P12ihipStream_tbDpT10_ENKUlT_T0_E_clISt17integral_constantIbLb1EES18_IbLb0EEEEDaS14_S15_EUlS14_E_NS1_11comp_targetILNS1_3genE8ELNS1_11target_archE1030ELNS1_3gpuE2ELNS1_3repE0EEENS1_30default_config_static_selectorELNS0_4arch9wavefront6targetE1EEEvT1_.kd
    .uniform_work_group_size: 1
    .uses_dynamic_stack: false
    .vgpr_count:     0
    .vgpr_spill_count: 0
    .wavefront_size: 64
  - .agpr_count:     0
    .args:
      - .offset:         0
        .size:           128
        .value_kind:     by_value
    .group_segment_fixed_size: 0
    .kernarg_segment_align: 8
    .kernarg_segment_size: 128
    .language:       OpenCL C
    .language_version:
      - 2
      - 0
    .max_flat_workgroup_size: 256
    .name:           _ZN7rocprim17ROCPRIM_400000_NS6detail17trampoline_kernelINS0_14default_configENS1_25partition_config_selectorILNS1_17partition_subalgoE8EN3c104HalfENS0_10empty_typeEbEEZZNS1_14partition_implILS5_8ELb0ES3_jPKS7_PS8_PKS8_NS0_5tupleIJPS7_S8_EEENSG_IJSD_SD_EEENS0_18inequality_wrapperIN6hipcub16HIPCUB_304000_NS8EqualityEEEPlJS8_EEE10hipError_tPvRmT3_T4_T5_T6_T7_T9_mT8_P12ihipStream_tbDpT10_ENKUlT_T0_E_clISt17integral_constantIbLb0EES18_IbLb1EEEEDaS14_S15_EUlS14_E_NS1_11comp_targetILNS1_3genE0ELNS1_11target_archE4294967295ELNS1_3gpuE0ELNS1_3repE0EEENS1_30default_config_static_selectorELNS0_4arch9wavefront6targetE1EEEvT1_
    .private_segment_fixed_size: 0
    .sgpr_count:     6
    .sgpr_spill_count: 0
    .symbol:         _ZN7rocprim17ROCPRIM_400000_NS6detail17trampoline_kernelINS0_14default_configENS1_25partition_config_selectorILNS1_17partition_subalgoE8EN3c104HalfENS0_10empty_typeEbEEZZNS1_14partition_implILS5_8ELb0ES3_jPKS7_PS8_PKS8_NS0_5tupleIJPS7_S8_EEENSG_IJSD_SD_EEENS0_18inequality_wrapperIN6hipcub16HIPCUB_304000_NS8EqualityEEEPlJS8_EEE10hipError_tPvRmT3_T4_T5_T6_T7_T9_mT8_P12ihipStream_tbDpT10_ENKUlT_T0_E_clISt17integral_constantIbLb0EES18_IbLb1EEEEDaS14_S15_EUlS14_E_NS1_11comp_targetILNS1_3genE0ELNS1_11target_archE4294967295ELNS1_3gpuE0ELNS1_3repE0EEENS1_30default_config_static_selectorELNS0_4arch9wavefront6targetE1EEEvT1_.kd
    .uniform_work_group_size: 1
    .uses_dynamic_stack: false
    .vgpr_count:     0
    .vgpr_spill_count: 0
    .wavefront_size: 64
  - .agpr_count:     0
    .args:
      - .offset:         0
        .size:           128
        .value_kind:     by_value
    .group_segment_fixed_size: 30728
    .kernarg_segment_align: 8
    .kernarg_segment_size: 128
    .language:       OpenCL C
    .language_version:
      - 2
      - 0
    .max_flat_workgroup_size: 512
    .name:           _ZN7rocprim17ROCPRIM_400000_NS6detail17trampoline_kernelINS0_14default_configENS1_25partition_config_selectorILNS1_17partition_subalgoE8EN3c104HalfENS0_10empty_typeEbEEZZNS1_14partition_implILS5_8ELb0ES3_jPKS7_PS8_PKS8_NS0_5tupleIJPS7_S8_EEENSG_IJSD_SD_EEENS0_18inequality_wrapperIN6hipcub16HIPCUB_304000_NS8EqualityEEEPlJS8_EEE10hipError_tPvRmT3_T4_T5_T6_T7_T9_mT8_P12ihipStream_tbDpT10_ENKUlT_T0_E_clISt17integral_constantIbLb0EES18_IbLb1EEEEDaS14_S15_EUlS14_E_NS1_11comp_targetILNS1_3genE5ELNS1_11target_archE942ELNS1_3gpuE9ELNS1_3repE0EEENS1_30default_config_static_selectorELNS0_4arch9wavefront6targetE1EEEvT1_
    .private_segment_fixed_size: 0
    .sgpr_count:     87
    .sgpr_spill_count: 0
    .symbol:         _ZN7rocprim17ROCPRIM_400000_NS6detail17trampoline_kernelINS0_14default_configENS1_25partition_config_selectorILNS1_17partition_subalgoE8EN3c104HalfENS0_10empty_typeEbEEZZNS1_14partition_implILS5_8ELb0ES3_jPKS7_PS8_PKS8_NS0_5tupleIJPS7_S8_EEENSG_IJSD_SD_EEENS0_18inequality_wrapperIN6hipcub16HIPCUB_304000_NS8EqualityEEEPlJS8_EEE10hipError_tPvRmT3_T4_T5_T6_T7_T9_mT8_P12ihipStream_tbDpT10_ENKUlT_T0_E_clISt17integral_constantIbLb0EES18_IbLb1EEEEDaS14_S15_EUlS14_E_NS1_11comp_targetILNS1_3genE5ELNS1_11target_archE942ELNS1_3gpuE9ELNS1_3repE0EEENS1_30default_config_static_selectorELNS0_4arch9wavefront6targetE1EEEvT1_.kd
    .uniform_work_group_size: 1
    .uses_dynamic_stack: false
    .vgpr_count:     118
    .vgpr_spill_count: 0
    .wavefront_size: 64
  - .agpr_count:     0
    .args:
      - .offset:         0
        .size:           128
        .value_kind:     by_value
    .group_segment_fixed_size: 0
    .kernarg_segment_align: 8
    .kernarg_segment_size: 128
    .language:       OpenCL C
    .language_version:
      - 2
      - 0
    .max_flat_workgroup_size: 256
    .name:           _ZN7rocprim17ROCPRIM_400000_NS6detail17trampoline_kernelINS0_14default_configENS1_25partition_config_selectorILNS1_17partition_subalgoE8EN3c104HalfENS0_10empty_typeEbEEZZNS1_14partition_implILS5_8ELb0ES3_jPKS7_PS8_PKS8_NS0_5tupleIJPS7_S8_EEENSG_IJSD_SD_EEENS0_18inequality_wrapperIN6hipcub16HIPCUB_304000_NS8EqualityEEEPlJS8_EEE10hipError_tPvRmT3_T4_T5_T6_T7_T9_mT8_P12ihipStream_tbDpT10_ENKUlT_T0_E_clISt17integral_constantIbLb0EES18_IbLb1EEEEDaS14_S15_EUlS14_E_NS1_11comp_targetILNS1_3genE4ELNS1_11target_archE910ELNS1_3gpuE8ELNS1_3repE0EEENS1_30default_config_static_selectorELNS0_4arch9wavefront6targetE1EEEvT1_
    .private_segment_fixed_size: 0
    .sgpr_count:     6
    .sgpr_spill_count: 0
    .symbol:         _ZN7rocprim17ROCPRIM_400000_NS6detail17trampoline_kernelINS0_14default_configENS1_25partition_config_selectorILNS1_17partition_subalgoE8EN3c104HalfENS0_10empty_typeEbEEZZNS1_14partition_implILS5_8ELb0ES3_jPKS7_PS8_PKS8_NS0_5tupleIJPS7_S8_EEENSG_IJSD_SD_EEENS0_18inequality_wrapperIN6hipcub16HIPCUB_304000_NS8EqualityEEEPlJS8_EEE10hipError_tPvRmT3_T4_T5_T6_T7_T9_mT8_P12ihipStream_tbDpT10_ENKUlT_T0_E_clISt17integral_constantIbLb0EES18_IbLb1EEEEDaS14_S15_EUlS14_E_NS1_11comp_targetILNS1_3genE4ELNS1_11target_archE910ELNS1_3gpuE8ELNS1_3repE0EEENS1_30default_config_static_selectorELNS0_4arch9wavefront6targetE1EEEvT1_.kd
    .uniform_work_group_size: 1
    .uses_dynamic_stack: false
    .vgpr_count:     0
    .vgpr_spill_count: 0
    .wavefront_size: 64
  - .agpr_count:     0
    .args:
      - .offset:         0
        .size:           128
        .value_kind:     by_value
    .group_segment_fixed_size: 0
    .kernarg_segment_align: 8
    .kernarg_segment_size: 128
    .language:       OpenCL C
    .language_version:
      - 2
      - 0
    .max_flat_workgroup_size: 256
    .name:           _ZN7rocprim17ROCPRIM_400000_NS6detail17trampoline_kernelINS0_14default_configENS1_25partition_config_selectorILNS1_17partition_subalgoE8EN3c104HalfENS0_10empty_typeEbEEZZNS1_14partition_implILS5_8ELb0ES3_jPKS7_PS8_PKS8_NS0_5tupleIJPS7_S8_EEENSG_IJSD_SD_EEENS0_18inequality_wrapperIN6hipcub16HIPCUB_304000_NS8EqualityEEEPlJS8_EEE10hipError_tPvRmT3_T4_T5_T6_T7_T9_mT8_P12ihipStream_tbDpT10_ENKUlT_T0_E_clISt17integral_constantIbLb0EES18_IbLb1EEEEDaS14_S15_EUlS14_E_NS1_11comp_targetILNS1_3genE3ELNS1_11target_archE908ELNS1_3gpuE7ELNS1_3repE0EEENS1_30default_config_static_selectorELNS0_4arch9wavefront6targetE1EEEvT1_
    .private_segment_fixed_size: 0
    .sgpr_count:     6
    .sgpr_spill_count: 0
    .symbol:         _ZN7rocprim17ROCPRIM_400000_NS6detail17trampoline_kernelINS0_14default_configENS1_25partition_config_selectorILNS1_17partition_subalgoE8EN3c104HalfENS0_10empty_typeEbEEZZNS1_14partition_implILS5_8ELb0ES3_jPKS7_PS8_PKS8_NS0_5tupleIJPS7_S8_EEENSG_IJSD_SD_EEENS0_18inequality_wrapperIN6hipcub16HIPCUB_304000_NS8EqualityEEEPlJS8_EEE10hipError_tPvRmT3_T4_T5_T6_T7_T9_mT8_P12ihipStream_tbDpT10_ENKUlT_T0_E_clISt17integral_constantIbLb0EES18_IbLb1EEEEDaS14_S15_EUlS14_E_NS1_11comp_targetILNS1_3genE3ELNS1_11target_archE908ELNS1_3gpuE7ELNS1_3repE0EEENS1_30default_config_static_selectorELNS0_4arch9wavefront6targetE1EEEvT1_.kd
    .uniform_work_group_size: 1
    .uses_dynamic_stack: false
    .vgpr_count:     0
    .vgpr_spill_count: 0
    .wavefront_size: 64
  - .agpr_count:     0
    .args:
      - .offset:         0
        .size:           128
        .value_kind:     by_value
    .group_segment_fixed_size: 0
    .kernarg_segment_align: 8
    .kernarg_segment_size: 128
    .language:       OpenCL C
    .language_version:
      - 2
      - 0
    .max_flat_workgroup_size: 192
    .name:           _ZN7rocprim17ROCPRIM_400000_NS6detail17trampoline_kernelINS0_14default_configENS1_25partition_config_selectorILNS1_17partition_subalgoE8EN3c104HalfENS0_10empty_typeEbEEZZNS1_14partition_implILS5_8ELb0ES3_jPKS7_PS8_PKS8_NS0_5tupleIJPS7_S8_EEENSG_IJSD_SD_EEENS0_18inequality_wrapperIN6hipcub16HIPCUB_304000_NS8EqualityEEEPlJS8_EEE10hipError_tPvRmT3_T4_T5_T6_T7_T9_mT8_P12ihipStream_tbDpT10_ENKUlT_T0_E_clISt17integral_constantIbLb0EES18_IbLb1EEEEDaS14_S15_EUlS14_E_NS1_11comp_targetILNS1_3genE2ELNS1_11target_archE906ELNS1_3gpuE6ELNS1_3repE0EEENS1_30default_config_static_selectorELNS0_4arch9wavefront6targetE1EEEvT1_
    .private_segment_fixed_size: 0
    .sgpr_count:     6
    .sgpr_spill_count: 0
    .symbol:         _ZN7rocprim17ROCPRIM_400000_NS6detail17trampoline_kernelINS0_14default_configENS1_25partition_config_selectorILNS1_17partition_subalgoE8EN3c104HalfENS0_10empty_typeEbEEZZNS1_14partition_implILS5_8ELb0ES3_jPKS7_PS8_PKS8_NS0_5tupleIJPS7_S8_EEENSG_IJSD_SD_EEENS0_18inequality_wrapperIN6hipcub16HIPCUB_304000_NS8EqualityEEEPlJS8_EEE10hipError_tPvRmT3_T4_T5_T6_T7_T9_mT8_P12ihipStream_tbDpT10_ENKUlT_T0_E_clISt17integral_constantIbLb0EES18_IbLb1EEEEDaS14_S15_EUlS14_E_NS1_11comp_targetILNS1_3genE2ELNS1_11target_archE906ELNS1_3gpuE6ELNS1_3repE0EEENS1_30default_config_static_selectorELNS0_4arch9wavefront6targetE1EEEvT1_.kd
    .uniform_work_group_size: 1
    .uses_dynamic_stack: false
    .vgpr_count:     0
    .vgpr_spill_count: 0
    .wavefront_size: 64
  - .agpr_count:     0
    .args:
      - .offset:         0
        .size:           128
        .value_kind:     by_value
    .group_segment_fixed_size: 0
    .kernarg_segment_align: 8
    .kernarg_segment_size: 128
    .language:       OpenCL C
    .language_version:
      - 2
      - 0
    .max_flat_workgroup_size: 256
    .name:           _ZN7rocprim17ROCPRIM_400000_NS6detail17trampoline_kernelINS0_14default_configENS1_25partition_config_selectorILNS1_17partition_subalgoE8EN3c104HalfENS0_10empty_typeEbEEZZNS1_14partition_implILS5_8ELb0ES3_jPKS7_PS8_PKS8_NS0_5tupleIJPS7_S8_EEENSG_IJSD_SD_EEENS0_18inequality_wrapperIN6hipcub16HIPCUB_304000_NS8EqualityEEEPlJS8_EEE10hipError_tPvRmT3_T4_T5_T6_T7_T9_mT8_P12ihipStream_tbDpT10_ENKUlT_T0_E_clISt17integral_constantIbLb0EES18_IbLb1EEEEDaS14_S15_EUlS14_E_NS1_11comp_targetILNS1_3genE10ELNS1_11target_archE1200ELNS1_3gpuE4ELNS1_3repE0EEENS1_30default_config_static_selectorELNS0_4arch9wavefront6targetE1EEEvT1_
    .private_segment_fixed_size: 0
    .sgpr_count:     6
    .sgpr_spill_count: 0
    .symbol:         _ZN7rocprim17ROCPRIM_400000_NS6detail17trampoline_kernelINS0_14default_configENS1_25partition_config_selectorILNS1_17partition_subalgoE8EN3c104HalfENS0_10empty_typeEbEEZZNS1_14partition_implILS5_8ELb0ES3_jPKS7_PS8_PKS8_NS0_5tupleIJPS7_S8_EEENSG_IJSD_SD_EEENS0_18inequality_wrapperIN6hipcub16HIPCUB_304000_NS8EqualityEEEPlJS8_EEE10hipError_tPvRmT3_T4_T5_T6_T7_T9_mT8_P12ihipStream_tbDpT10_ENKUlT_T0_E_clISt17integral_constantIbLb0EES18_IbLb1EEEEDaS14_S15_EUlS14_E_NS1_11comp_targetILNS1_3genE10ELNS1_11target_archE1200ELNS1_3gpuE4ELNS1_3repE0EEENS1_30default_config_static_selectorELNS0_4arch9wavefront6targetE1EEEvT1_.kd
    .uniform_work_group_size: 1
    .uses_dynamic_stack: false
    .vgpr_count:     0
    .vgpr_spill_count: 0
    .wavefront_size: 64
  - .agpr_count:     0
    .args:
      - .offset:         0
        .size:           128
        .value_kind:     by_value
    .group_segment_fixed_size: 0
    .kernarg_segment_align: 8
    .kernarg_segment_size: 128
    .language:       OpenCL C
    .language_version:
      - 2
      - 0
    .max_flat_workgroup_size: 128
    .name:           _ZN7rocprim17ROCPRIM_400000_NS6detail17trampoline_kernelINS0_14default_configENS1_25partition_config_selectorILNS1_17partition_subalgoE8EN3c104HalfENS0_10empty_typeEbEEZZNS1_14partition_implILS5_8ELb0ES3_jPKS7_PS8_PKS8_NS0_5tupleIJPS7_S8_EEENSG_IJSD_SD_EEENS0_18inequality_wrapperIN6hipcub16HIPCUB_304000_NS8EqualityEEEPlJS8_EEE10hipError_tPvRmT3_T4_T5_T6_T7_T9_mT8_P12ihipStream_tbDpT10_ENKUlT_T0_E_clISt17integral_constantIbLb0EES18_IbLb1EEEEDaS14_S15_EUlS14_E_NS1_11comp_targetILNS1_3genE9ELNS1_11target_archE1100ELNS1_3gpuE3ELNS1_3repE0EEENS1_30default_config_static_selectorELNS0_4arch9wavefront6targetE1EEEvT1_
    .private_segment_fixed_size: 0
    .sgpr_count:     6
    .sgpr_spill_count: 0
    .symbol:         _ZN7rocprim17ROCPRIM_400000_NS6detail17trampoline_kernelINS0_14default_configENS1_25partition_config_selectorILNS1_17partition_subalgoE8EN3c104HalfENS0_10empty_typeEbEEZZNS1_14partition_implILS5_8ELb0ES3_jPKS7_PS8_PKS8_NS0_5tupleIJPS7_S8_EEENSG_IJSD_SD_EEENS0_18inequality_wrapperIN6hipcub16HIPCUB_304000_NS8EqualityEEEPlJS8_EEE10hipError_tPvRmT3_T4_T5_T6_T7_T9_mT8_P12ihipStream_tbDpT10_ENKUlT_T0_E_clISt17integral_constantIbLb0EES18_IbLb1EEEEDaS14_S15_EUlS14_E_NS1_11comp_targetILNS1_3genE9ELNS1_11target_archE1100ELNS1_3gpuE3ELNS1_3repE0EEENS1_30default_config_static_selectorELNS0_4arch9wavefront6targetE1EEEvT1_.kd
    .uniform_work_group_size: 1
    .uses_dynamic_stack: false
    .vgpr_count:     0
    .vgpr_spill_count: 0
    .wavefront_size: 64
  - .agpr_count:     0
    .args:
      - .offset:         0
        .size:           128
        .value_kind:     by_value
    .group_segment_fixed_size: 0
    .kernarg_segment_align: 8
    .kernarg_segment_size: 128
    .language:       OpenCL C
    .language_version:
      - 2
      - 0
    .max_flat_workgroup_size: 384
    .name:           _ZN7rocprim17ROCPRIM_400000_NS6detail17trampoline_kernelINS0_14default_configENS1_25partition_config_selectorILNS1_17partition_subalgoE8EN3c104HalfENS0_10empty_typeEbEEZZNS1_14partition_implILS5_8ELb0ES3_jPKS7_PS8_PKS8_NS0_5tupleIJPS7_S8_EEENSG_IJSD_SD_EEENS0_18inequality_wrapperIN6hipcub16HIPCUB_304000_NS8EqualityEEEPlJS8_EEE10hipError_tPvRmT3_T4_T5_T6_T7_T9_mT8_P12ihipStream_tbDpT10_ENKUlT_T0_E_clISt17integral_constantIbLb0EES18_IbLb1EEEEDaS14_S15_EUlS14_E_NS1_11comp_targetILNS1_3genE8ELNS1_11target_archE1030ELNS1_3gpuE2ELNS1_3repE0EEENS1_30default_config_static_selectorELNS0_4arch9wavefront6targetE1EEEvT1_
    .private_segment_fixed_size: 0
    .sgpr_count:     6
    .sgpr_spill_count: 0
    .symbol:         _ZN7rocprim17ROCPRIM_400000_NS6detail17trampoline_kernelINS0_14default_configENS1_25partition_config_selectorILNS1_17partition_subalgoE8EN3c104HalfENS0_10empty_typeEbEEZZNS1_14partition_implILS5_8ELb0ES3_jPKS7_PS8_PKS8_NS0_5tupleIJPS7_S8_EEENSG_IJSD_SD_EEENS0_18inequality_wrapperIN6hipcub16HIPCUB_304000_NS8EqualityEEEPlJS8_EEE10hipError_tPvRmT3_T4_T5_T6_T7_T9_mT8_P12ihipStream_tbDpT10_ENKUlT_T0_E_clISt17integral_constantIbLb0EES18_IbLb1EEEEDaS14_S15_EUlS14_E_NS1_11comp_targetILNS1_3genE8ELNS1_11target_archE1030ELNS1_3gpuE2ELNS1_3repE0EEENS1_30default_config_static_selectorELNS0_4arch9wavefront6targetE1EEEvT1_.kd
    .uniform_work_group_size: 1
    .uses_dynamic_stack: false
    .vgpr_count:     0
    .vgpr_spill_count: 0
    .wavefront_size: 64
  - .agpr_count:     0
    .args:
      - .offset:         0
        .size:           128
        .value_kind:     by_value
    .group_segment_fixed_size: 0
    .kernarg_segment_align: 8
    .kernarg_segment_size: 128
    .language:       OpenCL C
    .language_version:
      - 2
      - 0
    .max_flat_workgroup_size: 256
    .name:           _ZN7rocprim17ROCPRIM_400000_NS6detail17trampoline_kernelINS0_14default_configENS1_33run_length_encode_config_selectorIN3c104HalfEjNS0_4plusIjEEEEZZNS1_33reduce_by_key_impl_wrapped_configILNS1_25lookback_scan_determinismE0ES3_S9_PKS6_NS0_17constant_iteratorIjlEEPS6_PlSH_S8_NS0_8equal_toIS6_EEEE10hipError_tPvRmT2_T3_mT4_T5_T6_T7_T8_P12ihipStream_tbENKUlT_T0_E_clISt17integral_constantIbLb0EES11_EEDaSW_SX_EUlSW_E_NS1_11comp_targetILNS1_3genE0ELNS1_11target_archE4294967295ELNS1_3gpuE0ELNS1_3repE0EEENS1_30default_config_static_selectorELNS0_4arch9wavefront6targetE1EEEvT1_
    .private_segment_fixed_size: 0
    .sgpr_count:     6
    .sgpr_spill_count: 0
    .symbol:         _ZN7rocprim17ROCPRIM_400000_NS6detail17trampoline_kernelINS0_14default_configENS1_33run_length_encode_config_selectorIN3c104HalfEjNS0_4plusIjEEEEZZNS1_33reduce_by_key_impl_wrapped_configILNS1_25lookback_scan_determinismE0ES3_S9_PKS6_NS0_17constant_iteratorIjlEEPS6_PlSH_S8_NS0_8equal_toIS6_EEEE10hipError_tPvRmT2_T3_mT4_T5_T6_T7_T8_P12ihipStream_tbENKUlT_T0_E_clISt17integral_constantIbLb0EES11_EEDaSW_SX_EUlSW_E_NS1_11comp_targetILNS1_3genE0ELNS1_11target_archE4294967295ELNS1_3gpuE0ELNS1_3repE0EEENS1_30default_config_static_selectorELNS0_4arch9wavefront6targetE1EEEvT1_.kd
    .uniform_work_group_size: 1
    .uses_dynamic_stack: false
    .vgpr_count:     0
    .vgpr_spill_count: 0
    .wavefront_size: 64
  - .agpr_count:     0
    .args:
      - .offset:         0
        .size:           128
        .value_kind:     by_value
    .group_segment_fixed_size: 15360
    .kernarg_segment_align: 8
    .kernarg_segment_size: 128
    .language:       OpenCL C
    .language_version:
      - 2
      - 0
    .max_flat_workgroup_size: 256
    .name:           _ZN7rocprim17ROCPRIM_400000_NS6detail17trampoline_kernelINS0_14default_configENS1_33run_length_encode_config_selectorIN3c104HalfEjNS0_4plusIjEEEEZZNS1_33reduce_by_key_impl_wrapped_configILNS1_25lookback_scan_determinismE0ES3_S9_PKS6_NS0_17constant_iteratorIjlEEPS6_PlSH_S8_NS0_8equal_toIS6_EEEE10hipError_tPvRmT2_T3_mT4_T5_T6_T7_T8_P12ihipStream_tbENKUlT_T0_E_clISt17integral_constantIbLb0EES11_EEDaSW_SX_EUlSW_E_NS1_11comp_targetILNS1_3genE5ELNS1_11target_archE942ELNS1_3gpuE9ELNS1_3repE0EEENS1_30default_config_static_selectorELNS0_4arch9wavefront6targetE1EEEvT1_
    .private_segment_fixed_size: 0
    .sgpr_count:     70
    .sgpr_spill_count: 0
    .symbol:         _ZN7rocprim17ROCPRIM_400000_NS6detail17trampoline_kernelINS0_14default_configENS1_33run_length_encode_config_selectorIN3c104HalfEjNS0_4plusIjEEEEZZNS1_33reduce_by_key_impl_wrapped_configILNS1_25lookback_scan_determinismE0ES3_S9_PKS6_NS0_17constant_iteratorIjlEEPS6_PlSH_S8_NS0_8equal_toIS6_EEEE10hipError_tPvRmT2_T3_mT4_T5_T6_T7_T8_P12ihipStream_tbENKUlT_T0_E_clISt17integral_constantIbLb0EES11_EEDaSW_SX_EUlSW_E_NS1_11comp_targetILNS1_3genE5ELNS1_11target_archE942ELNS1_3gpuE9ELNS1_3repE0EEENS1_30default_config_static_selectorELNS0_4arch9wavefront6targetE1EEEvT1_.kd
    .uniform_work_group_size: 1
    .uses_dynamic_stack: false
    .vgpr_count:     108
    .vgpr_spill_count: 0
    .wavefront_size: 64
  - .agpr_count:     0
    .args:
      - .offset:         0
        .size:           128
        .value_kind:     by_value
    .group_segment_fixed_size: 0
    .kernarg_segment_align: 8
    .kernarg_segment_size: 128
    .language:       OpenCL C
    .language_version:
      - 2
      - 0
    .max_flat_workgroup_size: 256
    .name:           _ZN7rocprim17ROCPRIM_400000_NS6detail17trampoline_kernelINS0_14default_configENS1_33run_length_encode_config_selectorIN3c104HalfEjNS0_4plusIjEEEEZZNS1_33reduce_by_key_impl_wrapped_configILNS1_25lookback_scan_determinismE0ES3_S9_PKS6_NS0_17constant_iteratorIjlEEPS6_PlSH_S8_NS0_8equal_toIS6_EEEE10hipError_tPvRmT2_T3_mT4_T5_T6_T7_T8_P12ihipStream_tbENKUlT_T0_E_clISt17integral_constantIbLb0EES11_EEDaSW_SX_EUlSW_E_NS1_11comp_targetILNS1_3genE4ELNS1_11target_archE910ELNS1_3gpuE8ELNS1_3repE0EEENS1_30default_config_static_selectorELNS0_4arch9wavefront6targetE1EEEvT1_
    .private_segment_fixed_size: 0
    .sgpr_count:     6
    .sgpr_spill_count: 0
    .symbol:         _ZN7rocprim17ROCPRIM_400000_NS6detail17trampoline_kernelINS0_14default_configENS1_33run_length_encode_config_selectorIN3c104HalfEjNS0_4plusIjEEEEZZNS1_33reduce_by_key_impl_wrapped_configILNS1_25lookback_scan_determinismE0ES3_S9_PKS6_NS0_17constant_iteratorIjlEEPS6_PlSH_S8_NS0_8equal_toIS6_EEEE10hipError_tPvRmT2_T3_mT4_T5_T6_T7_T8_P12ihipStream_tbENKUlT_T0_E_clISt17integral_constantIbLb0EES11_EEDaSW_SX_EUlSW_E_NS1_11comp_targetILNS1_3genE4ELNS1_11target_archE910ELNS1_3gpuE8ELNS1_3repE0EEENS1_30default_config_static_selectorELNS0_4arch9wavefront6targetE1EEEvT1_.kd
    .uniform_work_group_size: 1
    .uses_dynamic_stack: false
    .vgpr_count:     0
    .vgpr_spill_count: 0
    .wavefront_size: 64
  - .agpr_count:     0
    .args:
      - .offset:         0
        .size:           128
        .value_kind:     by_value
    .group_segment_fixed_size: 0
    .kernarg_segment_align: 8
    .kernarg_segment_size: 128
    .language:       OpenCL C
    .language_version:
      - 2
      - 0
    .max_flat_workgroup_size: 256
    .name:           _ZN7rocprim17ROCPRIM_400000_NS6detail17trampoline_kernelINS0_14default_configENS1_33run_length_encode_config_selectorIN3c104HalfEjNS0_4plusIjEEEEZZNS1_33reduce_by_key_impl_wrapped_configILNS1_25lookback_scan_determinismE0ES3_S9_PKS6_NS0_17constant_iteratorIjlEEPS6_PlSH_S8_NS0_8equal_toIS6_EEEE10hipError_tPvRmT2_T3_mT4_T5_T6_T7_T8_P12ihipStream_tbENKUlT_T0_E_clISt17integral_constantIbLb0EES11_EEDaSW_SX_EUlSW_E_NS1_11comp_targetILNS1_3genE3ELNS1_11target_archE908ELNS1_3gpuE7ELNS1_3repE0EEENS1_30default_config_static_selectorELNS0_4arch9wavefront6targetE1EEEvT1_
    .private_segment_fixed_size: 0
    .sgpr_count:     6
    .sgpr_spill_count: 0
    .symbol:         _ZN7rocprim17ROCPRIM_400000_NS6detail17trampoline_kernelINS0_14default_configENS1_33run_length_encode_config_selectorIN3c104HalfEjNS0_4plusIjEEEEZZNS1_33reduce_by_key_impl_wrapped_configILNS1_25lookback_scan_determinismE0ES3_S9_PKS6_NS0_17constant_iteratorIjlEEPS6_PlSH_S8_NS0_8equal_toIS6_EEEE10hipError_tPvRmT2_T3_mT4_T5_T6_T7_T8_P12ihipStream_tbENKUlT_T0_E_clISt17integral_constantIbLb0EES11_EEDaSW_SX_EUlSW_E_NS1_11comp_targetILNS1_3genE3ELNS1_11target_archE908ELNS1_3gpuE7ELNS1_3repE0EEENS1_30default_config_static_selectorELNS0_4arch9wavefront6targetE1EEEvT1_.kd
    .uniform_work_group_size: 1
    .uses_dynamic_stack: false
    .vgpr_count:     0
    .vgpr_spill_count: 0
    .wavefront_size: 64
  - .agpr_count:     0
    .args:
      - .offset:         0
        .size:           128
        .value_kind:     by_value
    .group_segment_fixed_size: 0
    .kernarg_segment_align: 8
    .kernarg_segment_size: 128
    .language:       OpenCL C
    .language_version:
      - 2
      - 0
    .max_flat_workgroup_size: 256
    .name:           _ZN7rocprim17ROCPRIM_400000_NS6detail17trampoline_kernelINS0_14default_configENS1_33run_length_encode_config_selectorIN3c104HalfEjNS0_4plusIjEEEEZZNS1_33reduce_by_key_impl_wrapped_configILNS1_25lookback_scan_determinismE0ES3_S9_PKS6_NS0_17constant_iteratorIjlEEPS6_PlSH_S8_NS0_8equal_toIS6_EEEE10hipError_tPvRmT2_T3_mT4_T5_T6_T7_T8_P12ihipStream_tbENKUlT_T0_E_clISt17integral_constantIbLb0EES11_EEDaSW_SX_EUlSW_E_NS1_11comp_targetILNS1_3genE2ELNS1_11target_archE906ELNS1_3gpuE6ELNS1_3repE0EEENS1_30default_config_static_selectorELNS0_4arch9wavefront6targetE1EEEvT1_
    .private_segment_fixed_size: 0
    .sgpr_count:     6
    .sgpr_spill_count: 0
    .symbol:         _ZN7rocprim17ROCPRIM_400000_NS6detail17trampoline_kernelINS0_14default_configENS1_33run_length_encode_config_selectorIN3c104HalfEjNS0_4plusIjEEEEZZNS1_33reduce_by_key_impl_wrapped_configILNS1_25lookback_scan_determinismE0ES3_S9_PKS6_NS0_17constant_iteratorIjlEEPS6_PlSH_S8_NS0_8equal_toIS6_EEEE10hipError_tPvRmT2_T3_mT4_T5_T6_T7_T8_P12ihipStream_tbENKUlT_T0_E_clISt17integral_constantIbLb0EES11_EEDaSW_SX_EUlSW_E_NS1_11comp_targetILNS1_3genE2ELNS1_11target_archE906ELNS1_3gpuE6ELNS1_3repE0EEENS1_30default_config_static_selectorELNS0_4arch9wavefront6targetE1EEEvT1_.kd
    .uniform_work_group_size: 1
    .uses_dynamic_stack: false
    .vgpr_count:     0
    .vgpr_spill_count: 0
    .wavefront_size: 64
  - .agpr_count:     0
    .args:
      - .offset:         0
        .size:           128
        .value_kind:     by_value
    .group_segment_fixed_size: 0
    .kernarg_segment_align: 8
    .kernarg_segment_size: 128
    .language:       OpenCL C
    .language_version:
      - 2
      - 0
    .max_flat_workgroup_size: 256
    .name:           _ZN7rocprim17ROCPRIM_400000_NS6detail17trampoline_kernelINS0_14default_configENS1_33run_length_encode_config_selectorIN3c104HalfEjNS0_4plusIjEEEEZZNS1_33reduce_by_key_impl_wrapped_configILNS1_25lookback_scan_determinismE0ES3_S9_PKS6_NS0_17constant_iteratorIjlEEPS6_PlSH_S8_NS0_8equal_toIS6_EEEE10hipError_tPvRmT2_T3_mT4_T5_T6_T7_T8_P12ihipStream_tbENKUlT_T0_E_clISt17integral_constantIbLb0EES11_EEDaSW_SX_EUlSW_E_NS1_11comp_targetILNS1_3genE10ELNS1_11target_archE1201ELNS1_3gpuE5ELNS1_3repE0EEENS1_30default_config_static_selectorELNS0_4arch9wavefront6targetE1EEEvT1_
    .private_segment_fixed_size: 0
    .sgpr_count:     6
    .sgpr_spill_count: 0
    .symbol:         _ZN7rocprim17ROCPRIM_400000_NS6detail17trampoline_kernelINS0_14default_configENS1_33run_length_encode_config_selectorIN3c104HalfEjNS0_4plusIjEEEEZZNS1_33reduce_by_key_impl_wrapped_configILNS1_25lookback_scan_determinismE0ES3_S9_PKS6_NS0_17constant_iteratorIjlEEPS6_PlSH_S8_NS0_8equal_toIS6_EEEE10hipError_tPvRmT2_T3_mT4_T5_T6_T7_T8_P12ihipStream_tbENKUlT_T0_E_clISt17integral_constantIbLb0EES11_EEDaSW_SX_EUlSW_E_NS1_11comp_targetILNS1_3genE10ELNS1_11target_archE1201ELNS1_3gpuE5ELNS1_3repE0EEENS1_30default_config_static_selectorELNS0_4arch9wavefront6targetE1EEEvT1_.kd
    .uniform_work_group_size: 1
    .uses_dynamic_stack: false
    .vgpr_count:     0
    .vgpr_spill_count: 0
    .wavefront_size: 64
  - .agpr_count:     0
    .args:
      - .offset:         0
        .size:           128
        .value_kind:     by_value
    .group_segment_fixed_size: 0
    .kernarg_segment_align: 8
    .kernarg_segment_size: 128
    .language:       OpenCL C
    .language_version:
      - 2
      - 0
    .max_flat_workgroup_size: 256
    .name:           _ZN7rocprim17ROCPRIM_400000_NS6detail17trampoline_kernelINS0_14default_configENS1_33run_length_encode_config_selectorIN3c104HalfEjNS0_4plusIjEEEEZZNS1_33reduce_by_key_impl_wrapped_configILNS1_25lookback_scan_determinismE0ES3_S9_PKS6_NS0_17constant_iteratorIjlEEPS6_PlSH_S8_NS0_8equal_toIS6_EEEE10hipError_tPvRmT2_T3_mT4_T5_T6_T7_T8_P12ihipStream_tbENKUlT_T0_E_clISt17integral_constantIbLb0EES11_EEDaSW_SX_EUlSW_E_NS1_11comp_targetILNS1_3genE10ELNS1_11target_archE1200ELNS1_3gpuE4ELNS1_3repE0EEENS1_30default_config_static_selectorELNS0_4arch9wavefront6targetE1EEEvT1_
    .private_segment_fixed_size: 0
    .sgpr_count:     6
    .sgpr_spill_count: 0
    .symbol:         _ZN7rocprim17ROCPRIM_400000_NS6detail17trampoline_kernelINS0_14default_configENS1_33run_length_encode_config_selectorIN3c104HalfEjNS0_4plusIjEEEEZZNS1_33reduce_by_key_impl_wrapped_configILNS1_25lookback_scan_determinismE0ES3_S9_PKS6_NS0_17constant_iteratorIjlEEPS6_PlSH_S8_NS0_8equal_toIS6_EEEE10hipError_tPvRmT2_T3_mT4_T5_T6_T7_T8_P12ihipStream_tbENKUlT_T0_E_clISt17integral_constantIbLb0EES11_EEDaSW_SX_EUlSW_E_NS1_11comp_targetILNS1_3genE10ELNS1_11target_archE1200ELNS1_3gpuE4ELNS1_3repE0EEENS1_30default_config_static_selectorELNS0_4arch9wavefront6targetE1EEEvT1_.kd
    .uniform_work_group_size: 1
    .uses_dynamic_stack: false
    .vgpr_count:     0
    .vgpr_spill_count: 0
    .wavefront_size: 64
  - .agpr_count:     0
    .args:
      - .offset:         0
        .size:           128
        .value_kind:     by_value
    .group_segment_fixed_size: 0
    .kernarg_segment_align: 8
    .kernarg_segment_size: 128
    .language:       OpenCL C
    .language_version:
      - 2
      - 0
    .max_flat_workgroup_size: 256
    .name:           _ZN7rocprim17ROCPRIM_400000_NS6detail17trampoline_kernelINS0_14default_configENS1_33run_length_encode_config_selectorIN3c104HalfEjNS0_4plusIjEEEEZZNS1_33reduce_by_key_impl_wrapped_configILNS1_25lookback_scan_determinismE0ES3_S9_PKS6_NS0_17constant_iteratorIjlEEPS6_PlSH_S8_NS0_8equal_toIS6_EEEE10hipError_tPvRmT2_T3_mT4_T5_T6_T7_T8_P12ihipStream_tbENKUlT_T0_E_clISt17integral_constantIbLb0EES11_EEDaSW_SX_EUlSW_E_NS1_11comp_targetILNS1_3genE9ELNS1_11target_archE1100ELNS1_3gpuE3ELNS1_3repE0EEENS1_30default_config_static_selectorELNS0_4arch9wavefront6targetE1EEEvT1_
    .private_segment_fixed_size: 0
    .sgpr_count:     6
    .sgpr_spill_count: 0
    .symbol:         _ZN7rocprim17ROCPRIM_400000_NS6detail17trampoline_kernelINS0_14default_configENS1_33run_length_encode_config_selectorIN3c104HalfEjNS0_4plusIjEEEEZZNS1_33reduce_by_key_impl_wrapped_configILNS1_25lookback_scan_determinismE0ES3_S9_PKS6_NS0_17constant_iteratorIjlEEPS6_PlSH_S8_NS0_8equal_toIS6_EEEE10hipError_tPvRmT2_T3_mT4_T5_T6_T7_T8_P12ihipStream_tbENKUlT_T0_E_clISt17integral_constantIbLb0EES11_EEDaSW_SX_EUlSW_E_NS1_11comp_targetILNS1_3genE9ELNS1_11target_archE1100ELNS1_3gpuE3ELNS1_3repE0EEENS1_30default_config_static_selectorELNS0_4arch9wavefront6targetE1EEEvT1_.kd
    .uniform_work_group_size: 1
    .uses_dynamic_stack: false
    .vgpr_count:     0
    .vgpr_spill_count: 0
    .wavefront_size: 64
  - .agpr_count:     0
    .args:
      - .offset:         0
        .size:           128
        .value_kind:     by_value
    .group_segment_fixed_size: 0
    .kernarg_segment_align: 8
    .kernarg_segment_size: 128
    .language:       OpenCL C
    .language_version:
      - 2
      - 0
    .max_flat_workgroup_size: 256
    .name:           _ZN7rocprim17ROCPRIM_400000_NS6detail17trampoline_kernelINS0_14default_configENS1_33run_length_encode_config_selectorIN3c104HalfEjNS0_4plusIjEEEEZZNS1_33reduce_by_key_impl_wrapped_configILNS1_25lookback_scan_determinismE0ES3_S9_PKS6_NS0_17constant_iteratorIjlEEPS6_PlSH_S8_NS0_8equal_toIS6_EEEE10hipError_tPvRmT2_T3_mT4_T5_T6_T7_T8_P12ihipStream_tbENKUlT_T0_E_clISt17integral_constantIbLb0EES11_EEDaSW_SX_EUlSW_E_NS1_11comp_targetILNS1_3genE8ELNS1_11target_archE1030ELNS1_3gpuE2ELNS1_3repE0EEENS1_30default_config_static_selectorELNS0_4arch9wavefront6targetE1EEEvT1_
    .private_segment_fixed_size: 0
    .sgpr_count:     6
    .sgpr_spill_count: 0
    .symbol:         _ZN7rocprim17ROCPRIM_400000_NS6detail17trampoline_kernelINS0_14default_configENS1_33run_length_encode_config_selectorIN3c104HalfEjNS0_4plusIjEEEEZZNS1_33reduce_by_key_impl_wrapped_configILNS1_25lookback_scan_determinismE0ES3_S9_PKS6_NS0_17constant_iteratorIjlEEPS6_PlSH_S8_NS0_8equal_toIS6_EEEE10hipError_tPvRmT2_T3_mT4_T5_T6_T7_T8_P12ihipStream_tbENKUlT_T0_E_clISt17integral_constantIbLb0EES11_EEDaSW_SX_EUlSW_E_NS1_11comp_targetILNS1_3genE8ELNS1_11target_archE1030ELNS1_3gpuE2ELNS1_3repE0EEENS1_30default_config_static_selectorELNS0_4arch9wavefront6targetE1EEEvT1_.kd
    .uniform_work_group_size: 1
    .uses_dynamic_stack: false
    .vgpr_count:     0
    .vgpr_spill_count: 0
    .wavefront_size: 64
  - .agpr_count:     0
    .args:
      - .offset:         0
        .size:           128
        .value_kind:     by_value
    .group_segment_fixed_size: 0
    .kernarg_segment_align: 8
    .kernarg_segment_size: 128
    .language:       OpenCL C
    .language_version:
      - 2
      - 0
    .max_flat_workgroup_size: 256
    .name:           _ZN7rocprim17ROCPRIM_400000_NS6detail17trampoline_kernelINS0_14default_configENS1_33run_length_encode_config_selectorIN3c104HalfEjNS0_4plusIjEEEEZZNS1_33reduce_by_key_impl_wrapped_configILNS1_25lookback_scan_determinismE0ES3_S9_PKS6_NS0_17constant_iteratorIjlEEPS6_PlSH_S8_NS0_8equal_toIS6_EEEE10hipError_tPvRmT2_T3_mT4_T5_T6_T7_T8_P12ihipStream_tbENKUlT_T0_E_clISt17integral_constantIbLb1EES11_EEDaSW_SX_EUlSW_E_NS1_11comp_targetILNS1_3genE0ELNS1_11target_archE4294967295ELNS1_3gpuE0ELNS1_3repE0EEENS1_30default_config_static_selectorELNS0_4arch9wavefront6targetE1EEEvT1_
    .private_segment_fixed_size: 0
    .sgpr_count:     6
    .sgpr_spill_count: 0
    .symbol:         _ZN7rocprim17ROCPRIM_400000_NS6detail17trampoline_kernelINS0_14default_configENS1_33run_length_encode_config_selectorIN3c104HalfEjNS0_4plusIjEEEEZZNS1_33reduce_by_key_impl_wrapped_configILNS1_25lookback_scan_determinismE0ES3_S9_PKS6_NS0_17constant_iteratorIjlEEPS6_PlSH_S8_NS0_8equal_toIS6_EEEE10hipError_tPvRmT2_T3_mT4_T5_T6_T7_T8_P12ihipStream_tbENKUlT_T0_E_clISt17integral_constantIbLb1EES11_EEDaSW_SX_EUlSW_E_NS1_11comp_targetILNS1_3genE0ELNS1_11target_archE4294967295ELNS1_3gpuE0ELNS1_3repE0EEENS1_30default_config_static_selectorELNS0_4arch9wavefront6targetE1EEEvT1_.kd
    .uniform_work_group_size: 1
    .uses_dynamic_stack: false
    .vgpr_count:     0
    .vgpr_spill_count: 0
    .wavefront_size: 64
  - .agpr_count:     0
    .args:
      - .offset:         0
        .size:           128
        .value_kind:     by_value
    .group_segment_fixed_size: 15360
    .kernarg_segment_align: 8
    .kernarg_segment_size: 128
    .language:       OpenCL C
    .language_version:
      - 2
      - 0
    .max_flat_workgroup_size: 256
    .name:           _ZN7rocprim17ROCPRIM_400000_NS6detail17trampoline_kernelINS0_14default_configENS1_33run_length_encode_config_selectorIN3c104HalfEjNS0_4plusIjEEEEZZNS1_33reduce_by_key_impl_wrapped_configILNS1_25lookback_scan_determinismE0ES3_S9_PKS6_NS0_17constant_iteratorIjlEEPS6_PlSH_S8_NS0_8equal_toIS6_EEEE10hipError_tPvRmT2_T3_mT4_T5_T6_T7_T8_P12ihipStream_tbENKUlT_T0_E_clISt17integral_constantIbLb1EES11_EEDaSW_SX_EUlSW_E_NS1_11comp_targetILNS1_3genE5ELNS1_11target_archE942ELNS1_3gpuE9ELNS1_3repE0EEENS1_30default_config_static_selectorELNS0_4arch9wavefront6targetE1EEEvT1_
    .private_segment_fixed_size: 0
    .sgpr_count:     72
    .sgpr_spill_count: 0
    .symbol:         _ZN7rocprim17ROCPRIM_400000_NS6detail17trampoline_kernelINS0_14default_configENS1_33run_length_encode_config_selectorIN3c104HalfEjNS0_4plusIjEEEEZZNS1_33reduce_by_key_impl_wrapped_configILNS1_25lookback_scan_determinismE0ES3_S9_PKS6_NS0_17constant_iteratorIjlEEPS6_PlSH_S8_NS0_8equal_toIS6_EEEE10hipError_tPvRmT2_T3_mT4_T5_T6_T7_T8_P12ihipStream_tbENKUlT_T0_E_clISt17integral_constantIbLb1EES11_EEDaSW_SX_EUlSW_E_NS1_11comp_targetILNS1_3genE5ELNS1_11target_archE942ELNS1_3gpuE9ELNS1_3repE0EEENS1_30default_config_static_selectorELNS0_4arch9wavefront6targetE1EEEvT1_.kd
    .uniform_work_group_size: 1
    .uses_dynamic_stack: false
    .vgpr_count:     108
    .vgpr_spill_count: 0
    .wavefront_size: 64
  - .agpr_count:     0
    .args:
      - .offset:         0
        .size:           128
        .value_kind:     by_value
    .group_segment_fixed_size: 0
    .kernarg_segment_align: 8
    .kernarg_segment_size: 128
    .language:       OpenCL C
    .language_version:
      - 2
      - 0
    .max_flat_workgroup_size: 256
    .name:           _ZN7rocprim17ROCPRIM_400000_NS6detail17trampoline_kernelINS0_14default_configENS1_33run_length_encode_config_selectorIN3c104HalfEjNS0_4plusIjEEEEZZNS1_33reduce_by_key_impl_wrapped_configILNS1_25lookback_scan_determinismE0ES3_S9_PKS6_NS0_17constant_iteratorIjlEEPS6_PlSH_S8_NS0_8equal_toIS6_EEEE10hipError_tPvRmT2_T3_mT4_T5_T6_T7_T8_P12ihipStream_tbENKUlT_T0_E_clISt17integral_constantIbLb1EES11_EEDaSW_SX_EUlSW_E_NS1_11comp_targetILNS1_3genE4ELNS1_11target_archE910ELNS1_3gpuE8ELNS1_3repE0EEENS1_30default_config_static_selectorELNS0_4arch9wavefront6targetE1EEEvT1_
    .private_segment_fixed_size: 0
    .sgpr_count:     6
    .sgpr_spill_count: 0
    .symbol:         _ZN7rocprim17ROCPRIM_400000_NS6detail17trampoline_kernelINS0_14default_configENS1_33run_length_encode_config_selectorIN3c104HalfEjNS0_4plusIjEEEEZZNS1_33reduce_by_key_impl_wrapped_configILNS1_25lookback_scan_determinismE0ES3_S9_PKS6_NS0_17constant_iteratorIjlEEPS6_PlSH_S8_NS0_8equal_toIS6_EEEE10hipError_tPvRmT2_T3_mT4_T5_T6_T7_T8_P12ihipStream_tbENKUlT_T0_E_clISt17integral_constantIbLb1EES11_EEDaSW_SX_EUlSW_E_NS1_11comp_targetILNS1_3genE4ELNS1_11target_archE910ELNS1_3gpuE8ELNS1_3repE0EEENS1_30default_config_static_selectorELNS0_4arch9wavefront6targetE1EEEvT1_.kd
    .uniform_work_group_size: 1
    .uses_dynamic_stack: false
    .vgpr_count:     0
    .vgpr_spill_count: 0
    .wavefront_size: 64
  - .agpr_count:     0
    .args:
      - .offset:         0
        .size:           128
        .value_kind:     by_value
    .group_segment_fixed_size: 0
    .kernarg_segment_align: 8
    .kernarg_segment_size: 128
    .language:       OpenCL C
    .language_version:
      - 2
      - 0
    .max_flat_workgroup_size: 256
    .name:           _ZN7rocprim17ROCPRIM_400000_NS6detail17trampoline_kernelINS0_14default_configENS1_33run_length_encode_config_selectorIN3c104HalfEjNS0_4plusIjEEEEZZNS1_33reduce_by_key_impl_wrapped_configILNS1_25lookback_scan_determinismE0ES3_S9_PKS6_NS0_17constant_iteratorIjlEEPS6_PlSH_S8_NS0_8equal_toIS6_EEEE10hipError_tPvRmT2_T3_mT4_T5_T6_T7_T8_P12ihipStream_tbENKUlT_T0_E_clISt17integral_constantIbLb1EES11_EEDaSW_SX_EUlSW_E_NS1_11comp_targetILNS1_3genE3ELNS1_11target_archE908ELNS1_3gpuE7ELNS1_3repE0EEENS1_30default_config_static_selectorELNS0_4arch9wavefront6targetE1EEEvT1_
    .private_segment_fixed_size: 0
    .sgpr_count:     6
    .sgpr_spill_count: 0
    .symbol:         _ZN7rocprim17ROCPRIM_400000_NS6detail17trampoline_kernelINS0_14default_configENS1_33run_length_encode_config_selectorIN3c104HalfEjNS0_4plusIjEEEEZZNS1_33reduce_by_key_impl_wrapped_configILNS1_25lookback_scan_determinismE0ES3_S9_PKS6_NS0_17constant_iteratorIjlEEPS6_PlSH_S8_NS0_8equal_toIS6_EEEE10hipError_tPvRmT2_T3_mT4_T5_T6_T7_T8_P12ihipStream_tbENKUlT_T0_E_clISt17integral_constantIbLb1EES11_EEDaSW_SX_EUlSW_E_NS1_11comp_targetILNS1_3genE3ELNS1_11target_archE908ELNS1_3gpuE7ELNS1_3repE0EEENS1_30default_config_static_selectorELNS0_4arch9wavefront6targetE1EEEvT1_.kd
    .uniform_work_group_size: 1
    .uses_dynamic_stack: false
    .vgpr_count:     0
    .vgpr_spill_count: 0
    .wavefront_size: 64
  - .agpr_count:     0
    .args:
      - .offset:         0
        .size:           128
        .value_kind:     by_value
    .group_segment_fixed_size: 0
    .kernarg_segment_align: 8
    .kernarg_segment_size: 128
    .language:       OpenCL C
    .language_version:
      - 2
      - 0
    .max_flat_workgroup_size: 256
    .name:           _ZN7rocprim17ROCPRIM_400000_NS6detail17trampoline_kernelINS0_14default_configENS1_33run_length_encode_config_selectorIN3c104HalfEjNS0_4plusIjEEEEZZNS1_33reduce_by_key_impl_wrapped_configILNS1_25lookback_scan_determinismE0ES3_S9_PKS6_NS0_17constant_iteratorIjlEEPS6_PlSH_S8_NS0_8equal_toIS6_EEEE10hipError_tPvRmT2_T3_mT4_T5_T6_T7_T8_P12ihipStream_tbENKUlT_T0_E_clISt17integral_constantIbLb1EES11_EEDaSW_SX_EUlSW_E_NS1_11comp_targetILNS1_3genE2ELNS1_11target_archE906ELNS1_3gpuE6ELNS1_3repE0EEENS1_30default_config_static_selectorELNS0_4arch9wavefront6targetE1EEEvT1_
    .private_segment_fixed_size: 0
    .sgpr_count:     6
    .sgpr_spill_count: 0
    .symbol:         _ZN7rocprim17ROCPRIM_400000_NS6detail17trampoline_kernelINS0_14default_configENS1_33run_length_encode_config_selectorIN3c104HalfEjNS0_4plusIjEEEEZZNS1_33reduce_by_key_impl_wrapped_configILNS1_25lookback_scan_determinismE0ES3_S9_PKS6_NS0_17constant_iteratorIjlEEPS6_PlSH_S8_NS0_8equal_toIS6_EEEE10hipError_tPvRmT2_T3_mT4_T5_T6_T7_T8_P12ihipStream_tbENKUlT_T0_E_clISt17integral_constantIbLb1EES11_EEDaSW_SX_EUlSW_E_NS1_11comp_targetILNS1_3genE2ELNS1_11target_archE906ELNS1_3gpuE6ELNS1_3repE0EEENS1_30default_config_static_selectorELNS0_4arch9wavefront6targetE1EEEvT1_.kd
    .uniform_work_group_size: 1
    .uses_dynamic_stack: false
    .vgpr_count:     0
    .vgpr_spill_count: 0
    .wavefront_size: 64
  - .agpr_count:     0
    .args:
      - .offset:         0
        .size:           128
        .value_kind:     by_value
    .group_segment_fixed_size: 0
    .kernarg_segment_align: 8
    .kernarg_segment_size: 128
    .language:       OpenCL C
    .language_version:
      - 2
      - 0
    .max_flat_workgroup_size: 256
    .name:           _ZN7rocprim17ROCPRIM_400000_NS6detail17trampoline_kernelINS0_14default_configENS1_33run_length_encode_config_selectorIN3c104HalfEjNS0_4plusIjEEEEZZNS1_33reduce_by_key_impl_wrapped_configILNS1_25lookback_scan_determinismE0ES3_S9_PKS6_NS0_17constant_iteratorIjlEEPS6_PlSH_S8_NS0_8equal_toIS6_EEEE10hipError_tPvRmT2_T3_mT4_T5_T6_T7_T8_P12ihipStream_tbENKUlT_T0_E_clISt17integral_constantIbLb1EES11_EEDaSW_SX_EUlSW_E_NS1_11comp_targetILNS1_3genE10ELNS1_11target_archE1201ELNS1_3gpuE5ELNS1_3repE0EEENS1_30default_config_static_selectorELNS0_4arch9wavefront6targetE1EEEvT1_
    .private_segment_fixed_size: 0
    .sgpr_count:     6
    .sgpr_spill_count: 0
    .symbol:         _ZN7rocprim17ROCPRIM_400000_NS6detail17trampoline_kernelINS0_14default_configENS1_33run_length_encode_config_selectorIN3c104HalfEjNS0_4plusIjEEEEZZNS1_33reduce_by_key_impl_wrapped_configILNS1_25lookback_scan_determinismE0ES3_S9_PKS6_NS0_17constant_iteratorIjlEEPS6_PlSH_S8_NS0_8equal_toIS6_EEEE10hipError_tPvRmT2_T3_mT4_T5_T6_T7_T8_P12ihipStream_tbENKUlT_T0_E_clISt17integral_constantIbLb1EES11_EEDaSW_SX_EUlSW_E_NS1_11comp_targetILNS1_3genE10ELNS1_11target_archE1201ELNS1_3gpuE5ELNS1_3repE0EEENS1_30default_config_static_selectorELNS0_4arch9wavefront6targetE1EEEvT1_.kd
    .uniform_work_group_size: 1
    .uses_dynamic_stack: false
    .vgpr_count:     0
    .vgpr_spill_count: 0
    .wavefront_size: 64
  - .agpr_count:     0
    .args:
      - .offset:         0
        .size:           128
        .value_kind:     by_value
    .group_segment_fixed_size: 0
    .kernarg_segment_align: 8
    .kernarg_segment_size: 128
    .language:       OpenCL C
    .language_version:
      - 2
      - 0
    .max_flat_workgroup_size: 256
    .name:           _ZN7rocprim17ROCPRIM_400000_NS6detail17trampoline_kernelINS0_14default_configENS1_33run_length_encode_config_selectorIN3c104HalfEjNS0_4plusIjEEEEZZNS1_33reduce_by_key_impl_wrapped_configILNS1_25lookback_scan_determinismE0ES3_S9_PKS6_NS0_17constant_iteratorIjlEEPS6_PlSH_S8_NS0_8equal_toIS6_EEEE10hipError_tPvRmT2_T3_mT4_T5_T6_T7_T8_P12ihipStream_tbENKUlT_T0_E_clISt17integral_constantIbLb1EES11_EEDaSW_SX_EUlSW_E_NS1_11comp_targetILNS1_3genE10ELNS1_11target_archE1200ELNS1_3gpuE4ELNS1_3repE0EEENS1_30default_config_static_selectorELNS0_4arch9wavefront6targetE1EEEvT1_
    .private_segment_fixed_size: 0
    .sgpr_count:     6
    .sgpr_spill_count: 0
    .symbol:         _ZN7rocprim17ROCPRIM_400000_NS6detail17trampoline_kernelINS0_14default_configENS1_33run_length_encode_config_selectorIN3c104HalfEjNS0_4plusIjEEEEZZNS1_33reduce_by_key_impl_wrapped_configILNS1_25lookback_scan_determinismE0ES3_S9_PKS6_NS0_17constant_iteratorIjlEEPS6_PlSH_S8_NS0_8equal_toIS6_EEEE10hipError_tPvRmT2_T3_mT4_T5_T6_T7_T8_P12ihipStream_tbENKUlT_T0_E_clISt17integral_constantIbLb1EES11_EEDaSW_SX_EUlSW_E_NS1_11comp_targetILNS1_3genE10ELNS1_11target_archE1200ELNS1_3gpuE4ELNS1_3repE0EEENS1_30default_config_static_selectorELNS0_4arch9wavefront6targetE1EEEvT1_.kd
    .uniform_work_group_size: 1
    .uses_dynamic_stack: false
    .vgpr_count:     0
    .vgpr_spill_count: 0
    .wavefront_size: 64
  - .agpr_count:     0
    .args:
      - .offset:         0
        .size:           128
        .value_kind:     by_value
    .group_segment_fixed_size: 0
    .kernarg_segment_align: 8
    .kernarg_segment_size: 128
    .language:       OpenCL C
    .language_version:
      - 2
      - 0
    .max_flat_workgroup_size: 256
    .name:           _ZN7rocprim17ROCPRIM_400000_NS6detail17trampoline_kernelINS0_14default_configENS1_33run_length_encode_config_selectorIN3c104HalfEjNS0_4plusIjEEEEZZNS1_33reduce_by_key_impl_wrapped_configILNS1_25lookback_scan_determinismE0ES3_S9_PKS6_NS0_17constant_iteratorIjlEEPS6_PlSH_S8_NS0_8equal_toIS6_EEEE10hipError_tPvRmT2_T3_mT4_T5_T6_T7_T8_P12ihipStream_tbENKUlT_T0_E_clISt17integral_constantIbLb1EES11_EEDaSW_SX_EUlSW_E_NS1_11comp_targetILNS1_3genE9ELNS1_11target_archE1100ELNS1_3gpuE3ELNS1_3repE0EEENS1_30default_config_static_selectorELNS0_4arch9wavefront6targetE1EEEvT1_
    .private_segment_fixed_size: 0
    .sgpr_count:     6
    .sgpr_spill_count: 0
    .symbol:         _ZN7rocprim17ROCPRIM_400000_NS6detail17trampoline_kernelINS0_14default_configENS1_33run_length_encode_config_selectorIN3c104HalfEjNS0_4plusIjEEEEZZNS1_33reduce_by_key_impl_wrapped_configILNS1_25lookback_scan_determinismE0ES3_S9_PKS6_NS0_17constant_iteratorIjlEEPS6_PlSH_S8_NS0_8equal_toIS6_EEEE10hipError_tPvRmT2_T3_mT4_T5_T6_T7_T8_P12ihipStream_tbENKUlT_T0_E_clISt17integral_constantIbLb1EES11_EEDaSW_SX_EUlSW_E_NS1_11comp_targetILNS1_3genE9ELNS1_11target_archE1100ELNS1_3gpuE3ELNS1_3repE0EEENS1_30default_config_static_selectorELNS0_4arch9wavefront6targetE1EEEvT1_.kd
    .uniform_work_group_size: 1
    .uses_dynamic_stack: false
    .vgpr_count:     0
    .vgpr_spill_count: 0
    .wavefront_size: 64
  - .agpr_count:     0
    .args:
      - .offset:         0
        .size:           128
        .value_kind:     by_value
    .group_segment_fixed_size: 0
    .kernarg_segment_align: 8
    .kernarg_segment_size: 128
    .language:       OpenCL C
    .language_version:
      - 2
      - 0
    .max_flat_workgroup_size: 256
    .name:           _ZN7rocprim17ROCPRIM_400000_NS6detail17trampoline_kernelINS0_14default_configENS1_33run_length_encode_config_selectorIN3c104HalfEjNS0_4plusIjEEEEZZNS1_33reduce_by_key_impl_wrapped_configILNS1_25lookback_scan_determinismE0ES3_S9_PKS6_NS0_17constant_iteratorIjlEEPS6_PlSH_S8_NS0_8equal_toIS6_EEEE10hipError_tPvRmT2_T3_mT4_T5_T6_T7_T8_P12ihipStream_tbENKUlT_T0_E_clISt17integral_constantIbLb1EES11_EEDaSW_SX_EUlSW_E_NS1_11comp_targetILNS1_3genE8ELNS1_11target_archE1030ELNS1_3gpuE2ELNS1_3repE0EEENS1_30default_config_static_selectorELNS0_4arch9wavefront6targetE1EEEvT1_
    .private_segment_fixed_size: 0
    .sgpr_count:     6
    .sgpr_spill_count: 0
    .symbol:         _ZN7rocprim17ROCPRIM_400000_NS6detail17trampoline_kernelINS0_14default_configENS1_33run_length_encode_config_selectorIN3c104HalfEjNS0_4plusIjEEEEZZNS1_33reduce_by_key_impl_wrapped_configILNS1_25lookback_scan_determinismE0ES3_S9_PKS6_NS0_17constant_iteratorIjlEEPS6_PlSH_S8_NS0_8equal_toIS6_EEEE10hipError_tPvRmT2_T3_mT4_T5_T6_T7_T8_P12ihipStream_tbENKUlT_T0_E_clISt17integral_constantIbLb1EES11_EEDaSW_SX_EUlSW_E_NS1_11comp_targetILNS1_3genE8ELNS1_11target_archE1030ELNS1_3gpuE2ELNS1_3repE0EEENS1_30default_config_static_selectorELNS0_4arch9wavefront6targetE1EEEvT1_.kd
    .uniform_work_group_size: 1
    .uses_dynamic_stack: false
    .vgpr_count:     0
    .vgpr_spill_count: 0
    .wavefront_size: 64
  - .agpr_count:     0
    .args:
      - .offset:         0
        .size:           128
        .value_kind:     by_value
    .group_segment_fixed_size: 0
    .kernarg_segment_align: 8
    .kernarg_segment_size: 128
    .language:       OpenCL C
    .language_version:
      - 2
      - 0
    .max_flat_workgroup_size: 256
    .name:           _ZN7rocprim17ROCPRIM_400000_NS6detail17trampoline_kernelINS0_14default_configENS1_33run_length_encode_config_selectorIN3c104HalfEjNS0_4plusIjEEEEZZNS1_33reduce_by_key_impl_wrapped_configILNS1_25lookback_scan_determinismE0ES3_S9_PKS6_NS0_17constant_iteratorIjlEEPS6_PlSH_S8_NS0_8equal_toIS6_EEEE10hipError_tPvRmT2_T3_mT4_T5_T6_T7_T8_P12ihipStream_tbENKUlT_T0_E_clISt17integral_constantIbLb1EES10_IbLb0EEEEDaSW_SX_EUlSW_E_NS1_11comp_targetILNS1_3genE0ELNS1_11target_archE4294967295ELNS1_3gpuE0ELNS1_3repE0EEENS1_30default_config_static_selectorELNS0_4arch9wavefront6targetE1EEEvT1_
    .private_segment_fixed_size: 0
    .sgpr_count:     6
    .sgpr_spill_count: 0
    .symbol:         _ZN7rocprim17ROCPRIM_400000_NS6detail17trampoline_kernelINS0_14default_configENS1_33run_length_encode_config_selectorIN3c104HalfEjNS0_4plusIjEEEEZZNS1_33reduce_by_key_impl_wrapped_configILNS1_25lookback_scan_determinismE0ES3_S9_PKS6_NS0_17constant_iteratorIjlEEPS6_PlSH_S8_NS0_8equal_toIS6_EEEE10hipError_tPvRmT2_T3_mT4_T5_T6_T7_T8_P12ihipStream_tbENKUlT_T0_E_clISt17integral_constantIbLb1EES10_IbLb0EEEEDaSW_SX_EUlSW_E_NS1_11comp_targetILNS1_3genE0ELNS1_11target_archE4294967295ELNS1_3gpuE0ELNS1_3repE0EEENS1_30default_config_static_selectorELNS0_4arch9wavefront6targetE1EEEvT1_.kd
    .uniform_work_group_size: 1
    .uses_dynamic_stack: false
    .vgpr_count:     0
    .vgpr_spill_count: 0
    .wavefront_size: 64
  - .agpr_count:     0
    .args:
      - .offset:         0
        .size:           128
        .value_kind:     by_value
    .group_segment_fixed_size: 15360
    .kernarg_segment_align: 8
    .kernarg_segment_size: 128
    .language:       OpenCL C
    .language_version:
      - 2
      - 0
    .max_flat_workgroup_size: 256
    .name:           _ZN7rocprim17ROCPRIM_400000_NS6detail17trampoline_kernelINS0_14default_configENS1_33run_length_encode_config_selectorIN3c104HalfEjNS0_4plusIjEEEEZZNS1_33reduce_by_key_impl_wrapped_configILNS1_25lookback_scan_determinismE0ES3_S9_PKS6_NS0_17constant_iteratorIjlEEPS6_PlSH_S8_NS0_8equal_toIS6_EEEE10hipError_tPvRmT2_T3_mT4_T5_T6_T7_T8_P12ihipStream_tbENKUlT_T0_E_clISt17integral_constantIbLb1EES10_IbLb0EEEEDaSW_SX_EUlSW_E_NS1_11comp_targetILNS1_3genE5ELNS1_11target_archE942ELNS1_3gpuE9ELNS1_3repE0EEENS1_30default_config_static_selectorELNS0_4arch9wavefront6targetE1EEEvT1_
    .private_segment_fixed_size: 0
    .sgpr_count:     70
    .sgpr_spill_count: 0
    .symbol:         _ZN7rocprim17ROCPRIM_400000_NS6detail17trampoline_kernelINS0_14default_configENS1_33run_length_encode_config_selectorIN3c104HalfEjNS0_4plusIjEEEEZZNS1_33reduce_by_key_impl_wrapped_configILNS1_25lookback_scan_determinismE0ES3_S9_PKS6_NS0_17constant_iteratorIjlEEPS6_PlSH_S8_NS0_8equal_toIS6_EEEE10hipError_tPvRmT2_T3_mT4_T5_T6_T7_T8_P12ihipStream_tbENKUlT_T0_E_clISt17integral_constantIbLb1EES10_IbLb0EEEEDaSW_SX_EUlSW_E_NS1_11comp_targetILNS1_3genE5ELNS1_11target_archE942ELNS1_3gpuE9ELNS1_3repE0EEENS1_30default_config_static_selectorELNS0_4arch9wavefront6targetE1EEEvT1_.kd
    .uniform_work_group_size: 1
    .uses_dynamic_stack: false
    .vgpr_count:     108
    .vgpr_spill_count: 0
    .wavefront_size: 64
  - .agpr_count:     0
    .args:
      - .offset:         0
        .size:           128
        .value_kind:     by_value
    .group_segment_fixed_size: 0
    .kernarg_segment_align: 8
    .kernarg_segment_size: 128
    .language:       OpenCL C
    .language_version:
      - 2
      - 0
    .max_flat_workgroup_size: 256
    .name:           _ZN7rocprim17ROCPRIM_400000_NS6detail17trampoline_kernelINS0_14default_configENS1_33run_length_encode_config_selectorIN3c104HalfEjNS0_4plusIjEEEEZZNS1_33reduce_by_key_impl_wrapped_configILNS1_25lookback_scan_determinismE0ES3_S9_PKS6_NS0_17constant_iteratorIjlEEPS6_PlSH_S8_NS0_8equal_toIS6_EEEE10hipError_tPvRmT2_T3_mT4_T5_T6_T7_T8_P12ihipStream_tbENKUlT_T0_E_clISt17integral_constantIbLb1EES10_IbLb0EEEEDaSW_SX_EUlSW_E_NS1_11comp_targetILNS1_3genE4ELNS1_11target_archE910ELNS1_3gpuE8ELNS1_3repE0EEENS1_30default_config_static_selectorELNS0_4arch9wavefront6targetE1EEEvT1_
    .private_segment_fixed_size: 0
    .sgpr_count:     6
    .sgpr_spill_count: 0
    .symbol:         _ZN7rocprim17ROCPRIM_400000_NS6detail17trampoline_kernelINS0_14default_configENS1_33run_length_encode_config_selectorIN3c104HalfEjNS0_4plusIjEEEEZZNS1_33reduce_by_key_impl_wrapped_configILNS1_25lookback_scan_determinismE0ES3_S9_PKS6_NS0_17constant_iteratorIjlEEPS6_PlSH_S8_NS0_8equal_toIS6_EEEE10hipError_tPvRmT2_T3_mT4_T5_T6_T7_T8_P12ihipStream_tbENKUlT_T0_E_clISt17integral_constantIbLb1EES10_IbLb0EEEEDaSW_SX_EUlSW_E_NS1_11comp_targetILNS1_3genE4ELNS1_11target_archE910ELNS1_3gpuE8ELNS1_3repE0EEENS1_30default_config_static_selectorELNS0_4arch9wavefront6targetE1EEEvT1_.kd
    .uniform_work_group_size: 1
    .uses_dynamic_stack: false
    .vgpr_count:     0
    .vgpr_spill_count: 0
    .wavefront_size: 64
  - .agpr_count:     0
    .args:
      - .offset:         0
        .size:           128
        .value_kind:     by_value
    .group_segment_fixed_size: 0
    .kernarg_segment_align: 8
    .kernarg_segment_size: 128
    .language:       OpenCL C
    .language_version:
      - 2
      - 0
    .max_flat_workgroup_size: 256
    .name:           _ZN7rocprim17ROCPRIM_400000_NS6detail17trampoline_kernelINS0_14default_configENS1_33run_length_encode_config_selectorIN3c104HalfEjNS0_4plusIjEEEEZZNS1_33reduce_by_key_impl_wrapped_configILNS1_25lookback_scan_determinismE0ES3_S9_PKS6_NS0_17constant_iteratorIjlEEPS6_PlSH_S8_NS0_8equal_toIS6_EEEE10hipError_tPvRmT2_T3_mT4_T5_T6_T7_T8_P12ihipStream_tbENKUlT_T0_E_clISt17integral_constantIbLb1EES10_IbLb0EEEEDaSW_SX_EUlSW_E_NS1_11comp_targetILNS1_3genE3ELNS1_11target_archE908ELNS1_3gpuE7ELNS1_3repE0EEENS1_30default_config_static_selectorELNS0_4arch9wavefront6targetE1EEEvT1_
    .private_segment_fixed_size: 0
    .sgpr_count:     6
    .sgpr_spill_count: 0
    .symbol:         _ZN7rocprim17ROCPRIM_400000_NS6detail17trampoline_kernelINS0_14default_configENS1_33run_length_encode_config_selectorIN3c104HalfEjNS0_4plusIjEEEEZZNS1_33reduce_by_key_impl_wrapped_configILNS1_25lookback_scan_determinismE0ES3_S9_PKS6_NS0_17constant_iteratorIjlEEPS6_PlSH_S8_NS0_8equal_toIS6_EEEE10hipError_tPvRmT2_T3_mT4_T5_T6_T7_T8_P12ihipStream_tbENKUlT_T0_E_clISt17integral_constantIbLb1EES10_IbLb0EEEEDaSW_SX_EUlSW_E_NS1_11comp_targetILNS1_3genE3ELNS1_11target_archE908ELNS1_3gpuE7ELNS1_3repE0EEENS1_30default_config_static_selectorELNS0_4arch9wavefront6targetE1EEEvT1_.kd
    .uniform_work_group_size: 1
    .uses_dynamic_stack: false
    .vgpr_count:     0
    .vgpr_spill_count: 0
    .wavefront_size: 64
  - .agpr_count:     0
    .args:
      - .offset:         0
        .size:           128
        .value_kind:     by_value
    .group_segment_fixed_size: 0
    .kernarg_segment_align: 8
    .kernarg_segment_size: 128
    .language:       OpenCL C
    .language_version:
      - 2
      - 0
    .max_flat_workgroup_size: 256
    .name:           _ZN7rocprim17ROCPRIM_400000_NS6detail17trampoline_kernelINS0_14default_configENS1_33run_length_encode_config_selectorIN3c104HalfEjNS0_4plusIjEEEEZZNS1_33reduce_by_key_impl_wrapped_configILNS1_25lookback_scan_determinismE0ES3_S9_PKS6_NS0_17constant_iteratorIjlEEPS6_PlSH_S8_NS0_8equal_toIS6_EEEE10hipError_tPvRmT2_T3_mT4_T5_T6_T7_T8_P12ihipStream_tbENKUlT_T0_E_clISt17integral_constantIbLb1EES10_IbLb0EEEEDaSW_SX_EUlSW_E_NS1_11comp_targetILNS1_3genE2ELNS1_11target_archE906ELNS1_3gpuE6ELNS1_3repE0EEENS1_30default_config_static_selectorELNS0_4arch9wavefront6targetE1EEEvT1_
    .private_segment_fixed_size: 0
    .sgpr_count:     6
    .sgpr_spill_count: 0
    .symbol:         _ZN7rocprim17ROCPRIM_400000_NS6detail17trampoline_kernelINS0_14default_configENS1_33run_length_encode_config_selectorIN3c104HalfEjNS0_4plusIjEEEEZZNS1_33reduce_by_key_impl_wrapped_configILNS1_25lookback_scan_determinismE0ES3_S9_PKS6_NS0_17constant_iteratorIjlEEPS6_PlSH_S8_NS0_8equal_toIS6_EEEE10hipError_tPvRmT2_T3_mT4_T5_T6_T7_T8_P12ihipStream_tbENKUlT_T0_E_clISt17integral_constantIbLb1EES10_IbLb0EEEEDaSW_SX_EUlSW_E_NS1_11comp_targetILNS1_3genE2ELNS1_11target_archE906ELNS1_3gpuE6ELNS1_3repE0EEENS1_30default_config_static_selectorELNS0_4arch9wavefront6targetE1EEEvT1_.kd
    .uniform_work_group_size: 1
    .uses_dynamic_stack: false
    .vgpr_count:     0
    .vgpr_spill_count: 0
    .wavefront_size: 64
  - .agpr_count:     0
    .args:
      - .offset:         0
        .size:           128
        .value_kind:     by_value
    .group_segment_fixed_size: 0
    .kernarg_segment_align: 8
    .kernarg_segment_size: 128
    .language:       OpenCL C
    .language_version:
      - 2
      - 0
    .max_flat_workgroup_size: 256
    .name:           _ZN7rocprim17ROCPRIM_400000_NS6detail17trampoline_kernelINS0_14default_configENS1_33run_length_encode_config_selectorIN3c104HalfEjNS0_4plusIjEEEEZZNS1_33reduce_by_key_impl_wrapped_configILNS1_25lookback_scan_determinismE0ES3_S9_PKS6_NS0_17constant_iteratorIjlEEPS6_PlSH_S8_NS0_8equal_toIS6_EEEE10hipError_tPvRmT2_T3_mT4_T5_T6_T7_T8_P12ihipStream_tbENKUlT_T0_E_clISt17integral_constantIbLb1EES10_IbLb0EEEEDaSW_SX_EUlSW_E_NS1_11comp_targetILNS1_3genE10ELNS1_11target_archE1201ELNS1_3gpuE5ELNS1_3repE0EEENS1_30default_config_static_selectorELNS0_4arch9wavefront6targetE1EEEvT1_
    .private_segment_fixed_size: 0
    .sgpr_count:     6
    .sgpr_spill_count: 0
    .symbol:         _ZN7rocprim17ROCPRIM_400000_NS6detail17trampoline_kernelINS0_14default_configENS1_33run_length_encode_config_selectorIN3c104HalfEjNS0_4plusIjEEEEZZNS1_33reduce_by_key_impl_wrapped_configILNS1_25lookback_scan_determinismE0ES3_S9_PKS6_NS0_17constant_iteratorIjlEEPS6_PlSH_S8_NS0_8equal_toIS6_EEEE10hipError_tPvRmT2_T3_mT4_T5_T6_T7_T8_P12ihipStream_tbENKUlT_T0_E_clISt17integral_constantIbLb1EES10_IbLb0EEEEDaSW_SX_EUlSW_E_NS1_11comp_targetILNS1_3genE10ELNS1_11target_archE1201ELNS1_3gpuE5ELNS1_3repE0EEENS1_30default_config_static_selectorELNS0_4arch9wavefront6targetE1EEEvT1_.kd
    .uniform_work_group_size: 1
    .uses_dynamic_stack: false
    .vgpr_count:     0
    .vgpr_spill_count: 0
    .wavefront_size: 64
  - .agpr_count:     0
    .args:
      - .offset:         0
        .size:           128
        .value_kind:     by_value
    .group_segment_fixed_size: 0
    .kernarg_segment_align: 8
    .kernarg_segment_size: 128
    .language:       OpenCL C
    .language_version:
      - 2
      - 0
    .max_flat_workgroup_size: 256
    .name:           _ZN7rocprim17ROCPRIM_400000_NS6detail17trampoline_kernelINS0_14default_configENS1_33run_length_encode_config_selectorIN3c104HalfEjNS0_4plusIjEEEEZZNS1_33reduce_by_key_impl_wrapped_configILNS1_25lookback_scan_determinismE0ES3_S9_PKS6_NS0_17constant_iteratorIjlEEPS6_PlSH_S8_NS0_8equal_toIS6_EEEE10hipError_tPvRmT2_T3_mT4_T5_T6_T7_T8_P12ihipStream_tbENKUlT_T0_E_clISt17integral_constantIbLb1EES10_IbLb0EEEEDaSW_SX_EUlSW_E_NS1_11comp_targetILNS1_3genE10ELNS1_11target_archE1200ELNS1_3gpuE4ELNS1_3repE0EEENS1_30default_config_static_selectorELNS0_4arch9wavefront6targetE1EEEvT1_
    .private_segment_fixed_size: 0
    .sgpr_count:     6
    .sgpr_spill_count: 0
    .symbol:         _ZN7rocprim17ROCPRIM_400000_NS6detail17trampoline_kernelINS0_14default_configENS1_33run_length_encode_config_selectorIN3c104HalfEjNS0_4plusIjEEEEZZNS1_33reduce_by_key_impl_wrapped_configILNS1_25lookback_scan_determinismE0ES3_S9_PKS6_NS0_17constant_iteratorIjlEEPS6_PlSH_S8_NS0_8equal_toIS6_EEEE10hipError_tPvRmT2_T3_mT4_T5_T6_T7_T8_P12ihipStream_tbENKUlT_T0_E_clISt17integral_constantIbLb1EES10_IbLb0EEEEDaSW_SX_EUlSW_E_NS1_11comp_targetILNS1_3genE10ELNS1_11target_archE1200ELNS1_3gpuE4ELNS1_3repE0EEENS1_30default_config_static_selectorELNS0_4arch9wavefront6targetE1EEEvT1_.kd
    .uniform_work_group_size: 1
    .uses_dynamic_stack: false
    .vgpr_count:     0
    .vgpr_spill_count: 0
    .wavefront_size: 64
  - .agpr_count:     0
    .args:
      - .offset:         0
        .size:           128
        .value_kind:     by_value
    .group_segment_fixed_size: 0
    .kernarg_segment_align: 8
    .kernarg_segment_size: 128
    .language:       OpenCL C
    .language_version:
      - 2
      - 0
    .max_flat_workgroup_size: 256
    .name:           _ZN7rocprim17ROCPRIM_400000_NS6detail17trampoline_kernelINS0_14default_configENS1_33run_length_encode_config_selectorIN3c104HalfEjNS0_4plusIjEEEEZZNS1_33reduce_by_key_impl_wrapped_configILNS1_25lookback_scan_determinismE0ES3_S9_PKS6_NS0_17constant_iteratorIjlEEPS6_PlSH_S8_NS0_8equal_toIS6_EEEE10hipError_tPvRmT2_T3_mT4_T5_T6_T7_T8_P12ihipStream_tbENKUlT_T0_E_clISt17integral_constantIbLb1EES10_IbLb0EEEEDaSW_SX_EUlSW_E_NS1_11comp_targetILNS1_3genE9ELNS1_11target_archE1100ELNS1_3gpuE3ELNS1_3repE0EEENS1_30default_config_static_selectorELNS0_4arch9wavefront6targetE1EEEvT1_
    .private_segment_fixed_size: 0
    .sgpr_count:     6
    .sgpr_spill_count: 0
    .symbol:         _ZN7rocprim17ROCPRIM_400000_NS6detail17trampoline_kernelINS0_14default_configENS1_33run_length_encode_config_selectorIN3c104HalfEjNS0_4plusIjEEEEZZNS1_33reduce_by_key_impl_wrapped_configILNS1_25lookback_scan_determinismE0ES3_S9_PKS6_NS0_17constant_iteratorIjlEEPS6_PlSH_S8_NS0_8equal_toIS6_EEEE10hipError_tPvRmT2_T3_mT4_T5_T6_T7_T8_P12ihipStream_tbENKUlT_T0_E_clISt17integral_constantIbLb1EES10_IbLb0EEEEDaSW_SX_EUlSW_E_NS1_11comp_targetILNS1_3genE9ELNS1_11target_archE1100ELNS1_3gpuE3ELNS1_3repE0EEENS1_30default_config_static_selectorELNS0_4arch9wavefront6targetE1EEEvT1_.kd
    .uniform_work_group_size: 1
    .uses_dynamic_stack: false
    .vgpr_count:     0
    .vgpr_spill_count: 0
    .wavefront_size: 64
  - .agpr_count:     0
    .args:
      - .offset:         0
        .size:           128
        .value_kind:     by_value
    .group_segment_fixed_size: 0
    .kernarg_segment_align: 8
    .kernarg_segment_size: 128
    .language:       OpenCL C
    .language_version:
      - 2
      - 0
    .max_flat_workgroup_size: 256
    .name:           _ZN7rocprim17ROCPRIM_400000_NS6detail17trampoline_kernelINS0_14default_configENS1_33run_length_encode_config_selectorIN3c104HalfEjNS0_4plusIjEEEEZZNS1_33reduce_by_key_impl_wrapped_configILNS1_25lookback_scan_determinismE0ES3_S9_PKS6_NS0_17constant_iteratorIjlEEPS6_PlSH_S8_NS0_8equal_toIS6_EEEE10hipError_tPvRmT2_T3_mT4_T5_T6_T7_T8_P12ihipStream_tbENKUlT_T0_E_clISt17integral_constantIbLb1EES10_IbLb0EEEEDaSW_SX_EUlSW_E_NS1_11comp_targetILNS1_3genE8ELNS1_11target_archE1030ELNS1_3gpuE2ELNS1_3repE0EEENS1_30default_config_static_selectorELNS0_4arch9wavefront6targetE1EEEvT1_
    .private_segment_fixed_size: 0
    .sgpr_count:     6
    .sgpr_spill_count: 0
    .symbol:         _ZN7rocprim17ROCPRIM_400000_NS6detail17trampoline_kernelINS0_14default_configENS1_33run_length_encode_config_selectorIN3c104HalfEjNS0_4plusIjEEEEZZNS1_33reduce_by_key_impl_wrapped_configILNS1_25lookback_scan_determinismE0ES3_S9_PKS6_NS0_17constant_iteratorIjlEEPS6_PlSH_S8_NS0_8equal_toIS6_EEEE10hipError_tPvRmT2_T3_mT4_T5_T6_T7_T8_P12ihipStream_tbENKUlT_T0_E_clISt17integral_constantIbLb1EES10_IbLb0EEEEDaSW_SX_EUlSW_E_NS1_11comp_targetILNS1_3genE8ELNS1_11target_archE1030ELNS1_3gpuE2ELNS1_3repE0EEENS1_30default_config_static_selectorELNS0_4arch9wavefront6targetE1EEEvT1_.kd
    .uniform_work_group_size: 1
    .uses_dynamic_stack: false
    .vgpr_count:     0
    .vgpr_spill_count: 0
    .wavefront_size: 64
  - .agpr_count:     0
    .args:
      - .offset:         0
        .size:           128
        .value_kind:     by_value
    .group_segment_fixed_size: 0
    .kernarg_segment_align: 8
    .kernarg_segment_size: 128
    .language:       OpenCL C
    .language_version:
      - 2
      - 0
    .max_flat_workgroup_size: 256
    .name:           _ZN7rocprim17ROCPRIM_400000_NS6detail17trampoline_kernelINS0_14default_configENS1_33run_length_encode_config_selectorIN3c104HalfEjNS0_4plusIjEEEEZZNS1_33reduce_by_key_impl_wrapped_configILNS1_25lookback_scan_determinismE0ES3_S9_PKS6_NS0_17constant_iteratorIjlEEPS6_PlSH_S8_NS0_8equal_toIS6_EEEE10hipError_tPvRmT2_T3_mT4_T5_T6_T7_T8_P12ihipStream_tbENKUlT_T0_E_clISt17integral_constantIbLb0EES10_IbLb1EEEEDaSW_SX_EUlSW_E_NS1_11comp_targetILNS1_3genE0ELNS1_11target_archE4294967295ELNS1_3gpuE0ELNS1_3repE0EEENS1_30default_config_static_selectorELNS0_4arch9wavefront6targetE1EEEvT1_
    .private_segment_fixed_size: 0
    .sgpr_count:     6
    .sgpr_spill_count: 0
    .symbol:         _ZN7rocprim17ROCPRIM_400000_NS6detail17trampoline_kernelINS0_14default_configENS1_33run_length_encode_config_selectorIN3c104HalfEjNS0_4plusIjEEEEZZNS1_33reduce_by_key_impl_wrapped_configILNS1_25lookback_scan_determinismE0ES3_S9_PKS6_NS0_17constant_iteratorIjlEEPS6_PlSH_S8_NS0_8equal_toIS6_EEEE10hipError_tPvRmT2_T3_mT4_T5_T6_T7_T8_P12ihipStream_tbENKUlT_T0_E_clISt17integral_constantIbLb0EES10_IbLb1EEEEDaSW_SX_EUlSW_E_NS1_11comp_targetILNS1_3genE0ELNS1_11target_archE4294967295ELNS1_3gpuE0ELNS1_3repE0EEENS1_30default_config_static_selectorELNS0_4arch9wavefront6targetE1EEEvT1_.kd
    .uniform_work_group_size: 1
    .uses_dynamic_stack: false
    .vgpr_count:     0
    .vgpr_spill_count: 0
    .wavefront_size: 64
  - .agpr_count:     0
    .args:
      - .offset:         0
        .size:           128
        .value_kind:     by_value
    .group_segment_fixed_size: 15360
    .kernarg_segment_align: 8
    .kernarg_segment_size: 128
    .language:       OpenCL C
    .language_version:
      - 2
      - 0
    .max_flat_workgroup_size: 256
    .name:           _ZN7rocprim17ROCPRIM_400000_NS6detail17trampoline_kernelINS0_14default_configENS1_33run_length_encode_config_selectorIN3c104HalfEjNS0_4plusIjEEEEZZNS1_33reduce_by_key_impl_wrapped_configILNS1_25lookback_scan_determinismE0ES3_S9_PKS6_NS0_17constant_iteratorIjlEEPS6_PlSH_S8_NS0_8equal_toIS6_EEEE10hipError_tPvRmT2_T3_mT4_T5_T6_T7_T8_P12ihipStream_tbENKUlT_T0_E_clISt17integral_constantIbLb0EES10_IbLb1EEEEDaSW_SX_EUlSW_E_NS1_11comp_targetILNS1_3genE5ELNS1_11target_archE942ELNS1_3gpuE9ELNS1_3repE0EEENS1_30default_config_static_selectorELNS0_4arch9wavefront6targetE1EEEvT1_
    .private_segment_fixed_size: 0
    .sgpr_count:     72
    .sgpr_spill_count: 0
    .symbol:         _ZN7rocprim17ROCPRIM_400000_NS6detail17trampoline_kernelINS0_14default_configENS1_33run_length_encode_config_selectorIN3c104HalfEjNS0_4plusIjEEEEZZNS1_33reduce_by_key_impl_wrapped_configILNS1_25lookback_scan_determinismE0ES3_S9_PKS6_NS0_17constant_iteratorIjlEEPS6_PlSH_S8_NS0_8equal_toIS6_EEEE10hipError_tPvRmT2_T3_mT4_T5_T6_T7_T8_P12ihipStream_tbENKUlT_T0_E_clISt17integral_constantIbLb0EES10_IbLb1EEEEDaSW_SX_EUlSW_E_NS1_11comp_targetILNS1_3genE5ELNS1_11target_archE942ELNS1_3gpuE9ELNS1_3repE0EEENS1_30default_config_static_selectorELNS0_4arch9wavefront6targetE1EEEvT1_.kd
    .uniform_work_group_size: 1
    .uses_dynamic_stack: false
    .vgpr_count:     108
    .vgpr_spill_count: 0
    .wavefront_size: 64
  - .agpr_count:     0
    .args:
      - .offset:         0
        .size:           128
        .value_kind:     by_value
    .group_segment_fixed_size: 0
    .kernarg_segment_align: 8
    .kernarg_segment_size: 128
    .language:       OpenCL C
    .language_version:
      - 2
      - 0
    .max_flat_workgroup_size: 256
    .name:           _ZN7rocprim17ROCPRIM_400000_NS6detail17trampoline_kernelINS0_14default_configENS1_33run_length_encode_config_selectorIN3c104HalfEjNS0_4plusIjEEEEZZNS1_33reduce_by_key_impl_wrapped_configILNS1_25lookback_scan_determinismE0ES3_S9_PKS6_NS0_17constant_iteratorIjlEEPS6_PlSH_S8_NS0_8equal_toIS6_EEEE10hipError_tPvRmT2_T3_mT4_T5_T6_T7_T8_P12ihipStream_tbENKUlT_T0_E_clISt17integral_constantIbLb0EES10_IbLb1EEEEDaSW_SX_EUlSW_E_NS1_11comp_targetILNS1_3genE4ELNS1_11target_archE910ELNS1_3gpuE8ELNS1_3repE0EEENS1_30default_config_static_selectorELNS0_4arch9wavefront6targetE1EEEvT1_
    .private_segment_fixed_size: 0
    .sgpr_count:     6
    .sgpr_spill_count: 0
    .symbol:         _ZN7rocprim17ROCPRIM_400000_NS6detail17trampoline_kernelINS0_14default_configENS1_33run_length_encode_config_selectorIN3c104HalfEjNS0_4plusIjEEEEZZNS1_33reduce_by_key_impl_wrapped_configILNS1_25lookback_scan_determinismE0ES3_S9_PKS6_NS0_17constant_iteratorIjlEEPS6_PlSH_S8_NS0_8equal_toIS6_EEEE10hipError_tPvRmT2_T3_mT4_T5_T6_T7_T8_P12ihipStream_tbENKUlT_T0_E_clISt17integral_constantIbLb0EES10_IbLb1EEEEDaSW_SX_EUlSW_E_NS1_11comp_targetILNS1_3genE4ELNS1_11target_archE910ELNS1_3gpuE8ELNS1_3repE0EEENS1_30default_config_static_selectorELNS0_4arch9wavefront6targetE1EEEvT1_.kd
    .uniform_work_group_size: 1
    .uses_dynamic_stack: false
    .vgpr_count:     0
    .vgpr_spill_count: 0
    .wavefront_size: 64
  - .agpr_count:     0
    .args:
      - .offset:         0
        .size:           128
        .value_kind:     by_value
    .group_segment_fixed_size: 0
    .kernarg_segment_align: 8
    .kernarg_segment_size: 128
    .language:       OpenCL C
    .language_version:
      - 2
      - 0
    .max_flat_workgroup_size: 256
    .name:           _ZN7rocprim17ROCPRIM_400000_NS6detail17trampoline_kernelINS0_14default_configENS1_33run_length_encode_config_selectorIN3c104HalfEjNS0_4plusIjEEEEZZNS1_33reduce_by_key_impl_wrapped_configILNS1_25lookback_scan_determinismE0ES3_S9_PKS6_NS0_17constant_iteratorIjlEEPS6_PlSH_S8_NS0_8equal_toIS6_EEEE10hipError_tPvRmT2_T3_mT4_T5_T6_T7_T8_P12ihipStream_tbENKUlT_T0_E_clISt17integral_constantIbLb0EES10_IbLb1EEEEDaSW_SX_EUlSW_E_NS1_11comp_targetILNS1_3genE3ELNS1_11target_archE908ELNS1_3gpuE7ELNS1_3repE0EEENS1_30default_config_static_selectorELNS0_4arch9wavefront6targetE1EEEvT1_
    .private_segment_fixed_size: 0
    .sgpr_count:     6
    .sgpr_spill_count: 0
    .symbol:         _ZN7rocprim17ROCPRIM_400000_NS6detail17trampoline_kernelINS0_14default_configENS1_33run_length_encode_config_selectorIN3c104HalfEjNS0_4plusIjEEEEZZNS1_33reduce_by_key_impl_wrapped_configILNS1_25lookback_scan_determinismE0ES3_S9_PKS6_NS0_17constant_iteratorIjlEEPS6_PlSH_S8_NS0_8equal_toIS6_EEEE10hipError_tPvRmT2_T3_mT4_T5_T6_T7_T8_P12ihipStream_tbENKUlT_T0_E_clISt17integral_constantIbLb0EES10_IbLb1EEEEDaSW_SX_EUlSW_E_NS1_11comp_targetILNS1_3genE3ELNS1_11target_archE908ELNS1_3gpuE7ELNS1_3repE0EEENS1_30default_config_static_selectorELNS0_4arch9wavefront6targetE1EEEvT1_.kd
    .uniform_work_group_size: 1
    .uses_dynamic_stack: false
    .vgpr_count:     0
    .vgpr_spill_count: 0
    .wavefront_size: 64
  - .agpr_count:     0
    .args:
      - .offset:         0
        .size:           128
        .value_kind:     by_value
    .group_segment_fixed_size: 0
    .kernarg_segment_align: 8
    .kernarg_segment_size: 128
    .language:       OpenCL C
    .language_version:
      - 2
      - 0
    .max_flat_workgroup_size: 256
    .name:           _ZN7rocprim17ROCPRIM_400000_NS6detail17trampoline_kernelINS0_14default_configENS1_33run_length_encode_config_selectorIN3c104HalfEjNS0_4plusIjEEEEZZNS1_33reduce_by_key_impl_wrapped_configILNS1_25lookback_scan_determinismE0ES3_S9_PKS6_NS0_17constant_iteratorIjlEEPS6_PlSH_S8_NS0_8equal_toIS6_EEEE10hipError_tPvRmT2_T3_mT4_T5_T6_T7_T8_P12ihipStream_tbENKUlT_T0_E_clISt17integral_constantIbLb0EES10_IbLb1EEEEDaSW_SX_EUlSW_E_NS1_11comp_targetILNS1_3genE2ELNS1_11target_archE906ELNS1_3gpuE6ELNS1_3repE0EEENS1_30default_config_static_selectorELNS0_4arch9wavefront6targetE1EEEvT1_
    .private_segment_fixed_size: 0
    .sgpr_count:     6
    .sgpr_spill_count: 0
    .symbol:         _ZN7rocprim17ROCPRIM_400000_NS6detail17trampoline_kernelINS0_14default_configENS1_33run_length_encode_config_selectorIN3c104HalfEjNS0_4plusIjEEEEZZNS1_33reduce_by_key_impl_wrapped_configILNS1_25lookback_scan_determinismE0ES3_S9_PKS6_NS0_17constant_iteratorIjlEEPS6_PlSH_S8_NS0_8equal_toIS6_EEEE10hipError_tPvRmT2_T3_mT4_T5_T6_T7_T8_P12ihipStream_tbENKUlT_T0_E_clISt17integral_constantIbLb0EES10_IbLb1EEEEDaSW_SX_EUlSW_E_NS1_11comp_targetILNS1_3genE2ELNS1_11target_archE906ELNS1_3gpuE6ELNS1_3repE0EEENS1_30default_config_static_selectorELNS0_4arch9wavefront6targetE1EEEvT1_.kd
    .uniform_work_group_size: 1
    .uses_dynamic_stack: false
    .vgpr_count:     0
    .vgpr_spill_count: 0
    .wavefront_size: 64
  - .agpr_count:     0
    .args:
      - .offset:         0
        .size:           128
        .value_kind:     by_value
    .group_segment_fixed_size: 0
    .kernarg_segment_align: 8
    .kernarg_segment_size: 128
    .language:       OpenCL C
    .language_version:
      - 2
      - 0
    .max_flat_workgroup_size: 256
    .name:           _ZN7rocprim17ROCPRIM_400000_NS6detail17trampoline_kernelINS0_14default_configENS1_33run_length_encode_config_selectorIN3c104HalfEjNS0_4plusIjEEEEZZNS1_33reduce_by_key_impl_wrapped_configILNS1_25lookback_scan_determinismE0ES3_S9_PKS6_NS0_17constant_iteratorIjlEEPS6_PlSH_S8_NS0_8equal_toIS6_EEEE10hipError_tPvRmT2_T3_mT4_T5_T6_T7_T8_P12ihipStream_tbENKUlT_T0_E_clISt17integral_constantIbLb0EES10_IbLb1EEEEDaSW_SX_EUlSW_E_NS1_11comp_targetILNS1_3genE10ELNS1_11target_archE1201ELNS1_3gpuE5ELNS1_3repE0EEENS1_30default_config_static_selectorELNS0_4arch9wavefront6targetE1EEEvT1_
    .private_segment_fixed_size: 0
    .sgpr_count:     6
    .sgpr_spill_count: 0
    .symbol:         _ZN7rocprim17ROCPRIM_400000_NS6detail17trampoline_kernelINS0_14default_configENS1_33run_length_encode_config_selectorIN3c104HalfEjNS0_4plusIjEEEEZZNS1_33reduce_by_key_impl_wrapped_configILNS1_25lookback_scan_determinismE0ES3_S9_PKS6_NS0_17constant_iteratorIjlEEPS6_PlSH_S8_NS0_8equal_toIS6_EEEE10hipError_tPvRmT2_T3_mT4_T5_T6_T7_T8_P12ihipStream_tbENKUlT_T0_E_clISt17integral_constantIbLb0EES10_IbLb1EEEEDaSW_SX_EUlSW_E_NS1_11comp_targetILNS1_3genE10ELNS1_11target_archE1201ELNS1_3gpuE5ELNS1_3repE0EEENS1_30default_config_static_selectorELNS0_4arch9wavefront6targetE1EEEvT1_.kd
    .uniform_work_group_size: 1
    .uses_dynamic_stack: false
    .vgpr_count:     0
    .vgpr_spill_count: 0
    .wavefront_size: 64
  - .agpr_count:     0
    .args:
      - .offset:         0
        .size:           128
        .value_kind:     by_value
    .group_segment_fixed_size: 0
    .kernarg_segment_align: 8
    .kernarg_segment_size: 128
    .language:       OpenCL C
    .language_version:
      - 2
      - 0
    .max_flat_workgroup_size: 256
    .name:           _ZN7rocprim17ROCPRIM_400000_NS6detail17trampoline_kernelINS0_14default_configENS1_33run_length_encode_config_selectorIN3c104HalfEjNS0_4plusIjEEEEZZNS1_33reduce_by_key_impl_wrapped_configILNS1_25lookback_scan_determinismE0ES3_S9_PKS6_NS0_17constant_iteratorIjlEEPS6_PlSH_S8_NS0_8equal_toIS6_EEEE10hipError_tPvRmT2_T3_mT4_T5_T6_T7_T8_P12ihipStream_tbENKUlT_T0_E_clISt17integral_constantIbLb0EES10_IbLb1EEEEDaSW_SX_EUlSW_E_NS1_11comp_targetILNS1_3genE10ELNS1_11target_archE1200ELNS1_3gpuE4ELNS1_3repE0EEENS1_30default_config_static_selectorELNS0_4arch9wavefront6targetE1EEEvT1_
    .private_segment_fixed_size: 0
    .sgpr_count:     6
    .sgpr_spill_count: 0
    .symbol:         _ZN7rocprim17ROCPRIM_400000_NS6detail17trampoline_kernelINS0_14default_configENS1_33run_length_encode_config_selectorIN3c104HalfEjNS0_4plusIjEEEEZZNS1_33reduce_by_key_impl_wrapped_configILNS1_25lookback_scan_determinismE0ES3_S9_PKS6_NS0_17constant_iteratorIjlEEPS6_PlSH_S8_NS0_8equal_toIS6_EEEE10hipError_tPvRmT2_T3_mT4_T5_T6_T7_T8_P12ihipStream_tbENKUlT_T0_E_clISt17integral_constantIbLb0EES10_IbLb1EEEEDaSW_SX_EUlSW_E_NS1_11comp_targetILNS1_3genE10ELNS1_11target_archE1200ELNS1_3gpuE4ELNS1_3repE0EEENS1_30default_config_static_selectorELNS0_4arch9wavefront6targetE1EEEvT1_.kd
    .uniform_work_group_size: 1
    .uses_dynamic_stack: false
    .vgpr_count:     0
    .vgpr_spill_count: 0
    .wavefront_size: 64
  - .agpr_count:     0
    .args:
      - .offset:         0
        .size:           128
        .value_kind:     by_value
    .group_segment_fixed_size: 0
    .kernarg_segment_align: 8
    .kernarg_segment_size: 128
    .language:       OpenCL C
    .language_version:
      - 2
      - 0
    .max_flat_workgroup_size: 256
    .name:           _ZN7rocprim17ROCPRIM_400000_NS6detail17trampoline_kernelINS0_14default_configENS1_33run_length_encode_config_selectorIN3c104HalfEjNS0_4plusIjEEEEZZNS1_33reduce_by_key_impl_wrapped_configILNS1_25lookback_scan_determinismE0ES3_S9_PKS6_NS0_17constant_iteratorIjlEEPS6_PlSH_S8_NS0_8equal_toIS6_EEEE10hipError_tPvRmT2_T3_mT4_T5_T6_T7_T8_P12ihipStream_tbENKUlT_T0_E_clISt17integral_constantIbLb0EES10_IbLb1EEEEDaSW_SX_EUlSW_E_NS1_11comp_targetILNS1_3genE9ELNS1_11target_archE1100ELNS1_3gpuE3ELNS1_3repE0EEENS1_30default_config_static_selectorELNS0_4arch9wavefront6targetE1EEEvT1_
    .private_segment_fixed_size: 0
    .sgpr_count:     6
    .sgpr_spill_count: 0
    .symbol:         _ZN7rocprim17ROCPRIM_400000_NS6detail17trampoline_kernelINS0_14default_configENS1_33run_length_encode_config_selectorIN3c104HalfEjNS0_4plusIjEEEEZZNS1_33reduce_by_key_impl_wrapped_configILNS1_25lookback_scan_determinismE0ES3_S9_PKS6_NS0_17constant_iteratorIjlEEPS6_PlSH_S8_NS0_8equal_toIS6_EEEE10hipError_tPvRmT2_T3_mT4_T5_T6_T7_T8_P12ihipStream_tbENKUlT_T0_E_clISt17integral_constantIbLb0EES10_IbLb1EEEEDaSW_SX_EUlSW_E_NS1_11comp_targetILNS1_3genE9ELNS1_11target_archE1100ELNS1_3gpuE3ELNS1_3repE0EEENS1_30default_config_static_selectorELNS0_4arch9wavefront6targetE1EEEvT1_.kd
    .uniform_work_group_size: 1
    .uses_dynamic_stack: false
    .vgpr_count:     0
    .vgpr_spill_count: 0
    .wavefront_size: 64
  - .agpr_count:     0
    .args:
      - .offset:         0
        .size:           128
        .value_kind:     by_value
    .group_segment_fixed_size: 0
    .kernarg_segment_align: 8
    .kernarg_segment_size: 128
    .language:       OpenCL C
    .language_version:
      - 2
      - 0
    .max_flat_workgroup_size: 256
    .name:           _ZN7rocprim17ROCPRIM_400000_NS6detail17trampoline_kernelINS0_14default_configENS1_33run_length_encode_config_selectorIN3c104HalfEjNS0_4plusIjEEEEZZNS1_33reduce_by_key_impl_wrapped_configILNS1_25lookback_scan_determinismE0ES3_S9_PKS6_NS0_17constant_iteratorIjlEEPS6_PlSH_S8_NS0_8equal_toIS6_EEEE10hipError_tPvRmT2_T3_mT4_T5_T6_T7_T8_P12ihipStream_tbENKUlT_T0_E_clISt17integral_constantIbLb0EES10_IbLb1EEEEDaSW_SX_EUlSW_E_NS1_11comp_targetILNS1_3genE8ELNS1_11target_archE1030ELNS1_3gpuE2ELNS1_3repE0EEENS1_30default_config_static_selectorELNS0_4arch9wavefront6targetE1EEEvT1_
    .private_segment_fixed_size: 0
    .sgpr_count:     6
    .sgpr_spill_count: 0
    .symbol:         _ZN7rocprim17ROCPRIM_400000_NS6detail17trampoline_kernelINS0_14default_configENS1_33run_length_encode_config_selectorIN3c104HalfEjNS0_4plusIjEEEEZZNS1_33reduce_by_key_impl_wrapped_configILNS1_25lookback_scan_determinismE0ES3_S9_PKS6_NS0_17constant_iteratorIjlEEPS6_PlSH_S8_NS0_8equal_toIS6_EEEE10hipError_tPvRmT2_T3_mT4_T5_T6_T7_T8_P12ihipStream_tbENKUlT_T0_E_clISt17integral_constantIbLb0EES10_IbLb1EEEEDaSW_SX_EUlSW_E_NS1_11comp_targetILNS1_3genE8ELNS1_11target_archE1030ELNS1_3gpuE2ELNS1_3repE0EEENS1_30default_config_static_selectorELNS0_4arch9wavefront6targetE1EEEvT1_.kd
    .uniform_work_group_size: 1
    .uses_dynamic_stack: false
    .vgpr_count:     0
    .vgpr_spill_count: 0
    .wavefront_size: 64
amdhsa.target:   amdgcn-amd-amdhsa--gfx942
amdhsa.version:
  - 1
  - 2
...

	.end_amdgpu_metadata
